;; amdgpu-corpus repo=pytorch/pytorch kind=compiled arch=gfx1030 opt=O3
	.amdgcn_target "amdgcn-amd-amdhsa--gfx1030"
	.amdhsa_code_object_version 6
	.section	.text._ZN2at6native6mbtopk4fillIjjEEvPT_S3_T0_,"axG",@progbits,_ZN2at6native6mbtopk4fillIjjEEvPT_S3_T0_,comdat
	.protected	_ZN2at6native6mbtopk4fillIjjEEvPT_S3_T0_ ; -- Begin function _ZN2at6native6mbtopk4fillIjjEEvPT_S3_T0_
	.globl	_ZN2at6native6mbtopk4fillIjjEEvPT_S3_T0_
	.p2align	8
	.type	_ZN2at6native6mbtopk4fillIjjEEvPT_S3_T0_,@function
_ZN2at6native6mbtopk4fillIjjEEvPT_S3_T0_: ; @_ZN2at6native6mbtopk4fillIjjEEvPT_S3_T0_
; %bb.0:
	s_clause 0x1
	s_load_dword s7, s[4:5], 0x1c
	s_load_dwordx2 s[0:1], s[4:5], 0x8
	s_add_u32 s2, s4, 16
	s_addc_u32 s3, s5, 0
	s_waitcnt lgkmcnt(0)
	s_and_b32 s7, s7, 0xffff
	v_mad_u64_u32 v[0:1], null, s6, s7, v[0:1]
	s_mov_b32 s6, exec_lo
	v_cmpx_gt_u32_e64 s1, v0
	s_cbranch_execz .LBB0_3
; %bb.1:
	s_load_dword s6, s[2:3], 0x0
	s_load_dwordx2 s[2:3], s[4:5], 0x0
	v_mov_b32_e32 v1, 0
	v_mov_b32_e32 v2, s0
	s_mov_b32 s5, 0
	s_waitcnt lgkmcnt(0)
	s_mul_i32 s4, s6, s7
.LBB0_2:                                ; =>This Inner Loop Header: Depth=1
	v_lshlrev_b64 v[3:4], 2, v[0:1]
	v_add_nc_u32_e32 v0, s4, v0
	v_cmp_le_u32_e32 vcc_lo, s1, v0
	v_add_co_u32 v3, s0, s2, v3
	v_add_co_ci_u32_e64 v4, null, s3, v4, s0
	s_or_b32 s5, vcc_lo, s5
	global_store_dword v[3:4], v2, off
	s_andn2_b32 exec_lo, exec_lo, s5
	s_cbranch_execnz .LBB0_2
.LBB0_3:
	s_endpgm
	.section	.rodata,"a",@progbits
	.p2align	6, 0x0
	.amdhsa_kernel _ZN2at6native6mbtopk4fillIjjEEvPT_S3_T0_
		.amdhsa_group_segment_fixed_size 0
		.amdhsa_private_segment_fixed_size 0
		.amdhsa_kernarg_size 272
		.amdhsa_user_sgpr_count 6
		.amdhsa_user_sgpr_private_segment_buffer 1
		.amdhsa_user_sgpr_dispatch_ptr 0
		.amdhsa_user_sgpr_queue_ptr 0
		.amdhsa_user_sgpr_kernarg_segment_ptr 1
		.amdhsa_user_sgpr_dispatch_id 0
		.amdhsa_user_sgpr_flat_scratch_init 0
		.amdhsa_user_sgpr_private_segment_size 0
		.amdhsa_wavefront_size32 1
		.amdhsa_uses_dynamic_stack 0
		.amdhsa_system_sgpr_private_segment_wavefront_offset 0
		.amdhsa_system_sgpr_workgroup_id_x 1
		.amdhsa_system_sgpr_workgroup_id_y 0
		.amdhsa_system_sgpr_workgroup_id_z 0
		.amdhsa_system_sgpr_workgroup_info 0
		.amdhsa_system_vgpr_workitem_id 0
		.amdhsa_next_free_vgpr 5
		.amdhsa_next_free_sgpr 8
		.amdhsa_reserve_vcc 1
		.amdhsa_reserve_flat_scratch 0
		.amdhsa_float_round_mode_32 0
		.amdhsa_float_round_mode_16_64 0
		.amdhsa_float_denorm_mode_32 3
		.amdhsa_float_denorm_mode_16_64 3
		.amdhsa_dx10_clamp 1
		.amdhsa_ieee_mode 1
		.amdhsa_fp16_overflow 0
		.amdhsa_workgroup_processor_mode 1
		.amdhsa_memory_ordered 1
		.amdhsa_forward_progress 1
		.amdhsa_shared_vgpr_count 0
		.amdhsa_exception_fp_ieee_invalid_op 0
		.amdhsa_exception_fp_denorm_src 0
		.amdhsa_exception_fp_ieee_div_zero 0
		.amdhsa_exception_fp_ieee_overflow 0
		.amdhsa_exception_fp_ieee_underflow 0
		.amdhsa_exception_fp_ieee_inexact 0
		.amdhsa_exception_int_div_zero 0
	.end_amdhsa_kernel
	.section	.text._ZN2at6native6mbtopk4fillIjjEEvPT_S3_T0_,"axG",@progbits,_ZN2at6native6mbtopk4fillIjjEEvPT_S3_T0_,comdat
.Lfunc_end0:
	.size	_ZN2at6native6mbtopk4fillIjjEEvPT_S3_T0_, .Lfunc_end0-_ZN2at6native6mbtopk4fillIjjEEvPT_S3_T0_
                                        ; -- End function
	.set _ZN2at6native6mbtopk4fillIjjEEvPT_S3_T0_.num_vgpr, 5
	.set _ZN2at6native6mbtopk4fillIjjEEvPT_S3_T0_.num_agpr, 0
	.set _ZN2at6native6mbtopk4fillIjjEEvPT_S3_T0_.numbered_sgpr, 8
	.set _ZN2at6native6mbtopk4fillIjjEEvPT_S3_T0_.num_named_barrier, 0
	.set _ZN2at6native6mbtopk4fillIjjEEvPT_S3_T0_.private_seg_size, 0
	.set _ZN2at6native6mbtopk4fillIjjEEvPT_S3_T0_.uses_vcc, 1
	.set _ZN2at6native6mbtopk4fillIjjEEvPT_S3_T0_.uses_flat_scratch, 0
	.set _ZN2at6native6mbtopk4fillIjjEEvPT_S3_T0_.has_dyn_sized_stack, 0
	.set _ZN2at6native6mbtopk4fillIjjEEvPT_S3_T0_.has_recursion, 0
	.set _ZN2at6native6mbtopk4fillIjjEEvPT_S3_T0_.has_indirect_call, 0
	.section	.AMDGPU.csdata,"",@progbits
; Kernel info:
; codeLenInByte = 156
; TotalNumSgprs: 10
; NumVgprs: 5
; ScratchSize: 0
; MemoryBound: 0
; FloatMode: 240
; IeeeMode: 1
; LDSByteSize: 0 bytes/workgroup (compile time only)
; SGPRBlocks: 0
; VGPRBlocks: 0
; NumSGPRsForWavesPerEU: 10
; NumVGPRsForWavesPerEU: 5
; Occupancy: 16
; WaveLimiterHint : 0
; COMPUTE_PGM_RSRC2:SCRATCH_EN: 0
; COMPUTE_PGM_RSRC2:USER_SGPR: 6
; COMPUTE_PGM_RSRC2:TRAP_HANDLER: 0
; COMPUTE_PGM_RSRC2:TGID_X_EN: 1
; COMPUTE_PGM_RSRC2:TGID_Y_EN: 0
; COMPUTE_PGM_RSRC2:TGID_Z_EN: 0
; COMPUTE_PGM_RSRC2:TIDIG_COMP_CNT: 0
	.section	.text._ZN2at6native6mbtopk23computeBlockDigitCountsIhjjLi1EEEvNS_4cuda6detail10TensorInfoIKT_T0_EEjPjjS8_iijT1_PSB_Ps,"axG",@progbits,_ZN2at6native6mbtopk23computeBlockDigitCountsIhjjLi1EEEvNS_4cuda6detail10TensorInfoIKT_T0_EEjPjjS8_iijT1_PSB_Ps,comdat
	.protected	_ZN2at6native6mbtopk23computeBlockDigitCountsIhjjLi1EEEvNS_4cuda6detail10TensorInfoIKT_T0_EEjPjjS8_iijT1_PSB_Ps ; -- Begin function _ZN2at6native6mbtopk23computeBlockDigitCountsIhjjLi1EEEvNS_4cuda6detail10TensorInfoIKT_T0_EEjPjjS8_iijT1_PSB_Ps
	.globl	_ZN2at6native6mbtopk23computeBlockDigitCountsIhjjLi1EEEvNS_4cuda6detail10TensorInfoIKT_T0_EEjPjjS8_iijT1_PSB_Ps
	.p2align	8
	.type	_ZN2at6native6mbtopk23computeBlockDigitCountsIhjjLi1EEEvNS_4cuda6detail10TensorInfoIKT_T0_EEjPjjS8_iijT1_PSB_Ps,@function
_ZN2at6native6mbtopk23computeBlockDigitCountsIhjjLi1EEEvNS_4cuda6detail10TensorInfoIKT_T0_EEjPjjS8_iijT1_PSB_Ps: ; @_ZN2at6native6mbtopk23computeBlockDigitCountsIhjjLi1EEEvNS_4cuda6detail10TensorInfoIKT_T0_EEjPjjS8_iijT1_PSB_Ps
; %bb.0:
	s_clause 0x2
	s_load_dwordx2 s[10:11], s[4:5], 0xf8
	s_load_dwordx4 s[12:15], s[4:5], 0xe8
	s_load_dwordx2 s[0:1], s[4:5], 0x110
	s_waitcnt lgkmcnt(0)
	v_cvt_f32_u32_e32 v1, s10
	s_sub_i32 s3, 0, s10
	s_mul_i32 s1, s1, s8
	s_add_i32 s1, s1, s7
	v_rcp_iflag_f32_e32 v1, v1
	s_mul_i32 s8, s1, s0
	s_mov_b32 s7, 0
	s_add_i32 s8, s8, s6
	v_mul_f32_e32 v1, 0x4f7ffffe, v1
	v_cvt_u32_f32_e32 v1, v1
	v_readfirstlane_b32 s2, v1
	s_mul_i32 s3, s3, s2
	s_mul_hi_u32 s0, s2, s3
	s_add_i32 s2, s2, s0
	s_mul_hi_u32 s0, s8, s2
	s_mul_i32 s1, s0, s10
	s_add_i32 s2, s0, 1
	s_sub_i32 s1, s8, s1
	s_sub_i32 s3, s1, s10
	s_cmp_ge_u32 s1, s10
	s_cselect_b32 s0, s2, s0
	s_cselect_b32 s1, s3, s1
	s_add_i32 s2, s0, 1
	s_cmp_ge_u32 s1, s10
	s_cselect_b32 s6, s2, s0
	s_cmp_ge_u32 s6, s12
	s_cbranch_scc1 .LBB1_27
; %bb.1:
	s_load_dwordx4 s[0:3], s[4:5], 0x100
	s_lshl_b64 s[16:17], s[6:7], 2
	v_cmp_gt_u32_e32 vcc_lo, 0x100, v0
	v_lshlrev_b32_e32 v1, 2, v0
	s_waitcnt lgkmcnt(0)
	s_add_u32 s0, s0, s16
	s_addc_u32 s1, s1, s17
	s_and_saveexec_b32 s7, vcc_lo
; %bb.2:
	v_mov_b32_e32 v2, 0
	ds_write_b32 v1, v2
; %bb.3:
	s_or_b32 exec_lo, exec_lo, s7
	s_load_dword s7, s[4:5], 0xd8
	s_mul_i32 s9, s6, s10
	s_waitcnt lgkmcnt(0)
	s_sub_i32 s12, s8, s9
	s_barrier
	s_mul_i32 s9, s15, s12
	s_add_i32 s12, s12, 1
	s_lshl_b32 s9, s9, 8
	buffer_gl0_inv
	s_sub_i32 s16, s7, s9
	s_add_u32 s16, s16, 0xff
	s_addc_u32 s17, 0, 0
	s_lshr_b64 s[16:17], s[16:17], 8
	s_cmp_lt_u32 s12, s10
	s_mov_b32 s12, 0
	s_cselect_b32 s10, s15, s16
	s_cmp_lt_i32 s10, 1
	s_cbranch_scc1 .LBB1_25
; %bb.4:
	s_clause 0x1
	s_load_dword s15, s[4:5], 0x6c
	s_load_dwordx2 s[4:5], s[4:5], 0x0
	s_load_dword s1, s[0:1], 0x0
	s_waitcnt lgkmcnt(0)
	s_mul_i32 s15, s15, s6
	s_add_u32 s4, s4, s15
	s_addc_u32 s5, s5, 0
	s_and_b32 s6, s14, 0xff
	s_cmp_lt_u32 s10, 4
	s_cbranch_scc1 .LBB1_19
; %bb.5:
	v_add_nc_u32_e32 v6, s9, v0
	v_mov_b32_e32 v7, 1
	s_and_b32 s12, s10, 0x7ffffffc
	s_lshl_b32 s14, s13, 10
	s_mov_b32 s15, 0
	v_add_nc_u32_e32 v2, 0x300, v6
	v_add_nc_u32_e32 v4, 0x200, v6
	;; [unrolled: 1-line block ×3, first 2 shown]
	v_mul_lo_u32 v6, s13, v6
	s_mov_b32 s16, 0
	v_mul_lo_u32 v3, s13, v2
	v_mul_lo_u32 v4, s13, v4
	;; [unrolled: 1-line block ×3, first 2 shown]
	s_branch .LBB1_7
.LBB1_6:                                ;   in Loop: Header=BB1_7 Depth=1
	s_or_b32 exec_lo, exec_lo, s17
	v_add_nc_u32_e32 v2, 0x400, v2
	s_add_i32 s16, s16, 4
	s_add_i32 s15, s15, s14
	s_cmp_eq_u32 s12, s16
	s_cbranch_scc1 .LBB1_19
.LBB1_7:                                ; =>This Inner Loop Header: Depth=1
	v_add_nc_u32_e32 v8, 0xfffffd00, v2
	s_mov_b32 s17, exec_lo
	v_cmpx_gt_u32_e64 s7, v8
	s_cbranch_execz .LBB1_10
; %bb.8:                                ;   in Loop: Header=BB1_7 Depth=1
	v_add_nc_u32_e32 v8, s15, v6
	global_load_ubyte v8, v8, s[4:5]
	s_waitcnt vmcnt(0)
	v_xor_b32_e32 v9, s1, v8
	v_and_b32_e32 v9, s11, v9
	v_cmp_eq_u32_e64 s0, 0, v9
	s_and_b32 exec_lo, exec_lo, s0
; %bb.9:                                ;   in Loop: Header=BB1_7 Depth=1
	v_lshrrev_b32_e32 v8, s6, v8
	v_lshlrev_b32_e32 v8, 2, v8
	ds_add_u32 v8, v7
.LBB1_10:                               ;   in Loop: Header=BB1_7 Depth=1
	s_or_b32 exec_lo, exec_lo, s17
	v_add_nc_u32_e32 v8, 0xfffffe00, v2
	s_mov_b32 s17, exec_lo
	v_cmpx_gt_u32_e64 s7, v8
	s_cbranch_execz .LBB1_13
; %bb.11:                               ;   in Loop: Header=BB1_7 Depth=1
	v_add_nc_u32_e32 v8, s15, v5
	global_load_ubyte v8, v8, s[4:5]
	s_waitcnt vmcnt(0)
	v_xor_b32_e32 v9, s1, v8
	v_and_b32_e32 v9, s11, v9
	v_cmp_eq_u32_e64 s0, 0, v9
	s_and_b32 exec_lo, exec_lo, s0
; %bb.12:                               ;   in Loop: Header=BB1_7 Depth=1
	v_lshrrev_b32_e32 v8, s6, v8
	v_lshlrev_b32_e32 v8, 2, v8
	ds_add_u32 v8, v7
.LBB1_13:                               ;   in Loop: Header=BB1_7 Depth=1
	s_or_b32 exec_lo, exec_lo, s17
	v_add_nc_u32_e32 v8, 0xffffff00, v2
	s_mov_b32 s17, exec_lo
	v_cmpx_gt_u32_e64 s7, v8
	s_cbranch_execz .LBB1_16
; %bb.14:                               ;   in Loop: Header=BB1_7 Depth=1
	v_add_nc_u32_e32 v8, s15, v4
	global_load_ubyte v8, v8, s[4:5]
	s_waitcnt vmcnt(0)
	v_xor_b32_e32 v9, s1, v8
	v_and_b32_e32 v9, s11, v9
	v_cmp_eq_u32_e64 s0, 0, v9
	s_and_b32 exec_lo, exec_lo, s0
; %bb.15:                               ;   in Loop: Header=BB1_7 Depth=1
	v_lshrrev_b32_e32 v8, s6, v8
	v_lshlrev_b32_e32 v8, 2, v8
	ds_add_u32 v8, v7
.LBB1_16:                               ;   in Loop: Header=BB1_7 Depth=1
	s_or_b32 exec_lo, exec_lo, s17
	s_mov_b32 s17, exec_lo
	v_cmpx_gt_u32_e64 s7, v2
	s_cbranch_execz .LBB1_6
; %bb.17:                               ;   in Loop: Header=BB1_7 Depth=1
	v_add_nc_u32_e32 v8, s15, v3
	global_load_ubyte v8, v8, s[4:5]
	s_waitcnt vmcnt(0)
	v_xor_b32_e32 v9, s1, v8
	v_and_b32_e32 v9, s11, v9
	v_cmp_eq_u32_e64 s0, 0, v9
	s_and_b32 exec_lo, exec_lo, s0
	s_cbranch_execz .LBB1_6
; %bb.18:                               ;   in Loop: Header=BB1_7 Depth=1
	v_lshrrev_b32_e32 v8, s6, v8
	v_lshlrev_b32_e32 v8, 2, v8
	ds_add_u32 v8, v7
	s_branch .LBB1_6
.LBB1_19:
	s_and_b32 s10, s10, 3
	s_cmp_eq_u32 s10, 0
	s_cbranch_scc1 .LBB1_25
; %bb.20:
	s_lshl_b32 s0, s12, 8
	v_mov_b32_e32 v4, 1
	v_add3_u32 v2, s0, s9, v0
	s_lshl_b32 s9, s13, 8
	v_mul_lo_u32 v3, s13, v2
	s_branch .LBB1_22
	.p2align	6
.LBB1_21:                               ;   in Loop: Header=BB1_22 Depth=1
	s_or_b32 exec_lo, exec_lo, s12
	v_add_nc_u32_e32 v3, s9, v3
	v_add_nc_u32_e32 v2, 0x100, v2
	s_add_i32 s10, s10, -1
	s_cmp_lg_u32 s10, 0
	s_cbranch_scc0 .LBB1_25
.LBB1_22:                               ; =>This Inner Loop Header: Depth=1
	s_mov_b32 s12, exec_lo
	v_cmpx_gt_u32_e64 s7, v2
	s_cbranch_execz .LBB1_21
; %bb.23:                               ;   in Loop: Header=BB1_22 Depth=1
	global_load_ubyte v5, v3, s[4:5]
	s_waitcnt vmcnt(0)
	v_xor_b32_e32 v6, s1, v5
	v_and_b32_e32 v6, s11, v6
	v_cmp_eq_u32_e64 s0, 0, v6
	s_and_b32 exec_lo, exec_lo, s0
	s_cbranch_execz .LBB1_21
; %bb.24:                               ;   in Loop: Header=BB1_22 Depth=1
	v_lshrrev_b32_e32 v5, s6, v5
	v_lshlrev_b32_e32 v5, 2, v5
	ds_add_u32 v5, v4
	s_branch .LBB1_21
.LBB1_25:
	s_waitcnt lgkmcnt(0)
	s_barrier
	buffer_gl0_inv
	s_and_saveexec_b32 s0, vcc_lo
	s_cbranch_execz .LBB1_27
; %bb.26:
	ds_read_b32 v2, v1
	v_lshl_or_b32 v0, s8, 8, v0
	v_mov_b32_e32 v1, 0
	v_lshlrev_b64 v[0:1], 1, v[0:1]
	v_add_co_u32 v0, vcc_lo, s2, v0
	v_add_co_ci_u32_e64 v1, null, s3, v1, vcc_lo
	s_waitcnt lgkmcnt(0)
	global_store_short v[0:1], v2, off
.LBB1_27:
	s_endpgm
	.section	.rodata,"a",@progbits
	.p2align	6, 0x0
	.amdhsa_kernel _ZN2at6native6mbtopk23computeBlockDigitCountsIhjjLi1EEEvNS_4cuda6detail10TensorInfoIKT_T0_EEjPjjS8_iijT1_PSB_Ps
		.amdhsa_group_segment_fixed_size 1024
		.amdhsa_private_segment_fixed_size 0
		.amdhsa_kernarg_size 528
		.amdhsa_user_sgpr_count 6
		.amdhsa_user_sgpr_private_segment_buffer 1
		.amdhsa_user_sgpr_dispatch_ptr 0
		.amdhsa_user_sgpr_queue_ptr 0
		.amdhsa_user_sgpr_kernarg_segment_ptr 1
		.amdhsa_user_sgpr_dispatch_id 0
		.amdhsa_user_sgpr_flat_scratch_init 0
		.amdhsa_user_sgpr_private_segment_size 0
		.amdhsa_wavefront_size32 1
		.amdhsa_uses_dynamic_stack 0
		.amdhsa_system_sgpr_private_segment_wavefront_offset 0
		.amdhsa_system_sgpr_workgroup_id_x 1
		.amdhsa_system_sgpr_workgroup_id_y 1
		.amdhsa_system_sgpr_workgroup_id_z 1
		.amdhsa_system_sgpr_workgroup_info 0
		.amdhsa_system_vgpr_workitem_id 0
		.amdhsa_next_free_vgpr 10
		.amdhsa_next_free_sgpr 18
		.amdhsa_reserve_vcc 1
		.amdhsa_reserve_flat_scratch 0
		.amdhsa_float_round_mode_32 0
		.amdhsa_float_round_mode_16_64 0
		.amdhsa_float_denorm_mode_32 3
		.amdhsa_float_denorm_mode_16_64 3
		.amdhsa_dx10_clamp 1
		.amdhsa_ieee_mode 1
		.amdhsa_fp16_overflow 0
		.amdhsa_workgroup_processor_mode 1
		.amdhsa_memory_ordered 1
		.amdhsa_forward_progress 1
		.amdhsa_shared_vgpr_count 0
		.amdhsa_exception_fp_ieee_invalid_op 0
		.amdhsa_exception_fp_denorm_src 0
		.amdhsa_exception_fp_ieee_div_zero 0
		.amdhsa_exception_fp_ieee_overflow 0
		.amdhsa_exception_fp_ieee_underflow 0
		.amdhsa_exception_fp_ieee_inexact 0
		.amdhsa_exception_int_div_zero 0
	.end_amdhsa_kernel
	.section	.text._ZN2at6native6mbtopk23computeBlockDigitCountsIhjjLi1EEEvNS_4cuda6detail10TensorInfoIKT_T0_EEjPjjS8_iijT1_PSB_Ps,"axG",@progbits,_ZN2at6native6mbtopk23computeBlockDigitCountsIhjjLi1EEEvNS_4cuda6detail10TensorInfoIKT_T0_EEjPjjS8_iijT1_PSB_Ps,comdat
.Lfunc_end1:
	.size	_ZN2at6native6mbtopk23computeBlockDigitCountsIhjjLi1EEEvNS_4cuda6detail10TensorInfoIKT_T0_EEjPjjS8_iijT1_PSB_Ps, .Lfunc_end1-_ZN2at6native6mbtopk23computeBlockDigitCountsIhjjLi1EEEvNS_4cuda6detail10TensorInfoIKT_T0_EEjPjjS8_iijT1_PSB_Ps
                                        ; -- End function
	.set _ZN2at6native6mbtopk23computeBlockDigitCountsIhjjLi1EEEvNS_4cuda6detail10TensorInfoIKT_T0_EEjPjjS8_iijT1_PSB_Ps.num_vgpr, 10
	.set _ZN2at6native6mbtopk23computeBlockDigitCountsIhjjLi1EEEvNS_4cuda6detail10TensorInfoIKT_T0_EEjPjjS8_iijT1_PSB_Ps.num_agpr, 0
	.set _ZN2at6native6mbtopk23computeBlockDigitCountsIhjjLi1EEEvNS_4cuda6detail10TensorInfoIKT_T0_EEjPjjS8_iijT1_PSB_Ps.numbered_sgpr, 18
	.set _ZN2at6native6mbtopk23computeBlockDigitCountsIhjjLi1EEEvNS_4cuda6detail10TensorInfoIKT_T0_EEjPjjS8_iijT1_PSB_Ps.num_named_barrier, 0
	.set _ZN2at6native6mbtopk23computeBlockDigitCountsIhjjLi1EEEvNS_4cuda6detail10TensorInfoIKT_T0_EEjPjjS8_iijT1_PSB_Ps.private_seg_size, 0
	.set _ZN2at6native6mbtopk23computeBlockDigitCountsIhjjLi1EEEvNS_4cuda6detail10TensorInfoIKT_T0_EEjPjjS8_iijT1_PSB_Ps.uses_vcc, 1
	.set _ZN2at6native6mbtopk23computeBlockDigitCountsIhjjLi1EEEvNS_4cuda6detail10TensorInfoIKT_T0_EEjPjjS8_iijT1_PSB_Ps.uses_flat_scratch, 0
	.set _ZN2at6native6mbtopk23computeBlockDigitCountsIhjjLi1EEEvNS_4cuda6detail10TensorInfoIKT_T0_EEjPjjS8_iijT1_PSB_Ps.has_dyn_sized_stack, 0
	.set _ZN2at6native6mbtopk23computeBlockDigitCountsIhjjLi1EEEvNS_4cuda6detail10TensorInfoIKT_T0_EEjPjjS8_iijT1_PSB_Ps.has_recursion, 0
	.set _ZN2at6native6mbtopk23computeBlockDigitCountsIhjjLi1EEEvNS_4cuda6detail10TensorInfoIKT_T0_EEjPjjS8_iijT1_PSB_Ps.has_indirect_call, 0
	.section	.AMDGPU.csdata,"",@progbits
; Kernel info:
; codeLenInByte = 1016
; TotalNumSgprs: 20
; NumVgprs: 10
; ScratchSize: 0
; MemoryBound: 0
; FloatMode: 240
; IeeeMode: 1
; LDSByteSize: 1024 bytes/workgroup (compile time only)
; SGPRBlocks: 0
; VGPRBlocks: 1
; NumSGPRsForWavesPerEU: 20
; NumVGPRsForWavesPerEU: 10
; Occupancy: 16
; WaveLimiterHint : 1
; COMPUTE_PGM_RSRC2:SCRATCH_EN: 0
; COMPUTE_PGM_RSRC2:USER_SGPR: 6
; COMPUTE_PGM_RSRC2:TRAP_HANDLER: 0
; COMPUTE_PGM_RSRC2:TGID_X_EN: 1
; COMPUTE_PGM_RSRC2:TGID_Y_EN: 1
; COMPUTE_PGM_RSRC2:TGID_Z_EN: 1
; COMPUTE_PGM_RSRC2:TIDIG_COMP_CNT: 0
	.section	.text._ZN2at6native6mbtopk29computeBlockwiseWithinKCountsIjhEEvPT_PsPjjibS6_PT0_S6_S4_S6_j,"axG",@progbits,_ZN2at6native6mbtopk29computeBlockwiseWithinKCountsIjhEEvPT_PsPjjibS6_PT0_S6_S4_S6_j,comdat
	.protected	_ZN2at6native6mbtopk29computeBlockwiseWithinKCountsIjhEEvPT_PsPjjibS6_PT0_S6_S4_S6_j ; -- Begin function _ZN2at6native6mbtopk29computeBlockwiseWithinKCountsIjhEEvPT_PsPjjibS6_PT0_S6_S4_S6_j
	.globl	_ZN2at6native6mbtopk29computeBlockwiseWithinKCountsIjhEEvPT_PsPjjibS6_PT0_S6_S4_S6_j
	.p2align	8
	.type	_ZN2at6native6mbtopk29computeBlockwiseWithinKCountsIjhEEvPT_PsPjjibS6_PT0_S6_S4_S6_j,@function
_ZN2at6native6mbtopk29computeBlockwiseWithinKCountsIjhEEvPT_PsPjjibS6_PT0_S6_S4_S6_j: ; @_ZN2at6native6mbtopk29computeBlockwiseWithinKCountsIjhEEvPT_PsPjjibS6_PT0_S6_S4_S6_j
; %bb.0:
	s_clause 0x2
	s_load_dwordx4 s[16:19], s[4:5], 0x18
	s_load_dwordx2 s[0:1], s[4:5], 0x58
	s_load_dword s3, s[4:5], 0x50
	s_waitcnt lgkmcnt(0)
	v_cvt_f32_u32_e32 v1, s16
	s_mul_i32 s1, s1, s8
	s_add_i32 s1, s1, s7
	v_rcp_iflag_f32_e32 v1, v1
	s_mul_i32 s0, s1, s0
	s_add_i32 s2, s0, s6
	s_cmp_ge_u32 s2, s3
	v_mul_f32_e32 v1, 0x4f7ffffe, v1
	v_cvt_u32_f32_e32 v1, v1
	v_readfirstlane_b32 s0, v1
	s_cbranch_scc1 .LBB2_40
; %bb.1:
	s_sub_i32 s1, 0, s16
	v_cmp_gt_u32_e32 vcc_lo, 0x100, v0
	s_mul_i32 s1, s1, s0
	s_load_dwordx4 s[20:23], s[4:5], 0x0
	s_mul_hi_u32 s1, s0, s1
	s_add_i32 s3, s0, s1
	s_load_dwordx2 s[0:1], s[4:5], 0x10
	s_mul_hi_u32 s6, s2, s3
	s_mul_i32 s3, s6, s16
	s_add_i32 s8, s6, 1
	s_sub_i32 s7, s2, s3
	s_mov_b32 s3, 0
	s_sub_i32 s9, s7, s16
	s_cmp_ge_u32 s7, s16
	s_mov_b32 s25, s3
	s_cselect_b32 s6, s8, s6
	s_cselect_b32 s7, s9, s7
	s_add_i32 s8, s6, 1
	s_cmp_ge_u32 s7, s16
	s_cselect_b32 s24, s8, s6
	s_lshl_b64 s[6:7], s[24:25], 2
	s_waitcnt lgkmcnt(0)
	s_add_u32 s8, s0, s6
	s_addc_u32 s9, s1, s7
	s_and_saveexec_b32 s1, vcc_lo
	s_cbranch_execz .LBB2_8
; %bb.2:
	s_mul_i32 s0, s24, s16
	s_mov_b32 s11, s3
	s_lshl_b32 s10, s0, 8
	v_lshlrev_b32_e32 v1, 1, v0
	s_lshl_b64 s[10:11], s[10:11], 1
	v_mov_b32_e32 v3, 0
	s_add_u32 s0, s22, s10
	s_addc_u32 s10, s23, s11
	v_add_co_u32 v1, s0, s0, v1
	v_add_co_ci_u32_e64 v2, null, s10, 0, s0
	s_cmp_lt_u32 s16, 4
	s_cbranch_scc1 .LBB2_41
; %bb.3:
	v_mov_b32_e32 v3, 0
	s_mov_b32 s10, 0
	.p2align	6
.LBB2_4:                                ; =>This Inner Loop Header: Depth=1
	s_clause 0x3
	global_load_sshort v4, v[1:2], off
	global_load_sshort v5, v[1:2], off offset:512
	global_load_sshort v6, v[1:2], off offset:1024
	;; [unrolled: 1-line block ×3, first 2 shown]
	v_add_co_u32 v1, s0, 0x800, v1
	v_add_co_ci_u32_e64 v2, null, 0, v2, s0
	s_add_i32 s0, s10, 7
	s_add_i32 s10, s10, 4
	s_cmp_ge_u32 s0, s16
	s_waitcnt vmcnt(2)
	v_add3_u32 v3, v3, v4, v5
	s_waitcnt vmcnt(0)
	v_add3_u32 v3, v3, v6, v7
	s_cbranch_scc0 .LBB2_4
; %bb.5:
	s_cmp_ge_u32 s10, s16
	s_cbranch_scc1 .LBB2_7
.LBB2_6:                                ; =>This Inner Loop Header: Depth=1
	global_load_sshort v4, v[1:2], off
	v_add_co_u32 v1, s0, 0x200, v1
	v_add_co_ci_u32_e64 v2, null, 0, v2, s0
	s_add_i32 s10, s10, 1
	s_cmp_lt_u32 s10, s16
	s_waitcnt vmcnt(0)
	v_add_nc_u32_e32 v3, v3, v4
	s_cbranch_scc1 .LBB2_6
.LBB2_7:
	v_lshlrev_b32_e32 v1, 2, v0
	ds_write_b32 v1, v3 offset:1056
.LBB2_8:
	s_or_b32 exec_lo, exec_lo, s1
	s_load_dword s19, s[8:9], 0x0
	v_mov_b32_e32 v5, 0
	v_lshlrev_b32_e32 v1, 2, v0
	s_waitcnt lgkmcnt(0)
	s_barrier
	buffer_gl0_inv
	s_and_saveexec_b32 s0, vcc_lo
; %bb.9:
	ds_read_b32 v5, v1 offset:1056
; %bb.10:
	s_or_b32 exec_lo, exec_lo, s0
	v_lshrrev_b32_e32 v3, 5, v0
	v_cmp_gt_u32_e64 s0, 32, v0
	v_mbcnt_lo_u32_b32 v2, -1, 0
	v_lshl_add_u32 v4, v3, 2, v1
	s_waitcnt lgkmcnt(0)
	ds_write_b32 v4, v5
	s_waitcnt lgkmcnt(0)
	s_barrier
	buffer_gl0_inv
	s_and_saveexec_b32 s8, s0
	s_cbranch_execz .LBB2_12
; %bb.11:
	v_and_b32_e32 v6, 0xfc, v0
	v_lshl_add_u32 v14, v0, 5, v6
	ds_read2_b32 v[6:7], v14 offset1:1
	ds_read2_b32 v[8:9], v14 offset0:2 offset1:3
	ds_read2_b32 v[10:11], v14 offset0:4 offset1:5
	;; [unrolled: 1-line block ×3, first 2 shown]
	; wave barrier
	s_waitcnt lgkmcnt(3)
	v_add_nc_u32_e32 v7, v7, v6
	s_waitcnt lgkmcnt(2)
	v_add3_u32 v7, v7, v8, v9
	v_and_b32_e32 v8, 15, v2
	s_waitcnt lgkmcnt(1)
	v_add3_u32 v7, v7, v10, v11
	v_cmp_ne_u32_e64 s1, 0, v8
	v_bfe_i32 v10, v2, 4, 1
	s_waitcnt lgkmcnt(0)
	v_add3_u32 v7, v7, v12, v13
	v_mov_b32_dpp v9, v7 row_shr:1 row_mask:0xf bank_mask:0xf
	v_cndmask_b32_e64 v9, 0, v9, s1
	v_cmp_lt_u32_e64 s1, 1, v8
	v_add_nc_u32_e32 v7, v9, v7
	v_mov_b32_dpp v9, v7 row_shr:2 row_mask:0xf bank_mask:0xf
	v_cndmask_b32_e64 v9, 0, v9, s1
	v_cmp_lt_u32_e64 s1, 3, v8
	v_add_nc_u32_e32 v7, v7, v9
	;; [unrolled: 4-line block ×3, first 2 shown]
	v_mov_b32_dpp v9, v7 row_shr:8 row_mask:0xf bank_mask:0xf
	v_cndmask_b32_e64 v8, 0, v9, s1
	v_add_nc_u32_e32 v9, -1, v2
	v_add_nc_u32_e32 v7, v7, v8
	v_cmp_gt_i32_e64 s1, 0, v9
	ds_swizzle_b32 v8, v7 offset:swizzle(BROADCAST,32,15)
	v_cndmask_b32_e64 v9, v9, v2, s1
	v_cmp_eq_u32_e64 s1, 0, v0
	v_lshlrev_b32_e32 v9, 2, v9
	s_waitcnt lgkmcnt(0)
	v_and_b32_e32 v8, v10, v8
	v_add_nc_u32_e32 v7, v7, v8
	ds_bpermute_b32 v7, v9, v7
	s_waitcnt lgkmcnt(0)
	v_add_nc_u32_e32 v6, v7, v6
	v_cndmask_b32_e64 v11, v6, v5, s1
	ds_write_b32 v14, v11
	; wave barrier
	ds_read2_b32 v[5:6], v14 offset0:1 offset1:2
	ds_read2_b32 v[7:8], v14 offset0:3 offset1:4
	;; [unrolled: 1-line block ×3, first 2 shown]
	ds_read_b32 v12, v14 offset:28
	s_waitcnt lgkmcnt(3)
	v_add_nc_u32_e32 v5, v5, v11
	v_add_nc_u32_e32 v6, v6, v5
	s_waitcnt lgkmcnt(2)
	v_add_nc_u32_e32 v7, v7, v6
	v_add_nc_u32_e32 v8, v8, v7
	;; [unrolled: 3-line block ×3, first 2 shown]
	s_waitcnt lgkmcnt(0)
	v_add_nc_u32_e32 v11, v12, v10
	ds_write2_b32 v14, v5, v6 offset0:1 offset1:2
	ds_write2_b32 v14, v7, v8 offset0:3 offset1:4
	;; [unrolled: 1-line block ×3, first 2 shown]
	ds_write_b32 v14, v11 offset:28
.LBB2_12:
	s_or_b32 exec_lo, exec_lo, s8
	s_waitcnt lgkmcnt(0)
	s_barrier
	buffer_gl0_inv
	ds_read_b32 v5, v4
	s_waitcnt lgkmcnt(0)
	s_barrier
	buffer_gl0_inv
	s_and_saveexec_b32 s1, vcc_lo
; %bb.13:
	ds_write_b32 v1, v5 offset:1056
; %bb.14:
	s_or_b32 exec_lo, exec_lo, s1
	s_clause 0x1
	s_load_dwordx8 s[8:15], s[4:5], 0x28
	s_load_dwordx2 s[4:5], s[4:5], 0x48
	s_waitcnt lgkmcnt(0)
	s_barrier
	buffer_gl0_inv
	s_and_saveexec_b32 s25, vcc_lo
	s_cbranch_execz .LBB2_23
; %bb.15:
	v_mov_b32_e32 v4, 0
	s_mov_b32 s1, exec_lo
	v_cmpx_ne_u32_e32 0, v0
; %bb.16:
	ds_read_b32 v4, v1 offset:1052
; %bb.17:
	s_or_b32 exec_lo, exec_lo, s1
	s_waitcnt lgkmcnt(0)
	v_cmp_gt_u32_e32 vcc_lo, s19, v4
	v_cmp_le_u32_e64 s1, s19, v5
	s_and_b32 s1, vcc_lo, s1
	s_and_b32 exec_lo, exec_lo, s1
	s_cbranch_execz .LBB2_23
; %bb.18:
	v_mov_b32_e32 v6, 0
	s_add_u32 s20, s20, s6
	s_addc_u32 s21, s21, s7
	s_lshl_b32 s1, 0xff, s17
	v_not_b32_e32 v7, s1
	global_load_dword v5, v6, s[20:21]
	s_mul_i32 s1, s24, s16
	s_cmp_lg_u32 s2, s1
	s_waitcnt vmcnt(0)
	v_and_b32_e32 v5, v5, v7
	v_lshl_or_b32 v5, v0, s17, v5
	ds_write_b32 v6, v5 offset:2112
	s_cbranch_scc1 .LBB2_23
; %bb.19:
	s_add_u32 s14, s14, s6
	s_addc_u32 s15, s15, s7
	s_cmp_lt_i32 s17, 1
	s_mov_b32 s1, -1
	global_store_dword v6, v5, s[14:15]
	s_cbranch_scc0 .LBB2_21
; %bb.20:
	v_mov_b32_e32 v6, 0
	s_add_u32 s10, s10, s24
	s_addc_u32 s11, s11, 0
	s_mov_b32 s1, 0
	global_store_byte v6, v5, s[10:11]
.LBB2_21:
	s_andn2_b32 vcc_lo, exec_lo, s1
	s_cbranch_vccnz .LBB2_23
; %bb.22:
	v_sub_nc_u32_e32 v4, s19, v4
	v_mov_b32_e32 v5, 0
	s_add_u32 s6, s12, s6
	s_addc_u32 s7, s13, s7
	global_store_dword v5, v4, s[6:7]
.LBB2_23:
	s_or_b32 exec_lo, exec_lo, s25
	v_mov_b32_e32 v4, 0
	s_waitcnt lgkmcnt(0)
	s_waitcnt_vscnt null, 0x0
	s_barrier
	buffer_gl0_inv
	s_bitcmp0_b32 s18, 0
	ds_read_b32 v4, v4 offset:2112
	s_mov_b32 s1, 0
	s_waitcnt lgkmcnt(0)
	v_lshrrev_b32_e32 v4, s17, v4
	s_cbranch_scc0 .LBB2_25
; %bb.24:
	v_and_b32_e32 v5, 0xe0, v0
	v_cmp_lt_u32_sdwa s6, v0, v4 src0_sel:DWORD src1_sel:BYTE_0
	v_cmp_lt_u32_sdwa s7, v5, v4 src0_sel:DWORD src1_sel:BYTE_0
	s_andn2_b32 vcc_lo, exec_lo, s1
	s_cbranch_vccz .LBB2_26
	s_branch .LBB2_27
.LBB2_25:
                                        ; implicit-def: $sgpr6
                                        ; implicit-def: $sgpr7
.LBB2_26:
	v_or_b32_e32 v5, 31, v0
	v_cmp_gt_u32_sdwa s1, v0, v4 src0_sel:DWORD src1_sel:BYTE_0
	s_andn2_b32 s6, s6, exec_lo
	s_andn2_b32 s7, s7, exec_lo
	v_cmp_gt_u32_sdwa s10, v5, v4 src0_sel:DWORD src1_sel:BYTE_0
	s_and_b32 s1, s1, exec_lo
	s_or_b32 s6, s6, s1
	s_and_b32 s10, s10, exec_lo
	s_or_b32 s7, s7, s10
.LBB2_27:
	v_mov_b32_e32 v4, 0
	s_and_saveexec_b32 s1, s7
	s_cbranch_execz .LBB2_31
; %bb.28:
	v_mov_b32_e32 v4, 0
	s_and_saveexec_b32 s7, s6
	s_cbranch_execz .LBB2_30
; %bb.29:
	s_lshl_b32 s10, s2, 8
	s_mov_b32 s11, 0
	v_lshlrev_b32_e32 v4, 1, v0
	s_lshl_b64 s[10:11], s[10:11], 1
	s_add_u32 s10, s22, s10
	s_addc_u32 s11, s23, s11
	global_load_sshort v4, v4, s[10:11]
.LBB2_30:
	s_or_b32 exec_lo, exec_lo, s7
	v_lshl_or_b32 v5, v2, 2, 64
	v_cmp_gt_u32_e32 vcc_lo, 24, v2
	s_waitcnt vmcnt(0)
	ds_bpermute_b32 v5, v5, v4
	v_cndmask_b32_e64 v6, 0, 8, vcc_lo
	v_cmp_gt_u32_e32 vcc_lo, 28, v2
	v_add_lshl_u32 v6, v6, v2, 2
	s_waitcnt lgkmcnt(0)
	v_add_nc_u32_e32 v4, v5, v4
	ds_bpermute_b32 v5, v6, v4
	v_cndmask_b32_e64 v6, 0, 4, vcc_lo
	v_cmp_gt_u32_e32 vcc_lo, 30, v2
	v_add_lshl_u32 v6, v6, v2, 2
	s_waitcnt lgkmcnt(0)
	v_add_nc_u32_e32 v4, v5, v4
	ds_bpermute_b32 v5, v6, v4
	v_cndmask_b32_e64 v6, 0, 2, vcc_lo
	v_cmp_ne_u32_e32 vcc_lo, 31, v2
	v_add_lshl_u32 v6, v6, v2, 2
	s_waitcnt lgkmcnt(0)
	v_add_nc_u32_e32 v4, v5, v4
	ds_bpermute_b32 v5, v6, v4
	v_add_co_ci_u32_e64 v6, null, 0, v2, vcc_lo
	s_waitcnt lgkmcnt(0)
	v_add_nc_u32_e32 v4, v5, v4
	v_lshlrev_b32_e32 v5, 2, v6
	ds_bpermute_b32 v5, v5, v4
	s_waitcnt lgkmcnt(0)
	v_add_nc_u32_e32 v4, v5, v4
.LBB2_31:
	s_or_b32 exec_lo, exec_lo, s1
	v_and_b32_e32 v5, 31, v0
	s_mov_b32 s1, exec_lo
	v_cmpx_eq_u32_e32 0, v5
; %bb.32:
	v_lshlrev_b32_e32 v3, 2, v3
	ds_write_b32 v3, v4 offset:2080
; %bb.33:
	s_or_b32 exec_lo, exec_lo, s1
	s_waitcnt lgkmcnt(0)
	s_barrier
	buffer_gl0_inv
	s_and_saveexec_b32 s1, s0
	s_cbranch_execz .LBB2_40
; %bb.34:
	v_mov_b32_e32 v3, 0
	s_mov_b32 s0, exec_lo
	v_cmpx_gt_u32_e32 8, v0
; %bb.35:
	ds_read_b32 v3, v1 offset:2080
; %bb.36:
	s_or_b32 exec_lo, exec_lo, s0
	v_cmp_gt_u32_e32 vcc_lo, 28, v2
	s_mov_b32 s0, exec_lo
	v_cndmask_b32_e64 v1, 0, 4, vcc_lo
	v_cmp_gt_u32_e32 vcc_lo, 30, v2
	v_add_lshl_u32 v1, v1, v2, 2
	v_cndmask_b32_e64 v4, 0, 2, vcc_lo
	v_cmp_ne_u32_e32 vcc_lo, 31, v2
	s_waitcnt lgkmcnt(0)
	ds_bpermute_b32 v1, v1, v3
	v_add_lshl_u32 v4, v4, v2, 2
	v_add_co_ci_u32_e64 v2, null, 0, v2, vcc_lo
	v_lshlrev_b32_e32 v2, 2, v2
	s_waitcnt lgkmcnt(0)
	v_add_nc_u32_e32 v1, v1, v3
	ds_bpermute_b32 v3, v4, v1
	s_waitcnt lgkmcnt(0)
	v_add_nc_u32_e32 v1, v3, v1
	ds_bpermute_b32 v2, v2, v1
	v_cmpx_eq_u32_e32 0, v0
	s_cbranch_execz .LBB2_38
; %bb.37:
	s_lshl_b64 s[6:7], s[2:3], 2
	v_mov_b32_e32 v3, 0
	s_add_u32 s6, s8, s6
	s_addc_u32 s7, s9, s7
	global_load_dword v4, v3, s[6:7]
	s_waitcnt vmcnt(0) lgkmcnt(0)
	v_add3_u32 v1, v2, v1, v4
	global_store_dword v3, v1, s[6:7]
.LBB2_38:
	s_or_b32 exec_lo, exec_lo, s0
	v_or_b32_e32 v0, s17, v0
	v_cmp_eq_u32_e32 vcc_lo, 0, v0
	s_and_b32 exec_lo, exec_lo, vcc_lo
	s_cbranch_execz .LBB2_40
; %bb.39:
	v_mov_b32_e32 v0, 0
	s_waitcnt lgkmcnt(0)
	v_mov_b32_e32 v2, 1
	s_lshl_b32 s0, s2, 8
	s_mov_b32 s1, 0
	s_lshl_b64 s[0:1], s[0:1], 1
	ds_read_b32 v1, v0 offset:2112
	s_add_u32 s0, s22, s0
	s_addc_u32 s1, s23, s1
	s_waitcnt lgkmcnt(0)
	v_lshlrev_b32_sdwa v1, v2, v1 dst_sel:DWORD dst_unused:UNUSED_PAD src0_sel:DWORD src1_sel:BYTE_0
	global_load_sshort v1, v1, s[0:1]
	s_lshl_b64 s[0:1], s[2:3], 2
	s_add_u32 s0, s4, s0
	s_addc_u32 s1, s5, s1
	s_waitcnt vmcnt(0)
	global_store_dword v0, v1, s[0:1]
.LBB2_40:
	s_endpgm
.LBB2_41:
	s_mov_b32 s10, s3
	s_cmp_ge_u32 s10, s16
	s_cbranch_scc0 .LBB2_6
	s_branch .LBB2_7
	.section	.rodata,"a",@progbits
	.p2align	6, 0x0
	.amdhsa_kernel _ZN2at6native6mbtopk29computeBlockwiseWithinKCountsIjhEEvPT_PsPjjibS6_PT0_S6_S4_S6_j
		.amdhsa_group_segment_fixed_size 2116
		.amdhsa_private_segment_fixed_size 0
		.amdhsa_kernarg_size 344
		.amdhsa_user_sgpr_count 6
		.amdhsa_user_sgpr_private_segment_buffer 1
		.amdhsa_user_sgpr_dispatch_ptr 0
		.amdhsa_user_sgpr_queue_ptr 0
		.amdhsa_user_sgpr_kernarg_segment_ptr 1
		.amdhsa_user_sgpr_dispatch_id 0
		.amdhsa_user_sgpr_flat_scratch_init 0
		.amdhsa_user_sgpr_private_segment_size 0
		.amdhsa_wavefront_size32 1
		.amdhsa_uses_dynamic_stack 0
		.amdhsa_system_sgpr_private_segment_wavefront_offset 0
		.amdhsa_system_sgpr_workgroup_id_x 1
		.amdhsa_system_sgpr_workgroup_id_y 1
		.amdhsa_system_sgpr_workgroup_id_z 1
		.amdhsa_system_sgpr_workgroup_info 0
		.amdhsa_system_vgpr_workitem_id 0
		.amdhsa_next_free_vgpr 15
		.amdhsa_next_free_sgpr 26
		.amdhsa_reserve_vcc 1
		.amdhsa_reserve_flat_scratch 0
		.amdhsa_float_round_mode_32 0
		.amdhsa_float_round_mode_16_64 0
		.amdhsa_float_denorm_mode_32 3
		.amdhsa_float_denorm_mode_16_64 3
		.amdhsa_dx10_clamp 1
		.amdhsa_ieee_mode 1
		.amdhsa_fp16_overflow 0
		.amdhsa_workgroup_processor_mode 1
		.amdhsa_memory_ordered 1
		.amdhsa_forward_progress 1
		.amdhsa_shared_vgpr_count 0
		.amdhsa_exception_fp_ieee_invalid_op 0
		.amdhsa_exception_fp_denorm_src 0
		.amdhsa_exception_fp_ieee_div_zero 0
		.amdhsa_exception_fp_ieee_overflow 0
		.amdhsa_exception_fp_ieee_underflow 0
		.amdhsa_exception_fp_ieee_inexact 0
		.amdhsa_exception_int_div_zero 0
	.end_amdhsa_kernel
	.section	.text._ZN2at6native6mbtopk29computeBlockwiseWithinKCountsIjhEEvPT_PsPjjibS6_PT0_S6_S4_S6_j,"axG",@progbits,_ZN2at6native6mbtopk29computeBlockwiseWithinKCountsIjhEEvPT_PsPjjibS6_PT0_S6_S4_S6_j,comdat
.Lfunc_end2:
	.size	_ZN2at6native6mbtopk29computeBlockwiseWithinKCountsIjhEEvPT_PsPjjibS6_PT0_S6_S4_S6_j, .Lfunc_end2-_ZN2at6native6mbtopk29computeBlockwiseWithinKCountsIjhEEvPT_PsPjjibS6_PT0_S6_S4_S6_j
                                        ; -- End function
	.set _ZN2at6native6mbtopk29computeBlockwiseWithinKCountsIjhEEvPT_PsPjjibS6_PT0_S6_S4_S6_j.num_vgpr, 15
	.set _ZN2at6native6mbtopk29computeBlockwiseWithinKCountsIjhEEvPT_PsPjjibS6_PT0_S6_S4_S6_j.num_agpr, 0
	.set _ZN2at6native6mbtopk29computeBlockwiseWithinKCountsIjhEEvPT_PsPjjibS6_PT0_S6_S4_S6_j.numbered_sgpr, 26
	.set _ZN2at6native6mbtopk29computeBlockwiseWithinKCountsIjhEEvPT_PsPjjibS6_PT0_S6_S4_S6_j.num_named_barrier, 0
	.set _ZN2at6native6mbtopk29computeBlockwiseWithinKCountsIjhEEvPT_PsPjjibS6_PT0_S6_S4_S6_j.private_seg_size, 0
	.set _ZN2at6native6mbtopk29computeBlockwiseWithinKCountsIjhEEvPT_PsPjjibS6_PT0_S6_S4_S6_j.uses_vcc, 1
	.set _ZN2at6native6mbtopk29computeBlockwiseWithinKCountsIjhEEvPT_PsPjjibS6_PT0_S6_S4_S6_j.uses_flat_scratch, 0
	.set _ZN2at6native6mbtopk29computeBlockwiseWithinKCountsIjhEEvPT_PsPjjibS6_PT0_S6_S4_S6_j.has_dyn_sized_stack, 0
	.set _ZN2at6native6mbtopk29computeBlockwiseWithinKCountsIjhEEvPT_PsPjjibS6_PT0_S6_S4_S6_j.has_recursion, 0
	.set _ZN2at6native6mbtopk29computeBlockwiseWithinKCountsIjhEEvPT_PsPjjibS6_PT0_S6_S4_S6_j.has_indirect_call, 0
	.section	.AMDGPU.csdata,"",@progbits
; Kernel info:
; codeLenInByte = 2040
; TotalNumSgprs: 28
; NumVgprs: 15
; ScratchSize: 0
; MemoryBound: 0
; FloatMode: 240
; IeeeMode: 1
; LDSByteSize: 2116 bytes/workgroup (compile time only)
; SGPRBlocks: 0
; VGPRBlocks: 1
; NumSGPRsForWavesPerEU: 28
; NumVGPRsForWavesPerEU: 15
; Occupancy: 16
; WaveLimiterHint : 1
; COMPUTE_PGM_RSRC2:SCRATCH_EN: 0
; COMPUTE_PGM_RSRC2:USER_SGPR: 6
; COMPUTE_PGM_RSRC2:TRAP_HANDLER: 0
; COMPUTE_PGM_RSRC2:TGID_X_EN: 1
; COMPUTE_PGM_RSRC2:TGID_Y_EN: 1
; COMPUTE_PGM_RSRC2:TGID_Z_EN: 1
; COMPUTE_PGM_RSRC2:TIDIG_COMP_CNT: 0
	.section	.text._ZN2at6native6mbtopk10gatherTopKIhjLi1EEEvNS_4cuda6detail10TensorInfoIKT_T0_EES8_S8_bjS8_NS5_IS6_S8_EES8_NS5_IlS8_EES8_jjPS6_PjSD_j,"axG",@progbits,_ZN2at6native6mbtopk10gatherTopKIhjLi1EEEvNS_4cuda6detail10TensorInfoIKT_T0_EES8_S8_bjS8_NS5_IS6_S8_EES8_NS5_IlS8_EES8_jjPS6_PjSD_j,comdat
	.protected	_ZN2at6native6mbtopk10gatherTopKIhjLi1EEEvNS_4cuda6detail10TensorInfoIKT_T0_EES8_S8_bjS8_NS5_IS6_S8_EES8_NS5_IlS8_EES8_jjPS6_PjSD_j ; -- Begin function _ZN2at6native6mbtopk10gatherTopKIhjLi1EEEvNS_4cuda6detail10TensorInfoIKT_T0_EES8_S8_bjS8_NS5_IS6_S8_EES8_NS5_IlS8_EES8_jjPS6_PjSD_j
	.globl	_ZN2at6native6mbtopk10gatherTopKIhjLi1EEEvNS_4cuda6detail10TensorInfoIKT_T0_EES8_S8_bjS8_NS5_IS6_S8_EES8_NS5_IlS8_EES8_jjPS6_PjSD_j
	.p2align	8
	.type	_ZN2at6native6mbtopk10gatherTopKIhjLi1EEEvNS_4cuda6detail10TensorInfoIKT_T0_EES8_S8_bjS8_NS5_IS6_S8_EES8_NS5_IlS8_EES8_jjPS6_PjSD_j,@function
_ZN2at6native6mbtopk10gatherTopKIhjLi1EEEvNS_4cuda6detail10TensorInfoIKT_T0_EES8_S8_bjS8_NS5_IS6_S8_EES8_NS5_IlS8_EES8_jjPS6_PjSD_j: ; @_ZN2at6native6mbtopk10gatherTopKIhjLi1EEEvNS_4cuda6detail10TensorInfoIKT_T0_EES8_S8_bjS8_NS5_IS6_S8_EES8_NS5_IlS8_EES8_jjPS6_PjSD_j
; %bb.0:
	s_clause 0x1
	s_load_dwordx2 s[0:1], s[4:5], 0x2d8
	s_load_dword s2, s[4:5], 0x2d0
	s_waitcnt lgkmcnt(0)
	s_mul_i32 s1, s1, s8
	s_add_i32 s1, s1, s7
	s_mul_i32 s16, s1, s0
	s_add_i32 s16, s16, s6
	s_cmp_ge_u32 s16, s2
	s_cbranch_scc1 .LBB3_40
; %bb.1:
	s_load_dwordx8 s[8:15], s[4:5], 0x2a8
	s_waitcnt lgkmcnt(0)
	v_cvt_f32_u32_e32 v1, s10
	s_sub_i32 s1, 0, s10
	v_rcp_iflag_f32_e32 v1, v1
	v_mul_f32_e32 v1, 0x4f7ffffe, v1
	v_cvt_u32_f32_e32 v1, v1
	v_readfirstlane_b32 s0, v1
	s_mul_i32 s1, s1, s0
	s_mul_hi_u32 s1, s0, s1
	s_add_i32 s0, s0, s1
	s_mul_hi_u32 s0, s16, s0
	s_mul_i32 s1, s0, s10
	s_add_i32 s2, s0, 1
	s_sub_i32 s1, s16, s1
	s_sub_i32 s3, s1, s10
	s_cmp_ge_u32 s1, s10
	s_cselect_b32 s0, s2, s0
	s_cselect_b32 s1, s3, s1
	s_add_i32 s2, s0, 1
	s_cmp_ge_u32 s1, s10
	v_cmp_eq_u32_e64 s1, 0, v0
	s_cselect_b32 s28, s2, s0
	v_cmp_ne_u32_e64 s0, 0, v0
	v_mov_b32_e32 v1, s28
	global_load_ubyte v6, v1, s[12:13]
	s_clause 0x2
	s_load_dwordx2 s[2:3], s[4:5], 0x1d0
	s_load_dwordx2 s[6:7], s[4:5], 0xf0
	;; [unrolled: 1-line block ×3, first 2 shown]
	s_mul_i32 s12, s28, s10
	s_mov_b32 s13, 0
	s_sub_i32 s11, s16, s12
	s_and_saveexec_b32 s29, s1
	s_cbranch_execz .LBB3_17
; %bb.2:
	s_load_dwordx2 s[22:23], s[4:5], 0x2c8
	s_lshl_b64 s[24:25], s[12:13], 2
	s_mov_b32 s12, 0
	s_add_u32 s16, s14, s24
	s_addc_u32 s17, s15, s25
	s_mov_b32 s30, 0
	s_waitcnt lgkmcnt(0)
	s_add_u32 s18, s22, s24
	s_addc_u32 s19, s23, s25
	s_cmp_lt_u32 s10, 4
	s_cbranch_scc1 .LBB3_14
; %bb.3:
	s_mov_b32 s31, 0
.LBB3_4:                                ; =>This Inner Loop Header: Depth=1
	s_add_u32 s16, s14, s24
	s_addc_u32 s17, s15, s25
	s_add_u32 s26, s22, s24
	s_load_dwordx4 s[16:19], s[16:17], 0x0
	s_addc_u32 s27, s23, s25
	s_cmp_ge_u32 s31, s11
	s_cbranch_scc0 .LBB3_11
; %bb.5:                                ;   in Loop: Header=BB3_4 Depth=1
	s_add_i32 s33, s31, 1
	s_cmp_ge_u32 s33, s11
	s_cbranch_scc0 .LBB3_12
.LBB3_6:                                ;   in Loop: Header=BB3_4 Depth=1
	s_add_i32 s33, s33, 1
	s_cmp_ge_u32 s33, s11
	s_cbranch_scc0 .LBB3_13
.LBB3_7:                                ;   in Loop: Header=BB3_4 Depth=1
	s_add_i32 s33, s33, 1
	s_cmp_ge_u32 s33, s11
	s_cbranch_scc1 .LBB3_9
.LBB3_8:                                ;   in Loop: Header=BB3_4 Depth=1
	s_load_dword s26, s[26:27], 0xc
	s_waitcnt lgkmcnt(0)
	s_add_i32 s13, s13, s19
	s_add_i32 s12, s26, s12
.LBB3_9:                                ;   in Loop: Header=BB3_4 Depth=1
	s_waitcnt lgkmcnt(0)
	s_add_i32 s16, s16, s30
	s_add_i32 s16, s16, s17
	;; [unrolled: 1-line block ×4, first 2 shown]
	s_add_u32 s14, s14, 16
	s_addc_u32 s15, s15, 0
	s_add_u32 s22, s22, 16
	s_addc_u32 s23, s23, 0
	s_add_i32 s27, s33, 4
	s_add_u32 s18, s22, s24
	s_addc_u32 s19, s23, s25
	s_add_u32 s16, s14, s24
	s_addc_u32 s17, s15, s25
	s_add_i32 s26, s33, 1
	s_cmp_ge_u32 s27, s10
	s_cbranch_scc1 .LBB3_15
; %bb.10:                               ;   in Loop: Header=BB3_4 Depth=1
	s_mov_b32 s31, s26
	s_branch .LBB3_4
.LBB3_11:                               ;   in Loop: Header=BB3_4 Depth=1
	s_load_dword s33, s[26:27], 0x0
	s_waitcnt lgkmcnt(0)
	s_add_i32 s13, s16, s13
	s_add_i32 s12, s33, s12
	;; [unrolled: 1-line block ×3, first 2 shown]
	s_cmp_ge_u32 s33, s11
	s_cbranch_scc1 .LBB3_6
.LBB3_12:                               ;   in Loop: Header=BB3_4 Depth=1
	s_load_dword s34, s[26:27], 0x4
	s_waitcnt lgkmcnt(0)
	s_add_i32 s13, s13, s17
	s_add_i32 s12, s34, s12
	;; [unrolled: 1-line block ×3, first 2 shown]
	s_cmp_ge_u32 s33, s11
	s_cbranch_scc1 .LBB3_7
.LBB3_13:                               ;   in Loop: Header=BB3_4 Depth=1
	s_load_dword s34, s[26:27], 0x8
	s_waitcnt lgkmcnt(0)
	s_add_i32 s13, s13, s18
	s_add_i32 s12, s34, s12
	;; [unrolled: 1-line block ×3, first 2 shown]
	s_cmp_ge_u32 s33, s11
	s_cbranch_scc0 .LBB3_8
	s_branch .LBB3_9
.LBB3_14:
	s_mov_b32 s14, 0
	s_cmp_ge_u32 s14, s10
	s_cbranch_scc0 .LBB3_38
	s_branch .LBB3_16
.LBB3_15:
	s_add_i32 s14, s31, 4
	s_cmp_ge_u32 s14, s10
	s_cbranch_scc0 .LBB3_38
.LBB3_16:
	v_mov_b32_e32 v1, s12
	v_mov_b32_e32 v2, s30
	v_mov_b32_e32 v3, s13
	v_mov_b32_e32 v4, 0
	ds_write_b96 v4, v[1:3] offset:1056
.LBB3_17:
	s_or_b32 exec_lo, exec_lo, s29
	s_clause 0x3
	s_load_dword s17, s[4:5], 0x23c
	s_load_dword s18, s[4:5], 0x15c
	;; [unrolled: 1-line block ×3, first 2 shown]
	s_load_dwordx4 s[12:15], s[4:5], 0xd8
	s_waitcnt lgkmcnt(0)
	s_mul_i32 s15, s9, s11
	s_add_i32 s11, s11, 1
	s_lshl_b32 s16, s15, 8
	s_waitcnt vmcnt(0)
	s_barrier
	buffer_gl0_inv
	s_sub_i32 s15, s12, s16
	s_add_u32 s22, s15, 0xff
	s_addc_u32 s23, 0, 0
	s_lshr_b64 s[22:23], s[22:23], 8
	s_cmp_lt_u32 s11, s10
	s_mov_b32 s11, 0
	s_cselect_b32 s9, s9, s22
	s_cmp_eq_u32 s9, 0
	s_cbranch_scc1 .LBB3_40
; %bb.18:
	v_mov_b32_e32 v5, 0
	s_mul_i32 s10, s28, s17
	v_add_nc_u32_e32 v11, -1, v0
	v_lshrrev_b32_e32 v8, 3, v0
	s_mul_i32 s19, s28, s19
	ds_read_b96 v[1:3], v5 offset:1056
	s_clause 0x1
	s_load_dword s17, s[4:5], 0xe8
	s_load_dword s15, s[4:5], 0x1c8
	v_lshrrev_b32_e32 v12, 3, v11
	v_add_nc_u32_e32 v4, s16, v0
	s_mul_i32 s18, s28, s18
	s_add_u32 s4, s20, s19
	v_and_b32_e32 v9, 0xfc, v0
	v_lshlrev_b32_e32 v10, 5, v0
	v_mbcnt_lo_u32_b32 v7, -1, 0
	s_addc_u32 s5, s21, 0
	v_and_b32_e32 v8, 28, v8
	v_and_b32_e32 v12, 0x1ffffffc, v12
	s_add_u32 s6, s6, s18
	s_addc_u32 s7, s7, 0
	s_lshl_b64 s[10:11], s[10:11], 3
	v_lshl_add_u32 v8, v0, 2, v8
	s_add_u32 s10, s2, s10
	s_addc_u32 s11, s3, s11
	v_cmp_gt_u32_e64 s2, 32, v0
	v_lshl_add_u32 v0, v11, 2, v12
	s_waitcnt lgkmcnt(0)
	v_add_nc_u32_e32 v1, v1, v2
	v_mul_lo_u32 v2, s17, v4
	v_add_nc_u32_e32 v9, v9, v10
	v_and_b32_e32 v10, 15, v7
	v_bfe_i32 v11, v7, 4, 1
	v_add_nc_u32_e32 v12, -1, v7
	s_bitcmp1_b32 s14, 0
                                        ; implicit-def: $vgpr13
	s_cselect_b32 s3, -1, 0
	s_lshl_b32 s14, s17, 8
	s_branch .LBB3_21
.LBB3_19:                               ;   in Loop: Header=BB3_21 Depth=1
	s_or_b32 exec_lo, exec_lo, s16
	v_add_nc_u32_e32 v1, v16, v1
.LBB3_20:                               ;   in Loop: Header=BB3_21 Depth=1
	v_add_nc_u32_e32 v3, v15, v3
	v_add_nc_u32_e32 v2, s14, v2
	;; [unrolled: 1-line block ×3, first 2 shown]
	s_add_i32 s9, s9, -1
	s_cmp_lg_u32 s9, 0
	s_cbranch_scc0 .LBB3_40
.LBB3_21:                               ; =>This Inner Loop Header: Depth=1
	v_mov_b32_e32 v16, 0
	v_mov_b32_e32 v14, 0
	s_mov_b32 s16, exec_lo
	v_cmpx_gt_u32_e64 s12, v4
	s_cbranch_execz .LBB3_23
; %bb.22:                               ;   in Loop: Header=BB3_21 Depth=1
	global_load_ubyte v13, v2, s[4:5]
	s_waitcnt vmcnt(0)
	v_cmp_gt_u16_sdwa s17, v13, v6 src0_sel:DWORD src1_sel:BYTE_0
	v_cndmask_b32_e64 v14, 0, 1, s17
	v_cmp_lt_u16_sdwa s17, v13, v6 src0_sel:DWORD src1_sel:BYTE_0
	v_cndmask_b32_e64 v15, 0, 1, s17
	v_cmp_eq_u16_sdwa s17, v13, v6 src0_sel:DWORD src1_sel:BYTE_0
	v_cndmask_b32_e64 v14, v15, v14, s3
	v_and_b32_e32 v16, 1, v14
	v_cndmask_b32_e64 v14, 0, 1, s17
.LBB3_23:                               ;   in Loop: Header=BB3_21 Depth=1
	s_or_b32 exec_lo, exec_lo, s16
	ds_write_b32 v8, v16
	s_waitcnt lgkmcnt(0)
	s_barrier
	buffer_gl0_inv
	s_and_saveexec_b32 s16, s2
	s_cbranch_execz .LBB3_25
; %bb.24:                               ;   in Loop: Header=BB3_21 Depth=1
	ds_read2_b32 v[17:18], v9 offset1:1
	ds_read2_b32 v[19:20], v9 offset0:2 offset1:3
	ds_read2_b32 v[21:22], v9 offset0:4 offset1:5
	;; [unrolled: 1-line block ×3, first 2 shown]
	v_cmp_ne_u32_e32 vcc_lo, 0, v10
	; wave barrier
	s_waitcnt lgkmcnt(3)
	v_add_nc_u32_e32 v15, v18, v17
	s_waitcnt lgkmcnt(2)
	v_add3_u32 v15, v15, v19, v20
	s_waitcnt lgkmcnt(1)
	v_add3_u32 v15, v15, v21, v22
	;; [unrolled: 2-line block ×3, first 2 shown]
	v_mov_b32_dpp v18, v15 row_shr:1 row_mask:0xf bank_mask:0xf
	v_cndmask_b32_e32 v18, 0, v18, vcc_lo
	v_cmp_lt_u32_e32 vcc_lo, 1, v10
	v_add_nc_u32_e32 v15, v18, v15
	v_mov_b32_dpp v18, v15 row_shr:2 row_mask:0xf bank_mask:0xf
	v_cndmask_b32_e32 v18, 0, v18, vcc_lo
	v_cmp_lt_u32_e32 vcc_lo, 3, v10
	v_add_nc_u32_e32 v15, v15, v18
	;; [unrolled: 4-line block ×3, first 2 shown]
	v_mov_b32_dpp v18, v15 row_shr:8 row_mask:0xf bank_mask:0xf
	v_cndmask_b32_e32 v18, 0, v18, vcc_lo
	v_cmp_gt_i32_e32 vcc_lo, 0, v12
	v_add_nc_u32_e32 v15, v15, v18
	v_cndmask_b32_e32 v19, v12, v7, vcc_lo
	ds_swizzle_b32 v18, v15 offset:swizzle(BROADCAST,32,15)
	v_lshlrev_b32_e32 v19, 2, v19
	s_waitcnt lgkmcnt(0)
	v_and_b32_e32 v18, v11, v18
	v_add_nc_u32_e32 v15, v15, v18
	ds_bpermute_b32 v15, v19, v15
	s_waitcnt lgkmcnt(0)
	v_add_nc_u32_e32 v15, v15, v17
	v_cndmask_b32_e64 v15, v15, v16, s1
	ds_write_b32 v9, v15
	; wave barrier
	ds_read2_b32 v[17:18], v9 offset0:1 offset1:2
	ds_read2_b32 v[19:20], v9 offset0:3 offset1:4
	;; [unrolled: 1-line block ×3, first 2 shown]
	ds_read_b32 v23, v9 offset:28
	s_waitcnt lgkmcnt(3)
	v_add_nc_u32_e32 v15, v17, v15
	v_add_nc_u32_e32 v17, v18, v15
	s_waitcnt lgkmcnt(2)
	v_add_nc_u32_e32 v18, v19, v17
	v_add_nc_u32_e32 v19, v20, v18
	;; [unrolled: 3-line block ×3, first 2 shown]
	s_waitcnt lgkmcnt(0)
	v_add_nc_u32_e32 v22, v23, v21
	ds_write2_b32 v9, v15, v17 offset0:1 offset1:2
	ds_write2_b32 v9, v18, v19 offset0:3 offset1:4
	;; [unrolled: 1-line block ×3, first 2 shown]
	ds_write_b32 v9, v22 offset:28
.LBB3_25:                               ;   in Loop: Header=BB3_21 Depth=1
	s_or_b32 exec_lo, exec_lo, s16
	v_mov_b32_e32 v17, 0
	s_waitcnt lgkmcnt(0)
	s_barrier
	buffer_gl0_inv
	s_and_saveexec_b32 s16, s0
; %bb.26:                               ;   in Loop: Header=BB3_21 Depth=1
	ds_read_b32 v17, v0
; %bb.27:                               ;   in Loop: Header=BB3_21 Depth=1
	s_or_b32 exec_lo, exec_lo, s16
	ds_read_b32 v15, v5 offset:1048
	s_mov_b32 s16, exec_lo
	s_waitcnt lgkmcnt(0)
	s_barrier
	buffer_gl0_inv
	v_cmpx_ne_u32_e32 0, v16
	s_cbranch_execz .LBB3_29
; %bb.28:                               ;   in Loop: Header=BB3_21 Depth=1
	v_add_nc_u32_e32 v18, v17, v3
	v_mov_b32_e32 v17, v5
	v_mul_lo_u32 v16, v18, s8
	v_mul_lo_u32 v18, v18, s15
	v_lshlrev_b64 v[16:17], 3, v[16:17]
	v_add_co_u32 v16, vcc_lo, s10, v16
	v_add_co_ci_u32_e64 v17, null, s11, v17, vcc_lo
	global_store_byte v18, v13, s[6:7]
	global_store_dwordx2 v[16:17], v[4:5], off
.LBB3_29:                               ;   in Loop: Header=BB3_21 Depth=1
	s_or_b32 exec_lo, exec_lo, s16
	v_cmp_le_u32_e32 vcc_lo, s13, v1
	s_cbranch_vccnz .LBB3_20
; %bb.30:                               ;   in Loop: Header=BB3_21 Depth=1
	ds_write_b32 v8, v14
	s_waitcnt lgkmcnt(0)
	s_waitcnt_vscnt null, 0x0
	s_barrier
	buffer_gl0_inv
	s_and_saveexec_b32 s16, s2
	s_cbranch_execz .LBB3_32
; %bb.31:                               ;   in Loop: Header=BB3_21 Depth=1
	ds_read2_b32 v[16:17], v9 offset1:1
	ds_read2_b32 v[18:19], v9 offset0:2 offset1:3
	ds_read2_b32 v[20:21], v9 offset0:4 offset1:5
	;; [unrolled: 1-line block ×3, first 2 shown]
	v_cmp_ne_u32_e32 vcc_lo, 0, v10
	; wave barrier
	s_waitcnt lgkmcnt(3)
	v_add_nc_u32_e32 v17, v17, v16
	s_waitcnt lgkmcnt(2)
	v_add3_u32 v17, v17, v18, v19
	s_waitcnt lgkmcnt(1)
	v_add3_u32 v17, v17, v20, v21
	;; [unrolled: 2-line block ×3, first 2 shown]
	v_mov_b32_dpp v18, v17 row_shr:1 row_mask:0xf bank_mask:0xf
	v_cndmask_b32_e32 v18, 0, v18, vcc_lo
	v_cmp_lt_u32_e32 vcc_lo, 1, v10
	v_add_nc_u32_e32 v17, v18, v17
	v_mov_b32_dpp v18, v17 row_shr:2 row_mask:0xf bank_mask:0xf
	v_cndmask_b32_e32 v18, 0, v18, vcc_lo
	v_cmp_lt_u32_e32 vcc_lo, 3, v10
	v_add_nc_u32_e32 v17, v17, v18
	;; [unrolled: 4-line block ×3, first 2 shown]
	v_mov_b32_dpp v18, v17 row_shr:8 row_mask:0xf bank_mask:0xf
	v_cndmask_b32_e32 v18, 0, v18, vcc_lo
	v_cmp_gt_i32_e32 vcc_lo, 0, v12
	v_add_nc_u32_e32 v17, v17, v18
	v_cndmask_b32_e32 v19, v12, v7, vcc_lo
	ds_swizzle_b32 v18, v17 offset:swizzle(BROADCAST,32,15)
	v_lshlrev_b32_e32 v19, 2, v19
	s_waitcnt lgkmcnt(0)
	v_and_b32_e32 v18, v11, v18
	v_add_nc_u32_e32 v17, v17, v18
	ds_bpermute_b32 v17, v19, v17
	s_waitcnt lgkmcnt(0)
	v_add_nc_u32_e32 v16, v17, v16
	v_cndmask_b32_e64 v22, v16, v14, s1
	ds_write_b32 v9, v22
	; wave barrier
	ds_read2_b32 v[16:17], v9 offset0:1 offset1:2
	ds_read2_b32 v[18:19], v9 offset0:3 offset1:4
	;; [unrolled: 1-line block ×3, first 2 shown]
	ds_read_b32 v23, v9 offset:28
	s_waitcnt lgkmcnt(3)
	v_add_nc_u32_e32 v16, v16, v22
	v_add_nc_u32_e32 v17, v17, v16
	s_waitcnt lgkmcnt(2)
	v_add_nc_u32_e32 v18, v18, v17
	v_add_nc_u32_e32 v19, v19, v18
	;; [unrolled: 3-line block ×3, first 2 shown]
	s_waitcnt lgkmcnt(0)
	v_add_nc_u32_e32 v22, v23, v21
	ds_write2_b32 v9, v16, v17 offset0:1 offset1:2
	ds_write2_b32 v9, v18, v19 offset0:3 offset1:4
	;; [unrolled: 1-line block ×3, first 2 shown]
	ds_write_b32 v9, v22 offset:28
.LBB3_32:                               ;   in Loop: Header=BB3_21 Depth=1
	s_or_b32 exec_lo, exec_lo, s16
	v_mov_b32_e32 v17, 0
	s_waitcnt lgkmcnt(0)
	s_barrier
	buffer_gl0_inv
	s_and_saveexec_b32 s16, s0
; %bb.33:                               ;   in Loop: Header=BB3_21 Depth=1
	ds_read_b32 v17, v0
; %bb.34:                               ;   in Loop: Header=BB3_21 Depth=1
	s_or_b32 exec_lo, exec_lo, s16
	ds_read_b32 v16, v5 offset:1048
	s_mov_b32 s16, exec_lo
	s_waitcnt lgkmcnt(0)
	s_barrier
	buffer_gl0_inv
	v_cmpx_ne_u32_e32 0, v14
	s_cbranch_execz .LBB3_19
; %bb.35:                               ;   in Loop: Header=BB3_21 Depth=1
	v_add_nc_u32_e32 v14, v17, v1
	v_cmp_gt_u32_e32 vcc_lo, s13, v14
	s_and_b32 exec_lo, exec_lo, vcc_lo
	s_cbranch_execz .LBB3_19
; %bb.36:                               ;   in Loop: Header=BB3_21 Depth=1
	v_mul_lo_u32 v17, v14, s8
	v_mov_b32_e32 v18, v5
	v_mul_lo_u32 v14, v14, s15
	v_lshlrev_b64 v[17:18], 3, v[17:18]
	v_add_co_u32 v17, vcc_lo, s10, v17
	v_add_co_ci_u32_e64 v18, null, s11, v18, vcc_lo
	global_store_byte v14, v13, s[6:7]
	global_store_dwordx2 v[17:18], v[4:5], off
	s_branch .LBB3_19
	.p2align	6
.LBB3_37:                               ;   in Loop: Header=BB3_38 Depth=1
	s_add_u32 s16, s16, 4
	s_addc_u32 s17, s17, 0
	s_waitcnt lgkmcnt(0)
	s_add_i32 s30, s15, s30
	s_add_u32 s18, s18, 4
	s_addc_u32 s19, s19, 0
	s_add_i32 s14, s14, 1
	s_cmp_lt_u32 s14, s10
	s_cbranch_scc0 .LBB3_16
.LBB3_38:                               ; =>This Inner Loop Header: Depth=1
	s_load_dword s15, s[16:17], 0x0
	s_cmp_ge_u32 s14, s11
	s_cbranch_scc1 .LBB3_37
; %bb.39:                               ;   in Loop: Header=BB3_38 Depth=1
	s_load_dword s22, s[18:19], 0x0
	s_waitcnt lgkmcnt(0)
	s_add_i32 s13, s15, s13
	s_add_i32 s12, s22, s12
	s_branch .LBB3_37
.LBB3_40:
	s_endpgm
	.section	.rodata,"a",@progbits
	.p2align	6, 0x0
	.amdhsa_kernel _ZN2at6native6mbtopk10gatherTopKIhjLi1EEEvNS_4cuda6detail10TensorInfoIKT_T0_EES8_S8_bjS8_NS5_IS6_S8_EES8_NS5_IlS8_EES8_jjPS6_PjSD_j
		.amdhsa_group_segment_fixed_size 1068
		.amdhsa_private_segment_fixed_size 0
		.amdhsa_kernarg_size 984
		.amdhsa_user_sgpr_count 6
		.amdhsa_user_sgpr_private_segment_buffer 1
		.amdhsa_user_sgpr_dispatch_ptr 0
		.amdhsa_user_sgpr_queue_ptr 0
		.amdhsa_user_sgpr_kernarg_segment_ptr 1
		.amdhsa_user_sgpr_dispatch_id 0
		.amdhsa_user_sgpr_flat_scratch_init 0
		.amdhsa_user_sgpr_private_segment_size 0
		.amdhsa_wavefront_size32 1
		.amdhsa_uses_dynamic_stack 0
		.amdhsa_system_sgpr_private_segment_wavefront_offset 0
		.amdhsa_system_sgpr_workgroup_id_x 1
		.amdhsa_system_sgpr_workgroup_id_y 1
		.amdhsa_system_sgpr_workgroup_id_z 1
		.amdhsa_system_sgpr_workgroup_info 0
		.amdhsa_system_vgpr_workitem_id 0
		.amdhsa_next_free_vgpr 25
		.amdhsa_next_free_sgpr 35
		.amdhsa_reserve_vcc 1
		.amdhsa_reserve_flat_scratch 0
		.amdhsa_float_round_mode_32 0
		.amdhsa_float_round_mode_16_64 0
		.amdhsa_float_denorm_mode_32 3
		.amdhsa_float_denorm_mode_16_64 3
		.amdhsa_dx10_clamp 1
		.amdhsa_ieee_mode 1
		.amdhsa_fp16_overflow 0
		.amdhsa_workgroup_processor_mode 1
		.amdhsa_memory_ordered 1
		.amdhsa_forward_progress 1
		.amdhsa_shared_vgpr_count 0
		.amdhsa_exception_fp_ieee_invalid_op 0
		.amdhsa_exception_fp_denorm_src 0
		.amdhsa_exception_fp_ieee_div_zero 0
		.amdhsa_exception_fp_ieee_overflow 0
		.amdhsa_exception_fp_ieee_underflow 0
		.amdhsa_exception_fp_ieee_inexact 0
		.amdhsa_exception_int_div_zero 0
	.end_amdhsa_kernel
	.section	.text._ZN2at6native6mbtopk10gatherTopKIhjLi1EEEvNS_4cuda6detail10TensorInfoIKT_T0_EES8_S8_bjS8_NS5_IS6_S8_EES8_NS5_IlS8_EES8_jjPS6_PjSD_j,"axG",@progbits,_ZN2at6native6mbtopk10gatherTopKIhjLi1EEEvNS_4cuda6detail10TensorInfoIKT_T0_EES8_S8_bjS8_NS5_IS6_S8_EES8_NS5_IlS8_EES8_jjPS6_PjSD_j,comdat
.Lfunc_end3:
	.size	_ZN2at6native6mbtopk10gatherTopKIhjLi1EEEvNS_4cuda6detail10TensorInfoIKT_T0_EES8_S8_bjS8_NS5_IS6_S8_EES8_NS5_IlS8_EES8_jjPS6_PjSD_j, .Lfunc_end3-_ZN2at6native6mbtopk10gatherTopKIhjLi1EEEvNS_4cuda6detail10TensorInfoIKT_T0_EES8_S8_bjS8_NS5_IS6_S8_EES8_NS5_IlS8_EES8_jjPS6_PjSD_j
                                        ; -- End function
	.set _ZN2at6native6mbtopk10gatherTopKIhjLi1EEEvNS_4cuda6detail10TensorInfoIKT_T0_EES8_S8_bjS8_NS5_IS6_S8_EES8_NS5_IlS8_EES8_jjPS6_PjSD_j.num_vgpr, 25
	.set _ZN2at6native6mbtopk10gatherTopKIhjLi1EEEvNS_4cuda6detail10TensorInfoIKT_T0_EES8_S8_bjS8_NS5_IS6_S8_EES8_NS5_IlS8_EES8_jjPS6_PjSD_j.num_agpr, 0
	.set _ZN2at6native6mbtopk10gatherTopKIhjLi1EEEvNS_4cuda6detail10TensorInfoIKT_T0_EES8_S8_bjS8_NS5_IS6_S8_EES8_NS5_IlS8_EES8_jjPS6_PjSD_j.numbered_sgpr, 35
	.set _ZN2at6native6mbtopk10gatherTopKIhjLi1EEEvNS_4cuda6detail10TensorInfoIKT_T0_EES8_S8_bjS8_NS5_IS6_S8_EES8_NS5_IlS8_EES8_jjPS6_PjSD_j.num_named_barrier, 0
	.set _ZN2at6native6mbtopk10gatherTopKIhjLi1EEEvNS_4cuda6detail10TensorInfoIKT_T0_EES8_S8_bjS8_NS5_IS6_S8_EES8_NS5_IlS8_EES8_jjPS6_PjSD_j.private_seg_size, 0
	.set _ZN2at6native6mbtopk10gatherTopKIhjLi1EEEvNS_4cuda6detail10TensorInfoIKT_T0_EES8_S8_bjS8_NS5_IS6_S8_EES8_NS5_IlS8_EES8_jjPS6_PjSD_j.uses_vcc, 1
	.set _ZN2at6native6mbtopk10gatherTopKIhjLi1EEEvNS_4cuda6detail10TensorInfoIKT_T0_EES8_S8_bjS8_NS5_IS6_S8_EES8_NS5_IlS8_EES8_jjPS6_PjSD_j.uses_flat_scratch, 0
	.set _ZN2at6native6mbtopk10gatherTopKIhjLi1EEEvNS_4cuda6detail10TensorInfoIKT_T0_EES8_S8_bjS8_NS5_IS6_S8_EES8_NS5_IlS8_EES8_jjPS6_PjSD_j.has_dyn_sized_stack, 0
	.set _ZN2at6native6mbtopk10gatherTopKIhjLi1EEEvNS_4cuda6detail10TensorInfoIKT_T0_EES8_S8_bjS8_NS5_IS6_S8_EES8_NS5_IlS8_EES8_jjPS6_PjSD_j.has_recursion, 0
	.set _ZN2at6native6mbtopk10gatherTopKIhjLi1EEEvNS_4cuda6detail10TensorInfoIKT_T0_EES8_S8_bjS8_NS5_IS6_S8_EES8_NS5_IlS8_EES8_jjPS6_PjSD_j.has_indirect_call, 0
	.section	.AMDGPU.csdata,"",@progbits
; Kernel info:
; codeLenInByte = 2192
; TotalNumSgprs: 37
; NumVgprs: 25
; ScratchSize: 0
; MemoryBound: 0
; FloatMode: 240
; IeeeMode: 1
; LDSByteSize: 1068 bytes/workgroup (compile time only)
; SGPRBlocks: 0
; VGPRBlocks: 3
; NumSGPRsForWavesPerEU: 37
; NumVGPRsForWavesPerEU: 25
; Occupancy: 16
; WaveLimiterHint : 1
; COMPUTE_PGM_RSRC2:SCRATCH_EN: 0
; COMPUTE_PGM_RSRC2:USER_SGPR: 6
; COMPUTE_PGM_RSRC2:TRAP_HANDLER: 0
; COMPUTE_PGM_RSRC2:TGID_X_EN: 1
; COMPUTE_PGM_RSRC2:TGID_Y_EN: 1
; COMPUTE_PGM_RSRC2:TGID_Z_EN: 1
; COMPUTE_PGM_RSRC2:TIDIG_COMP_CNT: 0
	.section	.text._ZN2at6native6sbtopk10gatherTopKIhjLi1ELb0EEEvNS_4cuda6detail10TensorInfoIKT_T0_EES8_S8_bS8_S8_NS5_IS6_S8_EES8_NS5_IlS8_EES8_PS6_,"axG",@progbits,_ZN2at6native6sbtopk10gatherTopKIhjLi1ELb0EEEvNS_4cuda6detail10TensorInfoIKT_T0_EES8_S8_bS8_S8_NS5_IS6_S8_EES8_NS5_IlS8_EES8_PS6_,comdat
	.protected	_ZN2at6native6sbtopk10gatherTopKIhjLi1ELb0EEEvNS_4cuda6detail10TensorInfoIKT_T0_EES8_S8_bS8_S8_NS5_IS6_S8_EES8_NS5_IlS8_EES8_PS6_ ; -- Begin function _ZN2at6native6sbtopk10gatherTopKIhjLi1ELb0EEEvNS_4cuda6detail10TensorInfoIKT_T0_EES8_S8_bS8_S8_NS5_IS6_S8_EES8_NS5_IlS8_EES8_PS6_
	.globl	_ZN2at6native6sbtopk10gatherTopKIhjLi1ELb0EEEvNS_4cuda6detail10TensorInfoIKT_T0_EES8_S8_bS8_S8_NS5_IS6_S8_EES8_NS5_IlS8_EES8_PS6_
	.p2align	8
	.type	_ZN2at6native6sbtopk10gatherTopKIhjLi1ELb0EEEvNS_4cuda6detail10TensorInfoIKT_T0_EES8_S8_bS8_S8_NS5_IS6_S8_EES8_NS5_IlS8_EES8_PS6_,@function
_ZN2at6native6sbtopk10gatherTopKIhjLi1ELb0EEEvNS_4cuda6detail10TensorInfoIKT_T0_EES8_S8_bS8_S8_NS5_IS6_S8_EES8_NS5_IlS8_EES8_PS6_: ; @_ZN2at6native6sbtopk10gatherTopKIhjLi1ELb0EEEvNS_4cuda6detail10TensorInfoIKT_T0_EES8_S8_bS8_S8_NS5_IS6_S8_EES8_NS5_IlS8_EES8_PS6_
; %bb.0:
	s_clause 0x1
	s_load_dwordx2 s[12:13], s[4:5], 0x2b8
	s_load_dwordx4 s[36:39], s[4:5], 0xd8
	s_add_u32 s10, s4, 0x2b8
	s_addc_u32 s11, s5, 0
	s_waitcnt lgkmcnt(0)
	s_mul_i32 s0, s13, s8
	s_add_i32 s0, s0, s7
	s_mul_i32 s49, s0, s12
	s_add_i32 s49, s49, s6
	s_cmp_ge_u32 s49, s39
	s_cbranch_scc1 .LBB4_410
; %bb.1:
	s_clause 0x4
	s_load_dwordx2 s[44:45], s[4:5], 0x1d0
	s_load_dword s42, s[4:5], 0xe8
	s_load_dwordx2 s[46:47], s[4:5], 0xf0
	s_load_dword s2, s[4:5], 0x6c
	s_load_dwordx2 s[0:1], s[4:5], 0x0
	v_cmp_eq_u32_e64 s3, 0, v0
	s_mov_b32 s52, 0
	s_and_saveexec_b32 s7, s3
	s_cbranch_execz .LBB4_3
; %bb.2:
	v_mov_b32_e32 v1, 0
	v_mov_b32_e32 v2, s36
	v_mov_b32_e32 v3, v1
	ds_write_b96 v1, v[1:3] offset:4096
.LBB4_3:
	s_or_b32 exec_lo, exec_lo, s7
	s_waitcnt lgkmcnt(0)
	s_barrier
	buffer_gl0_inv
	s_load_dword s7, s[10:11], 0xc
	s_clause 0x1
	s_load_dword s50, s[4:5], 0x23c
	s_load_dword s51, s[4:5], 0x15c
	s_mul_i32 s2, s2, s49
	v_mbcnt_lo_u32_b32 v17, -1, 0
	s_add_u32 s40, s0, s2
	s_addc_u32 s41, s1, 0
	s_bitcmp1_b32 s38, 0
	v_cmp_gt_u32_e32 vcc_lo, 32, v0
	s_cselect_b32 s2, -1, 0
	v_lshlrev_b64 v[1:2], v17, -1
	v_cmp_gt_i32_e64 s0, 4, v17
	s_xor_b32 s53, s2, -1
	v_lshrrev_b32_e32 v3, 1, v0
	v_lshlrev_b32_e32 v16, 2, v0
	v_mul_lo_u32 v18, s42, v0
	s_and_b32 s54, vcc_lo, s0
	v_not_b32_e32 v15, v1
	s_mov_b32 s43, s42
	v_mov_b32_e32 v19, 0
	s_waitcnt lgkmcnt(0)
	s_and_b32 s35, s7, 0xffff
	s_bfe_u32 s7, s7, 0xb0005
	s_lshl_b32 s55, s35, 2
	s_bfe_u32 s0, s35, 0x80008
	v_cvt_f32_u32_e32 v2, s55
	s_lshl_b32 s56, s0, 3
	s_cmpk_gt_u32 s36, 0xc00
	v_cvt_f32_u32_e32 v5, s35
	s_cselect_b32 s57, -1, 0
	v_rcp_iflag_f32_e32 v1, v2
	s_cmp_gt_u32 s35, 31
	v_add_nc_u32_e32 v2, 2, v0
	s_cselect_b32 s58, -1, 0
	s_add_i32 s59, s35, -1
	v_rcp_iflag_f32_e32 v5, v5
	s_add_i32 s13, s59, s36
	s_cmp_lt_u32 s6, s12
	s_movk_i32 s6, 0x1f0
	s_cselect_b32 s8, 12, 18
	v_mul_f32_e32 v1, 0x4f7ffffe, v1
	s_add_u32 s38, s10, s8
	s_addc_u32 s39, s11, 0
	s_add_i32 s7, s7, -1
	s_bfe_u32 s60, s35, 0x30005
	v_cvt_u32_f32_e32 v1, v1
	s_and_b32 s7, s7, 0xffff
	v_and_or_b32 v20, v3, s6, 0xc00
	s_cmp_gt_u32 s7, 6
	v_mul_f32_e32 v3, 0x4f7ffffe, v5
	v_readfirstlane_b32 s7, v1
	s_cselect_b32 s61, -1, 0
	s_cmp_lg_u32 s60, 0
	v_max_u32_e32 v2, s36, v2
	s_cselect_b32 s62, -1, 0
	s_sub_i32 s8, 0, s55
	v_cvt_u32_f32_e32 v3, v3
	s_mul_i32 s8, s8, s7
	v_xad_u32 v2, v0, -1, v2
	s_mul_hi_u32 s6, s7, s8
	v_mad_u64_u32 v[13:14], null, s42, v16, s[42:43]
	s_add_i32 s63, s7, s6
	v_readfirstlane_b32 s9, v3
	s_mul_hi_u32 s6, s36, s63
	v_add_nc_u32_e32 v4, -4, v2
	s_mul_i32 s6, s6, s55
	v_and_b32_e32 v21, -4, v2
	s_sub_i32 s6, s36, s6
	v_cmp_lt_u32_e64 s7, 31, v2
	s_sub_i32 s8, s6, s55
	s_cmp_ge_u32 s6, s55
	v_lshrrev_b32_e32 v1, 2, v4
	s_cselect_b32 s6, s8, s6
	v_add_co_u32 v9, s1, s40, v18
	s_sub_i32 s8, s6, s55
	s_cmp_ge_u32 s6, s55
	v_add_nc_u32_e32 v1, 1, v1
	s_cselect_b32 s6, s8, s6
	s_sub_i32 s8, 0, s35
	s_sub_i32 s67, s36, s6
	s_mul_i32 s8, s8, s9
	v_add_nc_u32_e32 v24, s67, v0
	s_mul_hi_u32 s10, s9, s8
	v_and_b32_e32 v3, 3, v1
	s_add_i32 s66, s9, s10
	v_and_b32_e32 v23, 0x7ffffffc, v1
	s_mul_hi_u32 s10, s13, s66
	v_mul_lo_u32 v1, v24, s42
	s_mul_i32 s10, s10, s35
	v_cmp_ne_u32_e64 s9, 0, v3
	s_sub_i32 s11, s13, s10
	v_cmp_ne_u32_e64 s10, v2, v21
	s_sub_i32 s12, s11, s35
	s_cmp_ge_u32 s11, s35
	v_lshlrev_b32_e32 v25, 2, v3
	s_cselect_b32 s12, s12, s11
	v_or_b32_e32 v2, 2, v16
	s_sub_i32 s14, s12, s35
	s_cmp_ge_u32 s12, s35
	v_or_b32_e32 v3, 3, v16
	s_cselect_b32 s14, s14, s12
	v_mul_lo_u32 v26, s42, v2
	s_sub_i32 s68, s13, s14
	v_add_co_u32 v11, s13, s40, v1
	v_add3_u32 v1, s35, s36, v0
	v_mul_lo_u32 v27, s42, v3
	v_cmp_eq_u32_e64 s0, 0, v17
	v_add_co_ci_u32_e64 v10, null, s41, 0, s1
	v_subrev_nc_u32_e32 v1, s6, v1
	v_cmp_gt_u32_e64 s1, s36, v0
	v_cmp_gt_u32_e64 s15, 2, v0
	v_add_nc_u32_e32 v22, v0, v21
	v_cmp_lt_u32_e64 s8, 11, v4
	v_mul_lo_u32 v29, s42, v1
	v_cmp_gt_u32_e64 s11, s67, v16
	v_cmp_gt_u32_e64 s12, s36, v24
	v_add_co_ci_u32_e64 v12, null, s41, 0, s13
	v_cmp_gt_u32_e64 s13, s68, v0
	v_lshlrev_b32_e32 v28, 2, v18
	v_lshl_or_b32 v30, v17, 2, 0xc00
	v_mov_b32_e32 v34, s37
	v_mov_b32_e32 v31, 8
	;; [unrolled: 1-line block ×5, first 2 shown]
	s_mul_i32 s48, s42, s35
	s_mov_b32 s64, s42
	s_mov_b32 s65, s42
	;; [unrolled: 1-line block ×3, first 2 shown]
	s_lshl_b32 s70, s48, 2
	s_mov_b32 s71, 0
                                        ; implicit-def: $sgpr69
                                        ; implicit-def: $sgpr74
                                        ; implicit-def: $sgpr73
                                        ; implicit-def: $sgpr76
                                        ; implicit-def: $sgpr72
                                        ; implicit-def: $sgpr80
                                        ; implicit-def: $sgpr81
                                        ; implicit-def: $sgpr77
                                        ; implicit-def: $sgpr79
                                        ; implicit-def: $sgpr78
	s_branch .LBB4_6
.LBB4_4:                                ;   in Loop: Header=BB4_6 Depth=1
	s_or_b32 exec_lo, exec_lo, s17
	v_mov_b32_e32 v34, v4
	s_andn2_b32 s17, s78, exec_lo
	s_and_b32 s16, s16, exec_lo
	s_andn2_b32 s79, s79, exec_lo
	s_or_b32 s78, s17, s16
	s_andn2_b32 s77, s77, exec_lo
	s_andn2_b32 s81, s81, exec_lo
	;; [unrolled: 1-line block ×3, first 2 shown]
	s_orn2_b32 s17, s14, exec_lo
.LBB4_5:                                ;   in Loop: Header=BB4_6 Depth=1
	s_or_b32 exec_lo, exec_lo, s6
	s_and_b32 s6, exec_lo, s17
	s_or_b32 s52, s6, s52
	s_andn2_b32 s6, s72, exec_lo
	s_and_b32 s14, s78, exec_lo
	s_andn2_b32 s16, s76, exec_lo
	s_or_b32 s72, s6, s14
	s_and_b32 s6, s79, exec_lo
	s_andn2_b32 s14, s73, exec_lo
	s_and_b32 s17, s77, exec_lo
	s_or_b32 s76, s16, s6
	s_or_b32 s73, s14, s17
	s_andn2_b32 s6, s74, exec_lo
	s_and_b32 s14, s81, exec_lo
	s_andn2_b32 s16, s69, exec_lo
	s_and_b32 s17, s80, exec_lo
	s_or_b32 s74, s6, s14
	s_or_b32 s69, s16, s17
	s_andn2_b32 exec_lo, exec_lo, s52
	s_cbranch_execz .LBB4_406
.LBB4_6:                                ; =>This Loop Header: Depth=1
                                        ;     Child Loop BB4_11 Depth 2
                                        ;     Child Loop BB4_32 Depth 2
                                        ;     Child Loop BB4_36 Depth 2
                                        ;     Child Loop BB4_42 Depth 2
                                        ;     Child Loop BB4_74 Depth 2
                                        ;     Child Loop BB4_78 Depth 2
                                        ;     Child Loop BB4_63 Depth 2
                                        ;     Child Loop BB4_68 Depth 2
                                        ;     Child Loop BB4_59 Depth 2
                                        ;     Child Loop BB4_83 Depth 2
                                        ;     Child Loop BB4_94 Depth 2
                                        ;     Child Loop BB4_105 Depth 2
                                        ;     Child Loop BB4_131 Depth 2
                                        ;     Child Loop BB4_142 Depth 2
                                        ;     Child Loop BB4_168 Depth 2
                                        ;     Child Loop BB4_179 Depth 2
                                        ;     Child Loop BB4_205 Depth 2
                                        ;     Child Loop BB4_216 Depth 2
                                        ;     Child Loop BB4_252 Depth 2
                                        ;     Child Loop BB4_264 Depth 2
                                        ;     Child Loop BB4_290 Depth 2
                                        ;     Child Loop BB4_301 Depth 2
                                        ;     Child Loop BB4_327 Depth 2
                                        ;     Child Loop BB4_338 Depth 2
                                        ;     Child Loop BB4_364 Depth 2
                                        ;     Child Loop BB4_375 Depth 2
	ds_read_b64 v[1:2], v19 offset:4096
	s_waitcnt lgkmcnt(0)
	v_readfirstlane_b32 s82, v1
	s_cmp_lg_u32 s82, 0
	s_cbranch_scc1 .LBB4_51
; %bb.7:                                ;   in Loop: Header=BB4_6 Depth=1
	s_and_b32 vcc_lo, exec_lo, s57
	s_cbranch_vccz .LBB4_19
; %bb.8:                                ;   in Loop: Header=BB4_6 Depth=1
	v_cmp_gt_u32_e32 vcc_lo, 0xc01, v2
	s_mov_b32 s14, 0
	s_mov_b32 s6, 0
	s_cbranch_vccz .LBB4_20
; %bb.9:                                ;   in Loop: Header=BB4_6 Depth=1
	global_load_ushort v1, v19, s[38:39]
	global_load_ubyte v4, v[9:10], off
	v_mov_b32_e32 v5, v0
	s_mov_b32 s16, 0
	s_waitcnt vmcnt(1)
	v_add_nc_u32_e32 v2, v0, v1
	v_mul_lo_u32 v3, s42, v1
	v_mul_lo_u32 v2, s42, v2
	s_branch .LBB4_11
.LBB4_10:                               ;   in Loop: Header=BB4_11 Depth=2
	s_or_b32 exec_lo, exec_lo, s6
	v_add_nc_u32_e32 v2, v2, v3
	v_mov_b32_e32 v4, v6
	s_andn2_b32 exec_lo, exec_lo, s16
	s_cbranch_execz .LBB4_26
.LBB4_11:                               ;   Parent Loop BB4_6 Depth=1
                                        ; =>  This Inner Loop Header: Depth=2
	v_add_nc_u32_e32 v5, v5, v1
	s_waitcnt lgkmcnt(0)
	v_mov_b32_e32 v7, 0
	v_mov_b32_e32 v6, 0
	s_mov_b32 s17, exec_lo
	v_cmp_le_u32_e32 vcc_lo, s36, v5
	v_cmpx_gt_u32_e64 s36, v5
	s_cbranch_execz .LBB4_13
; %bb.12:                               ;   in Loop: Header=BB4_11 Depth=2
	global_load_ubyte v6, v2, s[40:41]
.LBB4_13:                               ;   in Loop: Header=BB4_11 Depth=2
	s_or_b32 exec_lo, exec_lo, s17
	s_waitcnt vmcnt(0)
	v_and_b32_e32 v8, v4, v32
	v_cmp_eq_u32_sdwa s17, v8, v14 src0_sel:BYTE_0 src1_sel:DWORD
	s_cmp_lg_u32 s17, 0
	s_cselect_b32 s6, -1, 0
	s_and_b32 s6, s0, s6
	s_and_saveexec_b32 s18, s6
	s_cbranch_execz .LBB4_17
; %bb.14:                               ;   in Loop: Header=BB4_11 Depth=2
	s_mov_b32 s21, exec_lo
	s_bcnt1_i32_b32 s19, s17
	v_mbcnt_lo_u32_b32 v7, s21, 0
	s_mov_b32 s20, exec_lo
                                        ; implicit-def: $vgpr8
	v_cmpx_eq_u32_e32 0, v7
; %bb.15:                               ;   in Loop: Header=BB4_11 Depth=2
	s_bcnt1_i32_b32 s6, s21
	s_mul_i32 s6, s19, s6
	v_mov_b32_e32 v8, s6
	ds_add_rtn_u32 v8, v19, v8 offset:4104
; %bb.16:                               ;   in Loop: Header=BB4_11 Depth=2
	s_or_b32 exec_lo, exec_lo, s20
	s_waitcnt lgkmcnt(0)
	v_readfirstlane_b32 s6, v8
	v_mad_u32_u24 v7, s19, v7, s6
.LBB4_17:                               ;   in Loop: Header=BB4_11 Depth=2
	s_or_b32 exec_lo, exec_lo, s18
	ds_bpermute_b32 v7, v19, v7
	s_and_b32 s6, exec_lo, vcc_lo
	s_or_b32 s16, s6, s16
	s_and_saveexec_b32 s6, s17
	s_cbranch_execz .LBB4_10
; %bb.18:                               ;   in Loop: Header=BB4_11 Depth=2
	v_and_b32_e32 v8, s17, v15
	s_waitcnt lgkmcnt(0)
	v_bcnt_u32_b32 v7, v8, v7
	ds_write_b8 v7, v4
	s_branch .LBB4_10
.LBB4_19:                               ;   in Loop: Header=BB4_6 Depth=1
	s_mov_b32 s14, -1
	s_mov_b32 s6, 0
.LBB4_20:                               ;   in Loop: Header=BB4_6 Depth=1
	s_and_b32 vcc_lo, exec_lo, s14
	s_cbranch_vccz .LBB4_49
.LBB4_21:                               ;   in Loop: Header=BB4_6 Depth=1
	s_and_saveexec_b32 s14, s1
	s_cbranch_execz .LBB4_46
; %bb.22:                               ;   in Loop: Header=BB4_6 Depth=1
	global_load_ushort v2, v19, s[38:39]
	global_load_ubyte v35, v[9:10], off
	s_mov_b32 s16, exec_lo
	s_waitcnt vmcnt(1)
	v_add_nc_u32_e32 v1, v0, v2
	v_readfirstlane_b32 s17, v2
	v_mov_b32_e32 v2, v0
	v_cmpx_gt_u32_e64 s36, v1
	s_cbranch_execz .LBB4_45
; %bb.23:                               ;   in Loop: Header=BB4_6 Depth=1
	s_mov_b32 s6, 0
	s_mul_i32 s18, s42, s17
                                        ; implicit-def: $vgpr2
                                        ; implicit-def: $vgpr5
                                        ; implicit-def: $vgpr3
                                        ; implicit-def: $vgpr4
	s_and_saveexec_b32 s19, s7
	s_xor_b32 s19, exec_lo, s19
	s_cbranch_execnz .LBB4_29
; %bb.24:                               ;   in Loop: Header=BB4_6 Depth=1
	s_andn2_saveexec_b32 s19, s19
	s_cbranch_execnz .LBB4_40
.LBB4_25:                               ;   in Loop: Header=BB4_6 Depth=1
	s_or_b32 exec_lo, exec_lo, s19
	s_and_saveexec_b32 s18, s6
	s_cbranch_execnz .LBB4_41
	s_branch .LBB4_44
.LBB4_26:                               ;   in Loop: Header=BB4_6 Depth=1
	s_or_b32 exec_lo, exec_lo, s16
	s_waitcnt lgkmcnt(0)
	s_barrier
	buffer_gl0_inv
	s_and_saveexec_b32 s6, s3
	s_cbranch_execz .LBB4_28
; %bb.27:                               ;   in Loop: Header=BB4_6 Depth=1
	ds_read_b32 v1, v19 offset:4104
	s_waitcnt lgkmcnt(0)
	ds_write_b32 v19, v1 offset:4096
.LBB4_28:                               ;   in Loop: Header=BB4_6 Depth=1
	s_or_b32 exec_lo, exec_lo, s6
	s_waitcnt lgkmcnt(0)
	s_mov_b32 s6, -1
	s_barrier
	s_and_b32 vcc_lo, exec_lo, s14
	s_cbranch_vccnz .LBB4_21
	s_branch .LBB4_49
.LBB4_29:                               ;   in Loop: Header=BB4_6 Depth=1
	v_cvt_f32_u32_e32 v2, s17
	v_add_nc_u32_e32 v3, s17, v1
	s_sub_i32 s6, 0, s17
	s_not_b32 s20, s18
	v_rcp_iflag_f32_e32 v2, v2
	v_max_u32_e32 v3, s36, v3
	v_sub_nc_u32_e32 v3, v3, v0
	v_mul_f32_e32 v2, 0x4f7ffffe, v2
	v_cvt_u32_f32_e32 v2, v2
	v_mul_lo_u32 v4, s6, v2
	s_lshl_b32 s6, s17, 1
	v_cmp_ne_u32_e32 vcc_lo, s6, v3
	v_cndmask_b32_e64 v5, 0, 1, vcc_lo
	v_mul_hi_u32 v4, v2, v4
	v_or_b32_e32 v5, s6, v5
	v_add_nc_u32_e32 v2, v2, v4
	v_sub_nc_u32_e32 v3, v3, v5
	v_mul_hi_u32 v2, v3, v2
	v_mul_lo_u32 v4, v2, s17
	v_sub_nc_u32_e32 v3, v3, v4
	v_add_nc_u32_e32 v4, 1, v2
	v_subrev_nc_u32_e32 v5, s17, v3
	v_cmp_le_u32_e64 s6, s17, v3
	v_cndmask_b32_e64 v2, v2, v4, s6
	v_cndmask_b32_e64 v3, v3, v5, s6
	v_add_nc_u32_e32 v4, 1, v2
	v_cmp_le_u32_e64 s6, s17, v3
	v_mul_lo_u32 v3, s42, v1
	v_cndmask_b32_e64 v2, v2, v4, s6
	s_abs_i32 s6, s18
	v_add_co_ci_u32_e64 v2, null, 0, v2, vcc_lo
	v_mul_hi_u32 v4, s6, v2
	v_mul_lo_u32 v2, s6, v2
	s_ashr_i32 s6, s20, 31
	s_cmp_eq_u32 s17, 1
	v_xor_b32_e32 v3, s6, v3
	s_cselect_b32 s20, -1, 0
	v_cmp_eq_u32_e32 vcc_lo, 0, v4
	v_cmp_le_u32_e64 s6, v2, v3
	v_mov_b32_e32 v3, v0
                                        ; implicit-def: $vgpr2
	s_and_b32 s20, vcc_lo, s20
	s_and_b32 s21, s20, s6
	s_mov_b32 s20, -1
	s_and_saveexec_b32 s6, s21
	s_cbranch_execz .LBB4_39
; %bb.30:                               ;   in Loop: Header=BB4_6 Depth=1
	v_add_nc_u32_e32 v4, 3, v1
	v_add_nc_u32_e32 v3, 2, v1
	;; [unrolled: 1-line block ×3, first 2 shown]
	s_waitcnt vmcnt(0)
	v_lshlrev_b32_e32 v36, 24, v35
	v_mov_b32_e32 v38, 0
	v_mov_b32_e32 v8, v4
	;; [unrolled: 1-line block ×5, first 2 shown]
                                        ; implicit-def: $vgpr35
	s_and_saveexec_b32 s20, s8
	s_cbranch_execz .LBB4_34
; %bb.31:                               ;   in Loop: Header=BB4_6 Depth=1
	v_mov_b32_e32 v8, v4
	v_mov_b32_e32 v37, v23
	;; [unrolled: 1-line block ×5, first 2 shown]
	s_mov_b32 s21, 0
	s_mov_b32 s22, 0
.LBB4_32:                               ;   Parent Loop BB4_6 Depth=1
                                        ; =>  This Inner Loop Header: Depth=2
	v_mul_lo_u32 v2, v5, s42
	v_mul_lo_u32 v38, v6, s43
	v_add_nc_u32_e32 v3, 4, v5
	v_mul_lo_u32 v35, v7, s64
	v_add_nc_u32_e32 v39, 4, v6
	;; [unrolled: 2-line block ×3, first 2 shown]
	v_mul_lo_u32 v53, v3, s42
	v_add_co_u32 v2, s23, s40, v2
	v_add_nc_u32_e32 v41, 4, v8
	v_add_nc_u32_e32 v42, 8, v5
	v_mul_lo_u32 v52, v39, s43
	v_add_co_ci_u32_e64 v3, null, s41, 0, s23
	v_add_co_u32 v38, s23, s40, v38
	v_add_nc_u32_e32 v43, 8, v6
	v_add_nc_u32_e32 v44, 8, v7
	v_mul_lo_u32 v51, v40, s64
	v_add_co_ci_u32_e64 v39, null, s41, 0, s23
	v_add_co_u32 v40, s23, s40, v35
	v_add_nc_u32_e32 v45, 8, v8
	v_add_nc_u32_e32 v46, 12, v5
	v_mul_lo_u32 v50, v41, s65
	v_mul_lo_u32 v55, v42, s42
	v_add_co_ci_u32_e64 v41, null, s41, 0, s23
	v_add_co_u32 v42, s23, s40, v4
	v_add_nc_u32_e32 v47, 12, v6
	v_add_nc_u32_e32 v48, 12, v7
	v_mul_lo_u32 v56, v44, s64
	v_mul_lo_u32 v54, v43, s43
	v_add_co_ci_u32_e64 v43, null, s41, 0, s23
	v_add_co_u32 v44, s23, s40, v53
	v_add_nc_u32_e32 v49, 12, v8
	v_mul_lo_u32 v58, v45, s65
	v_mul_lo_u32 v60, v46, s42
	v_add_co_ci_u32_e64 v45, null, s41, 0, s23
	v_add_co_u32 v46, s23, s40, v52
	v_mul_lo_u32 v64, v48, s64
	v_mul_lo_u32 v62, v47, s43
	v_add_co_ci_u32_e64 v47, null, s41, 0, s23
	v_add_co_u32 v48, s23, s40, v51
	v_mul_lo_u32 v66, v49, s65
	v_add_co_ci_u32_e64 v49, null, s41, 0, s23
	v_add_co_u32 v50, s23, s40, v50
	v_add_co_ci_u32_e64 v51, null, s41, 0, s23
	v_add_co_u32 v52, s23, s40, v55
	;; [unrolled: 2-line block ×9, first 2 shown]
	v_add_co_ci_u32_e64 v67, null, s41, 0, s23
	s_clause 0xf
	global_load_ubyte v4, v[40:41], off
	global_load_ubyte v40, v[42:43], off
	global_load_ubyte v41, v[44:45], off
	global_load_ubyte v42, v[48:49], off
	global_load_ubyte v43, v[50:51], off
	global_load_ubyte v44, v[46:47], off
	global_load_ubyte v39, v[38:39], off
	global_load_ubyte v2, v[2:3], off
	global_load_ubyte v3, v[52:53], off
	global_load_ubyte v45, v[56:57], off
	global_load_ubyte v46, v[58:59], off
	global_load_ubyte v47, v[54:55], off
	global_load_ubyte v48, v[62:63], off
	global_load_ubyte v49, v[64:65], off
	global_load_ubyte v50, v[60:61], off
	global_load_ubyte v35, v[66:67], off
	v_add_nc_u32_e32 v37, -4, v37
	v_add_nc_u32_e32 v51, s22, v0
	s_add_i32 s22, s22, 16
	v_add_nc_u32_e32 v8, 16, v8
	v_add_nc_u32_e32 v7, 16, v7
	v_cmp_eq_u32_e32 vcc_lo, 0, v37
	v_add_nc_u32_e32 v6, 16, v6
	v_add_nc_u32_e32 v5, 16, v5
	v_mov_b32_e32 v38, s22
	s_or_b32 s21, vcc_lo, s21
	s_waitcnt vmcnt(9)
	v_perm_b32 v4, v39, v4, 0xc0c0004
	s_waitcnt vmcnt(8)
	v_perm_b32 v2, v36, v2, 0xc0c0007
	v_perm_b32 v36, v40, v41, 0xc0c0004
	;; [unrolled: 1-line block ×3, first 2 shown]
	s_waitcnt vmcnt(7)
	v_perm_b32 v3, v43, v3, 0xc0c0004
	s_waitcnt vmcnt(4)
	v_perm_b32 v41, v47, v45, 0xc0c0004
	v_lshl_or_b32 v39, v4, 16, v2
	s_waitcnt vmcnt(2)
	v_perm_b32 v44, v48, v49, 0xc0c0004
	s_waitcnt vmcnt(1)
	v_perm_b32 v43, v50, v48, 0xc0c0004
	v_perm_b32 v42, v46, v50, 0xc0c0004
	s_waitcnt vmcnt(0)
	v_perm_b32 v45, v49, v35, 0xc0c0004
	v_lshl_or_b32 v40, v40, 16, v36
	v_lshl_or_b32 v41, v41, 16, v3
	v_lshl_or_b32 v42, v44, 16, v42
	v_lshl_or_b32 v36, v45, 16, v43
	ds_write_b128 v51, v[39:42]
	s_andn2_b32 exec_lo, exec_lo, s21
	s_cbranch_execnz .LBB4_32
; %bb.33:                               ;   in Loop: Header=BB4_6 Depth=1
	s_or_b32 exec_lo, exec_lo, s21
.LBB4_34:                               ;   in Loop: Header=BB4_6 Depth=1
	s_or_b32 exec_lo, exec_lo, s20
	s_and_saveexec_b32 s20, s9
	s_cbranch_execz .LBB4_38
; %bb.35:                               ;   in Loop: Header=BB4_6 Depth=1
	v_add_nc_u32_e32 v2, v0, v38
	v_mov_b32_e32 v3, v25
	s_mov_b32 s21, 0
.LBB4_36:                               ;   Parent Loop BB4_6 Depth=1
                                        ; =>  This Inner Loop Header: Depth=2
	v_mul_lo_u32 v4, v5, s42
	v_mul_lo_u32 v35, v6, s43
	;; [unrolled: 1-line block ×4, first 2 shown]
	v_add_nc_u32_e32 v3, -4, v3
	v_add_nc_u32_e32 v8, 4, v8
	v_add_nc_u32_e32 v7, 4, v7
	;; [unrolled: 1-line block ×3, first 2 shown]
	v_add_co_u32 v37, s22, s40, v4
	v_add_co_ci_u32_e64 v38, null, s41, 0, s22
	v_add_co_u32 v39, s22, s40, v35
	v_add_co_ci_u32_e64 v40, null, s41, 0, s22
	;; [unrolled: 2-line block ×4, first 2 shown]
	s_clause 0x3
	global_load_ubyte v4, v[39:40], off
	global_load_ubyte v39, v[41:42], off
	;; [unrolled: 1-line block ×4, first 2 shown]
	v_cmp_eq_u32_e32 vcc_lo, 0, v3
	v_add_nc_u32_e32 v5, 4, v5
	s_or_b32 s21, vcc_lo, s21
	s_waitcnt vmcnt(2)
	v_perm_b32 v38, v4, v39, 0xc0c0004
	s_waitcnt vmcnt(1)
	v_perm_b32 v36, v36, v37, 0xc0c0007
	v_perm_b32 v4, v37, v4, 0xc0c0004
	s_waitcnt vmcnt(0)
	v_perm_b32 v37, v39, v35, 0xc0c0004
	v_lshl_or_b32 v36, v38, 16, v36
	v_lshl_or_b32 v4, v37, 16, v4
	ds_write_b32 v2, v36
	v_add_nc_u32_e32 v2, 4, v2
	v_mov_b32_e32 v36, v4
	s_andn2_b32 exec_lo, exec_lo, s21
	s_cbranch_execnz .LBB4_36
; %bb.37:                               ;   in Loop: Header=BB4_6 Depth=1
	s_or_b32 exec_lo, exec_lo, s21
.LBB4_38:                               ;   in Loop: Header=BB4_6 Depth=1
	s_or_b32 exec_lo, exec_lo, s20
	v_add_nc_u32_e32 v1, v1, v21
	v_mov_b32_e32 v3, v22
	s_orn2_b32 s20, s10, exec_lo
	v_add_nc_u32_e32 v2, -1, v1
.LBB4_39:                               ;   in Loop: Header=BB4_6 Depth=1
	s_or_b32 exec_lo, exec_lo, s6
	v_mov_b32_e32 v4, s18
	s_waitcnt vmcnt(0)
	v_mov_b32_e32 v5, v35
	s_and_b32 s6, s20, exec_lo
	s_andn2_saveexec_b32 s19, s19
	s_cbranch_execz .LBB4_25
.LBB4_40:                               ;   in Loop: Header=BB4_6 Depth=1
	v_mov_b32_e32 v4, s18
	s_waitcnt vmcnt(0)
	v_mov_b32_e32 v5, v35
	v_mov_b32_e32 v3, v0
	s_or_b32 s6, s6, exec_lo
	s_or_b32 exec_lo, exec_lo, s19
	s_and_saveexec_b32 s18, s6
	s_cbranch_execz .LBB4_44
.LBB4_41:                               ;   in Loop: Header=BB4_6 Depth=1
	v_mul_lo_u32 v2, s42, v1
	s_mov_b32 s19, 0
	s_sub_i32 s6, 0, s17
.LBB4_42:                               ;   Parent Loop BB4_6 Depth=1
                                        ; =>  This Inner Loop Header: Depth=2
	global_load_ubyte v35, v2, s[40:41]
	v_mov_b32_e32 v6, v1
	ds_write_b8 v3, v5
	v_add_nc_u32_e32 v2, v2, v4
	v_add_nc_u32_e32 v1, s17, v6
	v_mov_b32_e32 v3, v6
	v_cmp_le_u32_e32 vcc_lo, s36, v1
	s_or_b32 s19, vcc_lo, s19
	s_waitcnt vmcnt(0)
	v_mov_b32_e32 v5, v35
	s_andn2_b32 exec_lo, exec_lo, s19
	s_cbranch_execnz .LBB4_42
; %bb.43:                               ;   in Loop: Header=BB4_6 Depth=1
	s_or_b32 exec_lo, exec_lo, s19
	v_add_nc_u32_e32 v2, s6, v1
.LBB4_44:                               ;   in Loop: Header=BB4_6 Depth=1
	s_or_b32 exec_lo, exec_lo, s18
.LBB4_45:                               ;   in Loop: Header=BB4_6 Depth=1
	s_or_b32 exec_lo, exec_lo, s16
	s_waitcnt vmcnt(0)
	ds_write_b8 v2, v35
.LBB4_46:                               ;   in Loop: Header=BB4_6 Depth=1
	s_or_b32 exec_lo, exec_lo, s14
	s_waitcnt lgkmcnt(0)
	s_barrier
	buffer_gl0_inv
	s_and_saveexec_b32 s6, s3
; %bb.47:                               ;   in Loop: Header=BB4_6 Depth=1
	v_mov_b32_e32 v1, s36
	ds_write_b32 v19, v1 offset:4096
; %bb.48:                               ;   in Loop: Header=BB4_6 Depth=1
	s_or_b32 exec_lo, exec_lo, s6
	s_mov_b32 s6, -1
	s_waitcnt lgkmcnt(0)
	s_barrier
.LBB4_49:                               ;   in Loop: Header=BB4_6 Depth=1
	s_and_b32 vcc_lo, exec_lo, s6
	s_mov_b32 s82, 0
	s_cbranch_vccz .LBB4_51
; %bb.50:                               ;   in Loop: Header=BB4_6 Depth=1
	buffer_gl0_inv
	ds_read_b32 v1, v19 offset:4096
	s_waitcnt lgkmcnt(0)
	v_readfirstlane_b32 s82, v1
.LBB4_51:                               ;   in Loop: Header=BB4_6 Depth=1
	s_cmp_lt_i32 s82, 1
	s_mov_b32 s6, -1
                                        ; implicit-def: $vgpr4
	s_cbranch_scc1 .LBB4_61
; %bb.52:                               ;   in Loop: Header=BB4_6 Depth=1
	s_and_b32 vcc_lo, exec_lo, s6
	s_cbranch_vccnz .LBB4_72
.LBB4_53:                               ;   in Loop: Header=BB4_6 Depth=1
	s_lshl_b32 s6, s71, 7
	s_and_saveexec_b32 s14, s0
.LBB4_54:                               ;   in Loop: Header=BB4_6 Depth=1
	v_lshl_add_u32 v5, s6, 2, v20
	ds_write_b128 v5, v[1:4]
.LBB4_55:                               ;   in Loop: Header=BB4_6 Depth=1
	s_or_b32 exec_lo, exec_lo, s14
	s_waitcnt lgkmcnt(0)
	s_barrier
	buffer_gl0_inv
	s_and_saveexec_b32 s14, s54
	s_cbranch_execz .LBB4_85
; %bb.56:                               ;   in Loop: Header=BB4_6 Depth=1
	v_mov_b32_e32 v1, 0
	s_andn2_b32 vcc_lo, exec_lo, s58
	s_cbranch_vccnz .LBB4_84
; %bb.57:                               ;   in Loop: Header=BB4_6 Depth=1
	s_andn2_b32 vcc_lo, exec_lo, s61
	s_cbranch_vccnz .LBB4_81
; %bb.58:                               ;   in Loop: Header=BB4_6 Depth=1
	v_lshl_add_u32 v2, s71, 9, v30
	v_mov_b32_e32 v1, 0
	s_mov_b32 s16, 0
	.p2align	6
.LBB4_59:                               ;   Parent Loop BB4_6 Depth=1
                                        ; =>  This Inner Loop Header: Depth=2
	ds_read2_b32 v[3:4], v2 offset1:4
	ds_read2_b32 v[5:6], v2 offset0:8 offset1:12
	ds_read2_b32 v[7:8], v2 offset0:16 offset1:20
	;; [unrolled: 1-line block ×3, first 2 shown]
	v_add_nc_u32_e32 v2, 0x80, v2
	s_add_i32 s16, s16, 8
	s_cmp_eq_u32 s56, s16
	s_waitcnt lgkmcnt(3)
	v_add3_u32 v1, v3, v1, v4
	s_waitcnt lgkmcnt(2)
	v_add3_u32 v1, v5, v1, v6
	;; [unrolled: 2-line block ×4, first 2 shown]
	s_cbranch_scc0 .LBB4_59
; %bb.60:                               ;   in Loop: Header=BB4_6 Depth=1
	s_mov_b32 s16, s56
	s_andn2_b32 vcc_lo, exec_lo, s62
	s_cbranch_vccz .LBB4_82
	s_branch .LBB4_84
.LBB4_61:                               ;   in Loop: Header=BB4_6 Depth=1
	v_mov_b32_e32 v1, 0
	v_mov_b32_e32 v2, 0
	;; [unrolled: 1-line block ×4, first 2 shown]
	s_and_saveexec_b32 s83, s11
	s_cbranch_execz .LBB4_65
; %bb.62:                               ;   in Loop: Header=BB4_6 Depth=1
	v_mov_b32_e32 v5, v16
	s_mov_b32 s84, 0
	s_mov_b32 s85, 0
	;; [unrolled: 1-line block ×6, first 2 shown]
.LBB4_63:                               ;   Parent Loop BB4_6 Depth=1
                                        ; =>  This Inner Loop Header: Depth=2
	v_add_nc_u32_e32 v1, s85, v28
	v_add_nc_u32_e32 v2, s85, v13
	;; [unrolled: 1-line block ×5, first 2 shown]
	s_clause 0x3
	global_load_ubyte v1, v1, s[40:41]
	global_load_ubyte v2, v2, s[40:41]
	;; [unrolled: 1-line block ×4, first 2 shown]
	s_add_i32 s85, s85, s70
	v_cmp_le_u32_e32 vcc_lo, s67, v5
	s_waitcnt vmcnt(3)
	v_and_b32_e32 v6, v32, v1
	v_bfe_u32 v1, v1, s75, 2
	s_waitcnt vmcnt(2)
	v_and_b32_e32 v7, v32, v2
	v_bfe_u32 v2, v2, s75, 2
	;; [unrolled: 3-line block ×3, first 2 shown]
	v_cmp_eq_u32_e64 s6, v6, v14
	v_cmp_eq_u32_e64 s18, 0, v1
	s_waitcnt vmcnt(0)
	v_and_b32_e32 v35, v32, v4
	v_bfe_u32 v4, v4, s75, 2
	v_cmp_eq_u32_e64 s14, v7, v14
	v_cmp_eq_u32_e64 s19, 0, v2
	;; [unrolled: 1-line block ×4, first 2 shown]
	s_and_b32 s18, s6, s18
	v_cmp_eq_u32_e64 s17, v35, v14
	v_cmp_eq_u32_e64 s21, 0, v4
	;; [unrolled: 1-line block ×5, first 2 shown]
	v_cndmask_b32_e64 v1, 0, 1, s18
	s_and_b32 s18, s14, s19
	v_cmp_eq_u32_e64 s23, 1, v2
	v_cmp_eq_u32_e64 s27, 2, v2
	v_cmp_eq_u32_e64 s31, 3, v2
	v_cndmask_b32_e64 v2, 0, 1, s18
	s_and_b32 s18, s16, s20
	v_cmp_eq_u32_e64 s24, 1, v3
	v_cmp_eq_u32_e64 s28, 2, v3
	v_cmp_eq_u32_e64 s33, 3, v3
	;; [unrolled: 5-line block ×3, first 2 shown]
	v_cndmask_b32_e64 v4, 0, 1, s18
	s_and_b32 s18, s6, s22
	v_cndmask_b32_e64 v6, 0, 1, s18
	s_and_b32 s18, s14, s23
	;; [unrolled: 2-line block ×4, first 2 shown]
	v_cmp_ne_u32_e64 s19, 0, v7
	v_cndmask_b32_e64 v35, 0, 1, s18
	s_and_b32 s18, s6, s26
	s_and_b32 s6, s6, s30
	v_cndmask_b32_e64 v36, 0, 1, s18
	s_and_b32 s18, s14, s27
	v_cndmask_b32_e64 v40, 0, 1, s6
	;; [unrolled: 2-line block ×7, first 2 shown]
	v_cndmask_b32_e64 v43, 0, 1, s6
	v_cmp_ne_u32_e64 s6, 0, v1
	v_cmp_ne_u32_e64 s18, 0, v6
	;; [unrolled: 1-line block ×11, first 2 shown]
	s_bcnt1_i32_b32 s6, s6
	s_bcnt1_i32_b32 s18, s18
	;; [unrolled: 1-line block ×4, first 2 shown]
	v_cmp_ne_u32_e64 s17, 0, v4
	v_cmp_ne_u32_e64 s21, 0, v35
	;; [unrolled: 1-line block ×4, first 2 shown]
	s_bcnt1_i32_b32 s14, s14
	s_bcnt1_i32_b32 s19, s19
	s_bcnt1_i32_b32 s23, s23
	s_bcnt1_i32_b32 s27, s27
	s_add_i32 s6, s6, s89
	s_add_i32 s18, s18, s88
	s_add_i32 s22, s22, s87
	s_add_i32 s26, s26, s86
	s_bcnt1_i32_b32 s16, s16
	s_bcnt1_i32_b32 s20, s20
	s_bcnt1_i32_b32 s24, s24
	s_bcnt1_i32_b32 s28, s28
	s_add_i32 s6, s6, s14
	s_add_i32 s14, s18, s19
	s_add_i32 s18, s22, s23
	s_add_i32 s19, s26, s27
	;; [unrolled: 8-line block ×3, first 2 shown]
	s_add_i32 s89, s6, s17
	s_add_i32 s88, s14, s21
	;; [unrolled: 1-line block ×4, first 2 shown]
	v_mov_b32_e32 v1, s89
	v_mov_b32_e32 v2, s88
	;; [unrolled: 1-line block ×4, first 2 shown]
	s_or_b32 s84, vcc_lo, s84
	s_andn2_b32 exec_lo, exec_lo, s84
	s_cbranch_execnz .LBB4_63
; %bb.64:                               ;   in Loop: Header=BB4_6 Depth=1
	s_or_b32 exec_lo, exec_lo, s84
.LBB4_65:                               ;   in Loop: Header=BB4_6 Depth=1
	s_or_b32 exec_lo, exec_lo, s83
	s_and_saveexec_b32 s18, s12
	s_cbranch_execz .LBB4_71
; %bb.66:                               ;   in Loop: Header=BB4_6 Depth=1
	global_load_ubyte v8, v[11:12], off
	v_mov_b32_e32 v5, v29
	v_mov_b32_e32 v6, v24
	s_mov_b32 s19, 0
	s_branch .LBB4_68
.LBB4_67:                               ;   in Loop: Header=BB4_68 Depth=2
	s_or_b32 exec_lo, exec_lo, s14
	s_waitcnt vmcnt(0)
	v_and_b32_e32 v8, 0xff, v8
	s_and_b32 s14, exec_lo, vcc_lo
	v_add_nc_u32_e32 v5, s48, v5
	s_or_b32 s19, s14, s19
	v_and_b32_e32 v35, v32, v8
	v_bfe_u32 v8, v8, s75, 2
	v_cmp_eq_u32_e32 vcc_lo, v35, v14
	v_cmp_eq_u32_e64 s6, 0, v8
	v_cmp_eq_u32_e64 s14, 1, v8
	;; [unrolled: 1-line block ×4, first 2 shown]
	s_and_b32 s6, vcc_lo, s6
	v_cndmask_b32_e64 v8, 0, 1, s6
	s_and_b32 s6, vcc_lo, s14
	v_cndmask_b32_e64 v35, 0, 1, s6
	;; [unrolled: 2-line block ×3, first 2 shown]
	s_and_b32 s6, vcc_lo, s17
	v_cmp_ne_u32_e32 vcc_lo, 0, v8
	v_cndmask_b32_e64 v37, 0, 1, s6
	v_cmp_ne_u32_e64 s6, 0, v35
	v_cmp_ne_u32_e64 s14, 0, v36
	v_mov_b32_e32 v8, v7
	s_bcnt1_i32_b32 s17, vcc_lo
	v_cmp_ne_u32_e64 s16, 0, v37
	s_bcnt1_i32_b32 s6, s6
	s_bcnt1_i32_b32 s14, s14
	v_add_nc_u32_e32 v1, s17, v1
	v_add_nc_u32_e32 v2, s6, v2
	s_bcnt1_i32_b32 s16, s16
	v_add_nc_u32_e32 v3, s14, v3
	v_add_nc_u32_e32 v4, s16, v4
	s_andn2_b32 exec_lo, exec_lo, s19
	s_cbranch_execz .LBB4_70
.LBB4_68:                               ;   Parent Loop BB4_6 Depth=1
                                        ; =>  This Inner Loop Header: Depth=2
	v_add_nc_u32_e32 v6, s35, v6
	v_mov_b32_e32 v7, 0
	s_mov_b32 s14, exec_lo
	v_cmp_le_u32_e32 vcc_lo, s36, v6
	v_cmpx_gt_u32_e64 s36, v6
	s_cbranch_execz .LBB4_67
; %bb.69:                               ;   in Loop: Header=BB4_68 Depth=2
	global_load_ubyte v7, v5, s[40:41]
	s_branch .LBB4_67
.LBB4_70:                               ;   in Loop: Header=BB4_6 Depth=1
	s_or_b32 exec_lo, exec_lo, s19
.LBB4_71:                               ;   in Loop: Header=BB4_6 Depth=1
	s_or_b32 exec_lo, exec_lo, s18
	s_branch .LBB4_53
.LBB4_72:                               ;   in Loop: Header=BB4_6 Depth=1
	s_mul_hi_u32 s6, s82, s63
	v_mov_b32_e32 v1, 0
	s_mul_i32 s6, s6, s55
	v_mov_b32_e32 v2, 0
	s_sub_i32 s6, s82, s6
	v_mov_b32_e32 v3, 0
	s_sub_i32 s14, s6, s55
	s_cmp_ge_u32 s6, s55
	v_mov_b32_e32 v4, 0
	s_cselect_b32 s6, s14, s6
	s_mov_b32 s84, exec_lo
	s_sub_i32 s14, s6, s55
	s_cmp_ge_u32 s6, s55
	s_cselect_b32 s6, s14, s6
	s_sub_i32 s83, s82, s6
	v_cmpx_gt_u32_e64 s83, v16
	s_cbranch_execz .LBB4_76
; %bb.73:                               ;   in Loop: Header=BB4_6 Depth=1
	v_mov_b32_e32 v5, v16
	s_mov_b32 s85, 0
	s_mov_b32 s86, 0
	;; [unrolled: 1-line block ×5, first 2 shown]
.LBB4_74:                               ;   Parent Loop BB4_6 Depth=1
                                        ; =>  This Inner Loop Header: Depth=2
	ds_read_b32 v1, v5
	v_add_nc_u32_e32 v5, s55, v5
	v_cmp_le_u32_e32 vcc_lo, s83, v5
	s_waitcnt lgkmcnt(0)
	v_and_b32_e32 v2, 0xff, v1
	v_bfe_u32 v3, v1, 8, 8
	v_bfe_u32 v4, v1, 16, 8
	v_lshrrev_b32_e32 v1, 24, v1
	v_and_b32_e32 v6, v32, v2
	v_bfe_u32 v2, v2, s75, 2
	v_and_b32_e32 v7, v32, v3
	v_bfe_u32 v3, v3, s75, 2
	;; [unrolled: 2-line block ×3, first 2 shown]
	v_cmp_eq_u32_e64 s6, v6, v14
	v_cmp_eq_u32_e64 s18, 0, v2
	v_and_b32_e32 v35, v32, v1
	v_bfe_u32 v1, v1, s75, 2
	v_cmp_eq_u32_e64 s14, v7, v14
	v_cmp_eq_u32_e64 s19, 0, v3
	;; [unrolled: 1-line block ×4, first 2 shown]
	s_and_b32 s18, s6, s18
	v_cmp_eq_u32_e64 s17, v35, v14
	v_cmp_eq_u32_e64 s21, 0, v1
	;; [unrolled: 1-line block ×5, first 2 shown]
	v_cndmask_b32_e64 v1, 0, 1, s18
	s_and_b32 s18, s14, s19
	v_cmp_eq_u32_e64 s22, 1, v2
	v_cmp_eq_u32_e64 s26, 2, v2
	v_cmp_eq_u32_e64 s30, 3, v2
	v_cndmask_b32_e64 v2, 0, 1, s18
	s_and_b32 s18, s16, s20
	v_cmp_eq_u32_e64 s23, 1, v3
	v_cmp_eq_u32_e64 s27, 2, v3
	v_cmp_eq_u32_e64 s31, 3, v3
	;; [unrolled: 5-line block ×3, first 2 shown]
	v_cndmask_b32_e64 v4, 0, 1, s18
	s_and_b32 s18, s6, s22
	v_cndmask_b32_e64 v6, 0, 1, s18
	s_and_b32 s18, s14, s23
	;; [unrolled: 2-line block ×4, first 2 shown]
	v_cmp_ne_u32_e64 s19, 0, v7
	v_cndmask_b32_e64 v35, 0, 1, s18
	s_and_b32 s18, s6, s26
	s_and_b32 s6, s6, s30
	v_cndmask_b32_e64 v36, 0, 1, s18
	s_and_b32 s18, s14, s27
	v_cndmask_b32_e64 v40, 0, 1, s6
	;; [unrolled: 2-line block ×7, first 2 shown]
	v_cndmask_b32_e64 v43, 0, 1, s6
	v_cmp_ne_u32_e64 s6, 0, v1
	v_cmp_ne_u32_e64 s18, 0, v6
	v_cmp_ne_u32_e64 s22, 0, v36
	v_cmp_ne_u32_e64 s26, 0, v40
	v_cmp_ne_u32_e64 s14, 0, v2
	v_cmp_ne_u32_e64 s23, 0, v37
	v_cmp_ne_u32_e64 s27, 0, v41
	v_cmp_ne_u32_e64 s16, 0, v3
	v_cmp_ne_u32_e64 s20, 0, v8
	v_cmp_ne_u32_e64 s24, 0, v38
	v_cmp_ne_u32_e64 s28, 0, v42
	s_bcnt1_i32_b32 s6, s6
	s_bcnt1_i32_b32 s18, s18
	;; [unrolled: 1-line block ×4, first 2 shown]
	v_cmp_ne_u32_e64 s17, 0, v4
	v_cmp_ne_u32_e64 s21, 0, v35
	;; [unrolled: 1-line block ×4, first 2 shown]
	s_bcnt1_i32_b32 s14, s14
	s_bcnt1_i32_b32 s19, s19
	s_bcnt1_i32_b32 s23, s23
	s_bcnt1_i32_b32 s27, s27
	s_add_i32 s6, s6, s89
	s_add_i32 s18, s18, s88
	s_add_i32 s22, s22, s87
	s_add_i32 s26, s26, s86
	s_bcnt1_i32_b32 s16, s16
	s_bcnt1_i32_b32 s20, s20
	s_bcnt1_i32_b32 s24, s24
	s_bcnt1_i32_b32 s28, s28
	s_add_i32 s6, s6, s14
	s_add_i32 s14, s18, s19
	s_add_i32 s18, s22, s23
	s_add_i32 s19, s26, s27
	;; [unrolled: 8-line block ×3, first 2 shown]
	s_add_i32 s89, s6, s17
	s_add_i32 s88, s14, s21
	;; [unrolled: 1-line block ×4, first 2 shown]
	v_mov_b32_e32 v1, s89
	v_mov_b32_e32 v2, s88
	;; [unrolled: 1-line block ×4, first 2 shown]
	s_or_b32 s85, vcc_lo, s85
	s_andn2_b32 exec_lo, exec_lo, s85
	s_cbranch_execnz .LBB4_74
; %bb.75:                               ;   in Loop: Header=BB4_6 Depth=1
	s_or_b32 exec_lo, exec_lo, s85
.LBB4_76:                               ;   in Loop: Header=BB4_6 Depth=1
	s_or_b32 exec_lo, exec_lo, s84
	v_add_nc_u32_e32 v5, s83, v0
	s_mov_b32 s19, exec_lo
	v_cmpx_gt_u32_e64 s82, v5
	s_cbranch_execz .LBB4_80
; %bb.77:                               ;   in Loop: Header=BB4_6 Depth=1
	s_mov_b32 s20, 0
	s_inst_prefetch 0x1
	.p2align	6
.LBB4_78:                               ;   Parent Loop BB4_6 Depth=1
                                        ; =>  This Inner Loop Header: Depth=2
	ds_read_u8 v6, v5
	v_add_nc_u32_e32 v5, s35, v5
	v_cmp_le_u32_e32 vcc_lo, s82, v5
	s_waitcnt lgkmcnt(0)
	v_and_b32_e32 v7, v32, v6
	v_bfe_u32 v6, v6, s75, 2
	v_cmp_eq_u32_e64 s6, v7, v14
	v_cmp_eq_u32_e64 s14, 0, v6
	;; [unrolled: 1-line block ×5, first 2 shown]
	s_and_b32 s14, s6, s14
	v_cndmask_b32_e64 v6, 0, 1, s14
	s_and_b32 s14, s6, s16
	v_cndmask_b32_e64 v7, 0, 1, s14
	s_and_b32 s14, s6, s17
	s_and_b32 s6, s6, s18
	v_cndmask_b32_e64 v8, 0, 1, s14
	v_cndmask_b32_e64 v35, 0, 1, s6
	v_cmp_ne_u32_e64 s6, 0, v6
	v_cmp_ne_u32_e64 s14, 0, v7
	v_cmp_ne_u32_e64 s16, 0, v8
	v_cmp_ne_u32_e64 s17, 0, v35
	s_bcnt1_i32_b32 s6, s6
	s_bcnt1_i32_b32 s14, s14
	v_add_nc_u32_e32 v1, s6, v1
	s_bcnt1_i32_b32 s16, s16
	s_bcnt1_i32_b32 s17, s17
	v_add_nc_u32_e32 v2, s14, v2
	v_add_nc_u32_e32 v3, s16, v3
	;; [unrolled: 1-line block ×3, first 2 shown]
	s_or_b32 s20, vcc_lo, s20
	s_andn2_b32 exec_lo, exec_lo, s20
	s_cbranch_execnz .LBB4_78
; %bb.79:                               ;   in Loop: Header=BB4_6 Depth=1
	s_inst_prefetch 0x2
	s_or_b32 exec_lo, exec_lo, s20
.LBB4_80:                               ;   in Loop: Header=BB4_6 Depth=1
	s_or_b32 exec_lo, exec_lo, s19
	s_lshl_b32 s6, s71, 7
	s_and_saveexec_b32 s14, s0
	s_cbranch_execnz .LBB4_54
	s_branch .LBB4_55
.LBB4_81:                               ;   in Loop: Header=BB4_6 Depth=1
	v_mov_b32_e32 v1, 0
	s_mov_b32 s16, 0
	s_andn2_b32 vcc_lo, exec_lo, s62
	s_cbranch_vccnz .LBB4_84
.LBB4_82:                               ;   in Loop: Header=BB4_6 Depth=1
	s_lshl_b32 s17, s71, 9
	s_lshl_b32 s16, s16, 4
	v_add3_u32 v2, s17, s16, v30
	s_mov_b32 s16, s60
.LBB4_83:                               ;   Parent Loop BB4_6 Depth=1
                                        ; =>  This Inner Loop Header: Depth=2
	ds_read_b32 v3, v2
	v_add_nc_u32_e32 v2, 16, v2
	s_add_i32 s16, s16, -1
	s_cmp_lg_u32 s16, 0
	s_waitcnt lgkmcnt(0)
	v_add_nc_u32_e32 v1, v3, v1
	s_cbranch_scc1 .LBB4_83
.LBB4_84:                               ;   in Loop: Header=BB4_6 Depth=1
	v_add_lshl_u32 v2, s6, v17, 2
	ds_write_b32 v2, v1 offset:3072
.LBB4_85:                               ;   in Loop: Header=BB4_6 Depth=1
	s_or_b32 exec_lo, exec_lo, s14
	s_lshl_b32 s6, s6, 2
	s_waitcnt lgkmcnt(0)
	v_mov_b32_e32 v1, s6
	s_barrier
	buffer_gl0_inv
	v_cmp_eq_u32_e64 s14, 1, v34
	s_lshl_b32 s18, 3, s75
	ds_read_b128 v[1:4], v1 offset:3072
	s_mov_b32 s27, -1
	s_not_b32 s19, s18
	s_mov_b32 s16, 0
	s_andn2_b32 vcc_lo, exec_lo, s53
	s_mov_b32 s24, 0
	s_mov_b32 s23, 0
                                        ; implicit-def: $sgpr25
                                        ; implicit-def: $sgpr26
                                        ; implicit-def: $vgpr5
	s_waitcnt lgkmcnt(0)
	v_readfirstlane_b32 s17, v1
	v_readfirstlane_b32 s20, v2
	;; [unrolled: 1-line block ×4, first 2 shown]
                                        ; implicit-def: $vgpr4
                                        ; implicit-def: $vgpr1
                                        ; implicit-def: $vgpr2
                                        ; implicit-def: $vgpr3
	s_cbranch_vccnz .LBB4_243
; %bb.86:                               ;   in Loop: Header=BB4_6 Depth=1
	s_cmp_eq_u32 s17, 1
	v_mov_b32_e32 v2, v14
	v_mov_b32_e32 v3, v32
	;; [unrolled: 1-line block ×3, first 2 shown]
	s_cselect_b32 s6, -1, 0
	s_mov_b32 s29, -1
	s_and_b32 s6, s6, s14
                                        ; implicit-def: $sgpr26
                                        ; implicit-def: $sgpr25
	s_and_saveexec_b32 s23, s6
	s_cbranch_execz .LBB4_112
; %bb.87:                               ;   in Loop: Header=BB4_6 Depth=1
	ds_read_b32 v1, v19 offset:4096
	s_waitcnt lgkmcnt(0)
	s_barrier
	buffer_gl0_inv
	v_readfirstlane_b32 s27, v1
	s_and_saveexec_b32 s24, s15
; %bb.88:                               ;   in Loop: Header=BB4_6 Depth=1
	ds_write_b8 v0, v19 offset:3072
; %bb.89:                               ;   in Loop: Header=BB4_6 Depth=1
	s_or_b32 exec_lo, exec_lo, s24
	v_and_b32_e32 v2, s19, v14
	v_or_b32_e32 v3, s18, v32
	s_mov_b32 s25, -1
	s_mov_b32 s26, 0
	s_cmp_eq_u32 s27, 0
	s_mov_b32 s24, 0
	s_mov_b32 s28, -1
	s_waitcnt lgkmcnt(0)
	s_barrier
	buffer_gl0_inv
                                        ; implicit-def: $vgpr5
	s_cbranch_scc1 .LBB4_100
; %bb.90:                               ;   in Loop: Header=BB4_6 Depth=1
	s_add_i32 s24, s27, s59
                                        ; implicit-def: $vgpr5
	s_mul_hi_u32 s28, s24, s66
	s_mul_i32 s28, s28, s35
	s_sub_i32 s28, s24, s28
	s_sub_i32 s29, s28, s35
	s_cmp_ge_u32 s28, s35
	s_cselect_b32 s28, s29, s28
	s_sub_i32 s29, s28, s35
	s_cmp_ge_u32 s28, s35
	s_cselect_b32 s28, s29, s28
	s_mov_b32 s29, exec_lo
	s_sub_i32 s30, s24, s28
	s_mov_b32 s28, 0
	s_mov_b32 s24, 0
	v_cmpx_gt_u32_e64 s30, v0
	s_cbranch_execz .LBB4_99
; %bb.91:                               ;   in Loop: Header=BB4_6 Depth=1
	v_mov_b32_e32 v1, v0
                                        ; implicit-def: $sgpr31
	s_inst_prefetch 0x1
	s_branch .LBB4_94
	.p2align	6
.LBB4_92:                               ;   in Loop: Header=BB4_94 Depth=2
	s_or_b32 exec_lo, exec_lo, s33
	s_waitcnt lgkmcnt(0)
	s_barrier
	buffer_gl0_inv
	ds_read_u16 v4, v19 offset:3072
	s_mov_b32 s34, -1
	s_waitcnt lgkmcnt(0)
	s_barrier
	buffer_gl0_inv
	v_cmp_ne_u32_sdwa s33, v4, v19 src0_sel:BYTE_0 src1_sel:DWORD
	s_and_b32 vcc_lo, exec_lo, s33
	s_mov_b32 s33, -1
	s_cbranch_vccz .LBB4_97
.LBB4_93:                               ;   in Loop: Header=BB4_94 Depth=2
	s_and_b32 s34, exec_lo, s34
	s_or_b32 s24, s34, s24
	s_andn2_b32 s31, s31, exec_lo
	s_and_b32 s33, s33, exec_lo
	s_or_b32 s31, s31, s33
	s_andn2_b32 exec_lo, exec_lo, s24
	s_cbranch_execz .LBB4_98
.LBB4_94:                               ;   Parent Loop BB4_6 Depth=1
                                        ; =>  This Inner Loop Header: Depth=2
	s_mov_b32 s33, exec_lo
	v_cmpx_gt_u32_e64 s27, v1
	s_cbranch_execz .LBB4_92
; %bb.95:                               ;   in Loop: Header=BB4_94 Depth=2
	ds_read_u8 v4, v1
	s_waitcnt lgkmcnt(0)
	v_and_b32_e32 v5, v4, v3
	v_cmp_eq_u32_sdwa s34, v5, v2 src0_sel:BYTE_0 src1_sel:DWORD
	s_and_b32 exec_lo, exec_lo, s34
	s_cbranch_execz .LBB4_92
; %bb.96:                               ;   in Loop: Header=BB4_94 Depth=2
	v_lshlrev_b16 v4, 8, v4
	v_or_b32_e32 v4, 1, v4
	ds_write_b16 v19, v4 offset:3072
	s_branch .LBB4_92
	.p2align	6
.LBB4_97:                               ;   in Loop: Header=BB4_94 Depth=2
	v_add_nc_u32_e32 v1, s35, v1
	s_mov_b32 s33, 0
	v_cmp_le_u32_e32 vcc_lo, s30, v1
	s_orn2_b32 s34, vcc_lo, exec_lo
	s_branch .LBB4_93
.LBB4_98:                               ;   in Loop: Header=BB4_6 Depth=1
	s_inst_prefetch 0x2
	s_or_b32 exec_lo, exec_lo, s24
	v_lshrrev_b32_sdwa v5, v31, v4 dst_sel:DWORD dst_unused:UNUSED_PAD src0_sel:DWORD src1_sel:WORD_0
	s_and_b32 s24, s31, exec_lo
.LBB4_99:                               ;   in Loop: Header=BB4_6 Depth=1
	s_or_b32 exec_lo, exec_lo, s29
.LBB4_100:                              ;   in Loop: Header=BB4_6 Depth=1
	s_and_b32 vcc_lo, exec_lo, s28
	s_cbranch_vccz .LBB4_111
; %bb.101:                              ;   in Loop: Header=BB4_6 Depth=1
                                        ; implicit-def: $vgpr5
	s_and_saveexec_b32 s25, s13
	s_cbranch_execz .LBB4_110
; %bb.102:                              ;   in Loop: Header=BB4_6 Depth=1
	v_mov_b32_e32 v1, v18
	v_mov_b32_e32 v4, v0
	s_mov_b32 s26, 0
                                        ; implicit-def: $sgpr27
	s_inst_prefetch 0x1
	s_branch .LBB4_105
	.p2align	6
.LBB4_103:                              ;   in Loop: Header=BB4_105 Depth=2
	s_or_b32 exec_lo, exec_lo, s28
	s_waitcnt lgkmcnt(0)
	s_barrier
	buffer_gl0_inv
	ds_read_u16 v5, v19 offset:3072
	s_mov_b32 s28, -1
	s_waitcnt lgkmcnt(0)
	s_barrier
	buffer_gl0_inv
	v_cmp_ne_u32_sdwa s29, v5, v19 src0_sel:BYTE_0 src1_sel:DWORD
	s_and_b32 vcc_lo, exec_lo, s29
	s_mov_b32 s29, -1
	s_cbranch_vccz .LBB4_108
.LBB4_104:                              ;   in Loop: Header=BB4_105 Depth=2
	s_and_b32 s28, exec_lo, s28
	s_or_b32 s26, s28, s26
	s_andn2_b32 s27, s27, exec_lo
	s_and_b32 s28, s29, exec_lo
	s_or_b32 s27, s27, s28
	s_andn2_b32 exec_lo, exec_lo, s26
	s_cbranch_execz .LBB4_109
.LBB4_105:                              ;   Parent Loop BB4_6 Depth=1
                                        ; =>  This Inner Loop Header: Depth=2
	s_mov_b32 s28, exec_lo
	v_cmpx_gt_u32_e64 s36, v4
	s_cbranch_execz .LBB4_103
; %bb.106:                              ;   in Loop: Header=BB4_105 Depth=2
	global_load_ubyte v5, v1, s[40:41]
	s_waitcnt vmcnt(0)
	v_and_b32_e32 v6, v5, v3
	v_cmp_eq_u32_sdwa s29, v6, v2 src0_sel:BYTE_0 src1_sel:DWORD
	s_and_b32 exec_lo, exec_lo, s29
	s_cbranch_execz .LBB4_103
; %bb.107:                              ;   in Loop: Header=BB4_105 Depth=2
	v_lshlrev_b16 v5, 8, v5
	v_or_b32_e32 v5, 1, v5
	ds_write_b16 v19, v5 offset:3072
	s_branch .LBB4_103
.LBB4_108:                              ;   in Loop: Header=BB4_105 Depth=2
	v_add_nc_u32_e32 v4, s35, v4
	v_add_nc_u32_e32 v1, s48, v1
	s_mov_b32 s29, 0
	v_cmp_le_u32_e32 vcc_lo, s68, v4
	s_orn2_b32 s28, vcc_lo, exec_lo
	s_branch .LBB4_104
.LBB4_109:                              ;   in Loop: Header=BB4_6 Depth=1
	s_inst_prefetch 0x2
	s_or_b32 exec_lo, exec_lo, s26
	v_lshrrev_b32_sdwa v5, v31, v5 dst_sel:DWORD dst_unused:UNUSED_PAD src0_sel:DWORD src1_sel:WORD_0
	s_andn2_b32 s24, s24, exec_lo
	s_and_b32 s26, s27, exec_lo
	s_or_b32 s24, s24, s26
.LBB4_110:                              ;   in Loop: Header=BB4_6 Depth=1
	s_or_b32 exec_lo, exec_lo, s25
	s_mov_b32 s25, 0
	s_mov_b32 s26, -1
.LBB4_111:                              ;   in Loop: Header=BB4_6 Depth=1
	s_orn2_b32 s29, s24, exec_lo
.LBB4_112:                              ;   in Loop: Header=BB4_6 Depth=1
	s_or_b32 exec_lo, exec_lo, s23
	s_mov_b32 s27, 0
	s_mov_b32 s24, 0
	;; [unrolled: 1-line block ×3, first 2 shown]
                                        ; implicit-def: $vgpr4
                                        ; implicit-def: $vgpr1
	s_and_saveexec_b32 s28, s29
	s_cbranch_execz .LBB4_242
; %bb.113:                              ;   in Loop: Header=BB4_6 Depth=1
	v_mov_b32_e32 v4, 1
	v_mov_b32_e32 v1, 1
	s_xor_b32 s23, s6, -1
	s_mov_b32 s30, 0
	s_and_saveexec_b32 s6, s23
	s_cbranch_execz .LBB4_122
; %bb.114:                              ;   in Loop: Header=BB4_6 Depth=1
	s_mov_b32 s23, exec_lo
	v_cmpx_ge_u32_e64 s17, v34
	s_xor_b32 s23, exec_lo, s23
	s_cbranch_execz .LBB4_119
; %bb.115:                              ;   in Loop: Header=BB4_6 Depth=1
	ds_read_b32 v1, v19 offset:4096
	v_and_b32_e32 v2, s19, v2
	v_or_b32_e32 v3, s18, v3
	s_waitcnt lgkmcnt(0)
	v_cmp_ne_u32_e32 vcc_lo, 0, v1
	s_cbranch_vccnz .LBB4_119
; %bb.116:                              ;   in Loop: Header=BB4_6 Depth=1
	s_and_saveexec_b32 s24, s3
; %bb.117:                              ;   in Loop: Header=BB4_6 Depth=1
	v_mov_b32_e32 v1, s17
	ds_write_b32 v19, v1 offset:4100
; %bb.118:                              ;   in Loop: Header=BB4_6 Depth=1
	s_or_b32 exec_lo, exec_lo, s24
	s_waitcnt lgkmcnt(0)
	s_barrier
	buffer_gl0_inv
.LBB4_119:                              ;   in Loop: Header=BB4_6 Depth=1
	s_or_saveexec_b32 s23, s23
	v_mov_b32_e32 v1, 8
	v_mov_b32_e32 v4, v34
	s_mov_b32 s24, 0
	s_xor_b32 exec_lo, exec_lo, s23
; %bb.120:                              ;   in Loop: Header=BB4_6 Depth=1
	v_subrev_nc_u32_e32 v4, s17, v34
	v_mov_b32_e32 v1, 0
	s_mov_b32 s24, exec_lo
; %bb.121:                              ;   in Loop: Header=BB4_6 Depth=1
	s_or_b32 exec_lo, exec_lo, s23
	s_and_b32 s30, s24, exec_lo
.LBB4_122:                              ;   in Loop: Header=BB4_6 Depth=1
	s_or_b32 exec_lo, exec_lo, s6
	s_mov_b32 s29, -1
                                        ; implicit-def: $sgpr23
                                        ; implicit-def: $sgpr24
	s_and_saveexec_b32 s6, s30
	s_xor_b32 s6, exec_lo, s6
	s_cbranch_execz .LBB4_239
; %bb.123:                              ;   in Loop: Header=BB4_6 Depth=1
	v_cmp_eq_u32_e32 vcc_lo, 1, v4
	s_cmp_eq_u32 s20, 1
	s_mov_b32 s31, -1
	s_cselect_b32 s23, -1, 0
                                        ; implicit-def: $sgpr24
	s_and_b32 s30, s23, vcc_lo
                                        ; implicit-def: $sgpr23
	s_and_saveexec_b32 s29, s30
	s_cbranch_execz .LBB4_149
; %bb.124:                              ;   in Loop: Header=BB4_6 Depth=1
	ds_read_b32 v5, v19 offset:4096
	s_waitcnt lgkmcnt(0)
	s_barrier
	buffer_gl0_inv
	v_readfirstlane_b32 s33, v5
	s_and_saveexec_b32 s23, s15
; %bb.125:                              ;   in Loop: Header=BB4_6 Depth=1
	ds_write_b8 v0, v19 offset:3072
; %bb.126:                              ;   in Loop: Header=BB4_6 Depth=1
	s_or_b32 exec_lo, exec_lo, s23
	s_lshl_b32 s23, 1, s75
	v_or_b32_e32 v3, s18, v3
	v_and_or_b32 v2, v2, s19, s23
	s_mov_b32 s23, -1
	s_mov_b32 s24, 0
	s_cmp_eq_u32 s33, 0
	s_mov_b32 s31, 0
	s_mov_b32 s34, -1
	s_waitcnt lgkmcnt(0)
	s_barrier
	buffer_gl0_inv
                                        ; implicit-def: $vgpr5
	s_cbranch_scc1 .LBB4_137
; %bb.127:                              ;   in Loop: Header=BB4_6 Depth=1
	s_add_i32 s31, s33, s59
                                        ; implicit-def: $vgpr5
	s_mul_hi_u32 s34, s31, s66
	s_mul_i32 s34, s34, s35
	s_sub_i32 s34, s31, s34
	s_sub_i32 s82, s34, s35
	s_cmp_ge_u32 s34, s35
	s_cselect_b32 s34, s82, s34
	s_sub_i32 s82, s34, s35
	s_cmp_ge_u32 s34, s35
	s_cselect_b32 s34, s82, s34
	s_mov_b32 s82, exec_lo
	s_sub_i32 s83, s31, s34
	s_mov_b32 s34, 0
	s_mov_b32 s31, 0
	v_cmpx_gt_u32_e64 s83, v0
	s_cbranch_execz .LBB4_136
; %bb.128:                              ;   in Loop: Header=BB4_6 Depth=1
	v_mov_b32_e32 v5, v0
                                        ; implicit-def: $sgpr84
	s_inst_prefetch 0x1
	s_branch .LBB4_131
	.p2align	6
.LBB4_129:                              ;   in Loop: Header=BB4_131 Depth=2
	s_or_b32 exec_lo, exec_lo, s85
	s_waitcnt lgkmcnt(0)
	s_barrier
	buffer_gl0_inv
	ds_read_u16 v6, v19 offset:3072
	s_mov_b32 s86, -1
	s_waitcnt lgkmcnt(0)
	s_barrier
	buffer_gl0_inv
	v_cmp_ne_u32_sdwa s85, v6, v19 src0_sel:BYTE_0 src1_sel:DWORD
	s_and_b32 vcc_lo, exec_lo, s85
	s_mov_b32 s85, -1
	s_cbranch_vccz .LBB4_134
.LBB4_130:                              ;   in Loop: Header=BB4_131 Depth=2
	s_and_b32 s86, exec_lo, s86
	s_or_b32 s31, s86, s31
	s_andn2_b32 s84, s84, exec_lo
	s_and_b32 s85, s85, exec_lo
	s_or_b32 s84, s84, s85
	s_andn2_b32 exec_lo, exec_lo, s31
	s_cbranch_execz .LBB4_135
.LBB4_131:                              ;   Parent Loop BB4_6 Depth=1
                                        ; =>  This Inner Loop Header: Depth=2
	s_mov_b32 s85, exec_lo
	v_cmpx_gt_u32_e64 s33, v5
	s_cbranch_execz .LBB4_129
; %bb.132:                              ;   in Loop: Header=BB4_131 Depth=2
	ds_read_u8 v6, v5
	s_waitcnt lgkmcnt(0)
	v_and_b32_e32 v7, v6, v3
	v_cmp_eq_u32_sdwa s86, v7, v2 src0_sel:BYTE_0 src1_sel:DWORD
	s_and_b32 exec_lo, exec_lo, s86
	s_cbranch_execz .LBB4_129
; %bb.133:                              ;   in Loop: Header=BB4_131 Depth=2
	v_lshlrev_b16 v6, 8, v6
	v_or_b32_e32 v6, 1, v6
	ds_write_b16 v19, v6 offset:3072
	s_branch .LBB4_129
	.p2align	6
.LBB4_134:                              ;   in Loop: Header=BB4_131 Depth=2
	v_add_nc_u32_e32 v5, s35, v5
	s_mov_b32 s85, 0
	v_cmp_le_u32_e32 vcc_lo, s83, v5
	s_orn2_b32 s86, vcc_lo, exec_lo
	s_branch .LBB4_130
.LBB4_135:                              ;   in Loop: Header=BB4_6 Depth=1
	s_inst_prefetch 0x2
	s_or_b32 exec_lo, exec_lo, s31
	v_lshrrev_b32_sdwa v5, v31, v6 dst_sel:DWORD dst_unused:UNUSED_PAD src0_sel:DWORD src1_sel:WORD_0
	s_and_b32 s31, s84, exec_lo
.LBB4_136:                              ;   in Loop: Header=BB4_6 Depth=1
	s_or_b32 exec_lo, exec_lo, s82
.LBB4_137:                              ;   in Loop: Header=BB4_6 Depth=1
	s_and_b32 vcc_lo, exec_lo, s34
	s_cbranch_vccz .LBB4_148
; %bb.138:                              ;   in Loop: Header=BB4_6 Depth=1
                                        ; implicit-def: $vgpr5
	s_and_saveexec_b32 s23, s13
	s_cbranch_execz .LBB4_147
; %bb.139:                              ;   in Loop: Header=BB4_6 Depth=1
	v_mov_b32_e32 v5, v18
	v_mov_b32_e32 v6, v0
	s_mov_b32 s24, 0
                                        ; implicit-def: $sgpr33
	s_inst_prefetch 0x1
	s_branch .LBB4_142
	.p2align	6
.LBB4_140:                              ;   in Loop: Header=BB4_142 Depth=2
	s_or_b32 exec_lo, exec_lo, s34
	s_waitcnt lgkmcnt(0)
	s_barrier
	buffer_gl0_inv
	ds_read_u16 v7, v19 offset:3072
	s_mov_b32 s34, -1
	s_waitcnt lgkmcnt(0)
	s_barrier
	buffer_gl0_inv
	v_cmp_eq_u32_sdwa s82, v7, v19 src0_sel:BYTE_0 src1_sel:DWORD
	s_and_b32 vcc_lo, exec_lo, s82
	s_mov_b32 s82, -1
	s_cbranch_vccnz .LBB4_145
.LBB4_141:                              ;   in Loop: Header=BB4_142 Depth=2
	s_and_b32 s34, exec_lo, s34
	s_or_b32 s24, s34, s24
	s_andn2_b32 s33, s33, exec_lo
	s_and_b32 s34, s82, exec_lo
	s_or_b32 s33, s33, s34
	s_andn2_b32 exec_lo, exec_lo, s24
	s_cbranch_execz .LBB4_146
.LBB4_142:                              ;   Parent Loop BB4_6 Depth=1
                                        ; =>  This Inner Loop Header: Depth=2
	s_mov_b32 s34, exec_lo
	v_cmpx_gt_u32_e64 s36, v6
	s_cbranch_execz .LBB4_140
; %bb.143:                              ;   in Loop: Header=BB4_142 Depth=2
	global_load_ubyte v7, v5, s[40:41]
	s_waitcnt vmcnt(0)
	v_and_b32_e32 v8, v7, v3
	v_cmp_eq_u32_sdwa s82, v8, v2 src0_sel:BYTE_0 src1_sel:DWORD
	s_and_b32 exec_lo, exec_lo, s82
	s_cbranch_execz .LBB4_140
; %bb.144:                              ;   in Loop: Header=BB4_142 Depth=2
	v_lshlrev_b16 v7, 8, v7
	v_or_b32_e32 v7, 1, v7
	ds_write_b16 v19, v7 offset:3072
	s_branch .LBB4_140
.LBB4_145:                              ;   in Loop: Header=BB4_142 Depth=2
	v_add_nc_u32_e32 v6, s35, v6
	v_add_nc_u32_e32 v5, s48, v5
	s_mov_b32 s82, 0
	v_cmp_le_u32_e32 vcc_lo, s68, v6
	s_orn2_b32 s34, vcc_lo, exec_lo
	s_branch .LBB4_141
.LBB4_146:                              ;   in Loop: Header=BB4_6 Depth=1
	s_inst_prefetch 0x2
	s_or_b32 exec_lo, exec_lo, s24
	v_lshrrev_b32_sdwa v5, v31, v7 dst_sel:DWORD dst_unused:UNUSED_PAD src0_sel:DWORD src1_sel:WORD_0
	s_andn2_b32 s24, s31, exec_lo
	s_and_b32 s31, s33, exec_lo
	s_or_b32 s31, s24, s31
.LBB4_147:                              ;   in Loop: Header=BB4_6 Depth=1
	s_or_b32 exec_lo, exec_lo, s23
	s_mov_b32 s23, 0
	s_mov_b32 s24, -1
.LBB4_148:                              ;   in Loop: Header=BB4_6 Depth=1
	s_orn2_b32 s31, s31, exec_lo
.LBB4_149:                              ;   in Loop: Header=BB4_6 Depth=1
	s_or_b32 exec_lo, exec_lo, s29
	s_mov_b32 s33, 0
	s_and_saveexec_b32 s29, s31
	s_cbranch_execz .LBB4_238
; %bb.150:                              ;   in Loop: Header=BB4_6 Depth=1
	v_mov_b32_e32 v6, 1
	v_mov_b32_e32 v1, 1
	s_xor_b32 s31, s30, -1
	s_mov_b32 s82, 0
	s_and_saveexec_b32 s30, s31
	s_cbranch_execz .LBB4_159
; %bb.151:                              ;   in Loop: Header=BB4_6 Depth=1
	s_mov_b32 s31, exec_lo
	v_cmpx_ge_u32_e64 s20, v4
	s_xor_b32 s31, exec_lo, s31
	s_cbranch_execz .LBB4_156
; %bb.152:                              ;   in Loop: Header=BB4_6 Depth=1
	ds_read_b32 v1, v19 offset:4096
	s_lshl_b32 s33, 1, s75
	v_or_b32_e32 v3, s18, v3
	v_and_or_b32 v2, v2, s19, s33
	s_waitcnt lgkmcnt(0)
	v_cmp_ne_u32_e32 vcc_lo, 0, v1
	s_cbranch_vccnz .LBB4_156
; %bb.153:                              ;   in Loop: Header=BB4_6 Depth=1
	s_and_saveexec_b32 s33, s3
; %bb.154:                              ;   in Loop: Header=BB4_6 Depth=1
	v_mov_b32_e32 v1, s20
	ds_write_b32 v19, v1 offset:4100
; %bb.155:                              ;   in Loop: Header=BB4_6 Depth=1
	s_or_b32 exec_lo, exec_lo, s33
	s_waitcnt lgkmcnt(0)
	s_barrier
	buffer_gl0_inv
.LBB4_156:                              ;   in Loop: Header=BB4_6 Depth=1
	s_or_saveexec_b32 s31, s31
	v_mov_b32_e32 v1, 8
	s_mov_b32 s33, 0
	s_xor_b32 exec_lo, exec_lo, s31
; %bb.157:                              ;   in Loop: Header=BB4_6 Depth=1
	v_subrev_nc_u32_e32 v4, s20, v4
	v_mov_b32_e32 v1, 0
	s_mov_b32 s33, exec_lo
; %bb.158:                              ;   in Loop: Header=BB4_6 Depth=1
	s_or_b32 exec_lo, exec_lo, s31
	v_mov_b32_e32 v6, v4
	s_and_b32 s82, s33, exec_lo
.LBB4_159:                              ;   in Loop: Header=BB4_6 Depth=1
	s_or_b32 exec_lo, exec_lo, s30
	s_mov_b32 s34, -1
                                        ; implicit-def: $sgpr31
                                        ; implicit-def: $sgpr33
	s_and_saveexec_b32 s30, s82
	s_cbranch_execz .LBB4_237
; %bb.160:                              ;   in Loop: Header=BB4_6 Depth=1
	v_cmp_eq_u32_e32 vcc_lo, 1, v6
	s_cmp_eq_u32 s21, 1
	s_mov_b32 s83, -1
	s_cselect_b32 s31, -1, 0
                                        ; implicit-def: $sgpr33
	s_and_b32 s82, s31, vcc_lo
                                        ; implicit-def: $sgpr31
	s_and_saveexec_b32 s34, s82
	s_cbranch_execz .LBB4_186
; %bb.161:                              ;   in Loop: Header=BB4_6 Depth=1
	ds_read_b32 v4, v19 offset:4096
	s_waitcnt lgkmcnt(0)
	s_barrier
	buffer_gl0_inv
	v_readfirstlane_b32 s84, v4
	s_and_saveexec_b32 s31, s15
; %bb.162:                              ;   in Loop: Header=BB4_6 Depth=1
	ds_write_b8 v0, v19 offset:3072
; %bb.163:                              ;   in Loop: Header=BB4_6 Depth=1
	s_or_b32 exec_lo, exec_lo, s31
	s_lshl_b32 s31, 2, s75
	v_or_b32_e32 v3, s18, v3
	v_and_or_b32 v2, v2, s19, s31
	s_mov_b32 s31, -1
	s_mov_b32 s33, 0
	s_cmp_eq_u32 s84, 0
	s_mov_b32 s83, 0
	s_mov_b32 s85, -1
	s_waitcnt lgkmcnt(0)
	s_barrier
	buffer_gl0_inv
                                        ; implicit-def: $vgpr5
	s_cbranch_scc1 .LBB4_174
; %bb.164:                              ;   in Loop: Header=BB4_6 Depth=1
	s_add_i32 s83, s84, s59
                                        ; implicit-def: $vgpr5
	s_mul_hi_u32 s85, s83, s66
	s_mul_i32 s85, s85, s35
	s_sub_i32 s85, s83, s85
	s_sub_i32 s86, s85, s35
	s_cmp_ge_u32 s85, s35
	s_cselect_b32 s85, s86, s85
	s_sub_i32 s86, s85, s35
	s_cmp_ge_u32 s85, s35
	s_cselect_b32 s85, s86, s85
	s_mov_b32 s86, exec_lo
	s_sub_i32 s87, s83, s85
	s_mov_b32 s85, 0
	s_mov_b32 s83, 0
	v_cmpx_gt_u32_e64 s87, v0
	s_cbranch_execz .LBB4_173
; %bb.165:                              ;   in Loop: Header=BB4_6 Depth=1
	v_mov_b32_e32 v4, v0
                                        ; implicit-def: $sgpr88
	s_inst_prefetch 0x1
	s_branch .LBB4_168
	.p2align	6
.LBB4_166:                              ;   in Loop: Header=BB4_168 Depth=2
	s_or_b32 exec_lo, exec_lo, s89
	s_waitcnt lgkmcnt(0)
	s_barrier
	buffer_gl0_inv
	ds_read_u16 v5, v19 offset:3072
	s_mov_b32 s90, -1
	s_waitcnt lgkmcnt(0)
	s_barrier
	buffer_gl0_inv
	v_cmp_ne_u32_sdwa s89, v5, v19 src0_sel:BYTE_0 src1_sel:DWORD
	s_and_b32 vcc_lo, exec_lo, s89
	s_mov_b32 s89, -1
	s_cbranch_vccz .LBB4_171
.LBB4_167:                              ;   in Loop: Header=BB4_168 Depth=2
	s_and_b32 s90, exec_lo, s90
	s_or_b32 s83, s90, s83
	s_andn2_b32 s88, s88, exec_lo
	s_and_b32 s89, s89, exec_lo
	s_or_b32 s88, s88, s89
	s_andn2_b32 exec_lo, exec_lo, s83
	s_cbranch_execz .LBB4_172
.LBB4_168:                              ;   Parent Loop BB4_6 Depth=1
                                        ; =>  This Inner Loop Header: Depth=2
	s_mov_b32 s89, exec_lo
	v_cmpx_gt_u32_e64 s84, v4
	s_cbranch_execz .LBB4_166
; %bb.169:                              ;   in Loop: Header=BB4_168 Depth=2
	ds_read_u8 v5, v4
	s_waitcnt lgkmcnt(0)
	v_and_b32_e32 v7, v5, v3
	v_cmp_eq_u32_sdwa s90, v7, v2 src0_sel:BYTE_0 src1_sel:DWORD
	s_and_b32 exec_lo, exec_lo, s90
	s_cbranch_execz .LBB4_166
; %bb.170:                              ;   in Loop: Header=BB4_168 Depth=2
	v_lshlrev_b16 v5, 8, v5
	v_or_b32_e32 v5, 1, v5
	ds_write_b16 v19, v5 offset:3072
	s_branch .LBB4_166
	.p2align	6
.LBB4_171:                              ;   in Loop: Header=BB4_168 Depth=2
	v_add_nc_u32_e32 v4, s35, v4
	s_mov_b32 s89, 0
	v_cmp_le_u32_e32 vcc_lo, s87, v4
	s_orn2_b32 s90, vcc_lo, exec_lo
	s_branch .LBB4_167
.LBB4_172:                              ;   in Loop: Header=BB4_6 Depth=1
	s_inst_prefetch 0x2
	s_or_b32 exec_lo, exec_lo, s83
	v_lshrrev_b32_sdwa v5, v31, v5 dst_sel:DWORD dst_unused:UNUSED_PAD src0_sel:DWORD src1_sel:WORD_0
	s_and_b32 s83, s88, exec_lo
.LBB4_173:                              ;   in Loop: Header=BB4_6 Depth=1
	s_or_b32 exec_lo, exec_lo, s86
.LBB4_174:                              ;   in Loop: Header=BB4_6 Depth=1
	s_and_b32 vcc_lo, exec_lo, s85
	s_cbranch_vccz .LBB4_185
; %bb.175:                              ;   in Loop: Header=BB4_6 Depth=1
                                        ; implicit-def: $vgpr5
	s_and_saveexec_b32 s31, s13
	s_cbranch_execz .LBB4_184
; %bb.176:                              ;   in Loop: Header=BB4_6 Depth=1
	v_mov_b32_e32 v4, v18
	v_mov_b32_e32 v5, v0
	s_mov_b32 s33, 0
                                        ; implicit-def: $sgpr84
	s_inst_prefetch 0x1
	s_branch .LBB4_179
	.p2align	6
.LBB4_177:                              ;   in Loop: Header=BB4_179 Depth=2
	s_or_b32 exec_lo, exec_lo, s85
	s_waitcnt lgkmcnt(0)
	s_barrier
	buffer_gl0_inv
	ds_read_u16 v7, v19 offset:3072
	s_mov_b32 s85, -1
	s_waitcnt lgkmcnt(0)
	s_barrier
	buffer_gl0_inv
	v_cmp_eq_u32_sdwa s86, v7, v19 src0_sel:BYTE_0 src1_sel:DWORD
	s_and_b32 vcc_lo, exec_lo, s86
	s_mov_b32 s86, -1
	s_cbranch_vccnz .LBB4_182
.LBB4_178:                              ;   in Loop: Header=BB4_179 Depth=2
	s_and_b32 s85, exec_lo, s85
	s_or_b32 s33, s85, s33
	s_andn2_b32 s84, s84, exec_lo
	s_and_b32 s85, s86, exec_lo
	s_or_b32 s84, s84, s85
	s_andn2_b32 exec_lo, exec_lo, s33
	s_cbranch_execz .LBB4_183
.LBB4_179:                              ;   Parent Loop BB4_6 Depth=1
                                        ; =>  This Inner Loop Header: Depth=2
	s_mov_b32 s85, exec_lo
	v_cmpx_gt_u32_e64 s36, v5
	s_cbranch_execz .LBB4_177
; %bb.180:                              ;   in Loop: Header=BB4_179 Depth=2
	global_load_ubyte v7, v4, s[40:41]
	s_waitcnt vmcnt(0)
	v_and_b32_e32 v8, v7, v3
	v_cmp_eq_u32_sdwa s86, v8, v2 src0_sel:BYTE_0 src1_sel:DWORD
	s_and_b32 exec_lo, exec_lo, s86
	s_cbranch_execz .LBB4_177
; %bb.181:                              ;   in Loop: Header=BB4_179 Depth=2
	v_lshlrev_b16 v7, 8, v7
	v_or_b32_e32 v7, 1, v7
	ds_write_b16 v19, v7 offset:3072
	s_branch .LBB4_177
.LBB4_182:                              ;   in Loop: Header=BB4_179 Depth=2
	v_add_nc_u32_e32 v5, s35, v5
	v_add_nc_u32_e32 v4, s48, v4
	s_mov_b32 s86, 0
	v_cmp_le_u32_e32 vcc_lo, s68, v5
	s_orn2_b32 s85, vcc_lo, exec_lo
	s_branch .LBB4_178
.LBB4_183:                              ;   in Loop: Header=BB4_6 Depth=1
	s_inst_prefetch 0x2
	s_or_b32 exec_lo, exec_lo, s33
	v_lshrrev_b32_sdwa v5, v31, v7 dst_sel:DWORD dst_unused:UNUSED_PAD src0_sel:DWORD src1_sel:WORD_0
	s_andn2_b32 s33, s83, exec_lo
	s_and_b32 s83, s84, exec_lo
	s_or_b32 s83, s33, s83
.LBB4_184:                              ;   in Loop: Header=BB4_6 Depth=1
	s_or_b32 exec_lo, exec_lo, s31
	s_mov_b32 s31, 0
	s_mov_b32 s33, -1
.LBB4_185:                              ;   in Loop: Header=BB4_6 Depth=1
	s_orn2_b32 s83, s83, exec_lo
.LBB4_186:                              ;   in Loop: Header=BB4_6 Depth=1
	s_or_b32 exec_lo, exec_lo, s34
	s_mov_b32 s84, 0
	s_and_saveexec_b32 s34, s83
	s_cbranch_execz .LBB4_236
; %bb.187:                              ;   in Loop: Header=BB4_6 Depth=1
	v_mov_b32_e32 v4, 1
	v_mov_b32_e32 v1, 1
	s_xor_b32 s83, s82, -1
	s_mov_b32 s86, 0
	s_and_saveexec_b32 s82, s83
	s_cbranch_execz .LBB4_196
; %bb.188:                              ;   in Loop: Header=BB4_6 Depth=1
	s_mov_b32 s83, exec_lo
	v_cmpx_ge_u32_e64 s21, v6
	s_xor_b32 s83, exec_lo, s83
	s_cbranch_execz .LBB4_193
; %bb.189:                              ;   in Loop: Header=BB4_6 Depth=1
	ds_read_b32 v1, v19 offset:4096
	s_lshl_b32 s84, 2, s75
	v_or_b32_e32 v3, s18, v3
	v_and_or_b32 v2, v2, s19, s84
	s_waitcnt lgkmcnt(0)
	v_cmp_ne_u32_e32 vcc_lo, 0, v1
	s_cbranch_vccnz .LBB4_193
; %bb.190:                              ;   in Loop: Header=BB4_6 Depth=1
	s_and_saveexec_b32 s84, s3
; %bb.191:                              ;   in Loop: Header=BB4_6 Depth=1
	v_mov_b32_e32 v1, s21
	ds_write_b32 v19, v1 offset:4100
; %bb.192:                              ;   in Loop: Header=BB4_6 Depth=1
	s_or_b32 exec_lo, exec_lo, s84
	s_waitcnt lgkmcnt(0)
	s_barrier
	buffer_gl0_inv
.LBB4_193:                              ;   in Loop: Header=BB4_6 Depth=1
	s_or_saveexec_b32 s83, s83
	v_mov_b32_e32 v1, 8
	s_mov_b32 s84, 0
	s_xor_b32 exec_lo, exec_lo, s83
; %bb.194:                              ;   in Loop: Header=BB4_6 Depth=1
	v_subrev_nc_u32_e32 v6, s21, v6
	v_mov_b32_e32 v1, 0
	s_mov_b32 s84, exec_lo
; %bb.195:                              ;   in Loop: Header=BB4_6 Depth=1
	s_or_b32 exec_lo, exec_lo, s83
	v_mov_b32_e32 v4, v6
	s_and_b32 s86, s84, exec_lo
.LBB4_196:                              ;   in Loop: Header=BB4_6 Depth=1
	s_or_b32 exec_lo, exec_lo, s82
	s_mov_b32 s85, -1
                                        ; implicit-def: $sgpr84
                                        ; implicit-def: $sgpr83
	s_and_saveexec_b32 s82, s86
	s_cbranch_execz .LBB4_235
; %bb.197:                              ;   in Loop: Header=BB4_6 Depth=1
	v_cmp_eq_u32_e32 vcc_lo, 1, v4
	s_cmp_eq_u32 s22, 1
	s_mov_b32 s87, -1
	s_cselect_b32 s83, -1, 0
                                        ; implicit-def: $sgpr84
	s_and_b32 s85, s83, vcc_lo
                                        ; implicit-def: $sgpr83
	s_and_saveexec_b32 s86, s85
	s_cbranch_execz .LBB4_223
; %bb.198:                              ;   in Loop: Header=BB4_6 Depth=1
	ds_read_b32 v5, v19 offset:4096
	s_waitcnt lgkmcnt(0)
	s_barrier
	buffer_gl0_inv
	v_readfirstlane_b32 s88, v5
	s_and_saveexec_b32 s83, s15
; %bb.199:                              ;   in Loop: Header=BB4_6 Depth=1
	ds_write_b8 v0, v19 offset:3072
; %bb.200:                              ;   in Loop: Header=BB4_6 Depth=1
	s_or_b32 exec_lo, exec_lo, s83
	v_or_b32_e32 v2, s18, v2
	v_or_b32_e32 v3, s18, v3
	s_mov_b32 s83, -1
	s_mov_b32 s84, 0
	s_cmp_eq_u32 s88, 0
	s_mov_b32 s87, 0
	s_mov_b32 s89, -1
	s_waitcnt lgkmcnt(0)
	s_barrier
	buffer_gl0_inv
                                        ; implicit-def: $vgpr5
	s_cbranch_scc1 .LBB4_211
; %bb.201:                              ;   in Loop: Header=BB4_6 Depth=1
	s_add_i32 s87, s88, s59
                                        ; implicit-def: $vgpr5
	s_mul_hi_u32 s89, s87, s66
	s_mul_i32 s89, s89, s35
	s_sub_i32 s89, s87, s89
	s_sub_i32 s90, s89, s35
	s_cmp_ge_u32 s89, s35
	s_cselect_b32 s89, s90, s89
	s_sub_i32 s90, s89, s35
	s_cmp_ge_u32 s89, s35
	s_cselect_b32 s89, s90, s89
	s_mov_b32 s90, exec_lo
	s_sub_i32 s91, s87, s89
	s_mov_b32 s89, 0
	s_mov_b32 s87, 0
	v_cmpx_gt_u32_e64 s91, v0
	s_cbranch_execz .LBB4_210
; %bb.202:                              ;   in Loop: Header=BB4_6 Depth=1
	v_mov_b32_e32 v5, v0
                                        ; implicit-def: $sgpr92
	s_inst_prefetch 0x1
	s_branch .LBB4_205
	.p2align	6
.LBB4_203:                              ;   in Loop: Header=BB4_205 Depth=2
	s_or_b32 exec_lo, exec_lo, s93
	s_waitcnt lgkmcnt(0)
	s_barrier
	buffer_gl0_inv
	ds_read_u16 v6, v19 offset:3072
	s_mov_b32 s94, -1
	s_waitcnt lgkmcnt(0)
	s_barrier
	buffer_gl0_inv
	v_cmp_ne_u32_sdwa s93, v6, v19 src0_sel:BYTE_0 src1_sel:DWORD
	s_and_b32 vcc_lo, exec_lo, s93
	s_mov_b32 s93, -1
	s_cbranch_vccz .LBB4_208
.LBB4_204:                              ;   in Loop: Header=BB4_205 Depth=2
	s_and_b32 s94, exec_lo, s94
	s_or_b32 s87, s94, s87
	s_andn2_b32 s92, s92, exec_lo
	s_and_b32 s93, s93, exec_lo
	s_or_b32 s92, s92, s93
	s_andn2_b32 exec_lo, exec_lo, s87
	s_cbranch_execz .LBB4_209
.LBB4_205:                              ;   Parent Loop BB4_6 Depth=1
                                        ; =>  This Inner Loop Header: Depth=2
	s_mov_b32 s93, exec_lo
	v_cmpx_gt_u32_e64 s88, v5
	s_cbranch_execz .LBB4_203
; %bb.206:                              ;   in Loop: Header=BB4_205 Depth=2
	ds_read_u8 v6, v5
	s_waitcnt lgkmcnt(0)
	v_and_b32_e32 v7, v6, v3
	v_cmp_eq_u32_sdwa s94, v7, v2 src0_sel:BYTE_0 src1_sel:DWORD
	s_and_b32 exec_lo, exec_lo, s94
	s_cbranch_execz .LBB4_203
; %bb.207:                              ;   in Loop: Header=BB4_205 Depth=2
	v_lshlrev_b16 v6, 8, v6
	v_or_b32_e32 v6, 1, v6
	ds_write_b16 v19, v6 offset:3072
	s_branch .LBB4_203
	.p2align	6
.LBB4_208:                              ;   in Loop: Header=BB4_205 Depth=2
	v_add_nc_u32_e32 v5, s35, v5
	s_mov_b32 s93, 0
	v_cmp_le_u32_e32 vcc_lo, s91, v5
	s_orn2_b32 s94, vcc_lo, exec_lo
	s_branch .LBB4_204
.LBB4_209:                              ;   in Loop: Header=BB4_6 Depth=1
	s_inst_prefetch 0x2
	s_or_b32 exec_lo, exec_lo, s87
	v_lshrrev_b32_sdwa v5, v31, v6 dst_sel:DWORD dst_unused:UNUSED_PAD src0_sel:DWORD src1_sel:WORD_0
	s_and_b32 s87, s92, exec_lo
.LBB4_210:                              ;   in Loop: Header=BB4_6 Depth=1
	s_or_b32 exec_lo, exec_lo, s90
.LBB4_211:                              ;   in Loop: Header=BB4_6 Depth=1
	s_and_b32 vcc_lo, exec_lo, s89
	s_cbranch_vccz .LBB4_222
; %bb.212:                              ;   in Loop: Header=BB4_6 Depth=1
                                        ; implicit-def: $vgpr5
	s_and_saveexec_b32 s83, s13
	s_cbranch_execz .LBB4_221
; %bb.213:                              ;   in Loop: Header=BB4_6 Depth=1
	v_mov_b32_e32 v5, v18
	v_mov_b32_e32 v6, v0
	s_mov_b32 s84, 0
                                        ; implicit-def: $sgpr88
	s_inst_prefetch 0x1
	s_branch .LBB4_216
	.p2align	6
.LBB4_214:                              ;   in Loop: Header=BB4_216 Depth=2
	s_or_b32 exec_lo, exec_lo, s89
	s_waitcnt lgkmcnt(0)
	s_barrier
	buffer_gl0_inv
	ds_read_u16 v7, v19 offset:3072
	s_mov_b32 s89, -1
	s_waitcnt lgkmcnt(0)
	s_barrier
	buffer_gl0_inv
	v_cmp_eq_u32_sdwa s90, v7, v19 src0_sel:BYTE_0 src1_sel:DWORD
	s_and_b32 vcc_lo, exec_lo, s90
	s_mov_b32 s90, -1
	s_cbranch_vccnz .LBB4_219
.LBB4_215:                              ;   in Loop: Header=BB4_216 Depth=2
	s_and_b32 s89, exec_lo, s89
	s_or_b32 s84, s89, s84
	s_andn2_b32 s88, s88, exec_lo
	s_and_b32 s89, s90, exec_lo
	s_or_b32 s88, s88, s89
	s_andn2_b32 exec_lo, exec_lo, s84
	s_cbranch_execz .LBB4_220
.LBB4_216:                              ;   Parent Loop BB4_6 Depth=1
                                        ; =>  This Inner Loop Header: Depth=2
	s_mov_b32 s89, exec_lo
	v_cmpx_gt_u32_e64 s36, v6
	s_cbranch_execz .LBB4_214
; %bb.217:                              ;   in Loop: Header=BB4_216 Depth=2
	global_load_ubyte v7, v5, s[40:41]
	s_waitcnt vmcnt(0)
	v_and_b32_e32 v8, v7, v3
	v_cmp_eq_u32_sdwa s90, v8, v2 src0_sel:BYTE_0 src1_sel:DWORD
	s_and_b32 exec_lo, exec_lo, s90
	s_cbranch_execz .LBB4_214
; %bb.218:                              ;   in Loop: Header=BB4_216 Depth=2
	v_lshlrev_b16 v7, 8, v7
	v_or_b32_e32 v7, 1, v7
	ds_write_b16 v19, v7 offset:3072
	s_branch .LBB4_214
.LBB4_219:                              ;   in Loop: Header=BB4_216 Depth=2
	v_add_nc_u32_e32 v6, s35, v6
	v_add_nc_u32_e32 v5, s48, v5
	s_mov_b32 s90, 0
	v_cmp_le_u32_e32 vcc_lo, s68, v6
	s_orn2_b32 s89, vcc_lo, exec_lo
	s_branch .LBB4_215
.LBB4_220:                              ;   in Loop: Header=BB4_6 Depth=1
	s_inst_prefetch 0x2
	s_or_b32 exec_lo, exec_lo, s84
	v_lshrrev_b32_sdwa v5, v31, v7 dst_sel:DWORD dst_unused:UNUSED_PAD src0_sel:DWORD src1_sel:WORD_0
	s_andn2_b32 s84, s87, exec_lo
	s_and_b32 s87, s88, exec_lo
	s_or_b32 s87, s84, s87
.LBB4_221:                              ;   in Loop: Header=BB4_6 Depth=1
	s_or_b32 exec_lo, exec_lo, s83
	s_mov_b32 s83, 0
	s_mov_b32 s84, -1
.LBB4_222:                              ;   in Loop: Header=BB4_6 Depth=1
	s_orn2_b32 s87, s87, exec_lo
.LBB4_223:                              ;   in Loop: Header=BB4_6 Depth=1
	s_or_b32 exec_lo, exec_lo, s86
	s_mov_b32 s88, 0
	s_and_saveexec_b32 s86, s87
	s_cbranch_execz .LBB4_234
; %bb.224:                              ;   in Loop: Header=BB4_6 Depth=1
	v_mov_b32_e32 v1, 1
	v_mov_b32_e32 v6, 1
	s_xor_b32 s87, s85, -1
	s_and_saveexec_b32 s85, s87
	s_cbranch_execz .LBB4_233
; %bb.225:                              ;   in Loop: Header=BB4_6 Depth=1
	s_mov_b32 s87, exec_lo
	v_cmpx_ge_u32_e64 s22, v4
	s_xor_b32 s87, exec_lo, s87
	s_cbranch_execz .LBB4_230
; %bb.226:                              ;   in Loop: Header=BB4_6 Depth=1
	ds_read_b32 v1, v19 offset:4096
	v_or_b32_e32 v2, s18, v2
	v_or_b32_e32 v3, s18, v3
	s_waitcnt lgkmcnt(0)
	v_cmp_ne_u32_e32 vcc_lo, 0, v1
	s_cbranch_vccnz .LBB4_230
; %bb.227:                              ;   in Loop: Header=BB4_6 Depth=1
	s_and_saveexec_b32 s88, s3
; %bb.228:                              ;   in Loop: Header=BB4_6 Depth=1
	v_mov_b32_e32 v1, s22
	ds_write_b32 v19, v1 offset:4100
; %bb.229:                              ;   in Loop: Header=BB4_6 Depth=1
	s_or_b32 exec_lo, exec_lo, s88
	s_waitcnt lgkmcnt(0)
	s_barrier
	buffer_gl0_inv
.LBB4_230:                              ;   in Loop: Header=BB4_6 Depth=1
	s_andn2_saveexec_b32 s87, s87
; %bb.231:                              ;   in Loop: Header=BB4_6 Depth=1
	v_subrev_nc_u32_e32 v4, s22, v4
; %bb.232:                              ;   in Loop: Header=BB4_6 Depth=1
	s_or_b32 exec_lo, exec_lo, s87
	v_mov_b32_e32 v1, 8
	v_mov_b32_e32 v6, v4
.LBB4_233:                              ;   in Loop: Header=BB4_6 Depth=1
	s_or_b32 exec_lo, exec_lo, s85
	v_mov_b32_e32 v4, v6
	s_mov_b32 s88, exec_lo
.LBB4_234:                              ;   in Loop: Header=BB4_6 Depth=1
	s_or_b32 exec_lo, exec_lo, s86
	s_orn2_b32 s85, s88, exec_lo
.LBB4_235:                              ;   in Loop: Header=BB4_6 Depth=1
	s_or_b32 exec_lo, exec_lo, s82
	v_mov_b32_e32 v6, v4
	s_andn2_b32 s33, s33, exec_lo
	s_and_b32 s82, s84, exec_lo
	s_andn2_b32 s31, s31, exec_lo
	s_and_b32 s83, s83, exec_lo
	s_or_b32 s33, s33, s82
	s_or_b32 s31, s31, s83
	s_and_b32 s84, s85, exec_lo
.LBB4_236:                              ;   in Loop: Header=BB4_6 Depth=1
	s_or_b32 exec_lo, exec_lo, s34
	s_orn2_b32 s34, s84, exec_lo
.LBB4_237:                              ;   in Loop: Header=BB4_6 Depth=1
	s_or_b32 exec_lo, exec_lo, s30
	v_mov_b32_e32 v4, v6
	s_andn2_b32 s24, s24, exec_lo
	s_and_b32 s30, s33, exec_lo
	s_andn2_b32 s23, s23, exec_lo
	s_and_b32 s31, s31, exec_lo
	s_or_b32 s24, s24, s30
	s_or_b32 s23, s23, s31
	s_and_b32 s33, s34, exec_lo
.LBB4_238:                              ;   in Loop: Header=BB4_6 Depth=1
	s_or_b32 exec_lo, exec_lo, s29
	s_orn2_b32 s29, s33, exec_lo
.LBB4_239:                              ;   in Loop: Header=BB4_6 Depth=1
	s_or_b32 exec_lo, exec_lo, s6
	s_mov_b32 s6, 0
	s_mov_b32 s30, 0
	s_and_saveexec_b32 s31, s29
	s_xor_b32 s29, exec_lo, s31
; %bb.240:                              ;   in Loop: Header=BB4_6 Depth=1
	v_cmp_ne_u32_e32 vcc_lo, 8, v1
	v_cmp_eq_u32_e64 s6, 8, v1
	s_and_b32 s30, vcc_lo, exec_lo
	s_and_b32 s6, s6, exec_lo
; %bb.241:                              ;   in Loop: Header=BB4_6 Depth=1
	s_or_b32 exec_lo, exec_lo, s29
	s_andn2_b32 s26, s26, exec_lo
	s_and_b32 s24, s24, exec_lo
	s_andn2_b32 s25, s25, exec_lo
	s_and_b32 s23, s23, exec_lo
	s_or_b32 s26, s26, s24
	s_or_b32 s25, s25, s23
	s_and_b32 s23, s30, exec_lo
	s_and_b32 s24, s6, exec_lo
.LBB4_242:                              ;   in Loop: Header=BB4_6 Depth=1
	s_or_b32 exec_lo, exec_lo, s28
.LBB4_243:                              ;   in Loop: Header=BB4_6 Depth=1
	s_and_b32 vcc_lo, exec_lo, s27
	s_cbranch_vccz .LBB4_256
; %bb.244:                              ;   in Loop: Header=BB4_6 Depth=1
	s_cmp_eq_u32 s22, 1
	s_mov_b32 s26, -1
	s_cselect_b32 s6, -1, 0
                                        ; implicit-def: $sgpr16
	s_and_b32 s6, s6, s14
                                        ; implicit-def: $sgpr14
	s_and_saveexec_b32 s25, s6
	s_cbranch_execz .LBB4_271
; %bb.245:                              ;   in Loop: Header=BB4_6 Depth=1
	ds_read_b32 v1, v19 offset:4096
	s_waitcnt lgkmcnt(0)
	s_barrier
	buffer_gl0_inv
	v_readfirstlane_b32 s27, v1
	s_and_saveexec_b32 s14, s15
; %bb.246:                              ;   in Loop: Header=BB4_6 Depth=1
	ds_write_b8 v0, v19 offset:3072
; %bb.247:                              ;   in Loop: Header=BB4_6 Depth=1
	s_or_b32 exec_lo, exec_lo, s14
	v_or_b32_e32 v14, s18, v14
	v_or_b32_e32 v32, s18, v32
	s_mov_b32 s16, -1
	s_mov_b32 s14, 0
	s_cmp_eq_u32 s27, 0
	s_mov_b32 s26, 0
	s_mov_b32 s28, -1
	s_waitcnt lgkmcnt(0)
	s_barrier
	buffer_gl0_inv
                                        ; implicit-def: $vgpr33
	s_cbranch_scc1 .LBB4_259
; %bb.248:                              ;   in Loop: Header=BB4_6 Depth=1
	s_add_i32 s26, s27, s59
                                        ; implicit-def: $vgpr33
	s_mul_hi_u32 s28, s26, s66
	s_mul_i32 s28, s28, s35
	s_sub_i32 s28, s26, s28
	s_sub_i32 s29, s28, s35
	s_cmp_ge_u32 s28, s35
	s_cselect_b32 s28, s29, s28
	s_sub_i32 s29, s28, s35
	s_cmp_ge_u32 s28, s35
	s_cselect_b32 s28, s29, s28
	s_mov_b32 s29, exec_lo
	s_sub_i32 s30, s26, s28
	s_mov_b32 s28, 0
	s_mov_b32 s26, 0
	v_cmpx_gt_u32_e64 s30, v0
	s_cbranch_execz .LBB4_258
; %bb.249:                              ;   in Loop: Header=BB4_6 Depth=1
	v_mov_b32_e32 v1, v0
                                        ; implicit-def: $sgpr31
	s_inst_prefetch 0x1
	s_branch .LBB4_252
	.p2align	6
.LBB4_250:                              ;   in Loop: Header=BB4_252 Depth=2
	s_or_b32 exec_lo, exec_lo, s33
	s_waitcnt lgkmcnt(0)
	s_barrier
	buffer_gl0_inv
	ds_read_u16 v2, v19 offset:3072
	s_mov_b32 s34, -1
	s_waitcnt lgkmcnt(0)
	s_barrier
	buffer_gl0_inv
	v_cmp_ne_u32_sdwa s33, v2, v19 src0_sel:BYTE_0 src1_sel:DWORD
	s_and_b32 vcc_lo, exec_lo, s33
	s_mov_b32 s33, -1
	s_cbranch_vccz .LBB4_255
.LBB4_251:                              ;   in Loop: Header=BB4_252 Depth=2
	s_and_b32 s34, exec_lo, s34
	s_or_b32 s26, s34, s26
	s_andn2_b32 s31, s31, exec_lo
	s_and_b32 s33, s33, exec_lo
	s_or_b32 s31, s31, s33
	s_andn2_b32 exec_lo, exec_lo, s26
	s_cbranch_execz .LBB4_257
.LBB4_252:                              ;   Parent Loop BB4_6 Depth=1
                                        ; =>  This Inner Loop Header: Depth=2
	s_mov_b32 s33, exec_lo
	v_cmpx_gt_u32_e64 s27, v1
	s_cbranch_execz .LBB4_250
; %bb.253:                              ;   in Loop: Header=BB4_252 Depth=2
	ds_read_u8 v2, v1
	s_waitcnt lgkmcnt(0)
	v_and_b32_e32 v3, v2, v32
	v_cmp_eq_u32_sdwa s34, v3, v14 src0_sel:BYTE_0 src1_sel:DWORD
	s_and_b32 exec_lo, exec_lo, s34
	s_cbranch_execz .LBB4_250
; %bb.254:                              ;   in Loop: Header=BB4_252 Depth=2
	v_lshlrev_b16 v2, 8, v2
	v_or_b32_e32 v2, 1, v2
	ds_write_b16 v19, v2 offset:3072
	s_branch .LBB4_250
	.p2align	6
.LBB4_255:                              ;   in Loop: Header=BB4_252 Depth=2
	v_add_nc_u32_e32 v1, s35, v1
	s_mov_b32 s33, 0
	v_cmp_le_u32_e32 vcc_lo, s30, v1
	s_orn2_b32 s34, vcc_lo, exec_lo
	s_branch .LBB4_251
.LBB4_256:                              ;   in Loop: Header=BB4_6 Depth=1
	v_mov_b32_e32 v14, v2
	v_mov_b32_e32 v32, v3
	;; [unrolled: 1-line block ×3, first 2 shown]
	s_mov_b32 s14, 0
	s_and_saveexec_b32 s6, s24
	s_cbranch_execnz .LBB4_402
	s_branch .LBB4_403
.LBB4_257:                              ;   in Loop: Header=BB4_6 Depth=1
	s_inst_prefetch 0x2
	s_or_b32 exec_lo, exec_lo, s26
	v_lshrrev_b32_sdwa v33, v31, v2 dst_sel:DWORD dst_unused:UNUSED_PAD src0_sel:DWORD src1_sel:WORD_0
	s_and_b32 s26, s31, exec_lo
.LBB4_258:                              ;   in Loop: Header=BB4_6 Depth=1
	s_or_b32 exec_lo, exec_lo, s29
.LBB4_259:                              ;   in Loop: Header=BB4_6 Depth=1
	s_and_b32 vcc_lo, exec_lo, s28
	s_cbranch_vccz .LBB4_270
; %bb.260:                              ;   in Loop: Header=BB4_6 Depth=1
                                        ; implicit-def: $vgpr33
	s_and_saveexec_b32 s14, s13
	s_cbranch_execz .LBB4_269
; %bb.261:                              ;   in Loop: Header=BB4_6 Depth=1
	v_mov_b32_e32 v1, v18
	v_mov_b32_e32 v2, v0
	s_mov_b32 s16, 0
                                        ; implicit-def: $sgpr27
	s_inst_prefetch 0x1
	s_branch .LBB4_264
	.p2align	6
.LBB4_262:                              ;   in Loop: Header=BB4_264 Depth=2
	s_or_b32 exec_lo, exec_lo, s28
	s_waitcnt lgkmcnt(0)
	s_barrier
	buffer_gl0_inv
	ds_read_u16 v3, v19 offset:3072
	s_mov_b32 s28, -1
	s_waitcnt lgkmcnt(0)
	s_barrier
	buffer_gl0_inv
	v_cmp_ne_u32_sdwa s29, v3, v19 src0_sel:BYTE_0 src1_sel:DWORD
	s_and_b32 vcc_lo, exec_lo, s29
	s_mov_b32 s29, -1
	s_cbranch_vccz .LBB4_267
.LBB4_263:                              ;   in Loop: Header=BB4_264 Depth=2
	s_and_b32 s28, exec_lo, s28
	s_or_b32 s16, s28, s16
	s_andn2_b32 s27, s27, exec_lo
	s_and_b32 s28, s29, exec_lo
	s_or_b32 s27, s27, s28
	s_andn2_b32 exec_lo, exec_lo, s16
	s_cbranch_execz .LBB4_268
.LBB4_264:                              ;   Parent Loop BB4_6 Depth=1
                                        ; =>  This Inner Loop Header: Depth=2
	s_mov_b32 s28, exec_lo
	v_cmpx_gt_u32_e64 s36, v2
	s_cbranch_execz .LBB4_262
; %bb.265:                              ;   in Loop: Header=BB4_264 Depth=2
	global_load_ubyte v3, v1, s[40:41]
	s_waitcnt vmcnt(0)
	v_and_b32_e32 v4, v3, v32
	v_cmp_eq_u32_sdwa s29, v4, v14 src0_sel:BYTE_0 src1_sel:DWORD
	s_and_b32 exec_lo, exec_lo, s29
	s_cbranch_execz .LBB4_262
; %bb.266:                              ;   in Loop: Header=BB4_264 Depth=2
	v_lshlrev_b16 v3, 8, v3
	v_or_b32_e32 v3, 1, v3
	ds_write_b16 v19, v3 offset:3072
	s_branch .LBB4_262
.LBB4_267:                              ;   in Loop: Header=BB4_264 Depth=2
	v_add_nc_u32_e32 v2, s35, v2
	v_add_nc_u32_e32 v1, s48, v1
	s_mov_b32 s29, 0
	v_cmp_le_u32_e32 vcc_lo, s68, v2
	s_orn2_b32 s28, vcc_lo, exec_lo
	s_branch .LBB4_263
.LBB4_268:                              ;   in Loop: Header=BB4_6 Depth=1
	s_inst_prefetch 0x2
	s_or_b32 exec_lo, exec_lo, s16
	v_lshrrev_b32_sdwa v33, v31, v3 dst_sel:DWORD dst_unused:UNUSED_PAD src0_sel:DWORD src1_sel:WORD_0
	s_andn2_b32 s16, s26, exec_lo
	s_and_b32 s26, s27, exec_lo
	s_or_b32 s26, s16, s26
.LBB4_269:                              ;   in Loop: Header=BB4_6 Depth=1
	s_or_b32 exec_lo, exec_lo, s14
	s_mov_b32 s16, 0
	s_mov_b32 s14, -1
.LBB4_270:                              ;   in Loop: Header=BB4_6 Depth=1
	s_orn2_b32 s26, s26, exec_lo
.LBB4_271:                              ;   in Loop: Header=BB4_6 Depth=1
	s_or_b32 exec_lo, exec_lo, s25
                                        ; implicit-def: $vgpr4
                                        ; implicit-def: $vgpr1
	s_and_saveexec_b32 s25, s26
	s_cbranch_execz .LBB4_401
; %bb.272:                              ;   in Loop: Header=BB4_6 Depth=1
	v_mov_b32_e32 v4, 1
	v_mov_b32_e32 v1, 1
	s_xor_b32 s26, s6, -1
	s_mov_b32 s28, 0
	s_and_saveexec_b32 s6, s26
	s_cbranch_execz .LBB4_281
; %bb.273:                              ;   in Loop: Header=BB4_6 Depth=1
	s_mov_b32 s26, exec_lo
	v_cmpx_ge_u32_e64 s22, v34
	s_xor_b32 s26, exec_lo, s26
	s_cbranch_execz .LBB4_278
; %bb.274:                              ;   in Loop: Header=BB4_6 Depth=1
	ds_read_b32 v1, v19 offset:4096
	v_or_b32_e32 v14, s18, v14
	v_or_b32_e32 v32, s18, v32
	s_waitcnt lgkmcnt(0)
	v_cmp_ne_u32_e32 vcc_lo, 0, v1
	s_cbranch_vccnz .LBB4_278
; %bb.275:                              ;   in Loop: Header=BB4_6 Depth=1
	s_and_saveexec_b32 s27, s3
; %bb.276:                              ;   in Loop: Header=BB4_6 Depth=1
	v_mov_b32_e32 v1, s22
	ds_write_b32 v19, v1 offset:4100
; %bb.277:                              ;   in Loop: Header=BB4_6 Depth=1
	s_or_b32 exec_lo, exec_lo, s27
	s_waitcnt lgkmcnt(0)
	s_barrier
	buffer_gl0_inv
.LBB4_278:                              ;   in Loop: Header=BB4_6 Depth=1
	s_or_saveexec_b32 s26, s26
	v_mov_b32_e32 v1, 5
	s_mov_b32 s27, 0
	s_xor_b32 exec_lo, exec_lo, s26
; %bb.279:                              ;   in Loop: Header=BB4_6 Depth=1
	v_subrev_nc_u32_e32 v34, s22, v34
	v_mov_b32_e32 v1, 0
	s_mov_b32 s27, exec_lo
; %bb.280:                              ;   in Loop: Header=BB4_6 Depth=1
	s_or_b32 exec_lo, exec_lo, s26
	v_mov_b32_e32 v4, v34
	s_and_b32 s28, s27, exec_lo
.LBB4_281:                              ;   in Loop: Header=BB4_6 Depth=1
	s_or_b32 exec_lo, exec_lo, s6
	s_mov_b32 s27, -1
                                        ; implicit-def: $sgpr22
                                        ; implicit-def: $sgpr26
	s_and_saveexec_b32 s6, s28
	s_xor_b32 s6, exec_lo, s6
	s_cbranch_execz .LBB4_398
; %bb.282:                              ;   in Loop: Header=BB4_6 Depth=1
	v_cmp_eq_u32_e32 vcc_lo, 1, v4
	s_cmp_eq_u32 s21, 1
	s_mov_b32 s29, -1
	s_cselect_b32 s22, -1, 0
                                        ; implicit-def: $sgpr26
	s_and_b32 s28, s22, vcc_lo
                                        ; implicit-def: $sgpr22
	s_and_saveexec_b32 s27, s28
	s_cbranch_execz .LBB4_308
; %bb.283:                              ;   in Loop: Header=BB4_6 Depth=1
	ds_read_b32 v2, v19 offset:4096
	s_waitcnt lgkmcnt(0)
	s_barrier
	buffer_gl0_inv
	v_readfirstlane_b32 s30, v2
	s_and_saveexec_b32 s22, s15
; %bb.284:                              ;   in Loop: Header=BB4_6 Depth=1
	ds_write_b8 v0, v19 offset:3072
; %bb.285:                              ;   in Loop: Header=BB4_6 Depth=1
	s_or_b32 exec_lo, exec_lo, s22
	s_lshl_b32 s22, 2, s75
	v_or_b32_e32 v32, s18, v32
	v_and_or_b32 v14, v14, s19, s22
	s_mov_b32 s22, -1
	s_mov_b32 s26, 0
	s_cmp_eq_u32 s30, 0
	s_mov_b32 s29, 0
	s_mov_b32 s31, -1
	s_waitcnt lgkmcnt(0)
	s_barrier
	buffer_gl0_inv
                                        ; implicit-def: $vgpr33
	s_cbranch_scc1 .LBB4_296
; %bb.286:                              ;   in Loop: Header=BB4_6 Depth=1
	s_add_i32 s29, s30, s59
                                        ; implicit-def: $vgpr33
	s_mul_hi_u32 s31, s29, s66
	s_mul_i32 s31, s31, s35
	s_sub_i32 s31, s29, s31
	s_sub_i32 s33, s31, s35
	s_cmp_ge_u32 s31, s35
	s_cselect_b32 s31, s33, s31
	s_sub_i32 s33, s31, s35
	s_cmp_ge_u32 s31, s35
	s_cselect_b32 s31, s33, s31
	s_mov_b32 s33, exec_lo
	s_sub_i32 s34, s29, s31
	s_mov_b32 s31, 0
	s_mov_b32 s29, 0
	v_cmpx_gt_u32_e64 s34, v0
	s_cbranch_execz .LBB4_295
; %bb.287:                              ;   in Loop: Header=BB4_6 Depth=1
	v_mov_b32_e32 v2, v0
                                        ; implicit-def: $sgpr82
	s_inst_prefetch 0x1
	s_branch .LBB4_290
	.p2align	6
.LBB4_288:                              ;   in Loop: Header=BB4_290 Depth=2
	s_or_b32 exec_lo, exec_lo, s83
	s_waitcnt lgkmcnt(0)
	s_barrier
	buffer_gl0_inv
	ds_read_u16 v3, v19 offset:3072
	s_mov_b32 s84, -1
	s_waitcnt lgkmcnt(0)
	s_barrier
	buffer_gl0_inv
	v_cmp_ne_u32_sdwa s83, v3, v19 src0_sel:BYTE_0 src1_sel:DWORD
	s_and_b32 vcc_lo, exec_lo, s83
	s_mov_b32 s83, -1
	s_cbranch_vccz .LBB4_293
.LBB4_289:                              ;   in Loop: Header=BB4_290 Depth=2
	s_and_b32 s84, exec_lo, s84
	s_or_b32 s29, s84, s29
	s_andn2_b32 s82, s82, exec_lo
	s_and_b32 s83, s83, exec_lo
	s_or_b32 s82, s82, s83
	s_andn2_b32 exec_lo, exec_lo, s29
	s_cbranch_execz .LBB4_294
.LBB4_290:                              ;   Parent Loop BB4_6 Depth=1
                                        ; =>  This Inner Loop Header: Depth=2
	s_mov_b32 s83, exec_lo
	v_cmpx_gt_u32_e64 s30, v2
	s_cbranch_execz .LBB4_288
; %bb.291:                              ;   in Loop: Header=BB4_290 Depth=2
	ds_read_u8 v3, v2
	s_waitcnt lgkmcnt(0)
	v_and_b32_e32 v5, v3, v32
	v_cmp_eq_u32_sdwa s84, v5, v14 src0_sel:BYTE_0 src1_sel:DWORD
	s_and_b32 exec_lo, exec_lo, s84
	s_cbranch_execz .LBB4_288
; %bb.292:                              ;   in Loop: Header=BB4_290 Depth=2
	v_lshlrev_b16 v3, 8, v3
	v_or_b32_e32 v3, 1, v3
	ds_write_b16 v19, v3 offset:3072
	s_branch .LBB4_288
	.p2align	6
.LBB4_293:                              ;   in Loop: Header=BB4_290 Depth=2
	v_add_nc_u32_e32 v2, s35, v2
	s_mov_b32 s83, 0
	v_cmp_le_u32_e32 vcc_lo, s34, v2
	s_orn2_b32 s84, vcc_lo, exec_lo
	s_branch .LBB4_289
.LBB4_294:                              ;   in Loop: Header=BB4_6 Depth=1
	s_inst_prefetch 0x2
	s_or_b32 exec_lo, exec_lo, s29
	v_lshrrev_b32_sdwa v33, v31, v3 dst_sel:DWORD dst_unused:UNUSED_PAD src0_sel:DWORD src1_sel:WORD_0
	s_and_b32 s29, s82, exec_lo
.LBB4_295:                              ;   in Loop: Header=BB4_6 Depth=1
	s_or_b32 exec_lo, exec_lo, s33
.LBB4_296:                              ;   in Loop: Header=BB4_6 Depth=1
	s_and_b32 vcc_lo, exec_lo, s31
	s_cbranch_vccz .LBB4_307
; %bb.297:                              ;   in Loop: Header=BB4_6 Depth=1
                                        ; implicit-def: $vgpr33
	s_and_saveexec_b32 s22, s13
	s_cbranch_execz .LBB4_306
; %bb.298:                              ;   in Loop: Header=BB4_6 Depth=1
	v_mov_b32_e32 v2, v18
	v_mov_b32_e32 v3, v0
	s_mov_b32 s26, 0
                                        ; implicit-def: $sgpr30
	s_inst_prefetch 0x1
	s_branch .LBB4_301
	.p2align	6
.LBB4_299:                              ;   in Loop: Header=BB4_301 Depth=2
	s_or_b32 exec_lo, exec_lo, s31
	s_waitcnt lgkmcnt(0)
	s_barrier
	buffer_gl0_inv
	ds_read_u16 v5, v19 offset:3072
	s_mov_b32 s31, -1
	s_waitcnt lgkmcnt(0)
	s_barrier
	buffer_gl0_inv
	v_cmp_eq_u32_sdwa s33, v5, v19 src0_sel:BYTE_0 src1_sel:DWORD
	s_and_b32 vcc_lo, exec_lo, s33
	s_mov_b32 s33, -1
	s_cbranch_vccnz .LBB4_304
.LBB4_300:                              ;   in Loop: Header=BB4_301 Depth=2
	s_and_b32 s31, exec_lo, s31
	s_or_b32 s26, s31, s26
	s_andn2_b32 s30, s30, exec_lo
	s_and_b32 s31, s33, exec_lo
	s_or_b32 s30, s30, s31
	s_andn2_b32 exec_lo, exec_lo, s26
	s_cbranch_execz .LBB4_305
.LBB4_301:                              ;   Parent Loop BB4_6 Depth=1
                                        ; =>  This Inner Loop Header: Depth=2
	s_mov_b32 s31, exec_lo
	v_cmpx_gt_u32_e64 s36, v3
	s_cbranch_execz .LBB4_299
; %bb.302:                              ;   in Loop: Header=BB4_301 Depth=2
	global_load_ubyte v5, v2, s[40:41]
	s_waitcnt vmcnt(0)
	v_and_b32_e32 v6, v5, v32
	v_cmp_eq_u32_sdwa s33, v6, v14 src0_sel:BYTE_0 src1_sel:DWORD
	s_and_b32 exec_lo, exec_lo, s33
	s_cbranch_execz .LBB4_299
; %bb.303:                              ;   in Loop: Header=BB4_301 Depth=2
	v_lshlrev_b16 v5, 8, v5
	v_or_b32_e32 v5, 1, v5
	ds_write_b16 v19, v5 offset:3072
	s_branch .LBB4_299
.LBB4_304:                              ;   in Loop: Header=BB4_301 Depth=2
	v_add_nc_u32_e32 v3, s35, v3
	v_add_nc_u32_e32 v2, s48, v2
	s_mov_b32 s33, 0
	v_cmp_le_u32_e32 vcc_lo, s68, v3
	s_orn2_b32 s31, vcc_lo, exec_lo
	s_branch .LBB4_300
.LBB4_305:                              ;   in Loop: Header=BB4_6 Depth=1
	s_inst_prefetch 0x2
	s_or_b32 exec_lo, exec_lo, s26
	v_lshrrev_b32_sdwa v33, v31, v5 dst_sel:DWORD dst_unused:UNUSED_PAD src0_sel:DWORD src1_sel:WORD_0
	s_andn2_b32 s26, s29, exec_lo
	s_and_b32 s29, s30, exec_lo
	s_or_b32 s29, s26, s29
.LBB4_306:                              ;   in Loop: Header=BB4_6 Depth=1
	s_or_b32 exec_lo, exec_lo, s22
	s_mov_b32 s22, 0
	s_mov_b32 s26, -1
.LBB4_307:                              ;   in Loop: Header=BB4_6 Depth=1
	s_orn2_b32 s29, s29, exec_lo
.LBB4_308:                              ;   in Loop: Header=BB4_6 Depth=1
	s_or_b32 exec_lo, exec_lo, s27
	s_mov_b32 s30, 0
	s_and_saveexec_b32 s27, s29
	s_cbranch_execz .LBB4_397
; %bb.309:                              ;   in Loop: Header=BB4_6 Depth=1
	v_mov_b32_e32 v2, 1
	v_mov_b32_e32 v1, 1
	s_xor_b32 s29, s28, -1
	s_mov_b32 s31, 0
	s_and_saveexec_b32 s28, s29
	s_cbranch_execz .LBB4_318
; %bb.310:                              ;   in Loop: Header=BB4_6 Depth=1
	s_mov_b32 s29, exec_lo
	v_cmpx_ge_u32_e64 s21, v4
	s_xor_b32 s29, exec_lo, s29
	s_cbranch_execz .LBB4_315
; %bb.311:                              ;   in Loop: Header=BB4_6 Depth=1
	ds_read_b32 v1, v19 offset:4096
	s_lshl_b32 s30, 2, s75
	v_or_b32_e32 v32, s18, v32
	v_and_or_b32 v14, v14, s19, s30
	s_waitcnt lgkmcnt(0)
	v_cmp_ne_u32_e32 vcc_lo, 0, v1
	s_cbranch_vccnz .LBB4_315
; %bb.312:                              ;   in Loop: Header=BB4_6 Depth=1
	s_and_saveexec_b32 s30, s3
; %bb.313:                              ;   in Loop: Header=BB4_6 Depth=1
	v_mov_b32_e32 v1, s21
	ds_write_b32 v19, v1 offset:4100
; %bb.314:                              ;   in Loop: Header=BB4_6 Depth=1
	s_or_b32 exec_lo, exec_lo, s30
	s_waitcnt lgkmcnt(0)
	s_barrier
	buffer_gl0_inv
.LBB4_315:                              ;   in Loop: Header=BB4_6 Depth=1
	s_or_saveexec_b32 s29, s29
	v_mov_b32_e32 v1, 5
	s_mov_b32 s30, 0
	s_xor_b32 exec_lo, exec_lo, s29
; %bb.316:                              ;   in Loop: Header=BB4_6 Depth=1
	v_subrev_nc_u32_e32 v4, s21, v4
	v_mov_b32_e32 v1, 0
	s_mov_b32 s30, exec_lo
; %bb.317:                              ;   in Loop: Header=BB4_6 Depth=1
	s_or_b32 exec_lo, exec_lo, s29
	v_mov_b32_e32 v2, v4
	s_and_b32 s31, s30, exec_lo
.LBB4_318:                              ;   in Loop: Header=BB4_6 Depth=1
	s_or_b32 exec_lo, exec_lo, s28
	s_mov_b32 s30, -1
                                        ; implicit-def: $sgpr28
                                        ; implicit-def: $sgpr29
	s_and_saveexec_b32 s21, s31
	s_cbranch_execz .LBB4_396
; %bb.319:                              ;   in Loop: Header=BB4_6 Depth=1
	v_cmp_eq_u32_e32 vcc_lo, 1, v2
	s_cmp_eq_u32 s20, 1
	s_mov_b32 s33, -1
	s_cselect_b32 s28, -1, 0
                                        ; implicit-def: $sgpr29
	s_and_b32 s31, s28, vcc_lo
                                        ; implicit-def: $sgpr28
	s_and_saveexec_b32 s30, s31
	s_cbranch_execz .LBB4_345
; %bb.320:                              ;   in Loop: Header=BB4_6 Depth=1
	ds_read_b32 v3, v19 offset:4096
	s_waitcnt lgkmcnt(0)
	s_barrier
	buffer_gl0_inv
	v_readfirstlane_b32 s34, v3
	s_and_saveexec_b32 s28, s15
; %bb.321:                              ;   in Loop: Header=BB4_6 Depth=1
	ds_write_b8 v0, v19 offset:3072
; %bb.322:                              ;   in Loop: Header=BB4_6 Depth=1
	s_or_b32 exec_lo, exec_lo, s28
	s_lshl_b32 s28, 1, s75
	v_or_b32_e32 v32, s18, v32
	v_and_or_b32 v14, v14, s19, s28
	s_mov_b32 s28, -1
	s_mov_b32 s29, 0
	s_cmp_eq_u32 s34, 0
	s_mov_b32 s33, 0
	s_mov_b32 s82, -1
	s_waitcnt lgkmcnt(0)
	s_barrier
	buffer_gl0_inv
                                        ; implicit-def: $vgpr33
	s_cbranch_scc1 .LBB4_333
; %bb.323:                              ;   in Loop: Header=BB4_6 Depth=1
	s_add_i32 s33, s34, s59
                                        ; implicit-def: $vgpr33
	s_mul_hi_u32 s82, s33, s66
	s_mul_i32 s82, s82, s35
	s_sub_i32 s82, s33, s82
	s_sub_i32 s83, s82, s35
	s_cmp_ge_u32 s82, s35
	s_cselect_b32 s82, s83, s82
	s_sub_i32 s83, s82, s35
	s_cmp_ge_u32 s82, s35
	s_cselect_b32 s82, s83, s82
	s_mov_b32 s83, exec_lo
	s_sub_i32 s84, s33, s82
	s_mov_b32 s82, 0
	s_mov_b32 s33, 0
	v_cmpx_gt_u32_e64 s84, v0
	s_cbranch_execz .LBB4_332
; %bb.324:                              ;   in Loop: Header=BB4_6 Depth=1
	v_mov_b32_e32 v3, v0
                                        ; implicit-def: $sgpr85
	s_inst_prefetch 0x1
	s_branch .LBB4_327
	.p2align	6
.LBB4_325:                              ;   in Loop: Header=BB4_327 Depth=2
	s_or_b32 exec_lo, exec_lo, s86
	s_waitcnt lgkmcnt(0)
	s_barrier
	buffer_gl0_inv
	ds_read_u16 v4, v19 offset:3072
	s_mov_b32 s87, -1
	s_waitcnt lgkmcnt(0)
	s_barrier
	buffer_gl0_inv
	v_cmp_ne_u32_sdwa s86, v4, v19 src0_sel:BYTE_0 src1_sel:DWORD
	s_and_b32 vcc_lo, exec_lo, s86
	s_mov_b32 s86, -1
	s_cbranch_vccz .LBB4_330
.LBB4_326:                              ;   in Loop: Header=BB4_327 Depth=2
	s_and_b32 s87, exec_lo, s87
	s_or_b32 s33, s87, s33
	s_andn2_b32 s85, s85, exec_lo
	s_and_b32 s86, s86, exec_lo
	s_or_b32 s85, s85, s86
	s_andn2_b32 exec_lo, exec_lo, s33
	s_cbranch_execz .LBB4_331
.LBB4_327:                              ;   Parent Loop BB4_6 Depth=1
                                        ; =>  This Inner Loop Header: Depth=2
	s_mov_b32 s86, exec_lo
	v_cmpx_gt_u32_e64 s34, v3
	s_cbranch_execz .LBB4_325
; %bb.328:                              ;   in Loop: Header=BB4_327 Depth=2
	ds_read_u8 v4, v3
	s_waitcnt lgkmcnt(0)
	v_and_b32_e32 v5, v4, v32
	v_cmp_eq_u32_sdwa s87, v5, v14 src0_sel:BYTE_0 src1_sel:DWORD
	s_and_b32 exec_lo, exec_lo, s87
	s_cbranch_execz .LBB4_325
; %bb.329:                              ;   in Loop: Header=BB4_327 Depth=2
	v_lshlrev_b16 v4, 8, v4
	v_or_b32_e32 v4, 1, v4
	ds_write_b16 v19, v4 offset:3072
	s_branch .LBB4_325
	.p2align	6
.LBB4_330:                              ;   in Loop: Header=BB4_327 Depth=2
	v_add_nc_u32_e32 v3, s35, v3
	s_mov_b32 s86, 0
	v_cmp_le_u32_e32 vcc_lo, s84, v3
	s_orn2_b32 s87, vcc_lo, exec_lo
	s_branch .LBB4_326
.LBB4_331:                              ;   in Loop: Header=BB4_6 Depth=1
	s_inst_prefetch 0x2
	s_or_b32 exec_lo, exec_lo, s33
	v_lshrrev_b32_sdwa v33, v31, v4 dst_sel:DWORD dst_unused:UNUSED_PAD src0_sel:DWORD src1_sel:WORD_0
	s_and_b32 s33, s85, exec_lo
.LBB4_332:                              ;   in Loop: Header=BB4_6 Depth=1
	s_or_b32 exec_lo, exec_lo, s83
.LBB4_333:                              ;   in Loop: Header=BB4_6 Depth=1
	s_and_b32 vcc_lo, exec_lo, s82
	s_cbranch_vccz .LBB4_344
; %bb.334:                              ;   in Loop: Header=BB4_6 Depth=1
                                        ; implicit-def: $vgpr33
	s_and_saveexec_b32 s28, s13
	s_cbranch_execz .LBB4_343
; %bb.335:                              ;   in Loop: Header=BB4_6 Depth=1
	v_mov_b32_e32 v3, v18
	v_mov_b32_e32 v4, v0
	s_mov_b32 s29, 0
                                        ; implicit-def: $sgpr34
	s_inst_prefetch 0x1
	s_branch .LBB4_338
	.p2align	6
.LBB4_336:                              ;   in Loop: Header=BB4_338 Depth=2
	s_or_b32 exec_lo, exec_lo, s82
	s_waitcnt lgkmcnt(0)
	s_barrier
	buffer_gl0_inv
	ds_read_u16 v5, v19 offset:3072
	s_mov_b32 s82, -1
	s_waitcnt lgkmcnt(0)
	s_barrier
	buffer_gl0_inv
	v_cmp_eq_u32_sdwa s83, v5, v19 src0_sel:BYTE_0 src1_sel:DWORD
	s_and_b32 vcc_lo, exec_lo, s83
	s_mov_b32 s83, -1
	s_cbranch_vccnz .LBB4_341
.LBB4_337:                              ;   in Loop: Header=BB4_338 Depth=2
	s_and_b32 s82, exec_lo, s82
	s_or_b32 s29, s82, s29
	s_andn2_b32 s34, s34, exec_lo
	s_and_b32 s82, s83, exec_lo
	s_or_b32 s34, s34, s82
	s_andn2_b32 exec_lo, exec_lo, s29
	s_cbranch_execz .LBB4_342
.LBB4_338:                              ;   Parent Loop BB4_6 Depth=1
                                        ; =>  This Inner Loop Header: Depth=2
	s_mov_b32 s82, exec_lo
	v_cmpx_gt_u32_e64 s36, v4
	s_cbranch_execz .LBB4_336
; %bb.339:                              ;   in Loop: Header=BB4_338 Depth=2
	global_load_ubyte v5, v3, s[40:41]
	s_waitcnt vmcnt(0)
	v_and_b32_e32 v6, v5, v32
	v_cmp_eq_u32_sdwa s83, v6, v14 src0_sel:BYTE_0 src1_sel:DWORD
	s_and_b32 exec_lo, exec_lo, s83
	s_cbranch_execz .LBB4_336
; %bb.340:                              ;   in Loop: Header=BB4_338 Depth=2
	v_lshlrev_b16 v5, 8, v5
	v_or_b32_e32 v5, 1, v5
	ds_write_b16 v19, v5 offset:3072
	s_branch .LBB4_336
.LBB4_341:                              ;   in Loop: Header=BB4_338 Depth=2
	v_add_nc_u32_e32 v4, s35, v4
	v_add_nc_u32_e32 v3, s48, v3
	s_mov_b32 s83, 0
	v_cmp_le_u32_e32 vcc_lo, s68, v4
	s_orn2_b32 s82, vcc_lo, exec_lo
	s_branch .LBB4_337
.LBB4_342:                              ;   in Loop: Header=BB4_6 Depth=1
	s_inst_prefetch 0x2
	s_or_b32 exec_lo, exec_lo, s29
	v_lshrrev_b32_sdwa v33, v31, v5 dst_sel:DWORD dst_unused:UNUSED_PAD src0_sel:DWORD src1_sel:WORD_0
	s_andn2_b32 s29, s33, exec_lo
	s_and_b32 s33, s34, exec_lo
	s_or_b32 s33, s29, s33
.LBB4_343:                              ;   in Loop: Header=BB4_6 Depth=1
	s_or_b32 exec_lo, exec_lo, s28
	s_mov_b32 s28, 0
	s_mov_b32 s29, -1
.LBB4_344:                              ;   in Loop: Header=BB4_6 Depth=1
	s_orn2_b32 s33, s33, exec_lo
.LBB4_345:                              ;   in Loop: Header=BB4_6 Depth=1
	s_or_b32 exec_lo, exec_lo, s30
	s_mov_b32 s34, 0
	s_and_saveexec_b32 s30, s33
	s_cbranch_execz .LBB4_395
; %bb.346:                              ;   in Loop: Header=BB4_6 Depth=1
	v_mov_b32_e32 v3, 1
	v_mov_b32_e32 v1, 1
	s_xor_b32 s33, s31, -1
	s_mov_b32 s82, 0
	s_and_saveexec_b32 s31, s33
	s_cbranch_execz .LBB4_355
; %bb.347:                              ;   in Loop: Header=BB4_6 Depth=1
	s_mov_b32 s33, exec_lo
	v_cmpx_ge_u32_e64 s20, v2
	s_xor_b32 s33, exec_lo, s33
	s_cbranch_execz .LBB4_352
; %bb.348:                              ;   in Loop: Header=BB4_6 Depth=1
	ds_read_b32 v1, v19 offset:4096
	s_lshl_b32 s34, 1, s75
	v_or_b32_e32 v32, s18, v32
	v_and_or_b32 v14, v14, s19, s34
	s_waitcnt lgkmcnt(0)
	v_cmp_ne_u32_e32 vcc_lo, 0, v1
	s_cbranch_vccnz .LBB4_352
; %bb.349:                              ;   in Loop: Header=BB4_6 Depth=1
	s_and_saveexec_b32 s34, s3
; %bb.350:                              ;   in Loop: Header=BB4_6 Depth=1
	v_mov_b32_e32 v1, s20
	ds_write_b32 v19, v1 offset:4100
; %bb.351:                              ;   in Loop: Header=BB4_6 Depth=1
	s_or_b32 exec_lo, exec_lo, s34
	s_waitcnt lgkmcnt(0)
	s_barrier
	buffer_gl0_inv
.LBB4_352:                              ;   in Loop: Header=BB4_6 Depth=1
	s_or_saveexec_b32 s33, s33
	v_mov_b32_e32 v1, 5
	s_mov_b32 s34, 0
	s_xor_b32 exec_lo, exec_lo, s33
; %bb.353:                              ;   in Loop: Header=BB4_6 Depth=1
	v_subrev_nc_u32_e32 v2, s20, v2
	v_mov_b32_e32 v1, 0
	s_mov_b32 s34, exec_lo
; %bb.354:                              ;   in Loop: Header=BB4_6 Depth=1
	s_or_b32 exec_lo, exec_lo, s33
	v_mov_b32_e32 v3, v2
	s_and_b32 s82, s34, exec_lo
.LBB4_355:                              ;   in Loop: Header=BB4_6 Depth=1
	s_or_b32 exec_lo, exec_lo, s31
	s_mov_b32 s34, -1
                                        ; implicit-def: $sgpr33
                                        ; implicit-def: $sgpr31
	s_and_saveexec_b32 s20, s82
	s_cbranch_execz .LBB4_394
; %bb.356:                              ;   in Loop: Header=BB4_6 Depth=1
	v_cmp_eq_u32_e32 vcc_lo, 1, v3
	s_cmp_eq_u32 s17, 1
	s_mov_b32 s83, -1
	s_cselect_b32 s31, -1, 0
                                        ; implicit-def: $sgpr33
	s_and_b32 s34, s31, vcc_lo
                                        ; implicit-def: $sgpr31
	s_and_saveexec_b32 s82, s34
	s_cbranch_execz .LBB4_382
; %bb.357:                              ;   in Loop: Header=BB4_6 Depth=1
	ds_read_b32 v2, v19 offset:4096
	s_waitcnt lgkmcnt(0)
	s_barrier
	buffer_gl0_inv
	v_readfirstlane_b32 s84, v2
	s_and_saveexec_b32 s31, s15
; %bb.358:                              ;   in Loop: Header=BB4_6 Depth=1
	ds_write_b8 v0, v19 offset:3072
; %bb.359:                              ;   in Loop: Header=BB4_6 Depth=1
	s_or_b32 exec_lo, exec_lo, s31
	v_and_b32_e32 v14, s19, v14
	v_or_b32_e32 v32, s18, v32
	s_mov_b32 s31, -1
	s_mov_b32 s33, 0
	s_cmp_eq_u32 s84, 0
	s_mov_b32 s83, 0
	s_mov_b32 s85, -1
	s_waitcnt lgkmcnt(0)
	s_barrier
	buffer_gl0_inv
                                        ; implicit-def: $vgpr33
	s_cbranch_scc1 .LBB4_370
; %bb.360:                              ;   in Loop: Header=BB4_6 Depth=1
	s_add_i32 s83, s84, s59
                                        ; implicit-def: $vgpr33
	s_mul_hi_u32 s85, s83, s66
	s_mul_i32 s85, s85, s35
	s_sub_i32 s85, s83, s85
	s_sub_i32 s86, s85, s35
	s_cmp_ge_u32 s85, s35
	s_cselect_b32 s85, s86, s85
	s_sub_i32 s86, s85, s35
	s_cmp_ge_u32 s85, s35
	s_cselect_b32 s85, s86, s85
	s_mov_b32 s86, exec_lo
	s_sub_i32 s87, s83, s85
	s_mov_b32 s85, 0
	s_mov_b32 s83, 0
	v_cmpx_gt_u32_e64 s87, v0
	s_cbranch_execz .LBB4_369
; %bb.361:                              ;   in Loop: Header=BB4_6 Depth=1
	v_mov_b32_e32 v2, v0
                                        ; implicit-def: $sgpr88
	s_inst_prefetch 0x1
	s_branch .LBB4_364
	.p2align	6
.LBB4_362:                              ;   in Loop: Header=BB4_364 Depth=2
	s_or_b32 exec_lo, exec_lo, s89
	s_waitcnt lgkmcnt(0)
	s_barrier
	buffer_gl0_inv
	ds_read_u16 v4, v19 offset:3072
	s_mov_b32 s90, -1
	s_waitcnt lgkmcnt(0)
	s_barrier
	buffer_gl0_inv
	v_cmp_ne_u32_sdwa s89, v4, v19 src0_sel:BYTE_0 src1_sel:DWORD
	s_and_b32 vcc_lo, exec_lo, s89
	s_mov_b32 s89, -1
	s_cbranch_vccz .LBB4_367
.LBB4_363:                              ;   in Loop: Header=BB4_364 Depth=2
	s_and_b32 s90, exec_lo, s90
	s_or_b32 s83, s90, s83
	s_andn2_b32 s88, s88, exec_lo
	s_and_b32 s89, s89, exec_lo
	s_or_b32 s88, s88, s89
	s_andn2_b32 exec_lo, exec_lo, s83
	s_cbranch_execz .LBB4_368
.LBB4_364:                              ;   Parent Loop BB4_6 Depth=1
                                        ; =>  This Inner Loop Header: Depth=2
	s_mov_b32 s89, exec_lo
	v_cmpx_gt_u32_e64 s84, v2
	s_cbranch_execz .LBB4_362
; %bb.365:                              ;   in Loop: Header=BB4_364 Depth=2
	ds_read_u8 v4, v2
	s_waitcnt lgkmcnt(0)
	v_and_b32_e32 v5, v4, v32
	v_cmp_eq_u32_sdwa s90, v5, v14 src0_sel:BYTE_0 src1_sel:DWORD
	s_and_b32 exec_lo, exec_lo, s90
	s_cbranch_execz .LBB4_362
; %bb.366:                              ;   in Loop: Header=BB4_364 Depth=2
	v_lshlrev_b16 v4, 8, v4
	v_or_b32_e32 v4, 1, v4
	ds_write_b16 v19, v4 offset:3072
	s_branch .LBB4_362
	.p2align	6
.LBB4_367:                              ;   in Loop: Header=BB4_364 Depth=2
	v_add_nc_u32_e32 v2, s35, v2
	s_mov_b32 s89, 0
	v_cmp_le_u32_e32 vcc_lo, s87, v2
	s_orn2_b32 s90, vcc_lo, exec_lo
	s_branch .LBB4_363
.LBB4_368:                              ;   in Loop: Header=BB4_6 Depth=1
	s_inst_prefetch 0x2
	s_or_b32 exec_lo, exec_lo, s83
	v_lshrrev_b32_sdwa v33, v31, v4 dst_sel:DWORD dst_unused:UNUSED_PAD src0_sel:DWORD src1_sel:WORD_0
	s_and_b32 s83, s88, exec_lo
.LBB4_369:                              ;   in Loop: Header=BB4_6 Depth=1
	s_or_b32 exec_lo, exec_lo, s86
.LBB4_370:                              ;   in Loop: Header=BB4_6 Depth=1
	s_and_b32 vcc_lo, exec_lo, s85
	s_cbranch_vccz .LBB4_381
; %bb.371:                              ;   in Loop: Header=BB4_6 Depth=1
                                        ; implicit-def: $vgpr33
	s_and_saveexec_b32 s31, s13
	s_cbranch_execz .LBB4_380
; %bb.372:                              ;   in Loop: Header=BB4_6 Depth=1
	v_mov_b32_e32 v2, v18
	v_mov_b32_e32 v4, v0
	s_mov_b32 s33, 0
                                        ; implicit-def: $sgpr84
	s_inst_prefetch 0x1
	s_branch .LBB4_375
	.p2align	6
.LBB4_373:                              ;   in Loop: Header=BB4_375 Depth=2
	s_or_b32 exec_lo, exec_lo, s85
	s_waitcnt lgkmcnt(0)
	s_barrier
	buffer_gl0_inv
	ds_read_u16 v5, v19 offset:3072
	s_mov_b32 s85, -1
	s_waitcnt lgkmcnt(0)
	s_barrier
	buffer_gl0_inv
	v_cmp_eq_u32_sdwa s86, v5, v19 src0_sel:BYTE_0 src1_sel:DWORD
	s_and_b32 vcc_lo, exec_lo, s86
	s_mov_b32 s86, -1
	s_cbranch_vccnz .LBB4_378
.LBB4_374:                              ;   in Loop: Header=BB4_375 Depth=2
	s_and_b32 s85, exec_lo, s85
	s_or_b32 s33, s85, s33
	s_andn2_b32 s84, s84, exec_lo
	s_and_b32 s85, s86, exec_lo
	s_or_b32 s84, s84, s85
	s_andn2_b32 exec_lo, exec_lo, s33
	s_cbranch_execz .LBB4_379
.LBB4_375:                              ;   Parent Loop BB4_6 Depth=1
                                        ; =>  This Inner Loop Header: Depth=2
	s_mov_b32 s85, exec_lo
	v_cmpx_gt_u32_e64 s36, v4
	s_cbranch_execz .LBB4_373
; %bb.376:                              ;   in Loop: Header=BB4_375 Depth=2
	global_load_ubyte v5, v2, s[40:41]
	s_waitcnt vmcnt(0)
	v_and_b32_e32 v6, v5, v32
	v_cmp_eq_u32_sdwa s86, v6, v14 src0_sel:BYTE_0 src1_sel:DWORD
	s_and_b32 exec_lo, exec_lo, s86
	s_cbranch_execz .LBB4_373
; %bb.377:                              ;   in Loop: Header=BB4_375 Depth=2
	v_lshlrev_b16 v5, 8, v5
	v_or_b32_e32 v5, 1, v5
	ds_write_b16 v19, v5 offset:3072
	s_branch .LBB4_373
.LBB4_378:                              ;   in Loop: Header=BB4_375 Depth=2
	v_add_nc_u32_e32 v4, s35, v4
	v_add_nc_u32_e32 v2, s48, v2
	s_mov_b32 s86, 0
	v_cmp_le_u32_e32 vcc_lo, s68, v4
	s_orn2_b32 s85, vcc_lo, exec_lo
	s_branch .LBB4_374
.LBB4_379:                              ;   in Loop: Header=BB4_6 Depth=1
	s_inst_prefetch 0x2
	s_or_b32 exec_lo, exec_lo, s33
	v_lshrrev_b32_sdwa v33, v31, v5 dst_sel:DWORD dst_unused:UNUSED_PAD src0_sel:DWORD src1_sel:WORD_0
	s_andn2_b32 s33, s83, exec_lo
	s_and_b32 s83, s84, exec_lo
	s_or_b32 s83, s33, s83
.LBB4_380:                              ;   in Loop: Header=BB4_6 Depth=1
	s_or_b32 exec_lo, exec_lo, s31
	s_mov_b32 s31, 0
	s_mov_b32 s33, -1
.LBB4_381:                              ;   in Loop: Header=BB4_6 Depth=1
	s_orn2_b32 s83, s83, exec_lo
.LBB4_382:                              ;   in Loop: Header=BB4_6 Depth=1
	s_or_b32 exec_lo, exec_lo, s82
	s_mov_b32 s84, 0
	s_and_saveexec_b32 s82, s83
	s_cbranch_execz .LBB4_393
; %bb.383:                              ;   in Loop: Header=BB4_6 Depth=1
	v_mov_b32_e32 v1, 1
	v_mov_b32_e32 v2, 1
	s_xor_b32 s83, s34, -1
	s_and_saveexec_b32 s34, s83
	s_cbranch_execz .LBB4_392
; %bb.384:                              ;   in Loop: Header=BB4_6 Depth=1
	s_mov_b32 s83, exec_lo
	v_cmpx_ge_u32_e64 s17, v3
	s_xor_b32 s83, exec_lo, s83
	s_cbranch_execz .LBB4_389
; %bb.385:                              ;   in Loop: Header=BB4_6 Depth=1
	ds_read_b32 v1, v19 offset:4096
	v_and_b32_e32 v14, s19, v14
	v_or_b32_e32 v32, s18, v32
	s_waitcnt lgkmcnt(0)
	v_cmp_ne_u32_e32 vcc_lo, 0, v1
	s_cbranch_vccnz .LBB4_389
; %bb.386:                              ;   in Loop: Header=BB4_6 Depth=1
	s_and_saveexec_b32 s18, s3
; %bb.387:                              ;   in Loop: Header=BB4_6 Depth=1
	v_mov_b32_e32 v1, s17
	ds_write_b32 v19, v1 offset:4100
; %bb.388:                              ;   in Loop: Header=BB4_6 Depth=1
	s_or_b32 exec_lo, exec_lo, s18
	s_waitcnt lgkmcnt(0)
	s_barrier
	buffer_gl0_inv
.LBB4_389:                              ;   in Loop: Header=BB4_6 Depth=1
	s_andn2_saveexec_b32 s18, s83
; %bb.390:                              ;   in Loop: Header=BB4_6 Depth=1
	v_subrev_nc_u32_e32 v3, s17, v3
; %bb.391:                              ;   in Loop: Header=BB4_6 Depth=1
	s_or_b32 exec_lo, exec_lo, s18
	v_mov_b32_e32 v1, 5
	v_mov_b32_e32 v2, v3
.LBB4_392:                              ;   in Loop: Header=BB4_6 Depth=1
	s_or_b32 exec_lo, exec_lo, s34
	v_mov_b32_e32 v3, v2
	s_mov_b32 s84, exec_lo
.LBB4_393:                              ;   in Loop: Header=BB4_6 Depth=1
	s_or_b32 exec_lo, exec_lo, s82
	s_orn2_b32 s34, s84, exec_lo
.LBB4_394:                              ;   in Loop: Header=BB4_6 Depth=1
	s_or_b32 exec_lo, exec_lo, s20
	v_mov_b32_e32 v2, v3
	s_andn2_b32 s17, s29, exec_lo
	s_and_b32 s18, s33, exec_lo
	s_andn2_b32 s19, s28, exec_lo
	s_and_b32 s20, s31, exec_lo
	s_or_b32 s29, s17, s18
	s_or_b32 s28, s19, s20
	s_and_b32 s34, s34, exec_lo
.LBB4_395:                              ;   in Loop: Header=BB4_6 Depth=1
	s_or_b32 exec_lo, exec_lo, s30
	s_orn2_b32 s30, s34, exec_lo
.LBB4_396:                              ;   in Loop: Header=BB4_6 Depth=1
	s_or_b32 exec_lo, exec_lo, s21
	v_mov_b32_e32 v4, v2
	s_andn2_b32 s17, s26, exec_lo
	s_and_b32 s18, s29, exec_lo
	s_andn2_b32 s19, s22, exec_lo
	s_and_b32 s20, s28, exec_lo
	s_or_b32 s26, s17, s18
	s_or_b32 s22, s19, s20
	s_and_b32 s30, s30, exec_lo
.LBB4_397:                              ;   in Loop: Header=BB4_6 Depth=1
	s_or_b32 exec_lo, exec_lo, s27
	s_orn2_b32 s27, s30, exec_lo
.LBB4_398:                              ;   in Loop: Header=BB4_6 Depth=1
	s_or_b32 exec_lo, exec_lo, s6
	s_mov_b32 s6, s24
	s_mov_b32 s17, s23
	s_and_saveexec_b32 s18, s27
; %bb.399:                              ;   in Loop: Header=BB4_6 Depth=1
	v_cmp_ne_u32_e32 vcc_lo, 5, v1
	v_cmp_eq_u32_e64 s6, 5, v1
	s_andn2_b32 s17, s23, exec_lo
	s_andn2_b32 s19, s24, exec_lo
	s_and_b32 s20, vcc_lo, exec_lo
	s_and_b32 s6, s6, exec_lo
	s_or_b32 s17, s17, s20
	s_or_b32 s6, s19, s6
; %bb.400:                              ;   in Loop: Header=BB4_6 Depth=1
	s_or_b32 exec_lo, exec_lo, s18
	s_andn2_b32 s14, s14, exec_lo
	s_and_b32 s18, s26, exec_lo
	s_andn2_b32 s16, s16, exec_lo
	s_and_b32 s19, s22, exec_lo
	s_or_b32 s14, s14, s18
	s_or_b32 s16, s16, s19
	s_andn2_b32 s18, s23, exec_lo
	s_and_b32 s17, s17, exec_lo
	s_andn2_b32 s19, s24, exec_lo
	s_and_b32 s6, s6, exec_lo
	s_or_b32 s23, s18, s17
	s_or_b32 s24, s19, s6
.LBB4_401:                              ;   in Loop: Header=BB4_6 Depth=1
	s_or_b32 exec_lo, exec_lo, s25
	s_mov_b32 s25, 0
	s_mov_b32 s26, 0
	s_and_saveexec_b32 s6, s24
.LBB4_402:                              ;   in Loop: Header=BB4_6 Depth=1
	v_mov_b32_e32 v1, 0
	s_or_b32 s23, s23, exec_lo
.LBB4_403:                              ;   in Loop: Header=BB4_6 Depth=1
	s_or_b32 exec_lo, exec_lo, s6
	s_andn2_b32 s6, s79, exec_lo
	s_and_b32 s14, s14, exec_lo
	s_andn2_b32 s18, s77, exec_lo
	s_and_b32 s16, s16, exec_lo
	v_mov_b32_e32 v34, v4
	s_or_b32 s79, s6, s14
	s_or_b32 s77, s18, s16
	s_andn2_b32 s6, s81, exec_lo
	s_and_b32 s14, s26, exec_lo
	s_andn2_b32 s16, s80, exec_lo
	s_and_b32 s18, s25, exec_lo
	s_mov_b32 s17, -1
	s_andn2_b32 s78, s78, exec_lo
	s_or_b32 s81, s6, s14
	s_or_b32 s80, s16, s18
	s_and_saveexec_b32 s6, s23
	s_xor_b32 s6, exec_lo, s6
	s_cbranch_execz .LBB4_5
; %bb.404:                              ;   in Loop: Header=BB4_6 Depth=1
	s_mov_b32 s14, -1
	s_mov_b32 s16, -1
	s_mov_b32 s17, exec_lo
	v_cmpx_eq_u32_e32 0, v1
	s_cbranch_execz .LBB4_4
; %bb.405:                              ;   in Loop: Header=BB4_6 Depth=1
	s_xor_b32 s71, s71, 1
	s_add_i32 s18, s75, -2
	s_cmp_eq_u32 s75, 0
	s_mov_b32 s75, s18
	s_cselect_b32 s14, -1, 0
	s_xor_b32 s16, exec_lo, -1
	s_orn2_b32 s14, s14, exec_lo
	s_branch .LBB4_4
.LBB4_406:
	s_or_b32 exec_lo, exec_lo, s52
	s_xor_b32 s7, s76, -1
	s_xor_b32 s12, s73, -1
	;; [unrolled: 1-line block ×5, first 2 shown]
	s_mov_b32 s9, 0
	s_and_saveexec_b32 s10, s8
	s_xor_b32 s8, exec_lo, s10
	s_cbranch_execnz .LBB4_411
; %bb.407:
	s_andn2_saveexec_b32 s0, s8
	s_cbranch_execnz .LBB4_430
.LBB4_408:
	s_or_b32 exec_lo, exec_lo, s0
	s_and_saveexec_b32 s0, s9
.LBB4_409:
	; divergent unreachable
.LBB4_410:
	s_endpgm
.LBB4_411:
	s_mov_b32 s10, 0
	s_and_saveexec_b32 s9, s11
	s_xor_b32 s9, exec_lo, s9
	s_cbranch_execz .LBB4_428
; %bb.412:
	s_mov_b32 s11, 0
	s_and_saveexec_b32 s10, s12
	s_xor_b32 s10, exec_lo, s10
	s_cbranch_execz .LBB4_426
; %bb.413:
	;; [unrolled: 5-line block ×3, first 2 shown]
	s_and_saveexec_b32 s7, s6
	s_xor_b32 s6, exec_lo, s7
; %bb.415:
	v_mov_b32_e32 v33, v14
; %bb.416:
	s_or_b32 exec_lo, exec_lo, s6
	s_and_saveexec_b32 s6, s3
; %bb.417:
	v_mov_b32_e32 v1, 0
	ds_write_b32 v1, v1 offset:4108
; %bb.418:
	s_or_b32 exec_lo, exec_lo, s6
	v_mov_b32_e32 v3, 0
	s_waitcnt lgkmcnt(0)
	s_barrier
	buffer_gl0_inv
	s_and_saveexec_b32 s3, s1
	s_cbranch_execz .LBB4_420
; %bb.419:
	global_load_ubyte v3, v[9:10], off
.LBB4_420:
	s_or_b32 exec_lo, exec_lo, s3
	s_clause 0x1
	s_load_dword s12, s[4:5], 0x1c8
	s_load_dword s13, s[4:5], 0x2a8
	s_add_i32 s14, s36, 31
	s_mul_i32 s51, s51, s49
	s_andn2_b32 s14, s14, 31
	s_mul_i32 s4, s50, s49
	s_mov_b32 s5, 0
	s_add_u32 s6, s46, s51
	s_addc_u32 s7, s47, 0
	s_lshl_b64 s[16:17], s[4:5], 3
	v_cmp_gt_u32_e32 vcc_lo, s14, v0
	s_add_u32 s15, s44, s16
	s_addc_u32 s16, s45, s17
	s_mov_b32 s4, -1
	s_mov_b32 s3, 0
	s_and_saveexec_b32 s17, vcc_lo
	s_cbranch_execnz .LBB4_431
; %bb.421:
	s_or_b32 exec_lo, exec_lo, s17
	s_and_saveexec_b32 s2, s4
	s_cbranch_execnz .LBB4_446
.LBB4_422:
	s_or_b32 exec_lo, exec_lo, s2
	s_and_saveexec_b32 s0, s3
	s_xor_b32 s0, exec_lo, s0
	s_cbranch_execnz .LBB4_469
.LBB4_423:
	s_or_b32 exec_lo, exec_lo, s0
	s_waitcnt lgkmcnt(0)
	s_and_b32 s12, s5, exec_lo
.LBB4_424:
	s_andn2_saveexec_b32 s0, s11
	s_cbranch_execnz .LBB4_471
.LBB4_425:
	s_or_b32 exec_lo, exec_lo, s0
	s_and_b32 s11, s12, exec_lo
.LBB4_426:
	s_andn2_saveexec_b32 s0, s10
	s_cbranch_execnz .LBB4_470
.LBB4_427:
	s_or_b32 exec_lo, exec_lo, s0
	s_and_b32 s10, s11, exec_lo
.LBB4_428:
	s_andn2_saveexec_b32 s0, s9
	s_cbranch_execnz .LBB4_465
.LBB4_429:
	s_or_b32 exec_lo, exec_lo, s0
	s_and_b32 s9, s10, exec_lo
	s_andn2_saveexec_b32 s0, s8
	s_cbranch_execz .LBB4_408
.LBB4_430:
	s_or_b32 s9, s9, exec_lo
	s_trap 2
	s_or_b32 exec_lo, exec_lo, s0
	s_and_saveexec_b32 s0, s9
	s_cbranch_execnz .LBB4_409
	s_branch .LBB4_410
.LBB4_431:
	v_add_nc_u32_e32 v1, s35, v0
	v_mov_b32_e32 v2, 0
	s_mov_b32 s18, 0
                                        ; implicit-def: $sgpr19
                                        ; implicit-def: $vgpr7
	v_mul_lo_u32 v4, s42, v1
	v_mov_b32_e32 v1, v0
	s_branch .LBB4_433
.LBB4_432:                              ;   in Loop: Header=BB4_433 Depth=1
	s_or_b32 exec_lo, exec_lo, s21
	s_xor_b32 s3, s20, -1
	s_and_b32 s4, exec_lo, s4
	v_mov_b32_e32 v3, v6
	s_or_b32 s18, s4, s18
	v_mov_b32_e32 v1, v5
	s_andn2_b32 s4, s19, exec_lo
	s_and_b32 s3, s3, exec_lo
	s_or_b32 s19, s4, s3
	s_andn2_b32 exec_lo, exec_lo, s18
	s_cbranch_execz .LBB4_445
.LBB4_433:                              ; =>This Inner Loop Header: Depth=1
	v_add_nc_u32_e32 v5, s35, v1
	v_mov_b32_e32 v6, 0
	s_mov_b32 s4, exec_lo
	v_cmpx_gt_u32_e64 s36, v5
	s_cbranch_execz .LBB4_435
; %bb.434:                              ;   in Loop: Header=BB4_433 Depth=1
	global_load_ubyte v6, v4, s[40:41]
.LBB4_435:                              ;   in Loop: Header=BB4_433 Depth=1
	s_or_b32 exec_lo, exec_lo, s4
	s_waitcnt vmcnt(0)
	v_cmp_gt_u16_sdwa s3, v3, v33 src0_sel:BYTE_0 src1_sel:BYTE_0
	v_cndmask_b32_e64 v8, 0, 1, s3
	v_cmp_lt_u16_sdwa s3, v3, v33 src0_sel:BYTE_0 src1_sel:BYTE_0
	v_cndmask_b32_e64 v11, 0, 1, s3
	v_cmp_gt_u32_e64 s3, s36, v1
	v_cndmask_b32_e64 v8, v11, v8, s2
	v_and_b32_e32 v8, 1, v8
	v_cmp_eq_u32_e64 s4, 1, v8
	s_and_b32 s20, s3, s4
	v_cndmask_b32_e64 v8, 0, 1, s20
	v_cmp_ne_u32_e64 s3, 0, v8
	s_cmp_lg_u32 s3, 0
	s_cselect_b32 s4, -1, 0
	s_and_b32 s4, s0, s4
	s_and_saveexec_b32 s21, s4
	s_cbranch_execz .LBB4_439
; %bb.436:                              ;   in Loop: Header=BB4_433 Depth=1
	s_mov_b32 s24, exec_lo
	s_bcnt1_i32_b32 s22, s3
	s_waitcnt lgkmcnt(0)
	v_mbcnt_lo_u32_b32 v7, s24, 0
	s_mov_b32 s23, exec_lo
                                        ; implicit-def: $vgpr8
	v_cmpx_eq_u32_e32 0, v7
; %bb.437:                              ;   in Loop: Header=BB4_433 Depth=1
	s_bcnt1_i32_b32 s4, s24
	s_mul_i32 s4, s22, s4
	v_mov_b32_e32 v8, s4
	ds_add_rtn_u32 v8, v2, v8 offset:4108
; %bb.438:                              ;   in Loop: Header=BB4_433 Depth=1
	s_or_b32 exec_lo, exec_lo, s23
	s_waitcnt lgkmcnt(0)
	v_readfirstlane_b32 s4, v8
	v_mad_u32_u24 v7, s22, v7, s4
.LBB4_439:                              ;   in Loop: Header=BB4_433 Depth=1
	s_or_b32 exec_lo, exec_lo, s21
	s_waitcnt lgkmcnt(0)
	ds_bpermute_b32 v7, v2, v7
	s_mov_b32 s4, -1
	s_mov_b32 s22, -1
	s_and_saveexec_b32 s21, s20
	s_cbranch_execz .LBB4_443
; %bb.440:                              ;   in Loop: Header=BB4_433 Depth=1
	v_and_b32_e32 v8, s3, v15
	s_mov_b32 s20, 0
	s_mov_b32 s22, exec_lo
	s_waitcnt lgkmcnt(0)
	v_bcnt_u32_b32 v8, v8, v7
	v_cmpx_gt_u32_e64 s37, v8
; %bb.441:                              ;   in Loop: Header=BB4_433 Depth=1
	v_mul_lo_u32 v11, v8, s13
	v_mov_b32_e32 v12, v2
	v_mul_lo_u32 v8, v8, s12
	s_mov_b32 s20, exec_lo
	v_lshlrev_b64 v[11:12], 3, v[11:12]
	v_add_co_u32 v11, s3, s15, v11
	v_add_co_ci_u32_e64 v12, null, s16, v12, s3
	global_store_byte v8, v3, s[6:7]
	global_store_dwordx2 v[11:12], v[1:2], off
; %bb.442:                              ;   in Loop: Header=BB4_433 Depth=1
	s_or_b32 exec_lo, exec_lo, s22
	s_orn2_b32 s22, s20, exec_lo
.LBB4_443:                              ;   in Loop: Header=BB4_433 Depth=1
	s_or_b32 exec_lo, exec_lo, s21
	s_mov_b32 s20, -1
	s_and_saveexec_b32 s21, s22
	s_cbranch_execz .LBB4_432
; %bb.444:                              ;   in Loop: Header=BB4_433 Depth=1
	v_cmp_le_u32_e64 s3, s14, v5
	v_add_nc_u32_e32 v4, s48, v4
	s_xor_b32 s20, exec_lo, -1
	s_orn2_b32 s4, s3, exec_lo
	s_branch .LBB4_432
.LBB4_445:
	s_or_b32 exec_lo, exec_lo, s18
	s_mov_b32 s3, exec_lo
	s_orn2_b32 s4, s19, exec_lo
	s_or_b32 exec_lo, exec_lo, s17
	s_and_saveexec_b32 s2, s4
	s_cbranch_execz .LBB4_422
.LBB4_446:
	v_mov_b32_e32 v6, 0
	s_waitcnt vmcnt(0) lgkmcnt(0)
	s_waitcnt_vscnt null, 0x0
	s_barrier
	buffer_gl0_inv
	s_and_saveexec_b32 s4, s1
	s_cbranch_execz .LBB4_448
; %bb.447:
	global_load_ubyte v6, v[9:10], off
.LBB4_448:
	s_or_b32 exec_lo, exec_lo, s4
	s_mov_b32 s1, 0
	s_and_saveexec_b32 s4, vcc_lo
	s_cbranch_execz .LBB4_468
; %bb.449:
	v_add_nc_u32_e32 v1, s35, v0
	s_mov_b32 s5, 0
                                        ; implicit-def: $sgpr17
                                        ; implicit-def: $vgpr5
	v_mul_lo_u32 v2, s42, v1
	v_mov_b32_e32 v1, 0
	s_branch .LBB4_452
.LBB4_450:                              ;   in Loop: Header=BB4_452 Depth=1
	s_or_b32 exec_lo, exec_lo, s18
	s_orn2_b32 s20, s20, exec_lo
	s_orn2_b32 s19, s19, exec_lo
.LBB4_451:                              ;   in Loop: Header=BB4_452 Depth=1
	s_or_b32 exec_lo, exec_lo, s1
	s_xor_b32 s1, s20, -1
	s_and_b32 s18, exec_lo, s19
	v_mov_b32_e32 v0, v3
	s_or_b32 s5, s18, s5
	v_mov_b32_e32 v6, v4
	s_andn2_b32 s17, s17, exec_lo
	s_and_b32 s1, s1, exec_lo
	s_or_b32 s17, s17, s1
	s_andn2_b32 exec_lo, exec_lo, s5
	s_cbranch_execz .LBB4_466
.LBB4_452:                              ; =>This Inner Loop Header: Depth=1
	v_add_nc_u32_e32 v3, s35, v0
	v_mov_b32_e32 v4, 0
	s_mov_b32 s1, exec_lo
	v_cmpx_gt_u32_e64 s36, v3
	s_cbranch_execz .LBB4_454
; %bb.453:                              ;   in Loop: Header=BB4_452 Depth=1
	global_load_ubyte v4, v2, s[40:41]
.LBB4_454:                              ;   in Loop: Header=BB4_452 Depth=1
	s_or_b32 exec_lo, exec_lo, s1
	v_cmp_gt_u32_e32 vcc_lo, s36, v0
	s_waitcnt vmcnt(0)
	v_cmp_eq_u16_sdwa s1, v6, v33 src0_sel:BYTE_0 src1_sel:BYTE_0
	s_and_b32 s18, vcc_lo, s1
	v_cndmask_b32_e64 v6, 0, 1, s18
	v_cmp_ne_u32_e32 vcc_lo, 0, v6
	s_cmp_lg_u32 vcc_lo, 0
	s_cselect_b32 s1, -1, 0
	s_and_b32 s1, s0, s1
	s_and_saveexec_b32 s19, s1
	s_cbranch_execz .LBB4_458
; %bb.455:                              ;   in Loop: Header=BB4_452 Depth=1
	s_mov_b32 s22, exec_lo
	s_bcnt1_i32_b32 s20, vcc_lo
	v_mbcnt_lo_u32_b32 v5, s22, 0
	s_mov_b32 s21, exec_lo
                                        ; implicit-def: $vgpr6
	v_cmpx_eq_u32_e32 0, v5
; %bb.456:                              ;   in Loop: Header=BB4_452 Depth=1
	s_bcnt1_i32_b32 s1, s22
	s_mul_i32 s1, s20, s1
	v_mov_b32_e32 v6, s1
	ds_add_rtn_u32 v6, v1, v6 offset:4108
; %bb.457:                              ;   in Loop: Header=BB4_452 Depth=1
	s_or_b32 exec_lo, exec_lo, s21
	s_waitcnt lgkmcnt(0)
	v_readfirstlane_b32 s1, v6
	v_mad_u32_u24 v5, s20, v5, s1
.LBB4_458:                              ;   in Loop: Header=BB4_452 Depth=1
	s_or_b32 exec_lo, exec_lo, s19
	ds_bpermute_b32 v5, v1, v5
	s_cmp_eq_u32 vcc_lo, 0
	s_mov_b32 s19, -1
	s_cselect_b32 s20, -1, 0
	s_waitcnt lgkmcnt(0)
	v_cmp_gt_u32_e64 s1, s37, v5
	s_or_b32 s21, s20, s1
	s_mov_b32 s20, -1
	s_and_saveexec_b32 s1, s21
	s_cbranch_execz .LBB4_451
; %bb.459:                              ;   in Loop: Header=BB4_452 Depth=1
	v_and_b32_e32 v6, vcc_lo, v15
	v_sub_nc_u32_e32 v7, s37, v5
	s_mov_b32 s21, -1
	v_bcnt_u32_b32 v6, v6, 0
	v_bcnt_u32_b32 v6, 0, v6
	v_cmp_gt_u32_e32 vcc_lo, v7, v6
	s_and_b32 s22, s18, vcc_lo
	s_and_saveexec_b32 s18, s22
	s_cbranch_execz .LBB4_463
; %bb.460:                              ;   in Loop: Header=BB4_452 Depth=1
	v_add_nc_u32_e32 v6, v5, v6
	s_mov_b32 s21, 0
	s_mov_b32 s20, exec_lo
	v_cmpx_gt_u32_e64 s37, v6
; %bb.461:                              ;   in Loop: Header=BB4_452 Depth=1
	v_mul_lo_u32 v7, v6, s13
	v_mov_b32_e32 v8, v1
	v_mul_lo_u32 v9, v6, s12
	s_mov_b32 s21, exec_lo
	v_lshlrev_b64 v[7:8], 3, v[7:8]
	v_add_co_u32 v6, vcc_lo, s15, v7
	v_add_co_ci_u32_e64 v7, null, s16, v8, vcc_lo
	global_store_byte v9, v33, s[6:7]
	global_store_dwordx2 v[6:7], v[0:1], off
; %bb.462:                              ;   in Loop: Header=BB4_452 Depth=1
	s_or_b32 exec_lo, exec_lo, s20
	s_xor_b32 s20, exec_lo, -1
	s_orn2_b32 s21, s21, exec_lo
.LBB4_463:                              ;   in Loop: Header=BB4_452 Depth=1
	s_or_b32 exec_lo, exec_lo, s18
	s_and_saveexec_b32 s18, s21
	s_cbranch_execz .LBB4_450
; %bb.464:                              ;   in Loop: Header=BB4_452 Depth=1
	v_cmp_le_u32_e32 vcc_lo, s14, v3
	v_add_nc_u32_e32 v2, s48, v2
	s_or_b32 s20, s20, exec_lo
	s_orn2_b32 s19, vcc_lo, exec_lo
	s_branch .LBB4_450
.LBB4_465:
	s_or_b32 s10, s10, exec_lo
	s_trap 2
	s_branch .LBB4_429
.LBB4_466:
	s_or_b32 exec_lo, exec_lo, s5
	s_mov_b32 s0, 0
	s_and_saveexec_b32 s1, s17
	s_xor_b32 s1, exec_lo, s1
	s_cbranch_execnz .LBB4_472
.LBB4_467:
	s_or_b32 exec_lo, exec_lo, s1
	s_and_b32 s1, s0, exec_lo
.LBB4_468:
	s_or_b32 exec_lo, exec_lo, s4
	s_and_b32 s5, s1, exec_lo
	s_andn2_b32 s3, s3, exec_lo
	s_or_b32 exec_lo, exec_lo, s2
	s_and_saveexec_b32 s0, s3
	s_xor_b32 s0, exec_lo, s0
	s_cbranch_execz .LBB4_423
.LBB4_469:
	s_or_b32 s5, s5, exec_lo
	s_trap 2
	s_branch .LBB4_423
.LBB4_470:
	s_or_b32 s11, s11, exec_lo
	s_trap 2
	s_branch .LBB4_427
.LBB4_471:
	s_or_b32 s12, s12, exec_lo
	s_trap 2
	s_branch .LBB4_425
.LBB4_472:
	s_mov_b32 s0, exec_lo
	s_trap 2
	s_branch .LBB4_467
	.section	.rodata,"a",@progbits
	.p2align	6, 0x0
	.amdhsa_kernel _ZN2at6native6sbtopk10gatherTopKIhjLi1ELb0EEEvNS_4cuda6detail10TensorInfoIKT_T0_EES8_S8_bS8_S8_NS5_IS6_S8_EES8_NS5_IlS8_EES8_PS6_
		.amdhsa_group_segment_fixed_size 4112
		.amdhsa_private_segment_fixed_size 0
		.amdhsa_kernarg_size 952
		.amdhsa_user_sgpr_count 6
		.amdhsa_user_sgpr_private_segment_buffer 1
		.amdhsa_user_sgpr_dispatch_ptr 0
		.amdhsa_user_sgpr_queue_ptr 0
		.amdhsa_user_sgpr_kernarg_segment_ptr 1
		.amdhsa_user_sgpr_dispatch_id 0
		.amdhsa_user_sgpr_flat_scratch_init 0
		.amdhsa_user_sgpr_private_segment_size 0
		.amdhsa_wavefront_size32 1
		.amdhsa_uses_dynamic_stack 0
		.amdhsa_system_sgpr_private_segment_wavefront_offset 0
		.amdhsa_system_sgpr_workgroup_id_x 1
		.amdhsa_system_sgpr_workgroup_id_y 1
		.amdhsa_system_sgpr_workgroup_id_z 1
		.amdhsa_system_sgpr_workgroup_info 0
		.amdhsa_system_vgpr_workitem_id 0
		.amdhsa_next_free_vgpr 68
		.amdhsa_next_free_sgpr 95
		.amdhsa_reserve_vcc 1
		.amdhsa_reserve_flat_scratch 0
		.amdhsa_float_round_mode_32 0
		.amdhsa_float_round_mode_16_64 0
		.amdhsa_float_denorm_mode_32 3
		.amdhsa_float_denorm_mode_16_64 3
		.amdhsa_dx10_clamp 1
		.amdhsa_ieee_mode 1
		.amdhsa_fp16_overflow 0
		.amdhsa_workgroup_processor_mode 1
		.amdhsa_memory_ordered 1
		.amdhsa_forward_progress 1
		.amdhsa_shared_vgpr_count 0
		.amdhsa_exception_fp_ieee_invalid_op 0
		.amdhsa_exception_fp_denorm_src 0
		.amdhsa_exception_fp_ieee_div_zero 0
		.amdhsa_exception_fp_ieee_overflow 0
		.amdhsa_exception_fp_ieee_underflow 0
		.amdhsa_exception_fp_ieee_inexact 0
		.amdhsa_exception_int_div_zero 0
	.end_amdhsa_kernel
	.section	.text._ZN2at6native6sbtopk10gatherTopKIhjLi1ELb0EEEvNS_4cuda6detail10TensorInfoIKT_T0_EES8_S8_bS8_S8_NS5_IS6_S8_EES8_NS5_IlS8_EES8_PS6_,"axG",@progbits,_ZN2at6native6sbtopk10gatherTopKIhjLi1ELb0EEEvNS_4cuda6detail10TensorInfoIKT_T0_EES8_S8_bS8_S8_NS5_IS6_S8_EES8_NS5_IlS8_EES8_PS6_,comdat
.Lfunc_end4:
	.size	_ZN2at6native6sbtopk10gatherTopKIhjLi1ELb0EEEvNS_4cuda6detail10TensorInfoIKT_T0_EES8_S8_bS8_S8_NS5_IS6_S8_EES8_NS5_IlS8_EES8_PS6_, .Lfunc_end4-_ZN2at6native6sbtopk10gatherTopKIhjLi1ELb0EEEvNS_4cuda6detail10TensorInfoIKT_T0_EES8_S8_bS8_S8_NS5_IS6_S8_EES8_NS5_IlS8_EES8_PS6_
                                        ; -- End function
	.set _ZN2at6native6sbtopk10gatherTopKIhjLi1ELb0EEEvNS_4cuda6detail10TensorInfoIKT_T0_EES8_S8_bS8_S8_NS5_IS6_S8_EES8_NS5_IlS8_EES8_PS6_.num_vgpr, 68
	.set _ZN2at6native6sbtopk10gatherTopKIhjLi1ELb0EEEvNS_4cuda6detail10TensorInfoIKT_T0_EES8_S8_bS8_S8_NS5_IS6_S8_EES8_NS5_IlS8_EES8_PS6_.num_agpr, 0
	.set _ZN2at6native6sbtopk10gatherTopKIhjLi1ELb0EEEvNS_4cuda6detail10TensorInfoIKT_T0_EES8_S8_bS8_S8_NS5_IS6_S8_EES8_NS5_IlS8_EES8_PS6_.numbered_sgpr, 95
	.set _ZN2at6native6sbtopk10gatherTopKIhjLi1ELb0EEEvNS_4cuda6detail10TensorInfoIKT_T0_EES8_S8_bS8_S8_NS5_IS6_S8_EES8_NS5_IlS8_EES8_PS6_.num_named_barrier, 0
	.set _ZN2at6native6sbtopk10gatherTopKIhjLi1ELb0EEEvNS_4cuda6detail10TensorInfoIKT_T0_EES8_S8_bS8_S8_NS5_IS6_S8_EES8_NS5_IlS8_EES8_PS6_.private_seg_size, 0
	.set _ZN2at6native6sbtopk10gatherTopKIhjLi1ELb0EEEvNS_4cuda6detail10TensorInfoIKT_T0_EES8_S8_bS8_S8_NS5_IS6_S8_EES8_NS5_IlS8_EES8_PS6_.uses_vcc, 1
	.set _ZN2at6native6sbtopk10gatherTopKIhjLi1ELb0EEEvNS_4cuda6detail10TensorInfoIKT_T0_EES8_S8_bS8_S8_NS5_IS6_S8_EES8_NS5_IlS8_EES8_PS6_.uses_flat_scratch, 0
	.set _ZN2at6native6sbtopk10gatherTopKIhjLi1ELb0EEEvNS_4cuda6detail10TensorInfoIKT_T0_EES8_S8_bS8_S8_NS5_IS6_S8_EES8_NS5_IlS8_EES8_PS6_.has_dyn_sized_stack, 0
	.set _ZN2at6native6sbtopk10gatherTopKIhjLi1ELb0EEEvNS_4cuda6detail10TensorInfoIKT_T0_EES8_S8_bS8_S8_NS5_IS6_S8_EES8_NS5_IlS8_EES8_PS6_.has_recursion, 0
	.set _ZN2at6native6sbtopk10gatherTopKIhjLi1ELb0EEEvNS_4cuda6detail10TensorInfoIKT_T0_EES8_S8_bS8_S8_NS5_IS6_S8_EES8_NS5_IlS8_EES8_PS6_.has_indirect_call, 0
	.section	.AMDGPU.csdata,"",@progbits
; Kernel info:
; codeLenInByte = 15480
; TotalNumSgprs: 97
; NumVgprs: 68
; ScratchSize: 0
; MemoryBound: 0
; FloatMode: 240
; IeeeMode: 1
; LDSByteSize: 4112 bytes/workgroup (compile time only)
; SGPRBlocks: 0
; VGPRBlocks: 8
; NumSGPRsForWavesPerEU: 97
; NumVGPRsForWavesPerEU: 68
; Occupancy: 12
; WaveLimiterHint : 1
; COMPUTE_PGM_RSRC2:SCRATCH_EN: 0
; COMPUTE_PGM_RSRC2:USER_SGPR: 6
; COMPUTE_PGM_RSRC2:TRAP_HANDLER: 0
; COMPUTE_PGM_RSRC2:TGID_X_EN: 1
; COMPUTE_PGM_RSRC2:TGID_Y_EN: 1
; COMPUTE_PGM_RSRC2:TGID_Z_EN: 1
; COMPUTE_PGM_RSRC2:TIDIG_COMP_CNT: 0
	.section	.text._ZN2at6native6mbtopk23computeBlockDigitCountsIhjjLi2EEEvNS_4cuda6detail10TensorInfoIKT_T0_EEjPjjS8_iijT1_PSB_Ps,"axG",@progbits,_ZN2at6native6mbtopk23computeBlockDigitCountsIhjjLi2EEEvNS_4cuda6detail10TensorInfoIKT_T0_EEjPjjS8_iijT1_PSB_Ps,comdat
	.protected	_ZN2at6native6mbtopk23computeBlockDigitCountsIhjjLi2EEEvNS_4cuda6detail10TensorInfoIKT_T0_EEjPjjS8_iijT1_PSB_Ps ; -- Begin function _ZN2at6native6mbtopk23computeBlockDigitCountsIhjjLi2EEEvNS_4cuda6detail10TensorInfoIKT_T0_EEjPjjS8_iijT1_PSB_Ps
	.globl	_ZN2at6native6mbtopk23computeBlockDigitCountsIhjjLi2EEEvNS_4cuda6detail10TensorInfoIKT_T0_EEjPjjS8_iijT1_PSB_Ps
	.p2align	8
	.type	_ZN2at6native6mbtopk23computeBlockDigitCountsIhjjLi2EEEvNS_4cuda6detail10TensorInfoIKT_T0_EEjPjjS8_iijT1_PSB_Ps,@function
_ZN2at6native6mbtopk23computeBlockDigitCountsIhjjLi2EEEvNS_4cuda6detail10TensorInfoIKT_T0_EEjPjjS8_iijT1_PSB_Ps: ; @_ZN2at6native6mbtopk23computeBlockDigitCountsIhjjLi2EEEvNS_4cuda6detail10TensorInfoIKT_T0_EEjPjjS8_iijT1_PSB_Ps
; %bb.0:
	s_clause 0x2
	s_load_dwordx2 s[10:11], s[4:5], 0xf8
	s_load_dwordx4 s[12:15], s[4:5], 0xe8
	s_load_dwordx2 s[0:1], s[4:5], 0x110
	s_waitcnt lgkmcnt(0)
	v_cvt_f32_u32_e32 v1, s10
	s_sub_i32 s3, 0, s10
	s_mul_i32 s1, s1, s8
	s_add_i32 s1, s1, s7
	v_rcp_iflag_f32_e32 v1, v1
	s_mul_i32 s8, s1, s0
	s_mov_b32 s7, 0
	s_add_i32 s8, s8, s6
	v_mul_f32_e32 v1, 0x4f7ffffe, v1
	v_cvt_u32_f32_e32 v1, v1
	v_readfirstlane_b32 s2, v1
	s_mul_i32 s3, s3, s2
	s_mul_hi_u32 s0, s2, s3
	s_add_i32 s2, s2, s0
	s_mul_hi_u32 s0, s8, s2
	s_mul_i32 s1, s0, s10
	s_add_i32 s2, s0, 1
	s_sub_i32 s1, s8, s1
	s_sub_i32 s3, s1, s10
	s_cmp_ge_u32 s1, s10
	s_cselect_b32 s0, s2, s0
	s_cselect_b32 s1, s3, s1
	s_add_i32 s2, s0, 1
	s_cmp_ge_u32 s1, s10
	s_cselect_b32 s6, s2, s0
	s_cmp_ge_u32 s6, s12
	s_cbranch_scc1 .LBB5_27
; %bb.1:
	s_clause 0x1
	s_load_dword s16, s[4:5], 0xc
	s_load_dwordx4 s[0:3], s[4:5], 0x100
	s_lshl_b64 s[18:19], s[6:7], 2
	v_cmp_gt_u32_e32 vcc_lo, 0x100, v0
	s_waitcnt lgkmcnt(0)
	v_cvt_f32_u32_e32 v1, s16
	s_add_u32 s0, s0, s18
	s_addc_u32 s1, s1, s19
	v_rcp_iflag_f32_e32 v1, v1
	v_mul_f32_e32 v1, 0x4f7ffffe, v1
	v_cvt_u32_f32_e32 v1, v1
	v_readfirstlane_b32 s17, v1
	v_lshlrev_b32_e32 v1, 2, v0
	s_and_saveexec_b32 s7, vcc_lo
; %bb.2:
	v_mov_b32_e32 v2, 0
	ds_write_b32 v1, v2
; %bb.3:
	s_or_b32 exec_lo, exec_lo, s7
	s_load_dword s7, s[4:5], 0xd8
	s_mul_i32 s9, s6, s10
	s_waitcnt lgkmcnt(0)
	s_sub_i32 s12, s8, s9
	s_barrier
	s_mul_i32 s9, s15, s12
	s_add_i32 s12, s12, 1
	s_lshl_b32 s9, s9, 8
	buffer_gl0_inv
	s_sub_i32 s18, s7, s9
	s_add_u32 s18, s18, 0xff
	s_addc_u32 s19, 0, 0
	s_lshr_b64 s[18:19], s[18:19], 8
	s_cmp_lt_u32 s12, s10
	s_mov_b32 s12, 0
	s_cselect_b32 s10, s15, s18
	s_cmp_lt_i32 s10, 1
	s_cbranch_scc1 .LBB5_25
; %bb.4:
	s_sub_i32 s15, 0, s16
	s_load_dwordx2 s[18:19], s[4:5], 0x6c
	s_mul_i32 s15, s15, s17
	s_load_dwordx2 s[4:5], s[4:5], 0x0
	s_mul_hi_u32 s15, s17, s15
	s_load_dword s1, s[0:1], 0x0
	s_add_i32 s17, s17, s15
	s_mul_hi_u32 s15, s6, s17
	s_mul_i32 s17, s15, s16
	s_add_i32 s20, s15, 1
	s_sub_i32 s17, s6, s17
	s_sub_i32 s21, s17, s16
	s_cmp_ge_u32 s17, s16
	s_cselect_b32 s0, s20, s15
	s_cselect_b32 s15, s21, s17
	s_add_i32 s17, s0, 1
	s_cmp_ge_u32 s15, s16
	s_cselect_b32 s0, s17, s0
	s_mul_i32 s15, s0, s16
	s_waitcnt lgkmcnt(0)
	s_mul_i32 s0, s0, s18
	s_sub_i32 s6, s6, s15
	s_mul_i32 s6, s6, s19
	s_add_i32 s0, s0, s6
	s_add_u32 s4, s4, s0
	s_addc_u32 s5, s5, 0
	s_and_b32 s6, s14, 0xff
	s_cmp_lt_u32 s10, 4
	s_cbranch_scc1 .LBB5_19
; %bb.5:
	v_add_nc_u32_e32 v6, s9, v0
	v_mov_b32_e32 v7, 1
	s_and_b32 s12, s10, 0x7ffffffc
	s_lshl_b32 s14, s13, 10
	s_mov_b32 s15, 0
	v_add_nc_u32_e32 v2, 0x300, v6
	v_add_nc_u32_e32 v4, 0x200, v6
	;; [unrolled: 1-line block ×3, first 2 shown]
	v_mul_lo_u32 v6, s13, v6
	s_mov_b32 s16, 0
	v_mul_lo_u32 v3, s13, v2
	v_mul_lo_u32 v4, s13, v4
	;; [unrolled: 1-line block ×3, first 2 shown]
	s_branch .LBB5_7
.LBB5_6:                                ;   in Loop: Header=BB5_7 Depth=1
	s_or_b32 exec_lo, exec_lo, s17
	v_add_nc_u32_e32 v2, 0x400, v2
	s_add_i32 s16, s16, 4
	s_add_i32 s15, s15, s14
	s_cmp_eq_u32 s12, s16
	s_cbranch_scc1 .LBB5_19
.LBB5_7:                                ; =>This Inner Loop Header: Depth=1
	v_add_nc_u32_e32 v8, 0xfffffd00, v2
	s_mov_b32 s17, exec_lo
	v_cmpx_gt_u32_e64 s7, v8
	s_cbranch_execz .LBB5_10
; %bb.8:                                ;   in Loop: Header=BB5_7 Depth=1
	v_add_nc_u32_e32 v8, s15, v6
	global_load_ubyte v8, v8, s[4:5]
	s_waitcnt vmcnt(0)
	v_xor_b32_e32 v9, s1, v8
	v_and_b32_e32 v9, s11, v9
	v_cmp_eq_u32_e64 s0, 0, v9
	s_and_b32 exec_lo, exec_lo, s0
; %bb.9:                                ;   in Loop: Header=BB5_7 Depth=1
	v_lshrrev_b32_e32 v8, s6, v8
	v_lshlrev_b32_e32 v8, 2, v8
	ds_add_u32 v8, v7
.LBB5_10:                               ;   in Loop: Header=BB5_7 Depth=1
	s_or_b32 exec_lo, exec_lo, s17
	v_add_nc_u32_e32 v8, 0xfffffe00, v2
	s_mov_b32 s17, exec_lo
	v_cmpx_gt_u32_e64 s7, v8
	s_cbranch_execz .LBB5_13
; %bb.11:                               ;   in Loop: Header=BB5_7 Depth=1
	v_add_nc_u32_e32 v8, s15, v5
	global_load_ubyte v8, v8, s[4:5]
	s_waitcnt vmcnt(0)
	v_xor_b32_e32 v9, s1, v8
	v_and_b32_e32 v9, s11, v9
	v_cmp_eq_u32_e64 s0, 0, v9
	s_and_b32 exec_lo, exec_lo, s0
; %bb.12:                               ;   in Loop: Header=BB5_7 Depth=1
	v_lshrrev_b32_e32 v8, s6, v8
	v_lshlrev_b32_e32 v8, 2, v8
	ds_add_u32 v8, v7
.LBB5_13:                               ;   in Loop: Header=BB5_7 Depth=1
	s_or_b32 exec_lo, exec_lo, s17
	v_add_nc_u32_e32 v8, 0xffffff00, v2
	s_mov_b32 s17, exec_lo
	v_cmpx_gt_u32_e64 s7, v8
	s_cbranch_execz .LBB5_16
; %bb.14:                               ;   in Loop: Header=BB5_7 Depth=1
	v_add_nc_u32_e32 v8, s15, v4
	global_load_ubyte v8, v8, s[4:5]
	s_waitcnt vmcnt(0)
	v_xor_b32_e32 v9, s1, v8
	v_and_b32_e32 v9, s11, v9
	v_cmp_eq_u32_e64 s0, 0, v9
	s_and_b32 exec_lo, exec_lo, s0
; %bb.15:                               ;   in Loop: Header=BB5_7 Depth=1
	v_lshrrev_b32_e32 v8, s6, v8
	v_lshlrev_b32_e32 v8, 2, v8
	ds_add_u32 v8, v7
.LBB5_16:                               ;   in Loop: Header=BB5_7 Depth=1
	s_or_b32 exec_lo, exec_lo, s17
	s_mov_b32 s17, exec_lo
	v_cmpx_gt_u32_e64 s7, v2
	s_cbranch_execz .LBB5_6
; %bb.17:                               ;   in Loop: Header=BB5_7 Depth=1
	v_add_nc_u32_e32 v8, s15, v3
	global_load_ubyte v8, v8, s[4:5]
	s_waitcnt vmcnt(0)
	v_xor_b32_e32 v9, s1, v8
	v_and_b32_e32 v9, s11, v9
	v_cmp_eq_u32_e64 s0, 0, v9
	s_and_b32 exec_lo, exec_lo, s0
	s_cbranch_execz .LBB5_6
; %bb.18:                               ;   in Loop: Header=BB5_7 Depth=1
	v_lshrrev_b32_e32 v8, s6, v8
	v_lshlrev_b32_e32 v8, 2, v8
	ds_add_u32 v8, v7
	s_branch .LBB5_6
.LBB5_19:
	s_and_b32 s10, s10, 3
	s_cmp_eq_u32 s10, 0
	s_cbranch_scc1 .LBB5_25
; %bb.20:
	s_lshl_b32 s0, s12, 8
	v_mov_b32_e32 v4, 1
	v_add3_u32 v2, s0, s9, v0
	s_lshl_b32 s9, s13, 8
	v_mul_lo_u32 v3, s13, v2
	s_branch .LBB5_22
	.p2align	6
.LBB5_21:                               ;   in Loop: Header=BB5_22 Depth=1
	s_or_b32 exec_lo, exec_lo, s12
	v_add_nc_u32_e32 v3, s9, v3
	v_add_nc_u32_e32 v2, 0x100, v2
	s_add_i32 s10, s10, -1
	s_cmp_lg_u32 s10, 0
	s_cbranch_scc0 .LBB5_25
.LBB5_22:                               ; =>This Inner Loop Header: Depth=1
	s_mov_b32 s12, exec_lo
	v_cmpx_gt_u32_e64 s7, v2
	s_cbranch_execz .LBB5_21
; %bb.23:                               ;   in Loop: Header=BB5_22 Depth=1
	global_load_ubyte v5, v3, s[4:5]
	s_waitcnt vmcnt(0)
	v_xor_b32_e32 v6, s1, v5
	v_and_b32_e32 v6, s11, v6
	v_cmp_eq_u32_e64 s0, 0, v6
	s_and_b32 exec_lo, exec_lo, s0
	s_cbranch_execz .LBB5_21
; %bb.24:                               ;   in Loop: Header=BB5_22 Depth=1
	v_lshrrev_b32_e32 v5, s6, v5
	v_lshlrev_b32_e32 v5, 2, v5
	ds_add_u32 v5, v4
	s_branch .LBB5_21
.LBB5_25:
	s_waitcnt lgkmcnt(0)
	s_barrier
	buffer_gl0_inv
	s_and_saveexec_b32 s0, vcc_lo
	s_cbranch_execz .LBB5_27
; %bb.26:
	ds_read_b32 v2, v1
	v_lshl_or_b32 v0, s8, 8, v0
	v_mov_b32_e32 v1, 0
	v_lshlrev_b64 v[0:1], 1, v[0:1]
	v_add_co_u32 v0, vcc_lo, s2, v0
	v_add_co_ci_u32_e64 v1, null, s3, v1, vcc_lo
	s_waitcnt lgkmcnt(0)
	global_store_short v[0:1], v2, off
.LBB5_27:
	s_endpgm
	.section	.rodata,"a",@progbits
	.p2align	6, 0x0
	.amdhsa_kernel _ZN2at6native6mbtopk23computeBlockDigitCountsIhjjLi2EEEvNS_4cuda6detail10TensorInfoIKT_T0_EEjPjjS8_iijT1_PSB_Ps
		.amdhsa_group_segment_fixed_size 1024
		.amdhsa_private_segment_fixed_size 0
		.amdhsa_kernarg_size 528
		.amdhsa_user_sgpr_count 6
		.amdhsa_user_sgpr_private_segment_buffer 1
		.amdhsa_user_sgpr_dispatch_ptr 0
		.amdhsa_user_sgpr_queue_ptr 0
		.amdhsa_user_sgpr_kernarg_segment_ptr 1
		.amdhsa_user_sgpr_dispatch_id 0
		.amdhsa_user_sgpr_flat_scratch_init 0
		.amdhsa_user_sgpr_private_segment_size 0
		.amdhsa_wavefront_size32 1
		.amdhsa_uses_dynamic_stack 0
		.amdhsa_system_sgpr_private_segment_wavefront_offset 0
		.amdhsa_system_sgpr_workgroup_id_x 1
		.amdhsa_system_sgpr_workgroup_id_y 1
		.amdhsa_system_sgpr_workgroup_id_z 1
		.amdhsa_system_sgpr_workgroup_info 0
		.amdhsa_system_vgpr_workitem_id 0
		.amdhsa_next_free_vgpr 10
		.amdhsa_next_free_sgpr 22
		.amdhsa_reserve_vcc 1
		.amdhsa_reserve_flat_scratch 0
		.amdhsa_float_round_mode_32 0
		.amdhsa_float_round_mode_16_64 0
		.amdhsa_float_denorm_mode_32 3
		.amdhsa_float_denorm_mode_16_64 3
		.amdhsa_dx10_clamp 1
		.amdhsa_ieee_mode 1
		.amdhsa_fp16_overflow 0
		.amdhsa_workgroup_processor_mode 1
		.amdhsa_memory_ordered 1
		.amdhsa_forward_progress 1
		.amdhsa_shared_vgpr_count 0
		.amdhsa_exception_fp_ieee_invalid_op 0
		.amdhsa_exception_fp_denorm_src 0
		.amdhsa_exception_fp_ieee_div_zero 0
		.amdhsa_exception_fp_ieee_overflow 0
		.amdhsa_exception_fp_ieee_underflow 0
		.amdhsa_exception_fp_ieee_inexact 0
		.amdhsa_exception_int_div_zero 0
	.end_amdhsa_kernel
	.section	.text._ZN2at6native6mbtopk23computeBlockDigitCountsIhjjLi2EEEvNS_4cuda6detail10TensorInfoIKT_T0_EEjPjjS8_iijT1_PSB_Ps,"axG",@progbits,_ZN2at6native6mbtopk23computeBlockDigitCountsIhjjLi2EEEvNS_4cuda6detail10TensorInfoIKT_T0_EEjPjjS8_iijT1_PSB_Ps,comdat
.Lfunc_end5:
	.size	_ZN2at6native6mbtopk23computeBlockDigitCountsIhjjLi2EEEvNS_4cuda6detail10TensorInfoIKT_T0_EEjPjjS8_iijT1_PSB_Ps, .Lfunc_end5-_ZN2at6native6mbtopk23computeBlockDigitCountsIhjjLi2EEEvNS_4cuda6detail10TensorInfoIKT_T0_EEjPjjS8_iijT1_PSB_Ps
                                        ; -- End function
	.set _ZN2at6native6mbtopk23computeBlockDigitCountsIhjjLi2EEEvNS_4cuda6detail10TensorInfoIKT_T0_EEjPjjS8_iijT1_PSB_Ps.num_vgpr, 10
	.set _ZN2at6native6mbtopk23computeBlockDigitCountsIhjjLi2EEEvNS_4cuda6detail10TensorInfoIKT_T0_EEjPjjS8_iijT1_PSB_Ps.num_agpr, 0
	.set _ZN2at6native6mbtopk23computeBlockDigitCountsIhjjLi2EEEvNS_4cuda6detail10TensorInfoIKT_T0_EEjPjjS8_iijT1_PSB_Ps.numbered_sgpr, 22
	.set _ZN2at6native6mbtopk23computeBlockDigitCountsIhjjLi2EEEvNS_4cuda6detail10TensorInfoIKT_T0_EEjPjjS8_iijT1_PSB_Ps.num_named_barrier, 0
	.set _ZN2at6native6mbtopk23computeBlockDigitCountsIhjjLi2EEEvNS_4cuda6detail10TensorInfoIKT_T0_EEjPjjS8_iijT1_PSB_Ps.private_seg_size, 0
	.set _ZN2at6native6mbtopk23computeBlockDigitCountsIhjjLi2EEEvNS_4cuda6detail10TensorInfoIKT_T0_EEjPjjS8_iijT1_PSB_Ps.uses_vcc, 1
	.set _ZN2at6native6mbtopk23computeBlockDigitCountsIhjjLi2EEEvNS_4cuda6detail10TensorInfoIKT_T0_EEjPjjS8_iijT1_PSB_Ps.uses_flat_scratch, 0
	.set _ZN2at6native6mbtopk23computeBlockDigitCountsIhjjLi2EEEvNS_4cuda6detail10TensorInfoIKT_T0_EEjPjjS8_iijT1_PSB_Ps.has_dyn_sized_stack, 0
	.set _ZN2at6native6mbtopk23computeBlockDigitCountsIhjjLi2EEEvNS_4cuda6detail10TensorInfoIKT_T0_EEjPjjS8_iijT1_PSB_Ps.has_recursion, 0
	.set _ZN2at6native6mbtopk23computeBlockDigitCountsIhjjLi2EEEvNS_4cuda6detail10TensorInfoIKT_T0_EEjPjjS8_iijT1_PSB_Ps.has_indirect_call, 0
	.section	.AMDGPU.csdata,"",@progbits
; Kernel info:
; codeLenInByte = 1144
; TotalNumSgprs: 24
; NumVgprs: 10
; ScratchSize: 0
; MemoryBound: 0
; FloatMode: 240
; IeeeMode: 1
; LDSByteSize: 1024 bytes/workgroup (compile time only)
; SGPRBlocks: 0
; VGPRBlocks: 1
; NumSGPRsForWavesPerEU: 24
; NumVGPRsForWavesPerEU: 10
; Occupancy: 16
; WaveLimiterHint : 1
; COMPUTE_PGM_RSRC2:SCRATCH_EN: 0
; COMPUTE_PGM_RSRC2:USER_SGPR: 6
; COMPUTE_PGM_RSRC2:TRAP_HANDLER: 0
; COMPUTE_PGM_RSRC2:TGID_X_EN: 1
; COMPUTE_PGM_RSRC2:TGID_Y_EN: 1
; COMPUTE_PGM_RSRC2:TGID_Z_EN: 1
; COMPUTE_PGM_RSRC2:TIDIG_COMP_CNT: 0
	.section	.text._ZN2at6native6mbtopk10gatherTopKIhjLi2EEEvNS_4cuda6detail10TensorInfoIKT_T0_EES8_S8_bjS8_NS5_IS6_S8_EES8_NS5_IlS8_EES8_jjPS6_PjSD_j,"axG",@progbits,_ZN2at6native6mbtopk10gatherTopKIhjLi2EEEvNS_4cuda6detail10TensorInfoIKT_T0_EES8_S8_bjS8_NS5_IS6_S8_EES8_NS5_IlS8_EES8_jjPS6_PjSD_j,comdat
	.protected	_ZN2at6native6mbtopk10gatherTopKIhjLi2EEEvNS_4cuda6detail10TensorInfoIKT_T0_EES8_S8_bjS8_NS5_IS6_S8_EES8_NS5_IlS8_EES8_jjPS6_PjSD_j ; -- Begin function _ZN2at6native6mbtopk10gatherTopKIhjLi2EEEvNS_4cuda6detail10TensorInfoIKT_T0_EES8_S8_bjS8_NS5_IS6_S8_EES8_NS5_IlS8_EES8_jjPS6_PjSD_j
	.globl	_ZN2at6native6mbtopk10gatherTopKIhjLi2EEEvNS_4cuda6detail10TensorInfoIKT_T0_EES8_S8_bjS8_NS5_IS6_S8_EES8_NS5_IlS8_EES8_jjPS6_PjSD_j
	.p2align	8
	.type	_ZN2at6native6mbtopk10gatherTopKIhjLi2EEEvNS_4cuda6detail10TensorInfoIKT_T0_EES8_S8_bjS8_NS5_IS6_S8_EES8_NS5_IlS8_EES8_jjPS6_PjSD_j,@function
_ZN2at6native6mbtopk10gatherTopKIhjLi2EEEvNS_4cuda6detail10TensorInfoIKT_T0_EES8_S8_bjS8_NS5_IS6_S8_EES8_NS5_IlS8_EES8_jjPS6_PjSD_j: ; @_ZN2at6native6mbtopk10gatherTopKIhjLi2EEEvNS_4cuda6detail10TensorInfoIKT_T0_EES8_S8_bjS8_NS5_IS6_S8_EES8_NS5_IlS8_EES8_jjPS6_PjSD_j
; %bb.0:
	s_clause 0x1
	s_load_dwordx2 s[0:1], s[4:5], 0x2d8
	s_load_dword s2, s[4:5], 0x2d0
	s_waitcnt lgkmcnt(0)
	s_mul_i32 s1, s1, s8
	s_add_i32 s1, s1, s7
	s_mul_i32 s0, s1, s0
	s_add_i32 s0, s0, s6
	s_cmp_ge_u32 s0, s2
	s_cbranch_scc1 .LBB6_40
; %bb.1:
	s_clause 0x2
	s_load_dwordx8 s[8:15], s[4:5], 0x2a8
	s_load_dwordx2 s[22:23], s[4:5], 0x23c
	s_load_dwordx2 s[24:25], s[4:5], 0x15c
	s_waitcnt lgkmcnt(0)
	v_cvt_f32_u32_e32 v1, s10
	s_sub_i32 s2, 0, s10
	v_rcp_iflag_f32_e32 v1, v1
	v_mul_f32_e32 v1, 0x4f7ffffe, v1
	v_cvt_u32_f32_e32 v1, v1
	v_readfirstlane_b32 s1, v1
	s_mul_i32 s2, s2, s1
	s_mul_hi_u32 s2, s1, s2
	s_add_i32 s1, s1, s2
	s_mul_hi_u32 s1, s0, s1
	s_mul_i32 s2, s1, s10
	s_add_i32 s3, s1, 1
	s_sub_i32 s2, s0, s2
	s_sub_i32 s6, s2, s10
	s_cmp_ge_u32 s2, s10
	s_cselect_b32 s1, s3, s1
	s_cselect_b32 s2, s6, s2
	s_add_i32 s3, s1, 1
	s_cmp_ge_u32 s2, s10
	s_cselect_b32 s33, s3, s1
	s_load_dwordx2 s[2:3], s[4:5], 0x1d0
	v_mov_b32_e32 v1, s33
	global_load_ubyte v6, v1, s[12:13]
	s_clause 0x5
	s_load_dword s39, s[4:5], 0xc
	s_load_dword s37, s[4:5], 0xfc
	;; [unrolled: 1-line block ×3, first 2 shown]
	s_load_dwordx2 s[6:7], s[4:5], 0xf0
	s_load_dwordx2 s[26:27], s[4:5], 0x6c
	;; [unrolled: 1-line block ×3, first 2 shown]
	s_mul_i32 s12, s33, s10
	s_mov_b32 s13, 0
	s_sub_i32 s11, s0, s12
	s_waitcnt lgkmcnt(0)
	v_cvt_f32_u32_e32 v1, s39
	v_cvt_f32_u32_e32 v2, s37
	;; [unrolled: 1-line block ×3, first 2 shown]
	s_sub_i32 s16, 0, s39
	v_rcp_iflag_f32_e32 v1, v1
	v_rcp_iflag_f32_e32 v2, v2
	;; [unrolled: 1-line block ×3, first 2 shown]
	v_mul_f32_e32 v1, 0x4f7ffffe, v1
	v_mul_f32_e32 v2, 0x4f7ffffe, v2
	v_cvt_u32_f32_e32 v1, v1
	v_cvt_u32_f32_e32 v2, v2
	v_readfirstlane_b32 s1, v1
	v_mul_f32_e32 v1, 0x4f7ffffe, v3
	s_mul_i32 s16, s16, s1
	v_cvt_u32_f32_e32 v1, v1
	s_mul_hi_u32 s0, s1, s16
	v_readfirstlane_b32 s16, v2
	s_add_i32 s1, s1, s0
	s_sub_i32 s0, 0, s37
	v_readfirstlane_b32 s17, v1
	s_mul_hi_u32 s41, s33, s1
	s_sub_i32 s1, 0, s36
	s_mul_i32 s0, s0, s16
	s_mul_i32 s1, s1, s17
	s_mul_hi_u32 s0, s16, s0
	s_mul_hi_u32 s18, s17, s1
	s_add_i32 s16, s16, s0
	v_cmp_ne_u32_e64 s0, 0, v0
	v_cmp_eq_u32_e64 s1, 0, v0
	s_add_i32 s17, s17, s18
	s_mul_hi_u32 s40, s33, s16
	s_mul_hi_u32 s38, s33, s17
	s_and_saveexec_b32 s42, s1
	s_cbranch_execz .LBB6_17
; %bb.2:
	s_load_dwordx2 s[28:29], s[4:5], 0x2c8
	s_lshl_b64 s[30:31], s[12:13], 2
	s_mov_b32 s12, 0
	s_add_u32 s16, s14, s30
	s_addc_u32 s17, s15, s31
	s_mov_b32 s43, 0
	s_waitcnt lgkmcnt(0)
	s_add_u32 s18, s28, s30
	s_addc_u32 s19, s29, s31
	s_cmp_lt_u32 s10, 4
	s_cbranch_scc1 .LBB6_14
; %bb.3:
	s_mov_b32 s44, 0
.LBB6_4:                                ; =>This Inner Loop Header: Depth=1
	s_add_u32 s16, s14, s30
	s_addc_u32 s17, s15, s31
	s_add_u32 s34, s28, s30
	s_load_dwordx4 s[16:19], s[16:17], 0x0
	s_addc_u32 s35, s29, s31
	s_cmp_ge_u32 s44, s11
	s_cbranch_scc0 .LBB6_11
; %bb.5:                                ;   in Loop: Header=BB6_4 Depth=1
	s_add_i32 s45, s44, 1
	s_cmp_ge_u32 s45, s11
	s_cbranch_scc0 .LBB6_12
.LBB6_6:                                ;   in Loop: Header=BB6_4 Depth=1
	s_add_i32 s45, s45, 1
	s_cmp_ge_u32 s45, s11
	s_cbranch_scc0 .LBB6_13
.LBB6_7:                                ;   in Loop: Header=BB6_4 Depth=1
	s_add_i32 s45, s45, 1
	s_cmp_ge_u32 s45, s11
	s_cbranch_scc1 .LBB6_9
.LBB6_8:                                ;   in Loop: Header=BB6_4 Depth=1
	s_load_dword s34, s[34:35], 0xc
	s_waitcnt lgkmcnt(0)
	s_add_i32 s13, s13, s19
	s_add_i32 s12, s34, s12
.LBB6_9:                                ;   in Loop: Header=BB6_4 Depth=1
	s_waitcnt lgkmcnt(0)
	s_add_i32 s16, s16, s43
	s_add_i32 s16, s16, s17
	;; [unrolled: 1-line block ×4, first 2 shown]
	s_add_u32 s14, s14, 16
	s_addc_u32 s15, s15, 0
	s_add_u32 s28, s28, 16
	s_addc_u32 s29, s29, 0
	s_add_i32 s35, s45, 4
	s_add_u32 s18, s28, s30
	s_addc_u32 s19, s29, s31
	s_add_u32 s16, s14, s30
	s_addc_u32 s17, s15, s31
	s_add_i32 s34, s45, 1
	s_cmp_ge_u32 s35, s10
	s_cbranch_scc1 .LBB6_15
; %bb.10:                               ;   in Loop: Header=BB6_4 Depth=1
	s_mov_b32 s44, s34
	s_branch .LBB6_4
.LBB6_11:                               ;   in Loop: Header=BB6_4 Depth=1
	s_load_dword s45, s[34:35], 0x0
	s_waitcnt lgkmcnt(0)
	s_add_i32 s13, s16, s13
	s_add_i32 s12, s45, s12
	;; [unrolled: 1-line block ×3, first 2 shown]
	s_cmp_ge_u32 s45, s11
	s_cbranch_scc1 .LBB6_6
.LBB6_12:                               ;   in Loop: Header=BB6_4 Depth=1
	s_load_dword s46, s[34:35], 0x4
	s_waitcnt lgkmcnt(0)
	s_add_i32 s13, s13, s17
	s_add_i32 s12, s46, s12
	;; [unrolled: 1-line block ×3, first 2 shown]
	s_cmp_ge_u32 s45, s11
	s_cbranch_scc1 .LBB6_7
.LBB6_13:                               ;   in Loop: Header=BB6_4 Depth=1
	s_load_dword s46, s[34:35], 0x8
	s_waitcnt lgkmcnt(0)
	s_add_i32 s13, s13, s18
	s_add_i32 s12, s46, s12
	;; [unrolled: 1-line block ×3, first 2 shown]
	s_cmp_ge_u32 s45, s11
	s_cbranch_scc0 .LBB6_8
	s_branch .LBB6_9
.LBB6_14:
	s_mov_b32 s14, 0
	s_cmp_ge_u32 s14, s10
	s_cbranch_scc0 .LBB6_38
	s_branch .LBB6_16
.LBB6_15:
	s_add_i32 s14, s44, 4
	s_cmp_ge_u32 s14, s10
	s_cbranch_scc0 .LBB6_38
.LBB6_16:
	v_mov_b32_e32 v1, s12
	v_mov_b32_e32 v2, s43
	v_mov_b32_e32 v3, s13
	v_mov_b32_e32 v4, 0
	ds_write_b96 v4, v[1:3] offset:1056
.LBB6_17:
	s_or_b32 exec_lo, exec_lo, s42
	s_load_dwordx4 s[12:15], s[4:5], 0xd8
	s_waitcnt lgkmcnt(0)
	s_mul_i32 s15, s9, s11
	s_add_i32 s11, s11, 1
	s_lshl_b32 s16, s15, 8
	s_waitcnt vmcnt(0)
	s_barrier
	buffer_gl0_inv
	s_sub_i32 s15, s12, s16
	s_add_u32 s18, s15, 0xff
	s_addc_u32 s19, 0, 0
	s_lshr_b64 s[18:19], s[18:19], 8
	s_cmp_lt_u32 s11, s10
	s_mov_b32 s11, 0
	s_cselect_b32 s9, s9, s18
	s_cmp_eq_u32 s9, 0
	s_cbranch_scc1 .LBB6_40
; %bb.18:
	s_mul_i32 s10, s41, s39
	s_add_i32 s15, s41, 1
	s_sub_i32 s10, s33, s10
	v_mov_b32_e32 v5, 0
	s_sub_i32 s17, s10, s39
	s_cmp_ge_u32 s10, s39
	v_lshrrev_b32_e32 v4, 3, v0
	s_cselect_b32 s15, s15, s41
	s_cselect_b32 s10, s17, s10
	s_add_i32 s17, s15, 1
	s_cmp_ge_u32 s10, s39
	s_mul_i32 s10, s40, s37
	s_cselect_b32 s15, s17, s15
	s_sub_i32 s10, s33, s10
	s_mul_i32 s17, s15, s39
	s_mul_i32 s15, s15, s26
	s_sub_i32 s17, s33, s17
	s_add_i32 s18, s40, 1
	s_mul_i32 s17, s17, s27
	s_sub_i32 s19, s10, s37
	s_add_i32 s17, s15, s17
	s_cmp_ge_u32 s10, s37
	s_mul_i32 s15, s38, s36
	s_cselect_b32 s18, s18, s40
	s_cselect_b32 s10, s19, s10
	s_add_i32 s19, s18, 1
	s_cmp_ge_u32 s10, s37
	ds_read_b96 v[1:3], v5 offset:1056
	s_cselect_b32 s10, s19, s18
	s_sub_i32 s15, s33, s15
	s_mul_i32 s18, s10, s37
	s_mul_i32 s10, s10, s24
	s_sub_i32 s18, s33, s18
	s_add_i32 s19, s38, 1
	s_mul_i32 s18, s18, s25
	s_sub_i32 s24, s15, s36
	s_add_i32 s18, s10, s18
	s_cmp_ge_u32 s15, s36
	v_add_nc_u32_e32 v8, -1, v0
	s_cselect_b32 s10, s19, s38
	s_cselect_b32 s15, s24, s15
	s_add_i32 s19, s10, 1
	s_cmp_ge_u32 s15, s36
	s_clause 0x1
	s_load_dword s24, s[4:5], 0xe8
	s_load_dword s15, s[4:5], 0x1c8
	s_cselect_b32 s4, s19, s10
	v_and_b32_e32 v4, 28, v4
	s_mul_i32 s5, s4, s36
	v_lshrrev_b32_e32 v7, 3, v8
	s_sub_i32 s5, s33, s5
	s_mul_i32 s4, s4, s22
	s_mul_i32 s5, s5, s23
	s_waitcnt lgkmcnt(0)
	v_add_nc_u32_e32 v1, v1, v2
	s_add_i32 s10, s4, s5
	s_add_u32 s4, s20, s17
	v_lshl_add_u32 v2, v0, 2, v4
	v_and_b32_e32 v10, 0x1ffffffc, v7
	v_add_nc_u32_e32 v4, s16, v0
	s_addc_u32 s5, s21, 0
	s_add_u32 s6, s6, s18
	s_addc_u32 s7, s7, 0
	s_lshl_b64 s[10:11], s[10:11], 3
	v_and_b32_e32 v9, 0xfc, v0
	v_lshlrev_b32_e32 v11, 5, v0
	v_mbcnt_lo_u32_b32 v7, -1, 0
	s_add_u32 s10, s2, s10
	v_cmp_gt_u32_e64 s2, 32, v0
	v_lshl_add_u32 v0, v8, 2, v10
	v_mul_lo_u32 v8, s24, v4
	s_addc_u32 s11, s3, s11
	v_add_nc_u32_e32 v9, v9, v11
	v_and_b32_e32 v10, 15, v7
	v_bfe_i32 v11, v7, 4, 1
	v_add_nc_u32_e32 v12, -1, v7
	s_bitcmp1_b32 s14, 0
                                        ; implicit-def: $vgpr13
	s_cselect_b32 s3, -1, 0
	s_lshl_b32 s14, s24, 8
	s_branch .LBB6_21
.LBB6_19:                               ;   in Loop: Header=BB6_21 Depth=1
	s_or_b32 exec_lo, exec_lo, s16
	v_add_nc_u32_e32 v1, v16, v1
.LBB6_20:                               ;   in Loop: Header=BB6_21 Depth=1
	v_add_nc_u32_e32 v3, v15, v3
	v_add_nc_u32_e32 v8, s14, v8
	v_add_nc_u32_e32 v4, 0x100, v4
	s_add_i32 s9, s9, -1
	s_cmp_lg_u32 s9, 0
	s_cbranch_scc0 .LBB6_40
.LBB6_21:                               ; =>This Inner Loop Header: Depth=1
	v_mov_b32_e32 v16, 0
	v_mov_b32_e32 v14, 0
	s_mov_b32 s16, exec_lo
	v_cmpx_gt_u32_e64 s12, v4
	s_cbranch_execz .LBB6_23
; %bb.22:                               ;   in Loop: Header=BB6_21 Depth=1
	global_load_ubyte v13, v8, s[4:5]
	s_waitcnt vmcnt(0)
	v_cmp_gt_u16_sdwa s17, v13, v6 src0_sel:DWORD src1_sel:BYTE_0
	v_cndmask_b32_e64 v14, 0, 1, s17
	v_cmp_lt_u16_sdwa s17, v13, v6 src0_sel:DWORD src1_sel:BYTE_0
	v_cndmask_b32_e64 v15, 0, 1, s17
	v_cmp_eq_u16_sdwa s17, v13, v6 src0_sel:DWORD src1_sel:BYTE_0
	v_cndmask_b32_e64 v14, v15, v14, s3
	v_and_b32_e32 v16, 1, v14
	v_cndmask_b32_e64 v14, 0, 1, s17
.LBB6_23:                               ;   in Loop: Header=BB6_21 Depth=1
	s_or_b32 exec_lo, exec_lo, s16
	ds_write_b32 v2, v16
	s_waitcnt lgkmcnt(0)
	s_barrier
	buffer_gl0_inv
	s_and_saveexec_b32 s16, s2
	s_cbranch_execz .LBB6_25
; %bb.24:                               ;   in Loop: Header=BB6_21 Depth=1
	ds_read2_b32 v[17:18], v9 offset1:1
	ds_read2_b32 v[19:20], v9 offset0:2 offset1:3
	ds_read2_b32 v[21:22], v9 offset0:4 offset1:5
	ds_read2_b32 v[23:24], v9 offset0:6 offset1:7
	v_cmp_ne_u32_e32 vcc_lo, 0, v10
	; wave barrier
	s_waitcnt lgkmcnt(3)
	v_add_nc_u32_e32 v15, v18, v17
	s_waitcnt lgkmcnt(2)
	v_add3_u32 v15, v15, v19, v20
	s_waitcnt lgkmcnt(1)
	v_add3_u32 v15, v15, v21, v22
	;; [unrolled: 2-line block ×3, first 2 shown]
	v_mov_b32_dpp v18, v15 row_shr:1 row_mask:0xf bank_mask:0xf
	v_cndmask_b32_e32 v18, 0, v18, vcc_lo
	v_cmp_lt_u32_e32 vcc_lo, 1, v10
	v_add_nc_u32_e32 v15, v18, v15
	v_mov_b32_dpp v18, v15 row_shr:2 row_mask:0xf bank_mask:0xf
	v_cndmask_b32_e32 v18, 0, v18, vcc_lo
	v_cmp_lt_u32_e32 vcc_lo, 3, v10
	v_add_nc_u32_e32 v15, v15, v18
	;; [unrolled: 4-line block ×3, first 2 shown]
	v_mov_b32_dpp v18, v15 row_shr:8 row_mask:0xf bank_mask:0xf
	v_cndmask_b32_e32 v18, 0, v18, vcc_lo
	v_cmp_gt_i32_e32 vcc_lo, 0, v12
	v_add_nc_u32_e32 v15, v15, v18
	v_cndmask_b32_e32 v19, v12, v7, vcc_lo
	ds_swizzle_b32 v18, v15 offset:swizzle(BROADCAST,32,15)
	v_lshlrev_b32_e32 v19, 2, v19
	s_waitcnt lgkmcnt(0)
	v_and_b32_e32 v18, v11, v18
	v_add_nc_u32_e32 v15, v15, v18
	ds_bpermute_b32 v15, v19, v15
	s_waitcnt lgkmcnt(0)
	v_add_nc_u32_e32 v15, v15, v17
	v_cndmask_b32_e64 v15, v15, v16, s1
	ds_write_b32 v9, v15
	; wave barrier
	ds_read2_b32 v[17:18], v9 offset0:1 offset1:2
	ds_read2_b32 v[19:20], v9 offset0:3 offset1:4
	;; [unrolled: 1-line block ×3, first 2 shown]
	ds_read_b32 v23, v9 offset:28
	s_waitcnt lgkmcnt(3)
	v_add_nc_u32_e32 v15, v17, v15
	v_add_nc_u32_e32 v17, v18, v15
	s_waitcnt lgkmcnt(2)
	v_add_nc_u32_e32 v18, v19, v17
	v_add_nc_u32_e32 v19, v20, v18
	;; [unrolled: 3-line block ×3, first 2 shown]
	s_waitcnt lgkmcnt(0)
	v_add_nc_u32_e32 v22, v23, v21
	ds_write2_b32 v9, v15, v17 offset0:1 offset1:2
	ds_write2_b32 v9, v18, v19 offset0:3 offset1:4
	;; [unrolled: 1-line block ×3, first 2 shown]
	ds_write_b32 v9, v22 offset:28
.LBB6_25:                               ;   in Loop: Header=BB6_21 Depth=1
	s_or_b32 exec_lo, exec_lo, s16
	v_mov_b32_e32 v17, 0
	s_waitcnt lgkmcnt(0)
	s_barrier
	buffer_gl0_inv
	s_and_saveexec_b32 s16, s0
; %bb.26:                               ;   in Loop: Header=BB6_21 Depth=1
	ds_read_b32 v17, v0
; %bb.27:                               ;   in Loop: Header=BB6_21 Depth=1
	s_or_b32 exec_lo, exec_lo, s16
	ds_read_b32 v15, v5 offset:1048
	s_mov_b32 s16, exec_lo
	s_waitcnt lgkmcnt(0)
	s_barrier
	buffer_gl0_inv
	v_cmpx_ne_u32_e32 0, v16
	s_cbranch_execz .LBB6_29
; %bb.28:                               ;   in Loop: Header=BB6_21 Depth=1
	v_add_nc_u32_e32 v18, v17, v3
	v_mov_b32_e32 v17, v5
	v_mul_lo_u32 v16, v18, s8
	v_mul_lo_u32 v18, v18, s15
	v_lshlrev_b64 v[16:17], 3, v[16:17]
	v_add_co_u32 v16, vcc_lo, s10, v16
	v_add_co_ci_u32_e64 v17, null, s11, v17, vcc_lo
	global_store_byte v18, v13, s[6:7]
	global_store_dwordx2 v[16:17], v[4:5], off
.LBB6_29:                               ;   in Loop: Header=BB6_21 Depth=1
	s_or_b32 exec_lo, exec_lo, s16
	v_cmp_le_u32_e32 vcc_lo, s13, v1
	s_cbranch_vccnz .LBB6_20
; %bb.30:                               ;   in Loop: Header=BB6_21 Depth=1
	ds_write_b32 v2, v14
	s_waitcnt lgkmcnt(0)
	s_waitcnt_vscnt null, 0x0
	s_barrier
	buffer_gl0_inv
	s_and_saveexec_b32 s16, s2
	s_cbranch_execz .LBB6_32
; %bb.31:                               ;   in Loop: Header=BB6_21 Depth=1
	ds_read2_b32 v[16:17], v9 offset1:1
	ds_read2_b32 v[18:19], v9 offset0:2 offset1:3
	ds_read2_b32 v[20:21], v9 offset0:4 offset1:5
	;; [unrolled: 1-line block ×3, first 2 shown]
	v_cmp_ne_u32_e32 vcc_lo, 0, v10
	; wave barrier
	s_waitcnt lgkmcnt(3)
	v_add_nc_u32_e32 v17, v17, v16
	s_waitcnt lgkmcnt(2)
	v_add3_u32 v17, v17, v18, v19
	s_waitcnt lgkmcnt(1)
	v_add3_u32 v17, v17, v20, v21
	;; [unrolled: 2-line block ×3, first 2 shown]
	v_mov_b32_dpp v18, v17 row_shr:1 row_mask:0xf bank_mask:0xf
	v_cndmask_b32_e32 v18, 0, v18, vcc_lo
	v_cmp_lt_u32_e32 vcc_lo, 1, v10
	v_add_nc_u32_e32 v17, v18, v17
	v_mov_b32_dpp v18, v17 row_shr:2 row_mask:0xf bank_mask:0xf
	v_cndmask_b32_e32 v18, 0, v18, vcc_lo
	v_cmp_lt_u32_e32 vcc_lo, 3, v10
	v_add_nc_u32_e32 v17, v17, v18
	;; [unrolled: 4-line block ×3, first 2 shown]
	v_mov_b32_dpp v18, v17 row_shr:8 row_mask:0xf bank_mask:0xf
	v_cndmask_b32_e32 v18, 0, v18, vcc_lo
	v_cmp_gt_i32_e32 vcc_lo, 0, v12
	v_add_nc_u32_e32 v17, v17, v18
	v_cndmask_b32_e32 v19, v12, v7, vcc_lo
	ds_swizzle_b32 v18, v17 offset:swizzle(BROADCAST,32,15)
	v_lshlrev_b32_e32 v19, 2, v19
	s_waitcnt lgkmcnt(0)
	v_and_b32_e32 v18, v11, v18
	v_add_nc_u32_e32 v17, v17, v18
	ds_bpermute_b32 v17, v19, v17
	s_waitcnt lgkmcnt(0)
	v_add_nc_u32_e32 v16, v17, v16
	v_cndmask_b32_e64 v22, v16, v14, s1
	ds_write_b32 v9, v22
	; wave barrier
	ds_read2_b32 v[16:17], v9 offset0:1 offset1:2
	ds_read2_b32 v[18:19], v9 offset0:3 offset1:4
	;; [unrolled: 1-line block ×3, first 2 shown]
	ds_read_b32 v23, v9 offset:28
	s_waitcnt lgkmcnt(3)
	v_add_nc_u32_e32 v16, v16, v22
	v_add_nc_u32_e32 v17, v17, v16
	s_waitcnt lgkmcnt(2)
	v_add_nc_u32_e32 v18, v18, v17
	v_add_nc_u32_e32 v19, v19, v18
	;; [unrolled: 3-line block ×3, first 2 shown]
	s_waitcnt lgkmcnt(0)
	v_add_nc_u32_e32 v22, v23, v21
	ds_write2_b32 v9, v16, v17 offset0:1 offset1:2
	ds_write2_b32 v9, v18, v19 offset0:3 offset1:4
	;; [unrolled: 1-line block ×3, first 2 shown]
	ds_write_b32 v9, v22 offset:28
.LBB6_32:                               ;   in Loop: Header=BB6_21 Depth=1
	s_or_b32 exec_lo, exec_lo, s16
	v_mov_b32_e32 v17, 0
	s_waitcnt lgkmcnt(0)
	s_barrier
	buffer_gl0_inv
	s_and_saveexec_b32 s16, s0
; %bb.33:                               ;   in Loop: Header=BB6_21 Depth=1
	ds_read_b32 v17, v0
; %bb.34:                               ;   in Loop: Header=BB6_21 Depth=1
	s_or_b32 exec_lo, exec_lo, s16
	ds_read_b32 v16, v5 offset:1048
	s_mov_b32 s16, exec_lo
	s_waitcnt lgkmcnt(0)
	s_barrier
	buffer_gl0_inv
	v_cmpx_ne_u32_e32 0, v14
	s_cbranch_execz .LBB6_19
; %bb.35:                               ;   in Loop: Header=BB6_21 Depth=1
	v_add_nc_u32_e32 v14, v17, v1
	v_cmp_gt_u32_e32 vcc_lo, s13, v14
	s_and_b32 exec_lo, exec_lo, vcc_lo
	s_cbranch_execz .LBB6_19
; %bb.36:                               ;   in Loop: Header=BB6_21 Depth=1
	v_mul_lo_u32 v17, v14, s8
	v_mov_b32_e32 v18, v5
	v_mul_lo_u32 v14, v14, s15
	v_lshlrev_b64 v[17:18], 3, v[17:18]
	v_add_co_u32 v17, vcc_lo, s10, v17
	v_add_co_ci_u32_e64 v18, null, s11, v18, vcc_lo
	global_store_byte v14, v13, s[6:7]
	global_store_dwordx2 v[17:18], v[4:5], off
	s_branch .LBB6_19
	.p2align	6
.LBB6_37:                               ;   in Loop: Header=BB6_38 Depth=1
	s_add_u32 s16, s16, 4
	s_addc_u32 s17, s17, 0
	s_waitcnt lgkmcnt(0)
	s_add_i32 s43, s15, s43
	s_add_u32 s18, s18, 4
	s_addc_u32 s19, s19, 0
	s_add_i32 s14, s14, 1
	s_cmp_lt_u32 s14, s10
	s_cbranch_scc0 .LBB6_16
.LBB6_38:                               ; =>This Inner Loop Header: Depth=1
	s_load_dword s15, s[16:17], 0x0
	s_cmp_ge_u32 s14, s11
	s_cbranch_scc1 .LBB6_37
; %bb.39:                               ;   in Loop: Header=BB6_38 Depth=1
	s_load_dword s28, s[18:19], 0x0
	s_waitcnt lgkmcnt(0)
	s_add_i32 s13, s15, s13
	s_add_i32 s12, s28, s12
	s_branch .LBB6_37
.LBB6_40:
	s_endpgm
	.section	.rodata,"a",@progbits
	.p2align	6, 0x0
	.amdhsa_kernel _ZN2at6native6mbtopk10gatherTopKIhjLi2EEEvNS_4cuda6detail10TensorInfoIKT_T0_EES8_S8_bjS8_NS5_IS6_S8_EES8_NS5_IlS8_EES8_jjPS6_PjSD_j
		.amdhsa_group_segment_fixed_size 1068
		.amdhsa_private_segment_fixed_size 0
		.amdhsa_kernarg_size 984
		.amdhsa_user_sgpr_count 6
		.amdhsa_user_sgpr_private_segment_buffer 1
		.amdhsa_user_sgpr_dispatch_ptr 0
		.amdhsa_user_sgpr_queue_ptr 0
		.amdhsa_user_sgpr_kernarg_segment_ptr 1
		.amdhsa_user_sgpr_dispatch_id 0
		.amdhsa_user_sgpr_flat_scratch_init 0
		.amdhsa_user_sgpr_private_segment_size 0
		.amdhsa_wavefront_size32 1
		.amdhsa_uses_dynamic_stack 0
		.amdhsa_system_sgpr_private_segment_wavefront_offset 0
		.amdhsa_system_sgpr_workgroup_id_x 1
		.amdhsa_system_sgpr_workgroup_id_y 1
		.amdhsa_system_sgpr_workgroup_id_z 1
		.amdhsa_system_sgpr_workgroup_info 0
		.amdhsa_system_vgpr_workitem_id 0
		.amdhsa_next_free_vgpr 25
		.amdhsa_next_free_sgpr 47
		.amdhsa_reserve_vcc 1
		.amdhsa_reserve_flat_scratch 0
		.amdhsa_float_round_mode_32 0
		.amdhsa_float_round_mode_16_64 0
		.amdhsa_float_denorm_mode_32 3
		.amdhsa_float_denorm_mode_16_64 3
		.amdhsa_dx10_clamp 1
		.amdhsa_ieee_mode 1
		.amdhsa_fp16_overflow 0
		.amdhsa_workgroup_processor_mode 1
		.amdhsa_memory_ordered 1
		.amdhsa_forward_progress 1
		.amdhsa_shared_vgpr_count 0
		.amdhsa_exception_fp_ieee_invalid_op 0
		.amdhsa_exception_fp_denorm_src 0
		.amdhsa_exception_fp_ieee_div_zero 0
		.amdhsa_exception_fp_ieee_overflow 0
		.amdhsa_exception_fp_ieee_underflow 0
		.amdhsa_exception_fp_ieee_inexact 0
		.amdhsa_exception_int_div_zero 0
	.end_amdhsa_kernel
	.section	.text._ZN2at6native6mbtopk10gatherTopKIhjLi2EEEvNS_4cuda6detail10TensorInfoIKT_T0_EES8_S8_bjS8_NS5_IS6_S8_EES8_NS5_IlS8_EES8_jjPS6_PjSD_j,"axG",@progbits,_ZN2at6native6mbtopk10gatherTopKIhjLi2EEEvNS_4cuda6detail10TensorInfoIKT_T0_EES8_S8_bjS8_NS5_IS6_S8_EES8_NS5_IlS8_EES8_jjPS6_PjSD_j,comdat
.Lfunc_end6:
	.size	_ZN2at6native6mbtopk10gatherTopKIhjLi2EEEvNS_4cuda6detail10TensorInfoIKT_T0_EES8_S8_bjS8_NS5_IS6_S8_EES8_NS5_IlS8_EES8_jjPS6_PjSD_j, .Lfunc_end6-_ZN2at6native6mbtopk10gatherTopKIhjLi2EEEvNS_4cuda6detail10TensorInfoIKT_T0_EES8_S8_bjS8_NS5_IS6_S8_EES8_NS5_IlS8_EES8_jjPS6_PjSD_j
                                        ; -- End function
	.set _ZN2at6native6mbtopk10gatherTopKIhjLi2EEEvNS_4cuda6detail10TensorInfoIKT_T0_EES8_S8_bjS8_NS5_IS6_S8_EES8_NS5_IlS8_EES8_jjPS6_PjSD_j.num_vgpr, 25
	.set _ZN2at6native6mbtopk10gatherTopKIhjLi2EEEvNS_4cuda6detail10TensorInfoIKT_T0_EES8_S8_bjS8_NS5_IS6_S8_EES8_NS5_IlS8_EES8_jjPS6_PjSD_j.num_agpr, 0
	.set _ZN2at6native6mbtopk10gatherTopKIhjLi2EEEvNS_4cuda6detail10TensorInfoIKT_T0_EES8_S8_bjS8_NS5_IS6_S8_EES8_NS5_IlS8_EES8_jjPS6_PjSD_j.numbered_sgpr, 47
	.set _ZN2at6native6mbtopk10gatherTopKIhjLi2EEEvNS_4cuda6detail10TensorInfoIKT_T0_EES8_S8_bjS8_NS5_IS6_S8_EES8_NS5_IlS8_EES8_jjPS6_PjSD_j.num_named_barrier, 0
	.set _ZN2at6native6mbtopk10gatherTopKIhjLi2EEEvNS_4cuda6detail10TensorInfoIKT_T0_EES8_S8_bjS8_NS5_IS6_S8_EES8_NS5_IlS8_EES8_jjPS6_PjSD_j.private_seg_size, 0
	.set _ZN2at6native6mbtopk10gatherTopKIhjLi2EEEvNS_4cuda6detail10TensorInfoIKT_T0_EES8_S8_bjS8_NS5_IS6_S8_EES8_NS5_IlS8_EES8_jjPS6_PjSD_j.uses_vcc, 1
	.set _ZN2at6native6mbtopk10gatherTopKIhjLi2EEEvNS_4cuda6detail10TensorInfoIKT_T0_EES8_S8_bjS8_NS5_IS6_S8_EES8_NS5_IlS8_EES8_jjPS6_PjSD_j.uses_flat_scratch, 0
	.set _ZN2at6native6mbtopk10gatherTopKIhjLi2EEEvNS_4cuda6detail10TensorInfoIKT_T0_EES8_S8_bjS8_NS5_IS6_S8_EES8_NS5_IlS8_EES8_jjPS6_PjSD_j.has_dyn_sized_stack, 0
	.set _ZN2at6native6mbtopk10gatherTopKIhjLi2EEEvNS_4cuda6detail10TensorInfoIKT_T0_EES8_S8_bjS8_NS5_IS6_S8_EES8_NS5_IlS8_EES8_jjPS6_PjSD_j.has_recursion, 0
	.set _ZN2at6native6mbtopk10gatherTopKIhjLi2EEEvNS_4cuda6detail10TensorInfoIKT_T0_EES8_S8_bjS8_NS5_IS6_S8_EES8_NS5_IlS8_EES8_jjPS6_PjSD_j.has_indirect_call, 0
	.section	.AMDGPU.csdata,"",@progbits
; Kernel info:
; codeLenInByte = 2512
; TotalNumSgprs: 49
; NumVgprs: 25
; ScratchSize: 0
; MemoryBound: 0
; FloatMode: 240
; IeeeMode: 1
; LDSByteSize: 1068 bytes/workgroup (compile time only)
; SGPRBlocks: 0
; VGPRBlocks: 3
; NumSGPRsForWavesPerEU: 49
; NumVGPRsForWavesPerEU: 25
; Occupancy: 16
; WaveLimiterHint : 1
; COMPUTE_PGM_RSRC2:SCRATCH_EN: 0
; COMPUTE_PGM_RSRC2:USER_SGPR: 6
; COMPUTE_PGM_RSRC2:TRAP_HANDLER: 0
; COMPUTE_PGM_RSRC2:TGID_X_EN: 1
; COMPUTE_PGM_RSRC2:TGID_Y_EN: 1
; COMPUTE_PGM_RSRC2:TGID_Z_EN: 1
; COMPUTE_PGM_RSRC2:TIDIG_COMP_CNT: 0
	.section	.text._ZN2at6native6sbtopk10gatherTopKIhjLi2ELb0EEEvNS_4cuda6detail10TensorInfoIKT_T0_EES8_S8_bS8_S8_NS5_IS6_S8_EES8_NS5_IlS8_EES8_PS6_,"axG",@progbits,_ZN2at6native6sbtopk10gatherTopKIhjLi2ELb0EEEvNS_4cuda6detail10TensorInfoIKT_T0_EES8_S8_bS8_S8_NS5_IS6_S8_EES8_NS5_IlS8_EES8_PS6_,comdat
	.protected	_ZN2at6native6sbtopk10gatherTopKIhjLi2ELb0EEEvNS_4cuda6detail10TensorInfoIKT_T0_EES8_S8_bS8_S8_NS5_IS6_S8_EES8_NS5_IlS8_EES8_PS6_ ; -- Begin function _ZN2at6native6sbtopk10gatherTopKIhjLi2ELb0EEEvNS_4cuda6detail10TensorInfoIKT_T0_EES8_S8_bS8_S8_NS5_IS6_S8_EES8_NS5_IlS8_EES8_PS6_
	.globl	_ZN2at6native6sbtopk10gatherTopKIhjLi2ELb0EEEvNS_4cuda6detail10TensorInfoIKT_T0_EES8_S8_bS8_S8_NS5_IS6_S8_EES8_NS5_IlS8_EES8_PS6_
	.p2align	8
	.type	_ZN2at6native6sbtopk10gatherTopKIhjLi2ELb0EEEvNS_4cuda6detail10TensorInfoIKT_T0_EES8_S8_bS8_S8_NS5_IS6_S8_EES8_NS5_IlS8_EES8_PS6_,@function
_ZN2at6native6sbtopk10gatherTopKIhjLi2ELb0EEEvNS_4cuda6detail10TensorInfoIKT_T0_EES8_S8_bS8_S8_NS5_IS6_S8_EES8_NS5_IlS8_EES8_PS6_: ; @_ZN2at6native6sbtopk10gatherTopKIhjLi2ELb0EEEvNS_4cuda6detail10TensorInfoIKT_T0_EES8_S8_bS8_S8_NS5_IS6_S8_EES8_NS5_IlS8_EES8_PS6_
; %bb.0:
	s_clause 0x1
	s_load_dwordx2 s[12:13], s[4:5], 0x2b8
	s_load_dwordx4 s[36:39], s[4:5], 0xd8
	s_add_u32 s10, s4, 0x2b8
	s_addc_u32 s11, s5, 0
	s_waitcnt lgkmcnt(0)
	s_mul_i32 s0, s13, s8
	s_add_i32 s0, s0, s7
	s_mul_i32 s53, s0, s12
	s_add_i32 s53, s53, s6
	s_cmp_ge_u32 s53, s39
	s_cbranch_scc1 .LBB7_410
; %bb.1:
	s_clause 0x9
	s_load_dword s2, s[4:5], 0xc
	s_load_dword s55, s[4:5], 0xfc
	;; [unrolled: 1-line block ×3, first 2 shown]
	s_load_dwordx2 s[44:45], s[4:5], 0xf0
	s_load_dwordx2 s[48:49], s[4:5], 0x23c
	;; [unrolled: 1-line block ×4, first 2 shown]
	s_load_dword s42, s[4:5], 0xe8
	s_load_dwordx2 s[8:9], s[4:5], 0x6c
	s_load_dwordx2 s[0:1], s[4:5], 0x0
	v_cmp_eq_u32_e64 s3, 0, v0
	s_mov_b32 s58, 0
	s_waitcnt lgkmcnt(0)
	v_cvt_f32_u32_e32 v1, s2
	v_cvt_f32_u32_e32 v2, s55
	;; [unrolled: 1-line block ×3, first 2 shown]
	s_sub_i32 s7, 0, s2
	s_sub_i32 s16, 0, s55
	v_rcp_iflag_f32_e32 v1, v1
	v_rcp_iflag_f32_e32 v2, v2
	;; [unrolled: 1-line block ×3, first 2 shown]
	s_sub_i32 s17, 0, s54
	v_mul_f32_e32 v1, 0x4f7ffffe, v1
	v_mul_f32_e32 v2, 0x4f7ffffe, v2
	;; [unrolled: 1-line block ×3, first 2 shown]
	v_cvt_u32_f32_e32 v1, v1
	v_cvt_u32_f32_e32 v2, v2
	;; [unrolled: 1-line block ×3, first 2 shown]
	v_readfirstlane_b32 s13, v1
	v_readfirstlane_b32 s14, v2
	;; [unrolled: 1-line block ×3, first 2 shown]
	s_mul_i32 s7, s7, s13
	s_mul_i32 s16, s16, s14
	;; [unrolled: 1-line block ×3, first 2 shown]
	s_mul_hi_u32 s7, s13, s7
	s_mul_hi_u32 s16, s14, s16
	;; [unrolled: 1-line block ×3, first 2 shown]
	s_add_i32 s13, s13, s7
	s_add_i32 s14, s14, s16
	;; [unrolled: 1-line block ×3, first 2 shown]
	s_mul_hi_u32 s7, s53, s13
	s_mul_hi_u32 s57, s53, s14
	;; [unrolled: 1-line block ×3, first 2 shown]
	s_and_saveexec_b32 s13, s3
	s_cbranch_execz .LBB7_3
; %bb.2:
	v_mov_b32_e32 v1, 0
	v_mov_b32_e32 v2, s36
	;; [unrolled: 1-line block ×3, first 2 shown]
	ds_write_b96 v1, v[1:3] offset:4096
.LBB7_3:
	s_or_b32 exec_lo, exec_lo, s13
	s_mul_i32 s13, s7, s2
	s_add_i32 s14, s7, 1
	s_sub_i32 s13, s53, s13
	s_waitcnt lgkmcnt(0)
	s_sub_i32 s15, s13, s2
	s_cmp_ge_u32 s13, s2
	s_barrier
	s_cselect_b32 s7, s14, s7
	buffer_gl0_inv
	s_load_dword s14, s[10:11], 0xc
	s_cselect_b32 s13, s15, s13
	s_add_i32 s15, s7, 1
	s_cmp_ge_u32 s13, s2
	v_mbcnt_lo_u32_b32 v16, -1, 0
	s_cselect_b32 s7, s15, s7
	v_cmp_gt_u32_e32 vcc_lo, 32, v0
	s_mul_i32 s2, s7, s2
	s_mul_i32 s7, s7, s8
	s_sub_i32 s2, s53, s2
	v_lshlrev_b64 v[1:2], v16, -1
	s_mul_i32 s2, s2, s9
	v_lshrrev_b32_e32 v3, 1, v0
	s_add_i32 s7, s7, s2
	v_lshlrev_b32_e32 v17, 2, v0
	s_add_u32 s40, s0, s7
	s_addc_u32 s41, s1, 0
	s_bitcmp1_b32 s38, 0
	v_cmp_gt_i32_e64 s0, 4, v16
	s_cselect_b32 s2, -1, 0
	s_waitcnt lgkmcnt(0)
	s_and_b32 s35, s14, 0xffff
	v_not_b32_e32 v15, v1
	s_lshl_b32 s60, s35, 2
	s_bfe_u32 s1, s35, 0x80008
	v_cvt_f32_u32_e32 v2, s60
	s_xor_b32 s59, s2, -1
	s_lshl_b32 s61, s1, 3
	s_bfe_u32 s7, s14, 0xb0005
	s_and_b32 s62, vcc_lo, s0
	v_rcp_iflag_f32_e32 v1, v2
	s_cmpk_gt_u32 s36, 0xc00
	v_cvt_f32_u32_e32 v5, s35
	s_cselect_b32 s63, -1, 0
	s_cmp_gt_u32 s35, 31
	v_add_nc_u32_e32 v2, 2, v0
	s_cselect_b32 s64, -1, 0
	s_add_i32 s65, s35, -1
	v_rcp_iflag_f32_e32 v5, v5
	s_add_i32 s13, s65, s36
	s_cmp_lt_u32 s6, s12
	v_mul_f32_e32 v1, 0x4f7ffffe, v1
	s_cselect_b32 s8, 12, 18
	s_movk_i32 s6, 0x1f0
	s_add_u32 s38, s10, s8
	s_addc_u32 s39, s11, 0
	s_add_i32 s7, s7, -1
	v_cvt_u32_f32_e32 v1, v1
	s_and_b32 s7, s7, 0xffff
	s_bfe_u32 s66, s35, 0x30005
	s_cmp_gt_u32 s7, 6
	v_and_or_b32 v20, v3, s6, 0xc00
	v_readfirstlane_b32 s7, v1
	s_cselect_b32 s67, -1, 0
	s_cmp_lg_u32 s66, 0
	v_mul_f32_e32 v3, 0x4f7ffffe, v5
	s_cselect_b32 s68, -1, 0
	s_sub_i32 s8, 0, s60
	v_max_u32_e32 v2, s36, v2
	s_mul_i32 s8, s8, s7
	v_cvt_u32_f32_e32 v3, v3
	s_mul_hi_u32 s6, s7, s8
	v_mul_lo_u32 v18, s42, v0
	s_add_i32 s69, s7, s6
	v_xad_u32 v2, v0, -1, v2
	s_mul_hi_u32 s6, s36, s69
	v_readfirstlane_b32 s9, v3
	s_mul_i32 s6, s6, s60
	s_mov_b32 s43, s42
	s_sub_i32 s6, s36, s6
	v_add_nc_u32_e32 v4, -4, v2
	s_sub_i32 s8, s6, s60
	s_cmp_ge_u32 s6, s60
	v_and_b32_e32 v21, -4, v2
	s_cselect_b32 s6, s8, s6
	v_lshrrev_b32_e32 v1, 2, v4
	s_sub_i32 s8, s6, s60
	s_cmp_ge_u32 s6, s60
	v_cmp_lt_u32_e64 s7, 31, v2
	s_cselect_b32 s6, s8, s6
	s_sub_i32 s8, 0, s35
	s_sub_i32 s73, s36, s6
	s_mul_i32 s8, s8, s9
	v_add_nc_u32_e32 v1, 1, v1
	s_mul_hi_u32 s10, s9, s8
	v_add_nc_u32_e32 v24, s73, v0
	s_add_i32 s72, s9, s10
	v_mad_u64_u32 v[13:14], null, s42, v17, s[42:43]
	s_mul_hi_u32 s10, s13, s72
	v_and_b32_e32 v3, 3, v1
	s_mul_i32 s10, s10, s35
	v_and_b32_e32 v23, 0x7ffffffc, v1
	s_sub_i32 s11, s13, s10
	v_mul_lo_u32 v1, v24, s42
	s_sub_i32 s12, s11, s35
	s_cmp_ge_u32 s11, s35
	v_cmp_ne_u32_e64 s9, 0, v3
	s_cselect_b32 s12, s12, s11
	v_cmp_ne_u32_e64 s10, v2, v21
	s_sub_i32 s14, s12, s35
	s_cmp_ge_u32 s12, s35
	v_lshlrev_b32_e32 v25, 2, v3
	s_cselect_b32 s14, s14, s12
	v_or_b32_e32 v2, 2, v17
	s_sub_i32 s74, s13, s14
	v_add_co_u32 v11, s13, s40, v1
	v_add3_u32 v1, s35, s36, v0
	v_or_b32_e32 v3, 3, v17
	v_mul_lo_u32 v26, s42, v2
	v_add_co_u32 v9, s1, s40, v18
	v_subrev_nc_u32_e32 v1, s6, v1
	v_mul_lo_u32 v27, s42, v3
	v_cmp_eq_u32_e64 s0, 0, v16
	v_mov_b32_e32 v19, 0
	v_add_co_ci_u32_e64 v10, null, s41, 0, s1
	v_mul_lo_u32 v29, s42, v1
	v_cmp_gt_u32_e64 s1, s36, v0
	v_cmp_gt_u32_e64 s15, 2, v0
	v_add_nc_u32_e32 v22, v0, v21
	v_cmp_lt_u32_e64 s8, 11, v4
	v_cmp_gt_u32_e64 s11, s73, v17
	v_cmp_gt_u32_e64 s12, s36, v24
	v_add_co_ci_u32_e64 v12, null, s41, 0, s13
	v_cmp_gt_u32_e64 s13, s74, v0
	v_lshlrev_b32_e32 v28, 2, v18
	v_lshl_or_b32 v30, v16, 2, 0xc00
	v_mov_b32_e32 v34, s37
	v_mov_b32_e32 v31, 8
	;; [unrolled: 1-line block ×5, first 2 shown]
	s_mul_i32 s52, s42, s35
	s_mov_b32 s70, s42
	s_mov_b32 s71, s42
	;; [unrolled: 1-line block ×3, first 2 shown]
	s_lshl_b32 s76, s52, 2
	s_mov_b32 s77, 0
                                        ; implicit-def: $sgpr75
                                        ; implicit-def: $sgpr80
                                        ; implicit-def: $sgpr79
                                        ; implicit-def: $sgpr82
                                        ; implicit-def: $sgpr78
                                        ; implicit-def: $sgpr86
                                        ; implicit-def: $sgpr87
                                        ; implicit-def: $sgpr83
                                        ; implicit-def: $sgpr85
                                        ; implicit-def: $sgpr84
	s_branch .LBB7_6
.LBB7_4:                                ;   in Loop: Header=BB7_6 Depth=1
	s_or_b32 exec_lo, exec_lo, s17
	v_mov_b32_e32 v34, v4
	s_andn2_b32 s17, s84, exec_lo
	s_and_b32 s16, s16, exec_lo
	s_andn2_b32 s85, s85, exec_lo
	s_or_b32 s84, s17, s16
	s_andn2_b32 s83, s83, exec_lo
	s_andn2_b32 s87, s87, exec_lo
	;; [unrolled: 1-line block ×3, first 2 shown]
	s_orn2_b32 s17, s14, exec_lo
.LBB7_5:                                ;   in Loop: Header=BB7_6 Depth=1
	s_or_b32 exec_lo, exec_lo, s6
	s_and_b32 s6, exec_lo, s17
	s_or_b32 s58, s6, s58
	s_andn2_b32 s6, s78, exec_lo
	s_and_b32 s14, s84, exec_lo
	s_andn2_b32 s16, s82, exec_lo
	s_or_b32 s78, s6, s14
	s_and_b32 s6, s85, exec_lo
	s_andn2_b32 s14, s79, exec_lo
	s_and_b32 s17, s83, exec_lo
	s_or_b32 s82, s16, s6
	s_or_b32 s79, s14, s17
	s_andn2_b32 s6, s80, exec_lo
	s_and_b32 s14, s87, exec_lo
	s_andn2_b32 s16, s75, exec_lo
	s_and_b32 s17, s86, exec_lo
	s_or_b32 s80, s6, s14
	s_or_b32 s75, s16, s17
	s_andn2_b32 exec_lo, exec_lo, s58
	s_cbranch_execz .LBB7_406
.LBB7_6:                                ; =>This Loop Header: Depth=1
                                        ;     Child Loop BB7_11 Depth 2
                                        ;     Child Loop BB7_32 Depth 2
                                        ;     Child Loop BB7_36 Depth 2
                                        ;     Child Loop BB7_42 Depth 2
                                        ;     Child Loop BB7_74 Depth 2
                                        ;     Child Loop BB7_78 Depth 2
                                        ;     Child Loop BB7_63 Depth 2
                                        ;     Child Loop BB7_68 Depth 2
                                        ;     Child Loop BB7_59 Depth 2
                                        ;     Child Loop BB7_83 Depth 2
                                        ;     Child Loop BB7_94 Depth 2
                                        ;     Child Loop BB7_105 Depth 2
                                        ;     Child Loop BB7_131 Depth 2
                                        ;     Child Loop BB7_142 Depth 2
                                        ;     Child Loop BB7_168 Depth 2
                                        ;     Child Loop BB7_179 Depth 2
                                        ;     Child Loop BB7_205 Depth 2
                                        ;     Child Loop BB7_216 Depth 2
                                        ;     Child Loop BB7_252 Depth 2
                                        ;     Child Loop BB7_264 Depth 2
                                        ;     Child Loop BB7_290 Depth 2
                                        ;     Child Loop BB7_301 Depth 2
                                        ;     Child Loop BB7_327 Depth 2
                                        ;     Child Loop BB7_338 Depth 2
                                        ;     Child Loop BB7_364 Depth 2
                                        ;     Child Loop BB7_375 Depth 2
	ds_read_b64 v[1:2], v19 offset:4096
	s_waitcnt lgkmcnt(0)
	v_readfirstlane_b32 s88, v1
	s_cmp_lg_u32 s88, 0
	s_cbranch_scc1 .LBB7_51
; %bb.7:                                ;   in Loop: Header=BB7_6 Depth=1
	s_and_b32 vcc_lo, exec_lo, s63
	s_cbranch_vccz .LBB7_19
; %bb.8:                                ;   in Loop: Header=BB7_6 Depth=1
	v_cmp_gt_u32_e32 vcc_lo, 0xc01, v2
	s_mov_b32 s14, 0
	s_mov_b32 s6, 0
	s_cbranch_vccz .LBB7_20
; %bb.9:                                ;   in Loop: Header=BB7_6 Depth=1
	global_load_ushort v1, v19, s[38:39]
	global_load_ubyte v4, v[9:10], off
	v_mov_b32_e32 v5, v0
	s_mov_b32 s16, 0
	s_waitcnt vmcnt(1)
	v_add_nc_u32_e32 v2, v0, v1
	v_mul_lo_u32 v3, s42, v1
	v_mul_lo_u32 v2, s42, v2
	s_branch .LBB7_11
.LBB7_10:                               ;   in Loop: Header=BB7_11 Depth=2
	s_or_b32 exec_lo, exec_lo, s6
	v_add_nc_u32_e32 v2, v2, v3
	v_mov_b32_e32 v4, v6
	s_andn2_b32 exec_lo, exec_lo, s16
	s_cbranch_execz .LBB7_26
.LBB7_11:                               ;   Parent Loop BB7_6 Depth=1
                                        ; =>  This Inner Loop Header: Depth=2
	v_add_nc_u32_e32 v5, v5, v1
	s_waitcnt lgkmcnt(0)
	v_mov_b32_e32 v7, 0
	v_mov_b32_e32 v6, 0
	s_mov_b32 s17, exec_lo
	v_cmp_le_u32_e32 vcc_lo, s36, v5
	v_cmpx_gt_u32_e64 s36, v5
	s_cbranch_execz .LBB7_13
; %bb.12:                               ;   in Loop: Header=BB7_11 Depth=2
	global_load_ubyte v6, v2, s[40:41]
.LBB7_13:                               ;   in Loop: Header=BB7_11 Depth=2
	s_or_b32 exec_lo, exec_lo, s17
	s_waitcnt vmcnt(0)
	v_and_b32_e32 v8, v4, v32
	v_cmp_eq_u32_sdwa s17, v8, v14 src0_sel:BYTE_0 src1_sel:DWORD
	s_cmp_lg_u32 s17, 0
	s_cselect_b32 s6, -1, 0
	s_and_b32 s6, s0, s6
	s_and_saveexec_b32 s18, s6
	s_cbranch_execz .LBB7_17
; %bb.14:                               ;   in Loop: Header=BB7_11 Depth=2
	s_mov_b32 s21, exec_lo
	s_bcnt1_i32_b32 s19, s17
	v_mbcnt_lo_u32_b32 v7, s21, 0
	s_mov_b32 s20, exec_lo
                                        ; implicit-def: $vgpr8
	v_cmpx_eq_u32_e32 0, v7
; %bb.15:                               ;   in Loop: Header=BB7_11 Depth=2
	s_bcnt1_i32_b32 s6, s21
	s_mul_i32 s6, s19, s6
	v_mov_b32_e32 v8, s6
	ds_add_rtn_u32 v8, v19, v8 offset:4104
; %bb.16:                               ;   in Loop: Header=BB7_11 Depth=2
	s_or_b32 exec_lo, exec_lo, s20
	s_waitcnt lgkmcnt(0)
	v_readfirstlane_b32 s6, v8
	v_mad_u32_u24 v7, s19, v7, s6
.LBB7_17:                               ;   in Loop: Header=BB7_11 Depth=2
	s_or_b32 exec_lo, exec_lo, s18
	ds_bpermute_b32 v7, v19, v7
	s_and_b32 s6, exec_lo, vcc_lo
	s_or_b32 s16, s6, s16
	s_and_saveexec_b32 s6, s17
	s_cbranch_execz .LBB7_10
; %bb.18:                               ;   in Loop: Header=BB7_11 Depth=2
	v_and_b32_e32 v8, s17, v15
	s_waitcnt lgkmcnt(0)
	v_bcnt_u32_b32 v7, v8, v7
	ds_write_b8 v7, v4
	s_branch .LBB7_10
.LBB7_19:                               ;   in Loop: Header=BB7_6 Depth=1
	s_mov_b32 s14, -1
	s_mov_b32 s6, 0
.LBB7_20:                               ;   in Loop: Header=BB7_6 Depth=1
	s_and_b32 vcc_lo, exec_lo, s14
	s_cbranch_vccz .LBB7_49
.LBB7_21:                               ;   in Loop: Header=BB7_6 Depth=1
	s_and_saveexec_b32 s14, s1
	s_cbranch_execz .LBB7_46
; %bb.22:                               ;   in Loop: Header=BB7_6 Depth=1
	global_load_ushort v2, v19, s[38:39]
	global_load_ubyte v35, v[9:10], off
	s_mov_b32 s16, exec_lo
	s_waitcnt vmcnt(1)
	v_add_nc_u32_e32 v1, v0, v2
	v_readfirstlane_b32 s17, v2
	v_mov_b32_e32 v2, v0
	v_cmpx_gt_u32_e64 s36, v1
	s_cbranch_execz .LBB7_45
; %bb.23:                               ;   in Loop: Header=BB7_6 Depth=1
	s_mov_b32 s6, 0
	s_mul_i32 s18, s42, s17
                                        ; implicit-def: $vgpr2
                                        ; implicit-def: $vgpr5
                                        ; implicit-def: $vgpr3
                                        ; implicit-def: $vgpr4
	s_and_saveexec_b32 s19, s7
	s_xor_b32 s19, exec_lo, s19
	s_cbranch_execnz .LBB7_29
; %bb.24:                               ;   in Loop: Header=BB7_6 Depth=1
	s_andn2_saveexec_b32 s19, s19
	s_cbranch_execnz .LBB7_40
.LBB7_25:                               ;   in Loop: Header=BB7_6 Depth=1
	s_or_b32 exec_lo, exec_lo, s19
	s_and_saveexec_b32 s18, s6
	s_cbranch_execnz .LBB7_41
	s_branch .LBB7_44
.LBB7_26:                               ;   in Loop: Header=BB7_6 Depth=1
	s_or_b32 exec_lo, exec_lo, s16
	s_waitcnt lgkmcnt(0)
	s_barrier
	buffer_gl0_inv
	s_and_saveexec_b32 s6, s3
	s_cbranch_execz .LBB7_28
; %bb.27:                               ;   in Loop: Header=BB7_6 Depth=1
	ds_read_b32 v1, v19 offset:4104
	s_waitcnt lgkmcnt(0)
	ds_write_b32 v19, v1 offset:4096
.LBB7_28:                               ;   in Loop: Header=BB7_6 Depth=1
	s_or_b32 exec_lo, exec_lo, s6
	s_waitcnt lgkmcnt(0)
	s_mov_b32 s6, -1
	s_barrier
	s_and_b32 vcc_lo, exec_lo, s14
	s_cbranch_vccnz .LBB7_21
	s_branch .LBB7_49
.LBB7_29:                               ;   in Loop: Header=BB7_6 Depth=1
	v_cvt_f32_u32_e32 v2, s17
	v_add_nc_u32_e32 v3, s17, v1
	s_sub_i32 s6, 0, s17
	s_not_b32 s20, s18
	v_rcp_iflag_f32_e32 v2, v2
	v_max_u32_e32 v3, s36, v3
	v_sub_nc_u32_e32 v3, v3, v0
	v_mul_f32_e32 v2, 0x4f7ffffe, v2
	v_cvt_u32_f32_e32 v2, v2
	v_mul_lo_u32 v4, s6, v2
	s_lshl_b32 s6, s17, 1
	v_cmp_ne_u32_e32 vcc_lo, s6, v3
	v_cndmask_b32_e64 v5, 0, 1, vcc_lo
	v_mul_hi_u32 v4, v2, v4
	v_or_b32_e32 v5, s6, v5
	v_add_nc_u32_e32 v2, v2, v4
	v_sub_nc_u32_e32 v3, v3, v5
	v_mul_hi_u32 v2, v3, v2
	v_mul_lo_u32 v4, v2, s17
	v_sub_nc_u32_e32 v3, v3, v4
	v_add_nc_u32_e32 v4, 1, v2
	v_subrev_nc_u32_e32 v5, s17, v3
	v_cmp_le_u32_e64 s6, s17, v3
	v_cndmask_b32_e64 v2, v2, v4, s6
	v_cndmask_b32_e64 v3, v3, v5, s6
	v_add_nc_u32_e32 v4, 1, v2
	v_cmp_le_u32_e64 s6, s17, v3
	v_mul_lo_u32 v3, s42, v1
	v_cndmask_b32_e64 v2, v2, v4, s6
	s_abs_i32 s6, s18
	v_add_co_ci_u32_e64 v2, null, 0, v2, vcc_lo
	v_mul_hi_u32 v4, s6, v2
	v_mul_lo_u32 v2, s6, v2
	s_ashr_i32 s6, s20, 31
	s_cmp_eq_u32 s17, 1
	v_xor_b32_e32 v3, s6, v3
	s_cselect_b32 s20, -1, 0
	v_cmp_eq_u32_e32 vcc_lo, 0, v4
	v_cmp_le_u32_e64 s6, v2, v3
	v_mov_b32_e32 v3, v0
                                        ; implicit-def: $vgpr2
	s_and_b32 s20, vcc_lo, s20
	s_and_b32 s21, s20, s6
	s_mov_b32 s20, -1
	s_and_saveexec_b32 s6, s21
	s_cbranch_execz .LBB7_39
; %bb.30:                               ;   in Loop: Header=BB7_6 Depth=1
	v_add_nc_u32_e32 v4, 3, v1
	v_add_nc_u32_e32 v3, 2, v1
	;; [unrolled: 1-line block ×3, first 2 shown]
	s_waitcnt vmcnt(0)
	v_lshlrev_b32_e32 v36, 24, v35
	v_mov_b32_e32 v38, 0
	v_mov_b32_e32 v8, v4
	;; [unrolled: 1-line block ×5, first 2 shown]
                                        ; implicit-def: $vgpr35
	s_and_saveexec_b32 s20, s8
	s_cbranch_execz .LBB7_34
; %bb.31:                               ;   in Loop: Header=BB7_6 Depth=1
	v_mov_b32_e32 v8, v4
	v_mov_b32_e32 v37, v23
	v_mov_b32_e32 v7, v3
	v_mov_b32_e32 v6, v2
	v_mov_b32_e32 v5, v1
	s_mov_b32 s21, 0
	s_mov_b32 s22, 0
.LBB7_32:                               ;   Parent Loop BB7_6 Depth=1
                                        ; =>  This Inner Loop Header: Depth=2
	v_mul_lo_u32 v2, v5, s42
	v_mul_lo_u32 v38, v6, s43
	v_add_nc_u32_e32 v3, 4, v5
	v_mul_lo_u32 v35, v7, s70
	v_add_nc_u32_e32 v39, 4, v6
	;; [unrolled: 2-line block ×3, first 2 shown]
	v_mul_lo_u32 v53, v3, s42
	v_add_co_u32 v2, s23, s40, v2
	v_add_nc_u32_e32 v41, 4, v8
	v_add_nc_u32_e32 v42, 8, v5
	v_mul_lo_u32 v52, v39, s43
	v_add_co_ci_u32_e64 v3, null, s41, 0, s23
	v_add_co_u32 v38, s23, s40, v38
	v_add_nc_u32_e32 v43, 8, v6
	v_add_nc_u32_e32 v44, 8, v7
	v_mul_lo_u32 v51, v40, s70
	v_add_co_ci_u32_e64 v39, null, s41, 0, s23
	v_add_co_u32 v40, s23, s40, v35
	v_add_nc_u32_e32 v45, 8, v8
	v_add_nc_u32_e32 v46, 12, v5
	v_mul_lo_u32 v50, v41, s71
	v_mul_lo_u32 v55, v42, s42
	v_add_co_ci_u32_e64 v41, null, s41, 0, s23
	v_add_co_u32 v42, s23, s40, v4
	v_add_nc_u32_e32 v47, 12, v6
	v_add_nc_u32_e32 v48, 12, v7
	v_mul_lo_u32 v56, v44, s70
	v_mul_lo_u32 v54, v43, s43
	v_add_co_ci_u32_e64 v43, null, s41, 0, s23
	v_add_co_u32 v44, s23, s40, v53
	v_add_nc_u32_e32 v49, 12, v8
	v_mul_lo_u32 v58, v45, s71
	v_mul_lo_u32 v60, v46, s42
	v_add_co_ci_u32_e64 v45, null, s41, 0, s23
	v_add_co_u32 v46, s23, s40, v52
	v_mul_lo_u32 v64, v48, s70
	v_mul_lo_u32 v62, v47, s43
	v_add_co_ci_u32_e64 v47, null, s41, 0, s23
	v_add_co_u32 v48, s23, s40, v51
	v_mul_lo_u32 v66, v49, s71
	v_add_co_ci_u32_e64 v49, null, s41, 0, s23
	v_add_co_u32 v50, s23, s40, v50
	v_add_co_ci_u32_e64 v51, null, s41, 0, s23
	v_add_co_u32 v52, s23, s40, v55
	v_add_co_ci_u32_e64 v53, null, s41, 0, s23
	v_add_co_u32 v54, s23, s40, v54
	v_add_co_ci_u32_e64 v55, null, s41, 0, s23
	v_add_co_u32 v56, s23, s40, v56
	v_add_co_ci_u32_e64 v57, null, s41, 0, s23
	v_add_co_u32 v58, s23, s40, v58
	v_add_co_ci_u32_e64 v59, null, s41, 0, s23
	v_add_co_u32 v60, s23, s40, v60
	v_add_co_ci_u32_e64 v61, null, s41, 0, s23
	v_add_co_u32 v62, s23, s40, v62
	v_add_co_ci_u32_e64 v63, null, s41, 0, s23
	v_add_co_u32 v64, s23, s40, v64
	v_add_co_ci_u32_e64 v65, null, s41, 0, s23
	v_add_co_u32 v66, s23, s40, v66
	v_add_co_ci_u32_e64 v67, null, s41, 0, s23
	s_clause 0xf
	global_load_ubyte v4, v[40:41], off
	global_load_ubyte v40, v[42:43], off
	;; [unrolled: 1-line block ×16, first 2 shown]
	v_add_nc_u32_e32 v37, -4, v37
	v_add_nc_u32_e32 v51, s22, v0
	s_add_i32 s22, s22, 16
	v_add_nc_u32_e32 v8, 16, v8
	v_add_nc_u32_e32 v7, 16, v7
	v_cmp_eq_u32_e32 vcc_lo, 0, v37
	v_add_nc_u32_e32 v6, 16, v6
	v_add_nc_u32_e32 v5, 16, v5
	v_mov_b32_e32 v38, s22
	s_or_b32 s21, vcc_lo, s21
	s_waitcnt vmcnt(9)
	v_perm_b32 v4, v39, v4, 0xc0c0004
	s_waitcnt vmcnt(8)
	v_perm_b32 v2, v36, v2, 0xc0c0007
	v_perm_b32 v36, v40, v41, 0xc0c0004
	;; [unrolled: 1-line block ×3, first 2 shown]
	s_waitcnt vmcnt(7)
	v_perm_b32 v3, v43, v3, 0xc0c0004
	s_waitcnt vmcnt(4)
	v_perm_b32 v41, v47, v45, 0xc0c0004
	v_lshl_or_b32 v39, v4, 16, v2
	s_waitcnt vmcnt(2)
	v_perm_b32 v44, v48, v49, 0xc0c0004
	s_waitcnt vmcnt(1)
	v_perm_b32 v43, v50, v48, 0xc0c0004
	v_perm_b32 v42, v46, v50, 0xc0c0004
	s_waitcnt vmcnt(0)
	v_perm_b32 v45, v49, v35, 0xc0c0004
	v_lshl_or_b32 v40, v40, 16, v36
	v_lshl_or_b32 v41, v41, 16, v3
	;; [unrolled: 1-line block ×4, first 2 shown]
	ds_write_b128 v51, v[39:42]
	s_andn2_b32 exec_lo, exec_lo, s21
	s_cbranch_execnz .LBB7_32
; %bb.33:                               ;   in Loop: Header=BB7_6 Depth=1
	s_or_b32 exec_lo, exec_lo, s21
.LBB7_34:                               ;   in Loop: Header=BB7_6 Depth=1
	s_or_b32 exec_lo, exec_lo, s20
	s_and_saveexec_b32 s20, s9
	s_cbranch_execz .LBB7_38
; %bb.35:                               ;   in Loop: Header=BB7_6 Depth=1
	v_add_nc_u32_e32 v2, v0, v38
	v_mov_b32_e32 v3, v25
	s_mov_b32 s21, 0
.LBB7_36:                               ;   Parent Loop BB7_6 Depth=1
                                        ; =>  This Inner Loop Header: Depth=2
	v_mul_lo_u32 v4, v5, s42
	v_mul_lo_u32 v35, v6, s43
	;; [unrolled: 1-line block ×4, first 2 shown]
	v_add_nc_u32_e32 v3, -4, v3
	v_add_nc_u32_e32 v8, 4, v8
	v_add_nc_u32_e32 v7, 4, v7
	;; [unrolled: 1-line block ×3, first 2 shown]
	v_add_co_u32 v37, s22, s40, v4
	v_add_co_ci_u32_e64 v38, null, s41, 0, s22
	v_add_co_u32 v39, s22, s40, v35
	v_add_co_ci_u32_e64 v40, null, s41, 0, s22
	;; [unrolled: 2-line block ×4, first 2 shown]
	s_clause 0x3
	global_load_ubyte v4, v[39:40], off
	global_load_ubyte v39, v[41:42], off
	;; [unrolled: 1-line block ×4, first 2 shown]
	v_cmp_eq_u32_e32 vcc_lo, 0, v3
	v_add_nc_u32_e32 v5, 4, v5
	s_or_b32 s21, vcc_lo, s21
	s_waitcnt vmcnt(2)
	v_perm_b32 v38, v4, v39, 0xc0c0004
	s_waitcnt vmcnt(1)
	v_perm_b32 v36, v36, v37, 0xc0c0007
	v_perm_b32 v4, v37, v4, 0xc0c0004
	s_waitcnt vmcnt(0)
	v_perm_b32 v37, v39, v35, 0xc0c0004
	v_lshl_or_b32 v36, v38, 16, v36
	v_lshl_or_b32 v4, v37, 16, v4
	ds_write_b32 v2, v36
	v_add_nc_u32_e32 v2, 4, v2
	v_mov_b32_e32 v36, v4
	s_andn2_b32 exec_lo, exec_lo, s21
	s_cbranch_execnz .LBB7_36
; %bb.37:                               ;   in Loop: Header=BB7_6 Depth=1
	s_or_b32 exec_lo, exec_lo, s21
.LBB7_38:                               ;   in Loop: Header=BB7_6 Depth=1
	s_or_b32 exec_lo, exec_lo, s20
	v_add_nc_u32_e32 v1, v1, v21
	v_mov_b32_e32 v3, v22
	s_orn2_b32 s20, s10, exec_lo
	v_add_nc_u32_e32 v2, -1, v1
.LBB7_39:                               ;   in Loop: Header=BB7_6 Depth=1
	s_or_b32 exec_lo, exec_lo, s6
	v_mov_b32_e32 v4, s18
	s_waitcnt vmcnt(0)
	v_mov_b32_e32 v5, v35
	s_and_b32 s6, s20, exec_lo
	s_andn2_saveexec_b32 s19, s19
	s_cbranch_execz .LBB7_25
.LBB7_40:                               ;   in Loop: Header=BB7_6 Depth=1
	v_mov_b32_e32 v4, s18
	s_waitcnt vmcnt(0)
	v_mov_b32_e32 v5, v35
	v_mov_b32_e32 v3, v0
	s_or_b32 s6, s6, exec_lo
	s_or_b32 exec_lo, exec_lo, s19
	s_and_saveexec_b32 s18, s6
	s_cbranch_execz .LBB7_44
.LBB7_41:                               ;   in Loop: Header=BB7_6 Depth=1
	v_mul_lo_u32 v2, s42, v1
	s_mov_b32 s19, 0
	s_sub_i32 s6, 0, s17
.LBB7_42:                               ;   Parent Loop BB7_6 Depth=1
                                        ; =>  This Inner Loop Header: Depth=2
	global_load_ubyte v35, v2, s[40:41]
	v_mov_b32_e32 v6, v1
	ds_write_b8 v3, v5
	v_add_nc_u32_e32 v2, v2, v4
	v_add_nc_u32_e32 v1, s17, v6
	v_mov_b32_e32 v3, v6
	v_cmp_le_u32_e32 vcc_lo, s36, v1
	s_or_b32 s19, vcc_lo, s19
	s_waitcnt vmcnt(0)
	v_mov_b32_e32 v5, v35
	s_andn2_b32 exec_lo, exec_lo, s19
	s_cbranch_execnz .LBB7_42
; %bb.43:                               ;   in Loop: Header=BB7_6 Depth=1
	s_or_b32 exec_lo, exec_lo, s19
	v_add_nc_u32_e32 v2, s6, v1
.LBB7_44:                               ;   in Loop: Header=BB7_6 Depth=1
	s_or_b32 exec_lo, exec_lo, s18
.LBB7_45:                               ;   in Loop: Header=BB7_6 Depth=1
	s_or_b32 exec_lo, exec_lo, s16
	s_waitcnt vmcnt(0)
	ds_write_b8 v2, v35
.LBB7_46:                               ;   in Loop: Header=BB7_6 Depth=1
	s_or_b32 exec_lo, exec_lo, s14
	s_waitcnt lgkmcnt(0)
	s_barrier
	buffer_gl0_inv
	s_and_saveexec_b32 s6, s3
; %bb.47:                               ;   in Loop: Header=BB7_6 Depth=1
	v_mov_b32_e32 v1, s36
	ds_write_b32 v19, v1 offset:4096
; %bb.48:                               ;   in Loop: Header=BB7_6 Depth=1
	s_or_b32 exec_lo, exec_lo, s6
	s_mov_b32 s6, -1
	s_waitcnt lgkmcnt(0)
	s_barrier
.LBB7_49:                               ;   in Loop: Header=BB7_6 Depth=1
	s_and_b32 vcc_lo, exec_lo, s6
	s_mov_b32 s88, 0
	s_cbranch_vccz .LBB7_51
; %bb.50:                               ;   in Loop: Header=BB7_6 Depth=1
	buffer_gl0_inv
	ds_read_b32 v1, v19 offset:4096
	s_waitcnt lgkmcnt(0)
	v_readfirstlane_b32 s88, v1
.LBB7_51:                               ;   in Loop: Header=BB7_6 Depth=1
	s_cmp_lt_i32 s88, 1
	s_mov_b32 s6, -1
                                        ; implicit-def: $vgpr4
	s_cbranch_scc1 .LBB7_61
; %bb.52:                               ;   in Loop: Header=BB7_6 Depth=1
	s_and_b32 vcc_lo, exec_lo, s6
	s_cbranch_vccnz .LBB7_72
.LBB7_53:                               ;   in Loop: Header=BB7_6 Depth=1
	s_lshl_b32 s6, s77, 7
	s_and_saveexec_b32 s14, s0
.LBB7_54:                               ;   in Loop: Header=BB7_6 Depth=1
	v_lshl_add_u32 v5, s6, 2, v20
	ds_write_b128 v5, v[1:4]
.LBB7_55:                               ;   in Loop: Header=BB7_6 Depth=1
	s_or_b32 exec_lo, exec_lo, s14
	s_waitcnt lgkmcnt(0)
	s_barrier
	buffer_gl0_inv
	s_and_saveexec_b32 s14, s62
	s_cbranch_execz .LBB7_85
; %bb.56:                               ;   in Loop: Header=BB7_6 Depth=1
	v_mov_b32_e32 v1, 0
	s_andn2_b32 vcc_lo, exec_lo, s64
	s_cbranch_vccnz .LBB7_84
; %bb.57:                               ;   in Loop: Header=BB7_6 Depth=1
	s_andn2_b32 vcc_lo, exec_lo, s67
	s_cbranch_vccnz .LBB7_81
; %bb.58:                               ;   in Loop: Header=BB7_6 Depth=1
	v_lshl_add_u32 v2, s77, 9, v30
	v_mov_b32_e32 v1, 0
	s_mov_b32 s16, 0
	.p2align	6
.LBB7_59:                               ;   Parent Loop BB7_6 Depth=1
                                        ; =>  This Inner Loop Header: Depth=2
	ds_read2_b32 v[3:4], v2 offset1:4
	ds_read2_b32 v[5:6], v2 offset0:8 offset1:12
	ds_read2_b32 v[7:8], v2 offset0:16 offset1:20
	;; [unrolled: 1-line block ×3, first 2 shown]
	v_add_nc_u32_e32 v2, 0x80, v2
	s_add_i32 s16, s16, 8
	s_cmp_eq_u32 s61, s16
	s_waitcnt lgkmcnt(3)
	v_add3_u32 v1, v3, v1, v4
	s_waitcnt lgkmcnt(2)
	v_add3_u32 v1, v5, v1, v6
	;; [unrolled: 2-line block ×4, first 2 shown]
	s_cbranch_scc0 .LBB7_59
; %bb.60:                               ;   in Loop: Header=BB7_6 Depth=1
	s_mov_b32 s16, s61
	s_andn2_b32 vcc_lo, exec_lo, s68
	s_cbranch_vccz .LBB7_82
	s_branch .LBB7_84
.LBB7_61:                               ;   in Loop: Header=BB7_6 Depth=1
	v_mov_b32_e32 v1, 0
	v_mov_b32_e32 v2, 0
	;; [unrolled: 1-line block ×4, first 2 shown]
	s_and_saveexec_b32 s89, s11
	s_cbranch_execz .LBB7_65
; %bb.62:                               ;   in Loop: Header=BB7_6 Depth=1
	v_mov_b32_e32 v5, v17
	s_mov_b32 s90, 0
	s_mov_b32 s91, 0
	;; [unrolled: 1-line block ×6, first 2 shown]
.LBB7_63:                               ;   Parent Loop BB7_6 Depth=1
                                        ; =>  This Inner Loop Header: Depth=2
	v_add_nc_u32_e32 v1, s91, v28
	v_add_nc_u32_e32 v2, s91, v13
	;; [unrolled: 1-line block ×5, first 2 shown]
	s_clause 0x3
	global_load_ubyte v1, v1, s[40:41]
	global_load_ubyte v2, v2, s[40:41]
	;; [unrolled: 1-line block ×4, first 2 shown]
	s_add_i32 s91, s91, s76
	v_cmp_le_u32_e32 vcc_lo, s73, v5
	s_waitcnt vmcnt(3)
	v_and_b32_e32 v6, v32, v1
	v_bfe_u32 v1, v1, s81, 2
	s_waitcnt vmcnt(2)
	v_and_b32_e32 v7, v32, v2
	v_bfe_u32 v2, v2, s81, 2
	s_waitcnt vmcnt(1)
	v_and_b32_e32 v8, v32, v3
	v_bfe_u32 v3, v3, s81, 2
	v_cmp_eq_u32_e64 s6, v6, v14
	v_cmp_eq_u32_e64 s18, 0, v1
	s_waitcnt vmcnt(0)
	v_and_b32_e32 v35, v32, v4
	v_bfe_u32 v4, v4, s81, 2
	v_cmp_eq_u32_e64 s14, v7, v14
	v_cmp_eq_u32_e64 s19, 0, v2
	;; [unrolled: 1-line block ×4, first 2 shown]
	s_and_b32 s18, s6, s18
	v_cmp_eq_u32_e64 s17, v35, v14
	v_cmp_eq_u32_e64 s21, 0, v4
	;; [unrolled: 1-line block ×5, first 2 shown]
	v_cndmask_b32_e64 v1, 0, 1, s18
	s_and_b32 s18, s14, s19
	v_cmp_eq_u32_e64 s23, 1, v2
	v_cmp_eq_u32_e64 s27, 2, v2
	v_cmp_eq_u32_e64 s31, 3, v2
	v_cndmask_b32_e64 v2, 0, 1, s18
	s_and_b32 s18, s16, s20
	v_cmp_eq_u32_e64 s24, 1, v3
	v_cmp_eq_u32_e64 s28, 2, v3
	v_cmp_eq_u32_e64 s33, 3, v3
	;; [unrolled: 5-line block ×3, first 2 shown]
	v_cndmask_b32_e64 v4, 0, 1, s18
	s_and_b32 s18, s6, s22
	v_cndmask_b32_e64 v6, 0, 1, s18
	s_and_b32 s18, s14, s23
	;; [unrolled: 2-line block ×4, first 2 shown]
	v_cmp_ne_u32_e64 s19, 0, v7
	v_cndmask_b32_e64 v35, 0, 1, s18
	s_and_b32 s18, s6, s26
	s_and_b32 s6, s6, s30
	v_cndmask_b32_e64 v36, 0, 1, s18
	s_and_b32 s18, s14, s27
	v_cndmask_b32_e64 v40, 0, 1, s6
	;; [unrolled: 2-line block ×7, first 2 shown]
	v_cndmask_b32_e64 v43, 0, 1, s6
	v_cmp_ne_u32_e64 s6, 0, v1
	v_cmp_ne_u32_e64 s18, 0, v6
	;; [unrolled: 1-line block ×11, first 2 shown]
	s_bcnt1_i32_b32 s6, s6
	s_bcnt1_i32_b32 s18, s18
	;; [unrolled: 1-line block ×4, first 2 shown]
	v_cmp_ne_u32_e64 s17, 0, v4
	v_cmp_ne_u32_e64 s21, 0, v35
	;; [unrolled: 1-line block ×4, first 2 shown]
	s_bcnt1_i32_b32 s14, s14
	s_bcnt1_i32_b32 s19, s19
	s_bcnt1_i32_b32 s23, s23
	s_bcnt1_i32_b32 s27, s27
	s_add_i32 s6, s6, s95
	s_add_i32 s18, s18, s94
	s_add_i32 s22, s22, s93
	s_add_i32 s26, s26, s92
	s_bcnt1_i32_b32 s16, s16
	s_bcnt1_i32_b32 s20, s20
	s_bcnt1_i32_b32 s24, s24
	s_bcnt1_i32_b32 s28, s28
	s_add_i32 s6, s6, s14
	s_add_i32 s14, s18, s19
	s_add_i32 s18, s22, s23
	s_add_i32 s19, s26, s27
	;; [unrolled: 8-line block ×3, first 2 shown]
	s_add_i32 s95, s6, s17
	s_add_i32 s94, s14, s21
	;; [unrolled: 1-line block ×4, first 2 shown]
	v_mov_b32_e32 v1, s95
	v_mov_b32_e32 v2, s94
	;; [unrolled: 1-line block ×4, first 2 shown]
	s_or_b32 s90, vcc_lo, s90
	s_andn2_b32 exec_lo, exec_lo, s90
	s_cbranch_execnz .LBB7_63
; %bb.64:                               ;   in Loop: Header=BB7_6 Depth=1
	s_or_b32 exec_lo, exec_lo, s90
.LBB7_65:                               ;   in Loop: Header=BB7_6 Depth=1
	s_or_b32 exec_lo, exec_lo, s89
	s_and_saveexec_b32 s18, s12
	s_cbranch_execz .LBB7_71
; %bb.66:                               ;   in Loop: Header=BB7_6 Depth=1
	global_load_ubyte v8, v[11:12], off
	v_mov_b32_e32 v5, v29
	v_mov_b32_e32 v6, v24
	s_mov_b32 s19, 0
	s_branch .LBB7_68
.LBB7_67:                               ;   in Loop: Header=BB7_68 Depth=2
	s_or_b32 exec_lo, exec_lo, s14
	s_waitcnt vmcnt(0)
	v_and_b32_e32 v8, 0xff, v8
	s_and_b32 s14, exec_lo, vcc_lo
	v_add_nc_u32_e32 v5, s52, v5
	s_or_b32 s19, s14, s19
	v_and_b32_e32 v35, v32, v8
	v_bfe_u32 v8, v8, s81, 2
	v_cmp_eq_u32_e32 vcc_lo, v35, v14
	v_cmp_eq_u32_e64 s6, 0, v8
	v_cmp_eq_u32_e64 s14, 1, v8
	;; [unrolled: 1-line block ×4, first 2 shown]
	s_and_b32 s6, vcc_lo, s6
	v_cndmask_b32_e64 v8, 0, 1, s6
	s_and_b32 s6, vcc_lo, s14
	v_cndmask_b32_e64 v35, 0, 1, s6
	;; [unrolled: 2-line block ×3, first 2 shown]
	s_and_b32 s6, vcc_lo, s17
	v_cmp_ne_u32_e32 vcc_lo, 0, v8
	v_cndmask_b32_e64 v37, 0, 1, s6
	v_cmp_ne_u32_e64 s6, 0, v35
	v_cmp_ne_u32_e64 s14, 0, v36
	v_mov_b32_e32 v8, v7
	s_bcnt1_i32_b32 s17, vcc_lo
	v_cmp_ne_u32_e64 s16, 0, v37
	s_bcnt1_i32_b32 s6, s6
	s_bcnt1_i32_b32 s14, s14
	v_add_nc_u32_e32 v1, s17, v1
	v_add_nc_u32_e32 v2, s6, v2
	s_bcnt1_i32_b32 s16, s16
	v_add_nc_u32_e32 v3, s14, v3
	v_add_nc_u32_e32 v4, s16, v4
	s_andn2_b32 exec_lo, exec_lo, s19
	s_cbranch_execz .LBB7_70
.LBB7_68:                               ;   Parent Loop BB7_6 Depth=1
                                        ; =>  This Inner Loop Header: Depth=2
	v_add_nc_u32_e32 v6, s35, v6
	v_mov_b32_e32 v7, 0
	s_mov_b32 s14, exec_lo
	v_cmp_le_u32_e32 vcc_lo, s36, v6
	v_cmpx_gt_u32_e64 s36, v6
	s_cbranch_execz .LBB7_67
; %bb.69:                               ;   in Loop: Header=BB7_68 Depth=2
	global_load_ubyte v7, v5, s[40:41]
	s_branch .LBB7_67
.LBB7_70:                               ;   in Loop: Header=BB7_6 Depth=1
	s_or_b32 exec_lo, exec_lo, s19
.LBB7_71:                               ;   in Loop: Header=BB7_6 Depth=1
	s_or_b32 exec_lo, exec_lo, s18
	s_branch .LBB7_53
.LBB7_72:                               ;   in Loop: Header=BB7_6 Depth=1
	s_mul_hi_u32 s6, s88, s69
	v_mov_b32_e32 v1, 0
	s_mul_i32 s6, s6, s60
	v_mov_b32_e32 v2, 0
	s_sub_i32 s6, s88, s6
	v_mov_b32_e32 v3, 0
	s_sub_i32 s14, s6, s60
	s_cmp_ge_u32 s6, s60
	v_mov_b32_e32 v4, 0
	s_cselect_b32 s6, s14, s6
	s_mov_b32 s90, exec_lo
	s_sub_i32 s14, s6, s60
	s_cmp_ge_u32 s6, s60
	s_cselect_b32 s6, s14, s6
	s_sub_i32 s89, s88, s6
	v_cmpx_gt_u32_e64 s89, v17
	s_cbranch_execz .LBB7_76
; %bb.73:                               ;   in Loop: Header=BB7_6 Depth=1
	v_mov_b32_e32 v5, v17
	s_mov_b32 s91, 0
	s_mov_b32 s92, 0
	;; [unrolled: 1-line block ×5, first 2 shown]
.LBB7_74:                               ;   Parent Loop BB7_6 Depth=1
                                        ; =>  This Inner Loop Header: Depth=2
	ds_read_b32 v1, v5
	v_add_nc_u32_e32 v5, s60, v5
	v_cmp_le_u32_e32 vcc_lo, s89, v5
	s_waitcnt lgkmcnt(0)
	v_and_b32_e32 v2, 0xff, v1
	v_bfe_u32 v3, v1, 8, 8
	v_bfe_u32 v4, v1, 16, 8
	v_lshrrev_b32_e32 v1, 24, v1
	v_and_b32_e32 v6, v32, v2
	v_bfe_u32 v2, v2, s81, 2
	v_and_b32_e32 v7, v32, v3
	v_bfe_u32 v3, v3, s81, 2
	;; [unrolled: 2-line block ×3, first 2 shown]
	v_cmp_eq_u32_e64 s6, v6, v14
	v_cmp_eq_u32_e64 s18, 0, v2
	v_and_b32_e32 v35, v32, v1
	v_bfe_u32 v1, v1, s81, 2
	v_cmp_eq_u32_e64 s14, v7, v14
	v_cmp_eq_u32_e64 s19, 0, v3
	;; [unrolled: 1-line block ×4, first 2 shown]
	s_and_b32 s18, s6, s18
	v_cmp_eq_u32_e64 s17, v35, v14
	v_cmp_eq_u32_e64 s21, 0, v1
	;; [unrolled: 1-line block ×5, first 2 shown]
	v_cndmask_b32_e64 v1, 0, 1, s18
	s_and_b32 s18, s14, s19
	v_cmp_eq_u32_e64 s22, 1, v2
	v_cmp_eq_u32_e64 s26, 2, v2
	v_cmp_eq_u32_e64 s30, 3, v2
	v_cndmask_b32_e64 v2, 0, 1, s18
	s_and_b32 s18, s16, s20
	v_cmp_eq_u32_e64 s23, 1, v3
	v_cmp_eq_u32_e64 s27, 2, v3
	v_cmp_eq_u32_e64 s31, 3, v3
	;; [unrolled: 5-line block ×3, first 2 shown]
	v_cndmask_b32_e64 v4, 0, 1, s18
	s_and_b32 s18, s6, s22
	v_cndmask_b32_e64 v6, 0, 1, s18
	s_and_b32 s18, s14, s23
	;; [unrolled: 2-line block ×4, first 2 shown]
	v_cmp_ne_u32_e64 s19, 0, v7
	v_cndmask_b32_e64 v35, 0, 1, s18
	s_and_b32 s18, s6, s26
	s_and_b32 s6, s6, s30
	v_cndmask_b32_e64 v36, 0, 1, s18
	s_and_b32 s18, s14, s27
	v_cndmask_b32_e64 v40, 0, 1, s6
	;; [unrolled: 2-line block ×7, first 2 shown]
	v_cndmask_b32_e64 v43, 0, 1, s6
	v_cmp_ne_u32_e64 s6, 0, v1
	v_cmp_ne_u32_e64 s18, 0, v6
	;; [unrolled: 1-line block ×11, first 2 shown]
	s_bcnt1_i32_b32 s6, s6
	s_bcnt1_i32_b32 s18, s18
	;; [unrolled: 1-line block ×4, first 2 shown]
	v_cmp_ne_u32_e64 s17, 0, v4
	v_cmp_ne_u32_e64 s21, 0, v35
	v_cmp_ne_u32_e64 s25, 0, v39
	v_cmp_ne_u32_e64 s29, 0, v43
	s_bcnt1_i32_b32 s14, s14
	s_bcnt1_i32_b32 s19, s19
	s_bcnt1_i32_b32 s23, s23
	s_bcnt1_i32_b32 s27, s27
	s_add_i32 s6, s6, s95
	s_add_i32 s18, s18, s94
	s_add_i32 s22, s22, s93
	s_add_i32 s26, s26, s92
	s_bcnt1_i32_b32 s16, s16
	s_bcnt1_i32_b32 s20, s20
	s_bcnt1_i32_b32 s24, s24
	s_bcnt1_i32_b32 s28, s28
	s_add_i32 s6, s6, s14
	s_add_i32 s14, s18, s19
	s_add_i32 s18, s22, s23
	s_add_i32 s19, s26, s27
	s_bcnt1_i32_b32 s17, s17
	s_bcnt1_i32_b32 s21, s21
	s_bcnt1_i32_b32 s25, s25
	s_bcnt1_i32_b32 s29, s29
	s_add_i32 s6, s6, s16
	s_add_i32 s14, s14, s20
	s_add_i32 s16, s18, s24
	s_add_i32 s18, s19, s28
	s_add_i32 s95, s6, s17
	s_add_i32 s94, s14, s21
	;; [unrolled: 1-line block ×4, first 2 shown]
	v_mov_b32_e32 v1, s95
	v_mov_b32_e32 v2, s94
	;; [unrolled: 1-line block ×4, first 2 shown]
	s_or_b32 s91, vcc_lo, s91
	s_andn2_b32 exec_lo, exec_lo, s91
	s_cbranch_execnz .LBB7_74
; %bb.75:                               ;   in Loop: Header=BB7_6 Depth=1
	s_or_b32 exec_lo, exec_lo, s91
.LBB7_76:                               ;   in Loop: Header=BB7_6 Depth=1
	s_or_b32 exec_lo, exec_lo, s90
	v_add_nc_u32_e32 v5, s89, v0
	s_mov_b32 s19, exec_lo
	v_cmpx_gt_u32_e64 s88, v5
	s_cbranch_execz .LBB7_80
; %bb.77:                               ;   in Loop: Header=BB7_6 Depth=1
	s_mov_b32 s20, 0
	s_inst_prefetch 0x1
	.p2align	6
.LBB7_78:                               ;   Parent Loop BB7_6 Depth=1
                                        ; =>  This Inner Loop Header: Depth=2
	ds_read_u8 v6, v5
	v_add_nc_u32_e32 v5, s35, v5
	v_cmp_le_u32_e32 vcc_lo, s88, v5
	s_waitcnt lgkmcnt(0)
	v_and_b32_e32 v7, v32, v6
	v_bfe_u32 v6, v6, s81, 2
	v_cmp_eq_u32_e64 s6, v7, v14
	v_cmp_eq_u32_e64 s14, 0, v6
	;; [unrolled: 1-line block ×5, first 2 shown]
	s_and_b32 s14, s6, s14
	v_cndmask_b32_e64 v6, 0, 1, s14
	s_and_b32 s14, s6, s16
	v_cndmask_b32_e64 v7, 0, 1, s14
	s_and_b32 s14, s6, s17
	s_and_b32 s6, s6, s18
	v_cndmask_b32_e64 v8, 0, 1, s14
	v_cndmask_b32_e64 v35, 0, 1, s6
	v_cmp_ne_u32_e64 s6, 0, v6
	v_cmp_ne_u32_e64 s14, 0, v7
	;; [unrolled: 1-line block ×4, first 2 shown]
	s_bcnt1_i32_b32 s6, s6
	s_bcnt1_i32_b32 s14, s14
	v_add_nc_u32_e32 v1, s6, v1
	s_bcnt1_i32_b32 s16, s16
	s_bcnt1_i32_b32 s17, s17
	v_add_nc_u32_e32 v2, s14, v2
	v_add_nc_u32_e32 v3, s16, v3
	;; [unrolled: 1-line block ×3, first 2 shown]
	s_or_b32 s20, vcc_lo, s20
	s_andn2_b32 exec_lo, exec_lo, s20
	s_cbranch_execnz .LBB7_78
; %bb.79:                               ;   in Loop: Header=BB7_6 Depth=1
	s_inst_prefetch 0x2
	s_or_b32 exec_lo, exec_lo, s20
.LBB7_80:                               ;   in Loop: Header=BB7_6 Depth=1
	s_or_b32 exec_lo, exec_lo, s19
	s_lshl_b32 s6, s77, 7
	s_and_saveexec_b32 s14, s0
	s_cbranch_execnz .LBB7_54
	s_branch .LBB7_55
.LBB7_81:                               ;   in Loop: Header=BB7_6 Depth=1
	v_mov_b32_e32 v1, 0
	s_mov_b32 s16, 0
	s_andn2_b32 vcc_lo, exec_lo, s68
	s_cbranch_vccnz .LBB7_84
.LBB7_82:                               ;   in Loop: Header=BB7_6 Depth=1
	s_lshl_b32 s17, s77, 9
	s_lshl_b32 s16, s16, 4
	v_add3_u32 v2, s17, s16, v30
	s_mov_b32 s16, s66
.LBB7_83:                               ;   Parent Loop BB7_6 Depth=1
                                        ; =>  This Inner Loop Header: Depth=2
	ds_read_b32 v3, v2
	v_add_nc_u32_e32 v2, 16, v2
	s_add_i32 s16, s16, -1
	s_cmp_lg_u32 s16, 0
	s_waitcnt lgkmcnt(0)
	v_add_nc_u32_e32 v1, v3, v1
	s_cbranch_scc1 .LBB7_83
.LBB7_84:                               ;   in Loop: Header=BB7_6 Depth=1
	v_add_lshl_u32 v2, s6, v16, 2
	ds_write_b32 v2, v1 offset:3072
.LBB7_85:                               ;   in Loop: Header=BB7_6 Depth=1
	s_or_b32 exec_lo, exec_lo, s14
	s_lshl_b32 s6, s6, 2
	s_waitcnt lgkmcnt(0)
	v_mov_b32_e32 v1, s6
	s_barrier
	buffer_gl0_inv
	v_cmp_eq_u32_e64 s14, 1, v34
	s_lshl_b32 s18, 3, s81
	ds_read_b128 v[1:4], v1 offset:3072
	s_mov_b32 s27, -1
	s_not_b32 s19, s18
	s_mov_b32 s16, 0
	s_andn2_b32 vcc_lo, exec_lo, s59
	s_mov_b32 s24, 0
	s_mov_b32 s23, 0
                                        ; implicit-def: $sgpr25
                                        ; implicit-def: $sgpr26
                                        ; implicit-def: $vgpr5
	s_waitcnt lgkmcnt(0)
	v_readfirstlane_b32 s17, v1
	v_readfirstlane_b32 s20, v2
	;; [unrolled: 1-line block ×4, first 2 shown]
                                        ; implicit-def: $vgpr4
                                        ; implicit-def: $vgpr1
                                        ; implicit-def: $vgpr2
                                        ; implicit-def: $vgpr3
	s_cbranch_vccnz .LBB7_243
; %bb.86:                               ;   in Loop: Header=BB7_6 Depth=1
	s_cmp_eq_u32 s17, 1
	v_mov_b32_e32 v2, v14
	v_mov_b32_e32 v3, v32
	v_mov_b32_e32 v5, v33
	s_cselect_b32 s6, -1, 0
	s_mov_b32 s29, -1
	s_and_b32 s6, s6, s14
                                        ; implicit-def: $sgpr26
                                        ; implicit-def: $sgpr25
	s_and_saveexec_b32 s23, s6
	s_cbranch_execz .LBB7_112
; %bb.87:                               ;   in Loop: Header=BB7_6 Depth=1
	ds_read_b32 v1, v19 offset:4096
	s_waitcnt lgkmcnt(0)
	s_barrier
	buffer_gl0_inv
	v_readfirstlane_b32 s27, v1
	s_and_saveexec_b32 s24, s15
; %bb.88:                               ;   in Loop: Header=BB7_6 Depth=1
	ds_write_b8 v0, v19 offset:3072
; %bb.89:                               ;   in Loop: Header=BB7_6 Depth=1
	s_or_b32 exec_lo, exec_lo, s24
	v_and_b32_e32 v2, s19, v14
	v_or_b32_e32 v3, s18, v32
	s_mov_b32 s25, -1
	s_mov_b32 s26, 0
	s_cmp_eq_u32 s27, 0
	s_mov_b32 s24, 0
	s_mov_b32 s28, -1
	s_waitcnt lgkmcnt(0)
	s_barrier
	buffer_gl0_inv
                                        ; implicit-def: $vgpr5
	s_cbranch_scc1 .LBB7_100
; %bb.90:                               ;   in Loop: Header=BB7_6 Depth=1
	s_add_i32 s24, s27, s65
                                        ; implicit-def: $vgpr5
	s_mul_hi_u32 s28, s24, s72
	s_mul_i32 s28, s28, s35
	s_sub_i32 s28, s24, s28
	s_sub_i32 s29, s28, s35
	s_cmp_ge_u32 s28, s35
	s_cselect_b32 s28, s29, s28
	s_sub_i32 s29, s28, s35
	s_cmp_ge_u32 s28, s35
	s_cselect_b32 s28, s29, s28
	s_mov_b32 s29, exec_lo
	s_sub_i32 s30, s24, s28
	s_mov_b32 s28, 0
	s_mov_b32 s24, 0
	v_cmpx_gt_u32_e64 s30, v0
	s_cbranch_execz .LBB7_99
; %bb.91:                               ;   in Loop: Header=BB7_6 Depth=1
	v_mov_b32_e32 v1, v0
                                        ; implicit-def: $sgpr31
	s_inst_prefetch 0x1
	s_branch .LBB7_94
	.p2align	6
.LBB7_92:                               ;   in Loop: Header=BB7_94 Depth=2
	s_or_b32 exec_lo, exec_lo, s33
	s_waitcnt lgkmcnt(0)
	s_barrier
	buffer_gl0_inv
	ds_read_u16 v4, v19 offset:3072
	s_mov_b32 s34, -1
	s_waitcnt lgkmcnt(0)
	s_barrier
	buffer_gl0_inv
	v_cmp_ne_u32_sdwa s33, v4, v19 src0_sel:BYTE_0 src1_sel:DWORD
	s_and_b32 vcc_lo, exec_lo, s33
	s_mov_b32 s33, -1
	s_cbranch_vccz .LBB7_97
.LBB7_93:                               ;   in Loop: Header=BB7_94 Depth=2
	s_and_b32 s34, exec_lo, s34
	s_or_b32 s24, s34, s24
	s_andn2_b32 s31, s31, exec_lo
	s_and_b32 s33, s33, exec_lo
	s_or_b32 s31, s31, s33
	s_andn2_b32 exec_lo, exec_lo, s24
	s_cbranch_execz .LBB7_98
.LBB7_94:                               ;   Parent Loop BB7_6 Depth=1
                                        ; =>  This Inner Loop Header: Depth=2
	s_mov_b32 s33, exec_lo
	v_cmpx_gt_u32_e64 s27, v1
	s_cbranch_execz .LBB7_92
; %bb.95:                               ;   in Loop: Header=BB7_94 Depth=2
	ds_read_u8 v4, v1
	s_waitcnt lgkmcnt(0)
	v_and_b32_e32 v5, v4, v3
	v_cmp_eq_u32_sdwa s34, v5, v2 src0_sel:BYTE_0 src1_sel:DWORD
	s_and_b32 exec_lo, exec_lo, s34
	s_cbranch_execz .LBB7_92
; %bb.96:                               ;   in Loop: Header=BB7_94 Depth=2
	v_lshlrev_b16 v4, 8, v4
	v_or_b32_e32 v4, 1, v4
	ds_write_b16 v19, v4 offset:3072
	s_branch .LBB7_92
	.p2align	6
.LBB7_97:                               ;   in Loop: Header=BB7_94 Depth=2
	v_add_nc_u32_e32 v1, s35, v1
	s_mov_b32 s33, 0
	v_cmp_le_u32_e32 vcc_lo, s30, v1
	s_orn2_b32 s34, vcc_lo, exec_lo
	s_branch .LBB7_93
.LBB7_98:                               ;   in Loop: Header=BB7_6 Depth=1
	s_inst_prefetch 0x2
	s_or_b32 exec_lo, exec_lo, s24
	v_lshrrev_b32_sdwa v5, v31, v4 dst_sel:DWORD dst_unused:UNUSED_PAD src0_sel:DWORD src1_sel:WORD_0
	s_and_b32 s24, s31, exec_lo
.LBB7_99:                               ;   in Loop: Header=BB7_6 Depth=1
	s_or_b32 exec_lo, exec_lo, s29
.LBB7_100:                              ;   in Loop: Header=BB7_6 Depth=1
	s_and_b32 vcc_lo, exec_lo, s28
	s_cbranch_vccz .LBB7_111
; %bb.101:                              ;   in Loop: Header=BB7_6 Depth=1
                                        ; implicit-def: $vgpr5
	s_and_saveexec_b32 s25, s13
	s_cbranch_execz .LBB7_110
; %bb.102:                              ;   in Loop: Header=BB7_6 Depth=1
	v_mov_b32_e32 v1, v18
	v_mov_b32_e32 v4, v0
	s_mov_b32 s26, 0
                                        ; implicit-def: $sgpr27
	s_inst_prefetch 0x1
	s_branch .LBB7_105
	.p2align	6
.LBB7_103:                              ;   in Loop: Header=BB7_105 Depth=2
	s_or_b32 exec_lo, exec_lo, s28
	s_waitcnt lgkmcnt(0)
	s_barrier
	buffer_gl0_inv
	ds_read_u16 v5, v19 offset:3072
	s_mov_b32 s28, -1
	s_waitcnt lgkmcnt(0)
	s_barrier
	buffer_gl0_inv
	v_cmp_ne_u32_sdwa s29, v5, v19 src0_sel:BYTE_0 src1_sel:DWORD
	s_and_b32 vcc_lo, exec_lo, s29
	s_mov_b32 s29, -1
	s_cbranch_vccz .LBB7_108
.LBB7_104:                              ;   in Loop: Header=BB7_105 Depth=2
	s_and_b32 s28, exec_lo, s28
	s_or_b32 s26, s28, s26
	s_andn2_b32 s27, s27, exec_lo
	s_and_b32 s28, s29, exec_lo
	s_or_b32 s27, s27, s28
	s_andn2_b32 exec_lo, exec_lo, s26
	s_cbranch_execz .LBB7_109
.LBB7_105:                              ;   Parent Loop BB7_6 Depth=1
                                        ; =>  This Inner Loop Header: Depth=2
	s_mov_b32 s28, exec_lo
	v_cmpx_gt_u32_e64 s36, v4
	s_cbranch_execz .LBB7_103
; %bb.106:                              ;   in Loop: Header=BB7_105 Depth=2
	global_load_ubyte v5, v1, s[40:41]
	s_waitcnt vmcnt(0)
	v_and_b32_e32 v6, v5, v3
	v_cmp_eq_u32_sdwa s29, v6, v2 src0_sel:BYTE_0 src1_sel:DWORD
	s_and_b32 exec_lo, exec_lo, s29
	s_cbranch_execz .LBB7_103
; %bb.107:                              ;   in Loop: Header=BB7_105 Depth=2
	v_lshlrev_b16 v5, 8, v5
	v_or_b32_e32 v5, 1, v5
	ds_write_b16 v19, v5 offset:3072
	s_branch .LBB7_103
.LBB7_108:                              ;   in Loop: Header=BB7_105 Depth=2
	v_add_nc_u32_e32 v4, s35, v4
	v_add_nc_u32_e32 v1, s52, v1
	s_mov_b32 s29, 0
	v_cmp_le_u32_e32 vcc_lo, s74, v4
	s_orn2_b32 s28, vcc_lo, exec_lo
	s_branch .LBB7_104
.LBB7_109:                              ;   in Loop: Header=BB7_6 Depth=1
	s_inst_prefetch 0x2
	s_or_b32 exec_lo, exec_lo, s26
	v_lshrrev_b32_sdwa v5, v31, v5 dst_sel:DWORD dst_unused:UNUSED_PAD src0_sel:DWORD src1_sel:WORD_0
	s_andn2_b32 s24, s24, exec_lo
	s_and_b32 s26, s27, exec_lo
	s_or_b32 s24, s24, s26
.LBB7_110:                              ;   in Loop: Header=BB7_6 Depth=1
	s_or_b32 exec_lo, exec_lo, s25
	s_mov_b32 s25, 0
	s_mov_b32 s26, -1
.LBB7_111:                              ;   in Loop: Header=BB7_6 Depth=1
	s_orn2_b32 s29, s24, exec_lo
.LBB7_112:                              ;   in Loop: Header=BB7_6 Depth=1
	s_or_b32 exec_lo, exec_lo, s23
	s_mov_b32 s27, 0
	s_mov_b32 s24, 0
	;; [unrolled: 1-line block ×3, first 2 shown]
                                        ; implicit-def: $vgpr4
                                        ; implicit-def: $vgpr1
	s_and_saveexec_b32 s28, s29
	s_cbranch_execz .LBB7_242
; %bb.113:                              ;   in Loop: Header=BB7_6 Depth=1
	v_mov_b32_e32 v4, 1
	v_mov_b32_e32 v1, 1
	s_xor_b32 s23, s6, -1
	s_mov_b32 s30, 0
	s_and_saveexec_b32 s6, s23
	s_cbranch_execz .LBB7_122
; %bb.114:                              ;   in Loop: Header=BB7_6 Depth=1
	s_mov_b32 s23, exec_lo
	v_cmpx_ge_u32_e64 s17, v34
	s_xor_b32 s23, exec_lo, s23
	s_cbranch_execz .LBB7_119
; %bb.115:                              ;   in Loop: Header=BB7_6 Depth=1
	ds_read_b32 v1, v19 offset:4096
	v_and_b32_e32 v2, s19, v2
	v_or_b32_e32 v3, s18, v3
	s_waitcnt lgkmcnt(0)
	v_cmp_ne_u32_e32 vcc_lo, 0, v1
	s_cbranch_vccnz .LBB7_119
; %bb.116:                              ;   in Loop: Header=BB7_6 Depth=1
	s_and_saveexec_b32 s24, s3
; %bb.117:                              ;   in Loop: Header=BB7_6 Depth=1
	v_mov_b32_e32 v1, s17
	ds_write_b32 v19, v1 offset:4100
; %bb.118:                              ;   in Loop: Header=BB7_6 Depth=1
	s_or_b32 exec_lo, exec_lo, s24
	s_waitcnt lgkmcnt(0)
	s_barrier
	buffer_gl0_inv
.LBB7_119:                              ;   in Loop: Header=BB7_6 Depth=1
	s_or_saveexec_b32 s23, s23
	v_mov_b32_e32 v1, 8
	v_mov_b32_e32 v4, v34
	s_mov_b32 s24, 0
	s_xor_b32 exec_lo, exec_lo, s23
; %bb.120:                              ;   in Loop: Header=BB7_6 Depth=1
	v_subrev_nc_u32_e32 v4, s17, v34
	v_mov_b32_e32 v1, 0
	s_mov_b32 s24, exec_lo
; %bb.121:                              ;   in Loop: Header=BB7_6 Depth=1
	s_or_b32 exec_lo, exec_lo, s23
	s_and_b32 s30, s24, exec_lo
.LBB7_122:                              ;   in Loop: Header=BB7_6 Depth=1
	s_or_b32 exec_lo, exec_lo, s6
	s_mov_b32 s29, -1
                                        ; implicit-def: $sgpr23
                                        ; implicit-def: $sgpr24
	s_and_saveexec_b32 s6, s30
	s_xor_b32 s6, exec_lo, s6
	s_cbranch_execz .LBB7_239
; %bb.123:                              ;   in Loop: Header=BB7_6 Depth=1
	v_cmp_eq_u32_e32 vcc_lo, 1, v4
	s_cmp_eq_u32 s20, 1
	s_mov_b32 s31, -1
	s_cselect_b32 s23, -1, 0
                                        ; implicit-def: $sgpr24
	s_and_b32 s30, s23, vcc_lo
                                        ; implicit-def: $sgpr23
	s_and_saveexec_b32 s29, s30
	s_cbranch_execz .LBB7_149
; %bb.124:                              ;   in Loop: Header=BB7_6 Depth=1
	ds_read_b32 v5, v19 offset:4096
	s_waitcnt lgkmcnt(0)
	s_barrier
	buffer_gl0_inv
	v_readfirstlane_b32 s33, v5
	s_and_saveexec_b32 s23, s15
; %bb.125:                              ;   in Loop: Header=BB7_6 Depth=1
	ds_write_b8 v0, v19 offset:3072
; %bb.126:                              ;   in Loop: Header=BB7_6 Depth=1
	s_or_b32 exec_lo, exec_lo, s23
	s_lshl_b32 s23, 1, s81
	v_or_b32_e32 v3, s18, v3
	v_and_or_b32 v2, v2, s19, s23
	s_mov_b32 s23, -1
	s_mov_b32 s24, 0
	s_cmp_eq_u32 s33, 0
	s_mov_b32 s31, 0
	s_mov_b32 s34, -1
	s_waitcnt lgkmcnt(0)
	s_barrier
	buffer_gl0_inv
                                        ; implicit-def: $vgpr5
	s_cbranch_scc1 .LBB7_137
; %bb.127:                              ;   in Loop: Header=BB7_6 Depth=1
	s_add_i32 s31, s33, s65
                                        ; implicit-def: $vgpr5
	s_mul_hi_u32 s34, s31, s72
	s_mul_i32 s34, s34, s35
	s_sub_i32 s34, s31, s34
	s_sub_i32 s88, s34, s35
	s_cmp_ge_u32 s34, s35
	s_cselect_b32 s34, s88, s34
	s_sub_i32 s88, s34, s35
	s_cmp_ge_u32 s34, s35
	s_cselect_b32 s34, s88, s34
	s_mov_b32 s88, exec_lo
	s_sub_i32 s89, s31, s34
	s_mov_b32 s34, 0
	s_mov_b32 s31, 0
	v_cmpx_gt_u32_e64 s89, v0
	s_cbranch_execz .LBB7_136
; %bb.128:                              ;   in Loop: Header=BB7_6 Depth=1
	v_mov_b32_e32 v5, v0
                                        ; implicit-def: $sgpr90
	s_inst_prefetch 0x1
	s_branch .LBB7_131
	.p2align	6
.LBB7_129:                              ;   in Loop: Header=BB7_131 Depth=2
	s_or_b32 exec_lo, exec_lo, s91
	s_waitcnt lgkmcnt(0)
	s_barrier
	buffer_gl0_inv
	ds_read_u16 v6, v19 offset:3072
	s_mov_b32 s92, -1
	s_waitcnt lgkmcnt(0)
	s_barrier
	buffer_gl0_inv
	v_cmp_ne_u32_sdwa s91, v6, v19 src0_sel:BYTE_0 src1_sel:DWORD
	s_and_b32 vcc_lo, exec_lo, s91
	s_mov_b32 s91, -1
	s_cbranch_vccz .LBB7_134
.LBB7_130:                              ;   in Loop: Header=BB7_131 Depth=2
	s_and_b32 s92, exec_lo, s92
	s_or_b32 s31, s92, s31
	s_andn2_b32 s90, s90, exec_lo
	s_and_b32 s91, s91, exec_lo
	s_or_b32 s90, s90, s91
	s_andn2_b32 exec_lo, exec_lo, s31
	s_cbranch_execz .LBB7_135
.LBB7_131:                              ;   Parent Loop BB7_6 Depth=1
                                        ; =>  This Inner Loop Header: Depth=2
	s_mov_b32 s91, exec_lo
	v_cmpx_gt_u32_e64 s33, v5
	s_cbranch_execz .LBB7_129
; %bb.132:                              ;   in Loop: Header=BB7_131 Depth=2
	ds_read_u8 v6, v5
	s_waitcnt lgkmcnt(0)
	v_and_b32_e32 v7, v6, v3
	v_cmp_eq_u32_sdwa s92, v7, v2 src0_sel:BYTE_0 src1_sel:DWORD
	s_and_b32 exec_lo, exec_lo, s92
	s_cbranch_execz .LBB7_129
; %bb.133:                              ;   in Loop: Header=BB7_131 Depth=2
	v_lshlrev_b16 v6, 8, v6
	v_or_b32_e32 v6, 1, v6
	ds_write_b16 v19, v6 offset:3072
	s_branch .LBB7_129
	.p2align	6
.LBB7_134:                              ;   in Loop: Header=BB7_131 Depth=2
	v_add_nc_u32_e32 v5, s35, v5
	s_mov_b32 s91, 0
	v_cmp_le_u32_e32 vcc_lo, s89, v5
	s_orn2_b32 s92, vcc_lo, exec_lo
	s_branch .LBB7_130
.LBB7_135:                              ;   in Loop: Header=BB7_6 Depth=1
	s_inst_prefetch 0x2
	s_or_b32 exec_lo, exec_lo, s31
	v_lshrrev_b32_sdwa v5, v31, v6 dst_sel:DWORD dst_unused:UNUSED_PAD src0_sel:DWORD src1_sel:WORD_0
	s_and_b32 s31, s90, exec_lo
.LBB7_136:                              ;   in Loop: Header=BB7_6 Depth=1
	s_or_b32 exec_lo, exec_lo, s88
.LBB7_137:                              ;   in Loop: Header=BB7_6 Depth=1
	s_and_b32 vcc_lo, exec_lo, s34
	s_cbranch_vccz .LBB7_148
; %bb.138:                              ;   in Loop: Header=BB7_6 Depth=1
                                        ; implicit-def: $vgpr5
	s_and_saveexec_b32 s23, s13
	s_cbranch_execz .LBB7_147
; %bb.139:                              ;   in Loop: Header=BB7_6 Depth=1
	v_mov_b32_e32 v5, v18
	v_mov_b32_e32 v6, v0
	s_mov_b32 s24, 0
                                        ; implicit-def: $sgpr33
	s_inst_prefetch 0x1
	s_branch .LBB7_142
	.p2align	6
.LBB7_140:                              ;   in Loop: Header=BB7_142 Depth=2
	s_or_b32 exec_lo, exec_lo, s34
	s_waitcnt lgkmcnt(0)
	s_barrier
	buffer_gl0_inv
	ds_read_u16 v7, v19 offset:3072
	s_mov_b32 s34, -1
	s_waitcnt lgkmcnt(0)
	s_barrier
	buffer_gl0_inv
	v_cmp_eq_u32_sdwa s88, v7, v19 src0_sel:BYTE_0 src1_sel:DWORD
	s_and_b32 vcc_lo, exec_lo, s88
	s_mov_b32 s88, -1
	s_cbranch_vccnz .LBB7_145
.LBB7_141:                              ;   in Loop: Header=BB7_142 Depth=2
	s_and_b32 s34, exec_lo, s34
	s_or_b32 s24, s34, s24
	s_andn2_b32 s33, s33, exec_lo
	s_and_b32 s34, s88, exec_lo
	s_or_b32 s33, s33, s34
	s_andn2_b32 exec_lo, exec_lo, s24
	s_cbranch_execz .LBB7_146
.LBB7_142:                              ;   Parent Loop BB7_6 Depth=1
                                        ; =>  This Inner Loop Header: Depth=2
	s_mov_b32 s34, exec_lo
	v_cmpx_gt_u32_e64 s36, v6
	s_cbranch_execz .LBB7_140
; %bb.143:                              ;   in Loop: Header=BB7_142 Depth=2
	global_load_ubyte v7, v5, s[40:41]
	s_waitcnt vmcnt(0)
	v_and_b32_e32 v8, v7, v3
	v_cmp_eq_u32_sdwa s88, v8, v2 src0_sel:BYTE_0 src1_sel:DWORD
	s_and_b32 exec_lo, exec_lo, s88
	s_cbranch_execz .LBB7_140
; %bb.144:                              ;   in Loop: Header=BB7_142 Depth=2
	v_lshlrev_b16 v7, 8, v7
	v_or_b32_e32 v7, 1, v7
	ds_write_b16 v19, v7 offset:3072
	s_branch .LBB7_140
.LBB7_145:                              ;   in Loop: Header=BB7_142 Depth=2
	v_add_nc_u32_e32 v6, s35, v6
	v_add_nc_u32_e32 v5, s52, v5
	s_mov_b32 s88, 0
	v_cmp_le_u32_e32 vcc_lo, s74, v6
	s_orn2_b32 s34, vcc_lo, exec_lo
	s_branch .LBB7_141
.LBB7_146:                              ;   in Loop: Header=BB7_6 Depth=1
	s_inst_prefetch 0x2
	s_or_b32 exec_lo, exec_lo, s24
	v_lshrrev_b32_sdwa v5, v31, v7 dst_sel:DWORD dst_unused:UNUSED_PAD src0_sel:DWORD src1_sel:WORD_0
	s_andn2_b32 s24, s31, exec_lo
	s_and_b32 s31, s33, exec_lo
	s_or_b32 s31, s24, s31
.LBB7_147:                              ;   in Loop: Header=BB7_6 Depth=1
	s_or_b32 exec_lo, exec_lo, s23
	s_mov_b32 s23, 0
	s_mov_b32 s24, -1
.LBB7_148:                              ;   in Loop: Header=BB7_6 Depth=1
	s_orn2_b32 s31, s31, exec_lo
.LBB7_149:                              ;   in Loop: Header=BB7_6 Depth=1
	s_or_b32 exec_lo, exec_lo, s29
	s_mov_b32 s33, 0
	s_and_saveexec_b32 s29, s31
	s_cbranch_execz .LBB7_238
; %bb.150:                              ;   in Loop: Header=BB7_6 Depth=1
	v_mov_b32_e32 v6, 1
	v_mov_b32_e32 v1, 1
	s_xor_b32 s31, s30, -1
	s_mov_b32 s88, 0
	s_and_saveexec_b32 s30, s31
	s_cbranch_execz .LBB7_159
; %bb.151:                              ;   in Loop: Header=BB7_6 Depth=1
	s_mov_b32 s31, exec_lo
	v_cmpx_ge_u32_e64 s20, v4
	s_xor_b32 s31, exec_lo, s31
	s_cbranch_execz .LBB7_156
; %bb.152:                              ;   in Loop: Header=BB7_6 Depth=1
	ds_read_b32 v1, v19 offset:4096
	s_lshl_b32 s33, 1, s81
	v_or_b32_e32 v3, s18, v3
	v_and_or_b32 v2, v2, s19, s33
	s_waitcnt lgkmcnt(0)
	v_cmp_ne_u32_e32 vcc_lo, 0, v1
	s_cbranch_vccnz .LBB7_156
; %bb.153:                              ;   in Loop: Header=BB7_6 Depth=1
	s_and_saveexec_b32 s33, s3
; %bb.154:                              ;   in Loop: Header=BB7_6 Depth=1
	v_mov_b32_e32 v1, s20
	ds_write_b32 v19, v1 offset:4100
; %bb.155:                              ;   in Loop: Header=BB7_6 Depth=1
	s_or_b32 exec_lo, exec_lo, s33
	s_waitcnt lgkmcnt(0)
	s_barrier
	buffer_gl0_inv
.LBB7_156:                              ;   in Loop: Header=BB7_6 Depth=1
	s_or_saveexec_b32 s31, s31
	v_mov_b32_e32 v1, 8
	s_mov_b32 s33, 0
	s_xor_b32 exec_lo, exec_lo, s31
; %bb.157:                              ;   in Loop: Header=BB7_6 Depth=1
	v_subrev_nc_u32_e32 v4, s20, v4
	v_mov_b32_e32 v1, 0
	s_mov_b32 s33, exec_lo
; %bb.158:                              ;   in Loop: Header=BB7_6 Depth=1
	s_or_b32 exec_lo, exec_lo, s31
	v_mov_b32_e32 v6, v4
	s_and_b32 s88, s33, exec_lo
.LBB7_159:                              ;   in Loop: Header=BB7_6 Depth=1
	s_or_b32 exec_lo, exec_lo, s30
	s_mov_b32 s34, -1
                                        ; implicit-def: $sgpr31
                                        ; implicit-def: $sgpr33
	s_and_saveexec_b32 s30, s88
	s_cbranch_execz .LBB7_237
; %bb.160:                              ;   in Loop: Header=BB7_6 Depth=1
	v_cmp_eq_u32_e32 vcc_lo, 1, v6
	s_cmp_eq_u32 s21, 1
	s_mov_b32 s89, -1
	s_cselect_b32 s31, -1, 0
                                        ; implicit-def: $sgpr33
	s_and_b32 s88, s31, vcc_lo
                                        ; implicit-def: $sgpr31
	s_and_saveexec_b32 s34, s88
	s_cbranch_execz .LBB7_186
; %bb.161:                              ;   in Loop: Header=BB7_6 Depth=1
	ds_read_b32 v4, v19 offset:4096
	s_waitcnt lgkmcnt(0)
	s_barrier
	buffer_gl0_inv
	v_readfirstlane_b32 s90, v4
	s_and_saveexec_b32 s31, s15
; %bb.162:                              ;   in Loop: Header=BB7_6 Depth=1
	ds_write_b8 v0, v19 offset:3072
; %bb.163:                              ;   in Loop: Header=BB7_6 Depth=1
	s_or_b32 exec_lo, exec_lo, s31
	s_lshl_b32 s31, 2, s81
	v_or_b32_e32 v3, s18, v3
	v_and_or_b32 v2, v2, s19, s31
	s_mov_b32 s31, -1
	s_mov_b32 s33, 0
	s_cmp_eq_u32 s90, 0
	s_mov_b32 s89, 0
	s_mov_b32 s91, -1
	s_waitcnt lgkmcnt(0)
	s_barrier
	buffer_gl0_inv
                                        ; implicit-def: $vgpr5
	s_cbranch_scc1 .LBB7_174
; %bb.164:                              ;   in Loop: Header=BB7_6 Depth=1
	s_add_i32 s89, s90, s65
                                        ; implicit-def: $vgpr5
	s_mul_hi_u32 s91, s89, s72
	s_mul_i32 s91, s91, s35
	s_sub_i32 s91, s89, s91
	s_sub_i32 s92, s91, s35
	s_cmp_ge_u32 s91, s35
	s_cselect_b32 s91, s92, s91
	s_sub_i32 s92, s91, s35
	s_cmp_ge_u32 s91, s35
	s_cselect_b32 s91, s92, s91
	s_mov_b32 s92, exec_lo
	s_sub_i32 s93, s89, s91
	s_mov_b32 s91, 0
	s_mov_b32 s89, 0
	v_cmpx_gt_u32_e64 s93, v0
	s_cbranch_execz .LBB7_173
; %bb.165:                              ;   in Loop: Header=BB7_6 Depth=1
	v_mov_b32_e32 v4, v0
                                        ; implicit-def: $sgpr94
	s_inst_prefetch 0x1
	s_branch .LBB7_168
	.p2align	6
.LBB7_166:                              ;   in Loop: Header=BB7_168 Depth=2
	s_or_b32 exec_lo, exec_lo, s95
	s_waitcnt lgkmcnt(0)
	s_barrier
	buffer_gl0_inv
	ds_read_u16 v5, v19 offset:3072
	s_mov_b32 s96, -1
	s_waitcnt lgkmcnt(0)
	s_barrier
	buffer_gl0_inv
	v_cmp_ne_u32_sdwa s95, v5, v19 src0_sel:BYTE_0 src1_sel:DWORD
	s_and_b32 vcc_lo, exec_lo, s95
	s_mov_b32 s95, -1
	s_cbranch_vccz .LBB7_171
.LBB7_167:                              ;   in Loop: Header=BB7_168 Depth=2
	s_and_b32 s96, exec_lo, s96
	s_or_b32 s89, s96, s89
	s_andn2_b32 s94, s94, exec_lo
	s_and_b32 s95, s95, exec_lo
	s_or_b32 s94, s94, s95
	s_andn2_b32 exec_lo, exec_lo, s89
	s_cbranch_execz .LBB7_172
.LBB7_168:                              ;   Parent Loop BB7_6 Depth=1
                                        ; =>  This Inner Loop Header: Depth=2
	s_mov_b32 s95, exec_lo
	v_cmpx_gt_u32_e64 s90, v4
	s_cbranch_execz .LBB7_166
; %bb.169:                              ;   in Loop: Header=BB7_168 Depth=2
	ds_read_u8 v5, v4
	s_waitcnt lgkmcnt(0)
	v_and_b32_e32 v7, v5, v3
	v_cmp_eq_u32_sdwa s96, v7, v2 src0_sel:BYTE_0 src1_sel:DWORD
	s_and_b32 exec_lo, exec_lo, s96
	s_cbranch_execz .LBB7_166
; %bb.170:                              ;   in Loop: Header=BB7_168 Depth=2
	v_lshlrev_b16 v5, 8, v5
	v_or_b32_e32 v5, 1, v5
	ds_write_b16 v19, v5 offset:3072
	s_branch .LBB7_166
	.p2align	6
.LBB7_171:                              ;   in Loop: Header=BB7_168 Depth=2
	v_add_nc_u32_e32 v4, s35, v4
	s_mov_b32 s95, 0
	v_cmp_le_u32_e32 vcc_lo, s93, v4
	s_orn2_b32 s96, vcc_lo, exec_lo
	s_branch .LBB7_167
.LBB7_172:                              ;   in Loop: Header=BB7_6 Depth=1
	s_inst_prefetch 0x2
	s_or_b32 exec_lo, exec_lo, s89
	v_lshrrev_b32_sdwa v5, v31, v5 dst_sel:DWORD dst_unused:UNUSED_PAD src0_sel:DWORD src1_sel:WORD_0
	s_and_b32 s89, s94, exec_lo
.LBB7_173:                              ;   in Loop: Header=BB7_6 Depth=1
	s_or_b32 exec_lo, exec_lo, s92
.LBB7_174:                              ;   in Loop: Header=BB7_6 Depth=1
	s_and_b32 vcc_lo, exec_lo, s91
	s_cbranch_vccz .LBB7_185
; %bb.175:                              ;   in Loop: Header=BB7_6 Depth=1
                                        ; implicit-def: $vgpr5
	s_and_saveexec_b32 s31, s13
	s_cbranch_execz .LBB7_184
; %bb.176:                              ;   in Loop: Header=BB7_6 Depth=1
	v_mov_b32_e32 v4, v18
	v_mov_b32_e32 v5, v0
	s_mov_b32 s33, 0
                                        ; implicit-def: $sgpr90
	s_inst_prefetch 0x1
	s_branch .LBB7_179
	.p2align	6
.LBB7_177:                              ;   in Loop: Header=BB7_179 Depth=2
	s_or_b32 exec_lo, exec_lo, s91
	s_waitcnt lgkmcnt(0)
	s_barrier
	buffer_gl0_inv
	ds_read_u16 v7, v19 offset:3072
	s_mov_b32 s91, -1
	s_waitcnt lgkmcnt(0)
	s_barrier
	buffer_gl0_inv
	v_cmp_eq_u32_sdwa s92, v7, v19 src0_sel:BYTE_0 src1_sel:DWORD
	s_and_b32 vcc_lo, exec_lo, s92
	s_mov_b32 s92, -1
	s_cbranch_vccnz .LBB7_182
.LBB7_178:                              ;   in Loop: Header=BB7_179 Depth=2
	s_and_b32 s91, exec_lo, s91
	s_or_b32 s33, s91, s33
	s_andn2_b32 s90, s90, exec_lo
	s_and_b32 s91, s92, exec_lo
	s_or_b32 s90, s90, s91
	s_andn2_b32 exec_lo, exec_lo, s33
	s_cbranch_execz .LBB7_183
.LBB7_179:                              ;   Parent Loop BB7_6 Depth=1
                                        ; =>  This Inner Loop Header: Depth=2
	s_mov_b32 s91, exec_lo
	v_cmpx_gt_u32_e64 s36, v5
	s_cbranch_execz .LBB7_177
; %bb.180:                              ;   in Loop: Header=BB7_179 Depth=2
	global_load_ubyte v7, v4, s[40:41]
	s_waitcnt vmcnt(0)
	v_and_b32_e32 v8, v7, v3
	v_cmp_eq_u32_sdwa s92, v8, v2 src0_sel:BYTE_0 src1_sel:DWORD
	s_and_b32 exec_lo, exec_lo, s92
	s_cbranch_execz .LBB7_177
; %bb.181:                              ;   in Loop: Header=BB7_179 Depth=2
	v_lshlrev_b16 v7, 8, v7
	v_or_b32_e32 v7, 1, v7
	ds_write_b16 v19, v7 offset:3072
	s_branch .LBB7_177
.LBB7_182:                              ;   in Loop: Header=BB7_179 Depth=2
	v_add_nc_u32_e32 v5, s35, v5
	v_add_nc_u32_e32 v4, s52, v4
	s_mov_b32 s92, 0
	v_cmp_le_u32_e32 vcc_lo, s74, v5
	s_orn2_b32 s91, vcc_lo, exec_lo
	s_branch .LBB7_178
.LBB7_183:                              ;   in Loop: Header=BB7_6 Depth=1
	s_inst_prefetch 0x2
	s_or_b32 exec_lo, exec_lo, s33
	v_lshrrev_b32_sdwa v5, v31, v7 dst_sel:DWORD dst_unused:UNUSED_PAD src0_sel:DWORD src1_sel:WORD_0
	s_andn2_b32 s33, s89, exec_lo
	s_and_b32 s89, s90, exec_lo
	s_or_b32 s89, s33, s89
.LBB7_184:                              ;   in Loop: Header=BB7_6 Depth=1
	s_or_b32 exec_lo, exec_lo, s31
	s_mov_b32 s31, 0
	s_mov_b32 s33, -1
.LBB7_185:                              ;   in Loop: Header=BB7_6 Depth=1
	s_orn2_b32 s89, s89, exec_lo
.LBB7_186:                              ;   in Loop: Header=BB7_6 Depth=1
	s_or_b32 exec_lo, exec_lo, s34
	s_mov_b32 s90, 0
	s_and_saveexec_b32 s34, s89
	s_cbranch_execz .LBB7_236
; %bb.187:                              ;   in Loop: Header=BB7_6 Depth=1
	v_mov_b32_e32 v4, 1
	v_mov_b32_e32 v1, 1
	s_xor_b32 s89, s88, -1
	s_mov_b32 s92, 0
	s_and_saveexec_b32 s88, s89
	s_cbranch_execz .LBB7_196
; %bb.188:                              ;   in Loop: Header=BB7_6 Depth=1
	s_mov_b32 s89, exec_lo
	v_cmpx_ge_u32_e64 s21, v6
	s_xor_b32 s89, exec_lo, s89
	s_cbranch_execz .LBB7_193
; %bb.189:                              ;   in Loop: Header=BB7_6 Depth=1
	ds_read_b32 v1, v19 offset:4096
	s_lshl_b32 s90, 2, s81
	v_or_b32_e32 v3, s18, v3
	v_and_or_b32 v2, v2, s19, s90
	s_waitcnt lgkmcnt(0)
	v_cmp_ne_u32_e32 vcc_lo, 0, v1
	s_cbranch_vccnz .LBB7_193
; %bb.190:                              ;   in Loop: Header=BB7_6 Depth=1
	s_and_saveexec_b32 s90, s3
; %bb.191:                              ;   in Loop: Header=BB7_6 Depth=1
	v_mov_b32_e32 v1, s21
	ds_write_b32 v19, v1 offset:4100
; %bb.192:                              ;   in Loop: Header=BB7_6 Depth=1
	s_or_b32 exec_lo, exec_lo, s90
	s_waitcnt lgkmcnt(0)
	s_barrier
	buffer_gl0_inv
.LBB7_193:                              ;   in Loop: Header=BB7_6 Depth=1
	s_or_saveexec_b32 s89, s89
	v_mov_b32_e32 v1, 8
	s_mov_b32 s90, 0
	s_xor_b32 exec_lo, exec_lo, s89
; %bb.194:                              ;   in Loop: Header=BB7_6 Depth=1
	v_subrev_nc_u32_e32 v6, s21, v6
	v_mov_b32_e32 v1, 0
	s_mov_b32 s90, exec_lo
; %bb.195:                              ;   in Loop: Header=BB7_6 Depth=1
	s_or_b32 exec_lo, exec_lo, s89
	v_mov_b32_e32 v4, v6
	s_and_b32 s92, s90, exec_lo
.LBB7_196:                              ;   in Loop: Header=BB7_6 Depth=1
	s_or_b32 exec_lo, exec_lo, s88
	s_mov_b32 s91, -1
                                        ; implicit-def: $sgpr90
                                        ; implicit-def: $sgpr89
	s_and_saveexec_b32 s88, s92
	s_cbranch_execz .LBB7_235
; %bb.197:                              ;   in Loop: Header=BB7_6 Depth=1
	v_cmp_eq_u32_e32 vcc_lo, 1, v4
	s_cmp_eq_u32 s22, 1
	s_mov_b32 s93, -1
	s_cselect_b32 s89, -1, 0
                                        ; implicit-def: $sgpr90
	s_and_b32 s91, s89, vcc_lo
                                        ; implicit-def: $sgpr89
	s_and_saveexec_b32 s92, s91
	s_cbranch_execz .LBB7_223
; %bb.198:                              ;   in Loop: Header=BB7_6 Depth=1
	ds_read_b32 v5, v19 offset:4096
	s_waitcnt lgkmcnt(0)
	s_barrier
	buffer_gl0_inv
	v_readfirstlane_b32 s94, v5
	s_and_saveexec_b32 s89, s15
; %bb.199:                              ;   in Loop: Header=BB7_6 Depth=1
	ds_write_b8 v0, v19 offset:3072
; %bb.200:                              ;   in Loop: Header=BB7_6 Depth=1
	s_or_b32 exec_lo, exec_lo, s89
	v_or_b32_e32 v2, s18, v2
	v_or_b32_e32 v3, s18, v3
	s_mov_b32 s89, -1
	s_mov_b32 s90, 0
	s_cmp_eq_u32 s94, 0
	s_mov_b32 s93, 0
	s_mov_b32 s95, -1
	s_waitcnt lgkmcnt(0)
	s_barrier
	buffer_gl0_inv
                                        ; implicit-def: $vgpr5
	s_cbranch_scc1 .LBB7_211
; %bb.201:                              ;   in Loop: Header=BB7_6 Depth=1
	s_add_i32 s93, s94, s65
                                        ; implicit-def: $vgpr5
	s_mul_hi_u32 s95, s93, s72
	s_mul_i32 s95, s95, s35
	s_sub_i32 s95, s93, s95
	s_sub_i32 s96, s95, s35
	s_cmp_ge_u32 s95, s35
	s_cselect_b32 s95, s96, s95
	s_sub_i32 s96, s95, s35
	s_cmp_ge_u32 s95, s35
	s_cselect_b32 s95, s96, s95
	s_mov_b32 s96, exec_lo
	s_sub_i32 s97, s93, s95
	s_mov_b32 s95, 0
	s_mov_b32 s93, 0
	v_cmpx_gt_u32_e64 s97, v0
	s_cbranch_execz .LBB7_210
; %bb.202:                              ;   in Loop: Header=BB7_6 Depth=1
	v_mov_b32_e32 v5, v0
                                        ; implicit-def: $sgpr98
	s_inst_prefetch 0x1
	s_branch .LBB7_205
	.p2align	6
.LBB7_203:                              ;   in Loop: Header=BB7_205 Depth=2
	s_or_b32 exec_lo, exec_lo, s99
	s_waitcnt lgkmcnt(0)
	s_barrier
	buffer_gl0_inv
	ds_read_u16 v6, v19 offset:3072
	s_mov_b32 s104, -1
	s_waitcnt lgkmcnt(0)
	s_barrier
	buffer_gl0_inv
	v_cmp_ne_u32_sdwa s99, v6, v19 src0_sel:BYTE_0 src1_sel:DWORD
	s_and_b32 vcc_lo, exec_lo, s99
	s_mov_b32 s99, -1
	s_cbranch_vccz .LBB7_208
.LBB7_204:                              ;   in Loop: Header=BB7_205 Depth=2
	s_and_b32 s104, exec_lo, s104
	s_or_b32 s93, s104, s93
	s_andn2_b32 s98, s98, exec_lo
	s_and_b32 s99, s99, exec_lo
	s_or_b32 s98, s98, s99
	s_andn2_b32 exec_lo, exec_lo, s93
	s_cbranch_execz .LBB7_209
.LBB7_205:                              ;   Parent Loop BB7_6 Depth=1
                                        ; =>  This Inner Loop Header: Depth=2
	s_mov_b32 s99, exec_lo
	v_cmpx_gt_u32_e64 s94, v5
	s_cbranch_execz .LBB7_203
; %bb.206:                              ;   in Loop: Header=BB7_205 Depth=2
	ds_read_u8 v6, v5
	s_waitcnt lgkmcnt(0)
	v_and_b32_e32 v7, v6, v3
	v_cmp_eq_u32_sdwa s104, v7, v2 src0_sel:BYTE_0 src1_sel:DWORD
	s_and_b32 exec_lo, exec_lo, s104
	s_cbranch_execz .LBB7_203
; %bb.207:                              ;   in Loop: Header=BB7_205 Depth=2
	v_lshlrev_b16 v6, 8, v6
	v_or_b32_e32 v6, 1, v6
	ds_write_b16 v19, v6 offset:3072
	s_branch .LBB7_203
	.p2align	6
.LBB7_208:                              ;   in Loop: Header=BB7_205 Depth=2
	v_add_nc_u32_e32 v5, s35, v5
	s_mov_b32 s99, 0
	v_cmp_le_u32_e32 vcc_lo, s97, v5
	s_orn2_b32 s104, vcc_lo, exec_lo
	s_branch .LBB7_204
.LBB7_209:                              ;   in Loop: Header=BB7_6 Depth=1
	s_inst_prefetch 0x2
	s_or_b32 exec_lo, exec_lo, s93
	v_lshrrev_b32_sdwa v5, v31, v6 dst_sel:DWORD dst_unused:UNUSED_PAD src0_sel:DWORD src1_sel:WORD_0
	s_and_b32 s93, s98, exec_lo
.LBB7_210:                              ;   in Loop: Header=BB7_6 Depth=1
	s_or_b32 exec_lo, exec_lo, s96
.LBB7_211:                              ;   in Loop: Header=BB7_6 Depth=1
	s_and_b32 vcc_lo, exec_lo, s95
	s_cbranch_vccz .LBB7_222
; %bb.212:                              ;   in Loop: Header=BB7_6 Depth=1
                                        ; implicit-def: $vgpr5
	s_and_saveexec_b32 s89, s13
	s_cbranch_execz .LBB7_221
; %bb.213:                              ;   in Loop: Header=BB7_6 Depth=1
	v_mov_b32_e32 v5, v18
	v_mov_b32_e32 v6, v0
	s_mov_b32 s90, 0
                                        ; implicit-def: $sgpr94
	s_inst_prefetch 0x1
	s_branch .LBB7_216
	.p2align	6
.LBB7_214:                              ;   in Loop: Header=BB7_216 Depth=2
	s_or_b32 exec_lo, exec_lo, s95
	s_waitcnt lgkmcnt(0)
	s_barrier
	buffer_gl0_inv
	ds_read_u16 v7, v19 offset:3072
	s_mov_b32 s95, -1
	s_waitcnt lgkmcnt(0)
	s_barrier
	buffer_gl0_inv
	v_cmp_eq_u32_sdwa s96, v7, v19 src0_sel:BYTE_0 src1_sel:DWORD
	s_and_b32 vcc_lo, exec_lo, s96
	s_mov_b32 s96, -1
	s_cbranch_vccnz .LBB7_219
.LBB7_215:                              ;   in Loop: Header=BB7_216 Depth=2
	s_and_b32 s95, exec_lo, s95
	s_or_b32 s90, s95, s90
	s_andn2_b32 s94, s94, exec_lo
	s_and_b32 s95, s96, exec_lo
	s_or_b32 s94, s94, s95
	s_andn2_b32 exec_lo, exec_lo, s90
	s_cbranch_execz .LBB7_220
.LBB7_216:                              ;   Parent Loop BB7_6 Depth=1
                                        ; =>  This Inner Loop Header: Depth=2
	s_mov_b32 s95, exec_lo
	v_cmpx_gt_u32_e64 s36, v6
	s_cbranch_execz .LBB7_214
; %bb.217:                              ;   in Loop: Header=BB7_216 Depth=2
	global_load_ubyte v7, v5, s[40:41]
	s_waitcnt vmcnt(0)
	v_and_b32_e32 v8, v7, v3
	v_cmp_eq_u32_sdwa s96, v8, v2 src0_sel:BYTE_0 src1_sel:DWORD
	s_and_b32 exec_lo, exec_lo, s96
	s_cbranch_execz .LBB7_214
; %bb.218:                              ;   in Loop: Header=BB7_216 Depth=2
	v_lshlrev_b16 v7, 8, v7
	v_or_b32_e32 v7, 1, v7
	ds_write_b16 v19, v7 offset:3072
	s_branch .LBB7_214
.LBB7_219:                              ;   in Loop: Header=BB7_216 Depth=2
	v_add_nc_u32_e32 v6, s35, v6
	v_add_nc_u32_e32 v5, s52, v5
	s_mov_b32 s96, 0
	v_cmp_le_u32_e32 vcc_lo, s74, v6
	s_orn2_b32 s95, vcc_lo, exec_lo
	s_branch .LBB7_215
.LBB7_220:                              ;   in Loop: Header=BB7_6 Depth=1
	s_inst_prefetch 0x2
	s_or_b32 exec_lo, exec_lo, s90
	v_lshrrev_b32_sdwa v5, v31, v7 dst_sel:DWORD dst_unused:UNUSED_PAD src0_sel:DWORD src1_sel:WORD_0
	s_andn2_b32 s90, s93, exec_lo
	s_and_b32 s93, s94, exec_lo
	s_or_b32 s93, s90, s93
.LBB7_221:                              ;   in Loop: Header=BB7_6 Depth=1
	s_or_b32 exec_lo, exec_lo, s89
	s_mov_b32 s89, 0
	s_mov_b32 s90, -1
.LBB7_222:                              ;   in Loop: Header=BB7_6 Depth=1
	s_orn2_b32 s93, s93, exec_lo
.LBB7_223:                              ;   in Loop: Header=BB7_6 Depth=1
	s_or_b32 exec_lo, exec_lo, s92
	s_mov_b32 s94, 0
	s_and_saveexec_b32 s92, s93
	s_cbranch_execz .LBB7_234
; %bb.224:                              ;   in Loop: Header=BB7_6 Depth=1
	v_mov_b32_e32 v1, 1
	v_mov_b32_e32 v6, 1
	s_xor_b32 s93, s91, -1
	s_and_saveexec_b32 s91, s93
	s_cbranch_execz .LBB7_233
; %bb.225:                              ;   in Loop: Header=BB7_6 Depth=1
	s_mov_b32 s93, exec_lo
	v_cmpx_ge_u32_e64 s22, v4
	s_xor_b32 s93, exec_lo, s93
	s_cbranch_execz .LBB7_230
; %bb.226:                              ;   in Loop: Header=BB7_6 Depth=1
	ds_read_b32 v1, v19 offset:4096
	v_or_b32_e32 v2, s18, v2
	v_or_b32_e32 v3, s18, v3
	s_waitcnt lgkmcnt(0)
	v_cmp_ne_u32_e32 vcc_lo, 0, v1
	s_cbranch_vccnz .LBB7_230
; %bb.227:                              ;   in Loop: Header=BB7_6 Depth=1
	s_and_saveexec_b32 s94, s3
; %bb.228:                              ;   in Loop: Header=BB7_6 Depth=1
	v_mov_b32_e32 v1, s22
	ds_write_b32 v19, v1 offset:4100
; %bb.229:                              ;   in Loop: Header=BB7_6 Depth=1
	s_or_b32 exec_lo, exec_lo, s94
	s_waitcnt lgkmcnt(0)
	s_barrier
	buffer_gl0_inv
.LBB7_230:                              ;   in Loop: Header=BB7_6 Depth=1
	s_andn2_saveexec_b32 s93, s93
; %bb.231:                              ;   in Loop: Header=BB7_6 Depth=1
	v_subrev_nc_u32_e32 v4, s22, v4
; %bb.232:                              ;   in Loop: Header=BB7_6 Depth=1
	s_or_b32 exec_lo, exec_lo, s93
	v_mov_b32_e32 v1, 8
	v_mov_b32_e32 v6, v4
.LBB7_233:                              ;   in Loop: Header=BB7_6 Depth=1
	s_or_b32 exec_lo, exec_lo, s91
	v_mov_b32_e32 v4, v6
	s_mov_b32 s94, exec_lo
.LBB7_234:                              ;   in Loop: Header=BB7_6 Depth=1
	s_or_b32 exec_lo, exec_lo, s92
	s_orn2_b32 s91, s94, exec_lo
.LBB7_235:                              ;   in Loop: Header=BB7_6 Depth=1
	s_or_b32 exec_lo, exec_lo, s88
	v_mov_b32_e32 v6, v4
	s_andn2_b32 s33, s33, exec_lo
	s_and_b32 s88, s90, exec_lo
	s_andn2_b32 s31, s31, exec_lo
	s_and_b32 s89, s89, exec_lo
	s_or_b32 s33, s33, s88
	s_or_b32 s31, s31, s89
	s_and_b32 s90, s91, exec_lo
.LBB7_236:                              ;   in Loop: Header=BB7_6 Depth=1
	s_or_b32 exec_lo, exec_lo, s34
	s_orn2_b32 s34, s90, exec_lo
.LBB7_237:                              ;   in Loop: Header=BB7_6 Depth=1
	s_or_b32 exec_lo, exec_lo, s30
	v_mov_b32_e32 v4, v6
	s_andn2_b32 s24, s24, exec_lo
	s_and_b32 s30, s33, exec_lo
	s_andn2_b32 s23, s23, exec_lo
	s_and_b32 s31, s31, exec_lo
	s_or_b32 s24, s24, s30
	s_or_b32 s23, s23, s31
	s_and_b32 s33, s34, exec_lo
.LBB7_238:                              ;   in Loop: Header=BB7_6 Depth=1
	s_or_b32 exec_lo, exec_lo, s29
	s_orn2_b32 s29, s33, exec_lo
.LBB7_239:                              ;   in Loop: Header=BB7_6 Depth=1
	s_or_b32 exec_lo, exec_lo, s6
	s_mov_b32 s6, 0
	s_mov_b32 s30, 0
	s_and_saveexec_b32 s31, s29
	s_xor_b32 s29, exec_lo, s31
; %bb.240:                              ;   in Loop: Header=BB7_6 Depth=1
	v_cmp_ne_u32_e32 vcc_lo, 8, v1
	v_cmp_eq_u32_e64 s6, 8, v1
	s_and_b32 s30, vcc_lo, exec_lo
	s_and_b32 s6, s6, exec_lo
; %bb.241:                              ;   in Loop: Header=BB7_6 Depth=1
	s_or_b32 exec_lo, exec_lo, s29
	s_andn2_b32 s26, s26, exec_lo
	s_and_b32 s24, s24, exec_lo
	s_andn2_b32 s25, s25, exec_lo
	s_and_b32 s23, s23, exec_lo
	s_or_b32 s26, s26, s24
	s_or_b32 s25, s25, s23
	s_and_b32 s23, s30, exec_lo
	s_and_b32 s24, s6, exec_lo
.LBB7_242:                              ;   in Loop: Header=BB7_6 Depth=1
	s_or_b32 exec_lo, exec_lo, s28
.LBB7_243:                              ;   in Loop: Header=BB7_6 Depth=1
	s_and_b32 vcc_lo, exec_lo, s27
	s_cbranch_vccz .LBB7_256
; %bb.244:                              ;   in Loop: Header=BB7_6 Depth=1
	s_cmp_eq_u32 s22, 1
	s_mov_b32 s26, -1
	s_cselect_b32 s6, -1, 0
                                        ; implicit-def: $sgpr16
	s_and_b32 s6, s6, s14
                                        ; implicit-def: $sgpr14
	s_and_saveexec_b32 s25, s6
	s_cbranch_execz .LBB7_271
; %bb.245:                              ;   in Loop: Header=BB7_6 Depth=1
	ds_read_b32 v1, v19 offset:4096
	s_waitcnt lgkmcnt(0)
	s_barrier
	buffer_gl0_inv
	v_readfirstlane_b32 s27, v1
	s_and_saveexec_b32 s14, s15
; %bb.246:                              ;   in Loop: Header=BB7_6 Depth=1
	ds_write_b8 v0, v19 offset:3072
; %bb.247:                              ;   in Loop: Header=BB7_6 Depth=1
	s_or_b32 exec_lo, exec_lo, s14
	v_or_b32_e32 v14, s18, v14
	v_or_b32_e32 v32, s18, v32
	s_mov_b32 s16, -1
	s_mov_b32 s14, 0
	s_cmp_eq_u32 s27, 0
	s_mov_b32 s26, 0
	s_mov_b32 s28, -1
	s_waitcnt lgkmcnt(0)
	s_barrier
	buffer_gl0_inv
                                        ; implicit-def: $vgpr33
	s_cbranch_scc1 .LBB7_259
; %bb.248:                              ;   in Loop: Header=BB7_6 Depth=1
	s_add_i32 s26, s27, s65
                                        ; implicit-def: $vgpr33
	s_mul_hi_u32 s28, s26, s72
	s_mul_i32 s28, s28, s35
	s_sub_i32 s28, s26, s28
	s_sub_i32 s29, s28, s35
	s_cmp_ge_u32 s28, s35
	s_cselect_b32 s28, s29, s28
	s_sub_i32 s29, s28, s35
	s_cmp_ge_u32 s28, s35
	s_cselect_b32 s28, s29, s28
	s_mov_b32 s29, exec_lo
	s_sub_i32 s30, s26, s28
	s_mov_b32 s28, 0
	s_mov_b32 s26, 0
	v_cmpx_gt_u32_e64 s30, v0
	s_cbranch_execz .LBB7_258
; %bb.249:                              ;   in Loop: Header=BB7_6 Depth=1
	v_mov_b32_e32 v1, v0
                                        ; implicit-def: $sgpr31
	s_inst_prefetch 0x1
	s_branch .LBB7_252
	.p2align	6
.LBB7_250:                              ;   in Loop: Header=BB7_252 Depth=2
	s_or_b32 exec_lo, exec_lo, s33
	s_waitcnt lgkmcnt(0)
	s_barrier
	buffer_gl0_inv
	ds_read_u16 v2, v19 offset:3072
	s_mov_b32 s34, -1
	s_waitcnt lgkmcnt(0)
	s_barrier
	buffer_gl0_inv
	v_cmp_ne_u32_sdwa s33, v2, v19 src0_sel:BYTE_0 src1_sel:DWORD
	s_and_b32 vcc_lo, exec_lo, s33
	s_mov_b32 s33, -1
	s_cbranch_vccz .LBB7_255
.LBB7_251:                              ;   in Loop: Header=BB7_252 Depth=2
	s_and_b32 s34, exec_lo, s34
	s_or_b32 s26, s34, s26
	s_andn2_b32 s31, s31, exec_lo
	s_and_b32 s33, s33, exec_lo
	s_or_b32 s31, s31, s33
	s_andn2_b32 exec_lo, exec_lo, s26
	s_cbranch_execz .LBB7_257
.LBB7_252:                              ;   Parent Loop BB7_6 Depth=1
                                        ; =>  This Inner Loop Header: Depth=2
	s_mov_b32 s33, exec_lo
	v_cmpx_gt_u32_e64 s27, v1
	s_cbranch_execz .LBB7_250
; %bb.253:                              ;   in Loop: Header=BB7_252 Depth=2
	ds_read_u8 v2, v1
	s_waitcnt lgkmcnt(0)
	v_and_b32_e32 v3, v2, v32
	v_cmp_eq_u32_sdwa s34, v3, v14 src0_sel:BYTE_0 src1_sel:DWORD
	s_and_b32 exec_lo, exec_lo, s34
	s_cbranch_execz .LBB7_250
; %bb.254:                              ;   in Loop: Header=BB7_252 Depth=2
	v_lshlrev_b16 v2, 8, v2
	v_or_b32_e32 v2, 1, v2
	ds_write_b16 v19, v2 offset:3072
	s_branch .LBB7_250
	.p2align	6
.LBB7_255:                              ;   in Loop: Header=BB7_252 Depth=2
	v_add_nc_u32_e32 v1, s35, v1
	s_mov_b32 s33, 0
	v_cmp_le_u32_e32 vcc_lo, s30, v1
	s_orn2_b32 s34, vcc_lo, exec_lo
	s_branch .LBB7_251
.LBB7_256:                              ;   in Loop: Header=BB7_6 Depth=1
	v_mov_b32_e32 v14, v2
	v_mov_b32_e32 v32, v3
	;; [unrolled: 1-line block ×3, first 2 shown]
	s_mov_b32 s14, 0
	s_and_saveexec_b32 s6, s24
	s_cbranch_execnz .LBB7_402
	s_branch .LBB7_403
.LBB7_257:                              ;   in Loop: Header=BB7_6 Depth=1
	s_inst_prefetch 0x2
	s_or_b32 exec_lo, exec_lo, s26
	v_lshrrev_b32_sdwa v33, v31, v2 dst_sel:DWORD dst_unused:UNUSED_PAD src0_sel:DWORD src1_sel:WORD_0
	s_and_b32 s26, s31, exec_lo
.LBB7_258:                              ;   in Loop: Header=BB7_6 Depth=1
	s_or_b32 exec_lo, exec_lo, s29
.LBB7_259:                              ;   in Loop: Header=BB7_6 Depth=1
	s_and_b32 vcc_lo, exec_lo, s28
	s_cbranch_vccz .LBB7_270
; %bb.260:                              ;   in Loop: Header=BB7_6 Depth=1
                                        ; implicit-def: $vgpr33
	s_and_saveexec_b32 s14, s13
	s_cbranch_execz .LBB7_269
; %bb.261:                              ;   in Loop: Header=BB7_6 Depth=1
	v_mov_b32_e32 v1, v18
	v_mov_b32_e32 v2, v0
	s_mov_b32 s16, 0
                                        ; implicit-def: $sgpr27
	s_inst_prefetch 0x1
	s_branch .LBB7_264
	.p2align	6
.LBB7_262:                              ;   in Loop: Header=BB7_264 Depth=2
	s_or_b32 exec_lo, exec_lo, s28
	s_waitcnt lgkmcnt(0)
	s_barrier
	buffer_gl0_inv
	ds_read_u16 v3, v19 offset:3072
	s_mov_b32 s28, -1
	s_waitcnt lgkmcnt(0)
	s_barrier
	buffer_gl0_inv
	v_cmp_ne_u32_sdwa s29, v3, v19 src0_sel:BYTE_0 src1_sel:DWORD
	s_and_b32 vcc_lo, exec_lo, s29
	s_mov_b32 s29, -1
	s_cbranch_vccz .LBB7_267
.LBB7_263:                              ;   in Loop: Header=BB7_264 Depth=2
	s_and_b32 s28, exec_lo, s28
	s_or_b32 s16, s28, s16
	s_andn2_b32 s27, s27, exec_lo
	s_and_b32 s28, s29, exec_lo
	s_or_b32 s27, s27, s28
	s_andn2_b32 exec_lo, exec_lo, s16
	s_cbranch_execz .LBB7_268
.LBB7_264:                              ;   Parent Loop BB7_6 Depth=1
                                        ; =>  This Inner Loop Header: Depth=2
	s_mov_b32 s28, exec_lo
	v_cmpx_gt_u32_e64 s36, v2
	s_cbranch_execz .LBB7_262
; %bb.265:                              ;   in Loop: Header=BB7_264 Depth=2
	global_load_ubyte v3, v1, s[40:41]
	s_waitcnt vmcnt(0)
	v_and_b32_e32 v4, v3, v32
	v_cmp_eq_u32_sdwa s29, v4, v14 src0_sel:BYTE_0 src1_sel:DWORD
	s_and_b32 exec_lo, exec_lo, s29
	s_cbranch_execz .LBB7_262
; %bb.266:                              ;   in Loop: Header=BB7_264 Depth=2
	v_lshlrev_b16 v3, 8, v3
	v_or_b32_e32 v3, 1, v3
	ds_write_b16 v19, v3 offset:3072
	s_branch .LBB7_262
.LBB7_267:                              ;   in Loop: Header=BB7_264 Depth=2
	v_add_nc_u32_e32 v2, s35, v2
	v_add_nc_u32_e32 v1, s52, v1
	s_mov_b32 s29, 0
	v_cmp_le_u32_e32 vcc_lo, s74, v2
	s_orn2_b32 s28, vcc_lo, exec_lo
	s_branch .LBB7_263
.LBB7_268:                              ;   in Loop: Header=BB7_6 Depth=1
	s_inst_prefetch 0x2
	s_or_b32 exec_lo, exec_lo, s16
	v_lshrrev_b32_sdwa v33, v31, v3 dst_sel:DWORD dst_unused:UNUSED_PAD src0_sel:DWORD src1_sel:WORD_0
	s_andn2_b32 s16, s26, exec_lo
	s_and_b32 s26, s27, exec_lo
	s_or_b32 s26, s16, s26
.LBB7_269:                              ;   in Loop: Header=BB7_6 Depth=1
	s_or_b32 exec_lo, exec_lo, s14
	s_mov_b32 s16, 0
	s_mov_b32 s14, -1
.LBB7_270:                              ;   in Loop: Header=BB7_6 Depth=1
	s_orn2_b32 s26, s26, exec_lo
.LBB7_271:                              ;   in Loop: Header=BB7_6 Depth=1
	s_or_b32 exec_lo, exec_lo, s25
                                        ; implicit-def: $vgpr4
                                        ; implicit-def: $vgpr1
	s_and_saveexec_b32 s25, s26
	s_cbranch_execz .LBB7_401
; %bb.272:                              ;   in Loop: Header=BB7_6 Depth=1
	v_mov_b32_e32 v4, 1
	v_mov_b32_e32 v1, 1
	s_xor_b32 s26, s6, -1
	s_mov_b32 s28, 0
	s_and_saveexec_b32 s6, s26
	s_cbranch_execz .LBB7_281
; %bb.273:                              ;   in Loop: Header=BB7_6 Depth=1
	s_mov_b32 s26, exec_lo
	v_cmpx_ge_u32_e64 s22, v34
	s_xor_b32 s26, exec_lo, s26
	s_cbranch_execz .LBB7_278
; %bb.274:                              ;   in Loop: Header=BB7_6 Depth=1
	ds_read_b32 v1, v19 offset:4096
	v_or_b32_e32 v14, s18, v14
	v_or_b32_e32 v32, s18, v32
	s_waitcnt lgkmcnt(0)
	v_cmp_ne_u32_e32 vcc_lo, 0, v1
	s_cbranch_vccnz .LBB7_278
; %bb.275:                              ;   in Loop: Header=BB7_6 Depth=1
	s_and_saveexec_b32 s27, s3
; %bb.276:                              ;   in Loop: Header=BB7_6 Depth=1
	v_mov_b32_e32 v1, s22
	ds_write_b32 v19, v1 offset:4100
; %bb.277:                              ;   in Loop: Header=BB7_6 Depth=1
	s_or_b32 exec_lo, exec_lo, s27
	s_waitcnt lgkmcnt(0)
	s_barrier
	buffer_gl0_inv
.LBB7_278:                              ;   in Loop: Header=BB7_6 Depth=1
	s_or_saveexec_b32 s26, s26
	v_mov_b32_e32 v1, 5
	s_mov_b32 s27, 0
	s_xor_b32 exec_lo, exec_lo, s26
; %bb.279:                              ;   in Loop: Header=BB7_6 Depth=1
	v_subrev_nc_u32_e32 v34, s22, v34
	v_mov_b32_e32 v1, 0
	s_mov_b32 s27, exec_lo
; %bb.280:                              ;   in Loop: Header=BB7_6 Depth=1
	s_or_b32 exec_lo, exec_lo, s26
	v_mov_b32_e32 v4, v34
	s_and_b32 s28, s27, exec_lo
.LBB7_281:                              ;   in Loop: Header=BB7_6 Depth=1
	s_or_b32 exec_lo, exec_lo, s6
	s_mov_b32 s27, -1
                                        ; implicit-def: $sgpr22
                                        ; implicit-def: $sgpr26
	s_and_saveexec_b32 s6, s28
	s_xor_b32 s6, exec_lo, s6
	s_cbranch_execz .LBB7_398
; %bb.282:                              ;   in Loop: Header=BB7_6 Depth=1
	v_cmp_eq_u32_e32 vcc_lo, 1, v4
	s_cmp_eq_u32 s21, 1
	s_mov_b32 s29, -1
	s_cselect_b32 s22, -1, 0
                                        ; implicit-def: $sgpr26
	s_and_b32 s28, s22, vcc_lo
                                        ; implicit-def: $sgpr22
	s_and_saveexec_b32 s27, s28
	s_cbranch_execz .LBB7_308
; %bb.283:                              ;   in Loop: Header=BB7_6 Depth=1
	ds_read_b32 v2, v19 offset:4096
	s_waitcnt lgkmcnt(0)
	s_barrier
	buffer_gl0_inv
	v_readfirstlane_b32 s30, v2
	s_and_saveexec_b32 s22, s15
; %bb.284:                              ;   in Loop: Header=BB7_6 Depth=1
	ds_write_b8 v0, v19 offset:3072
; %bb.285:                              ;   in Loop: Header=BB7_6 Depth=1
	s_or_b32 exec_lo, exec_lo, s22
	s_lshl_b32 s22, 2, s81
	v_or_b32_e32 v32, s18, v32
	v_and_or_b32 v14, v14, s19, s22
	s_mov_b32 s22, -1
	s_mov_b32 s26, 0
	s_cmp_eq_u32 s30, 0
	s_mov_b32 s29, 0
	s_mov_b32 s31, -1
	s_waitcnt lgkmcnt(0)
	s_barrier
	buffer_gl0_inv
                                        ; implicit-def: $vgpr33
	s_cbranch_scc1 .LBB7_296
; %bb.286:                              ;   in Loop: Header=BB7_6 Depth=1
	s_add_i32 s29, s30, s65
                                        ; implicit-def: $vgpr33
	s_mul_hi_u32 s31, s29, s72
	s_mul_i32 s31, s31, s35
	s_sub_i32 s31, s29, s31
	s_sub_i32 s33, s31, s35
	s_cmp_ge_u32 s31, s35
	s_cselect_b32 s31, s33, s31
	s_sub_i32 s33, s31, s35
	s_cmp_ge_u32 s31, s35
	s_cselect_b32 s31, s33, s31
	s_mov_b32 s33, exec_lo
	s_sub_i32 s34, s29, s31
	s_mov_b32 s31, 0
	s_mov_b32 s29, 0
	v_cmpx_gt_u32_e64 s34, v0
	s_cbranch_execz .LBB7_295
; %bb.287:                              ;   in Loop: Header=BB7_6 Depth=1
	v_mov_b32_e32 v2, v0
                                        ; implicit-def: $sgpr88
	s_inst_prefetch 0x1
	s_branch .LBB7_290
	.p2align	6
.LBB7_288:                              ;   in Loop: Header=BB7_290 Depth=2
	s_or_b32 exec_lo, exec_lo, s89
	s_waitcnt lgkmcnt(0)
	s_barrier
	buffer_gl0_inv
	ds_read_u16 v3, v19 offset:3072
	s_mov_b32 s90, -1
	s_waitcnt lgkmcnt(0)
	s_barrier
	buffer_gl0_inv
	v_cmp_ne_u32_sdwa s89, v3, v19 src0_sel:BYTE_0 src1_sel:DWORD
	s_and_b32 vcc_lo, exec_lo, s89
	s_mov_b32 s89, -1
	s_cbranch_vccz .LBB7_293
.LBB7_289:                              ;   in Loop: Header=BB7_290 Depth=2
	s_and_b32 s90, exec_lo, s90
	s_or_b32 s29, s90, s29
	s_andn2_b32 s88, s88, exec_lo
	s_and_b32 s89, s89, exec_lo
	s_or_b32 s88, s88, s89
	s_andn2_b32 exec_lo, exec_lo, s29
	s_cbranch_execz .LBB7_294
.LBB7_290:                              ;   Parent Loop BB7_6 Depth=1
                                        ; =>  This Inner Loop Header: Depth=2
	s_mov_b32 s89, exec_lo
	v_cmpx_gt_u32_e64 s30, v2
	s_cbranch_execz .LBB7_288
; %bb.291:                              ;   in Loop: Header=BB7_290 Depth=2
	ds_read_u8 v3, v2
	s_waitcnt lgkmcnt(0)
	v_and_b32_e32 v5, v3, v32
	v_cmp_eq_u32_sdwa s90, v5, v14 src0_sel:BYTE_0 src1_sel:DWORD
	s_and_b32 exec_lo, exec_lo, s90
	s_cbranch_execz .LBB7_288
; %bb.292:                              ;   in Loop: Header=BB7_290 Depth=2
	v_lshlrev_b16 v3, 8, v3
	v_or_b32_e32 v3, 1, v3
	ds_write_b16 v19, v3 offset:3072
	s_branch .LBB7_288
	.p2align	6
.LBB7_293:                              ;   in Loop: Header=BB7_290 Depth=2
	v_add_nc_u32_e32 v2, s35, v2
	s_mov_b32 s89, 0
	v_cmp_le_u32_e32 vcc_lo, s34, v2
	s_orn2_b32 s90, vcc_lo, exec_lo
	s_branch .LBB7_289
.LBB7_294:                              ;   in Loop: Header=BB7_6 Depth=1
	s_inst_prefetch 0x2
	s_or_b32 exec_lo, exec_lo, s29
	v_lshrrev_b32_sdwa v33, v31, v3 dst_sel:DWORD dst_unused:UNUSED_PAD src0_sel:DWORD src1_sel:WORD_0
	s_and_b32 s29, s88, exec_lo
.LBB7_295:                              ;   in Loop: Header=BB7_6 Depth=1
	s_or_b32 exec_lo, exec_lo, s33
.LBB7_296:                              ;   in Loop: Header=BB7_6 Depth=1
	s_and_b32 vcc_lo, exec_lo, s31
	s_cbranch_vccz .LBB7_307
; %bb.297:                              ;   in Loop: Header=BB7_6 Depth=1
                                        ; implicit-def: $vgpr33
	s_and_saveexec_b32 s22, s13
	s_cbranch_execz .LBB7_306
; %bb.298:                              ;   in Loop: Header=BB7_6 Depth=1
	v_mov_b32_e32 v2, v18
	v_mov_b32_e32 v3, v0
	s_mov_b32 s26, 0
                                        ; implicit-def: $sgpr30
	s_inst_prefetch 0x1
	s_branch .LBB7_301
	.p2align	6
.LBB7_299:                              ;   in Loop: Header=BB7_301 Depth=2
	s_or_b32 exec_lo, exec_lo, s31
	s_waitcnt lgkmcnt(0)
	s_barrier
	buffer_gl0_inv
	ds_read_u16 v5, v19 offset:3072
	s_mov_b32 s31, -1
	s_waitcnt lgkmcnt(0)
	s_barrier
	buffer_gl0_inv
	v_cmp_eq_u32_sdwa s33, v5, v19 src0_sel:BYTE_0 src1_sel:DWORD
	s_and_b32 vcc_lo, exec_lo, s33
	s_mov_b32 s33, -1
	s_cbranch_vccnz .LBB7_304
.LBB7_300:                              ;   in Loop: Header=BB7_301 Depth=2
	s_and_b32 s31, exec_lo, s31
	s_or_b32 s26, s31, s26
	s_andn2_b32 s30, s30, exec_lo
	s_and_b32 s31, s33, exec_lo
	s_or_b32 s30, s30, s31
	s_andn2_b32 exec_lo, exec_lo, s26
	s_cbranch_execz .LBB7_305
.LBB7_301:                              ;   Parent Loop BB7_6 Depth=1
                                        ; =>  This Inner Loop Header: Depth=2
	s_mov_b32 s31, exec_lo
	v_cmpx_gt_u32_e64 s36, v3
	s_cbranch_execz .LBB7_299
; %bb.302:                              ;   in Loop: Header=BB7_301 Depth=2
	global_load_ubyte v5, v2, s[40:41]
	s_waitcnt vmcnt(0)
	v_and_b32_e32 v6, v5, v32
	v_cmp_eq_u32_sdwa s33, v6, v14 src0_sel:BYTE_0 src1_sel:DWORD
	s_and_b32 exec_lo, exec_lo, s33
	s_cbranch_execz .LBB7_299
; %bb.303:                              ;   in Loop: Header=BB7_301 Depth=2
	v_lshlrev_b16 v5, 8, v5
	v_or_b32_e32 v5, 1, v5
	ds_write_b16 v19, v5 offset:3072
	s_branch .LBB7_299
.LBB7_304:                              ;   in Loop: Header=BB7_301 Depth=2
	v_add_nc_u32_e32 v3, s35, v3
	v_add_nc_u32_e32 v2, s52, v2
	s_mov_b32 s33, 0
	v_cmp_le_u32_e32 vcc_lo, s74, v3
	s_orn2_b32 s31, vcc_lo, exec_lo
	s_branch .LBB7_300
.LBB7_305:                              ;   in Loop: Header=BB7_6 Depth=1
	s_inst_prefetch 0x2
	s_or_b32 exec_lo, exec_lo, s26
	v_lshrrev_b32_sdwa v33, v31, v5 dst_sel:DWORD dst_unused:UNUSED_PAD src0_sel:DWORD src1_sel:WORD_0
	s_andn2_b32 s26, s29, exec_lo
	s_and_b32 s29, s30, exec_lo
	s_or_b32 s29, s26, s29
.LBB7_306:                              ;   in Loop: Header=BB7_6 Depth=1
	s_or_b32 exec_lo, exec_lo, s22
	s_mov_b32 s22, 0
	s_mov_b32 s26, -1
.LBB7_307:                              ;   in Loop: Header=BB7_6 Depth=1
	s_orn2_b32 s29, s29, exec_lo
.LBB7_308:                              ;   in Loop: Header=BB7_6 Depth=1
	s_or_b32 exec_lo, exec_lo, s27
	s_mov_b32 s30, 0
	s_and_saveexec_b32 s27, s29
	s_cbranch_execz .LBB7_397
; %bb.309:                              ;   in Loop: Header=BB7_6 Depth=1
	v_mov_b32_e32 v2, 1
	v_mov_b32_e32 v1, 1
	s_xor_b32 s29, s28, -1
	s_mov_b32 s31, 0
	s_and_saveexec_b32 s28, s29
	s_cbranch_execz .LBB7_318
; %bb.310:                              ;   in Loop: Header=BB7_6 Depth=1
	s_mov_b32 s29, exec_lo
	v_cmpx_ge_u32_e64 s21, v4
	s_xor_b32 s29, exec_lo, s29
	s_cbranch_execz .LBB7_315
; %bb.311:                              ;   in Loop: Header=BB7_6 Depth=1
	ds_read_b32 v1, v19 offset:4096
	s_lshl_b32 s30, 2, s81
	v_or_b32_e32 v32, s18, v32
	v_and_or_b32 v14, v14, s19, s30
	s_waitcnt lgkmcnt(0)
	v_cmp_ne_u32_e32 vcc_lo, 0, v1
	s_cbranch_vccnz .LBB7_315
; %bb.312:                              ;   in Loop: Header=BB7_6 Depth=1
	s_and_saveexec_b32 s30, s3
; %bb.313:                              ;   in Loop: Header=BB7_6 Depth=1
	v_mov_b32_e32 v1, s21
	ds_write_b32 v19, v1 offset:4100
; %bb.314:                              ;   in Loop: Header=BB7_6 Depth=1
	s_or_b32 exec_lo, exec_lo, s30
	s_waitcnt lgkmcnt(0)
	s_barrier
	buffer_gl0_inv
.LBB7_315:                              ;   in Loop: Header=BB7_6 Depth=1
	s_or_saveexec_b32 s29, s29
	v_mov_b32_e32 v1, 5
	s_mov_b32 s30, 0
	s_xor_b32 exec_lo, exec_lo, s29
; %bb.316:                              ;   in Loop: Header=BB7_6 Depth=1
	v_subrev_nc_u32_e32 v4, s21, v4
	v_mov_b32_e32 v1, 0
	s_mov_b32 s30, exec_lo
; %bb.317:                              ;   in Loop: Header=BB7_6 Depth=1
	s_or_b32 exec_lo, exec_lo, s29
	v_mov_b32_e32 v2, v4
	s_and_b32 s31, s30, exec_lo
.LBB7_318:                              ;   in Loop: Header=BB7_6 Depth=1
	s_or_b32 exec_lo, exec_lo, s28
	s_mov_b32 s30, -1
                                        ; implicit-def: $sgpr28
                                        ; implicit-def: $sgpr29
	s_and_saveexec_b32 s21, s31
	s_cbranch_execz .LBB7_396
; %bb.319:                              ;   in Loop: Header=BB7_6 Depth=1
	v_cmp_eq_u32_e32 vcc_lo, 1, v2
	s_cmp_eq_u32 s20, 1
	s_mov_b32 s33, -1
	s_cselect_b32 s28, -1, 0
                                        ; implicit-def: $sgpr29
	s_and_b32 s31, s28, vcc_lo
                                        ; implicit-def: $sgpr28
	s_and_saveexec_b32 s30, s31
	s_cbranch_execz .LBB7_345
; %bb.320:                              ;   in Loop: Header=BB7_6 Depth=1
	ds_read_b32 v3, v19 offset:4096
	s_waitcnt lgkmcnt(0)
	s_barrier
	buffer_gl0_inv
	v_readfirstlane_b32 s34, v3
	s_and_saveexec_b32 s28, s15
; %bb.321:                              ;   in Loop: Header=BB7_6 Depth=1
	ds_write_b8 v0, v19 offset:3072
; %bb.322:                              ;   in Loop: Header=BB7_6 Depth=1
	s_or_b32 exec_lo, exec_lo, s28
	s_lshl_b32 s28, 1, s81
	v_or_b32_e32 v32, s18, v32
	v_and_or_b32 v14, v14, s19, s28
	s_mov_b32 s28, -1
	s_mov_b32 s29, 0
	s_cmp_eq_u32 s34, 0
	s_mov_b32 s33, 0
	s_mov_b32 s88, -1
	s_waitcnt lgkmcnt(0)
	s_barrier
	buffer_gl0_inv
                                        ; implicit-def: $vgpr33
	s_cbranch_scc1 .LBB7_333
; %bb.323:                              ;   in Loop: Header=BB7_6 Depth=1
	s_add_i32 s33, s34, s65
                                        ; implicit-def: $vgpr33
	s_mul_hi_u32 s88, s33, s72
	s_mul_i32 s88, s88, s35
	s_sub_i32 s88, s33, s88
	s_sub_i32 s89, s88, s35
	s_cmp_ge_u32 s88, s35
	s_cselect_b32 s88, s89, s88
	s_sub_i32 s89, s88, s35
	s_cmp_ge_u32 s88, s35
	s_cselect_b32 s88, s89, s88
	s_mov_b32 s89, exec_lo
	s_sub_i32 s90, s33, s88
	s_mov_b32 s88, 0
	s_mov_b32 s33, 0
	v_cmpx_gt_u32_e64 s90, v0
	s_cbranch_execz .LBB7_332
; %bb.324:                              ;   in Loop: Header=BB7_6 Depth=1
	v_mov_b32_e32 v3, v0
                                        ; implicit-def: $sgpr91
	s_inst_prefetch 0x1
	s_branch .LBB7_327
	.p2align	6
.LBB7_325:                              ;   in Loop: Header=BB7_327 Depth=2
	s_or_b32 exec_lo, exec_lo, s92
	s_waitcnt lgkmcnt(0)
	s_barrier
	buffer_gl0_inv
	ds_read_u16 v4, v19 offset:3072
	s_mov_b32 s93, -1
	s_waitcnt lgkmcnt(0)
	s_barrier
	buffer_gl0_inv
	v_cmp_ne_u32_sdwa s92, v4, v19 src0_sel:BYTE_0 src1_sel:DWORD
	s_and_b32 vcc_lo, exec_lo, s92
	s_mov_b32 s92, -1
	s_cbranch_vccz .LBB7_330
.LBB7_326:                              ;   in Loop: Header=BB7_327 Depth=2
	s_and_b32 s93, exec_lo, s93
	s_or_b32 s33, s93, s33
	s_andn2_b32 s91, s91, exec_lo
	s_and_b32 s92, s92, exec_lo
	s_or_b32 s91, s91, s92
	s_andn2_b32 exec_lo, exec_lo, s33
	s_cbranch_execz .LBB7_331
.LBB7_327:                              ;   Parent Loop BB7_6 Depth=1
                                        ; =>  This Inner Loop Header: Depth=2
	s_mov_b32 s92, exec_lo
	v_cmpx_gt_u32_e64 s34, v3
	s_cbranch_execz .LBB7_325
; %bb.328:                              ;   in Loop: Header=BB7_327 Depth=2
	ds_read_u8 v4, v3
	s_waitcnt lgkmcnt(0)
	v_and_b32_e32 v5, v4, v32
	v_cmp_eq_u32_sdwa s93, v5, v14 src0_sel:BYTE_0 src1_sel:DWORD
	s_and_b32 exec_lo, exec_lo, s93
	s_cbranch_execz .LBB7_325
; %bb.329:                              ;   in Loop: Header=BB7_327 Depth=2
	v_lshlrev_b16 v4, 8, v4
	v_or_b32_e32 v4, 1, v4
	ds_write_b16 v19, v4 offset:3072
	s_branch .LBB7_325
	.p2align	6
.LBB7_330:                              ;   in Loop: Header=BB7_327 Depth=2
	v_add_nc_u32_e32 v3, s35, v3
	s_mov_b32 s92, 0
	v_cmp_le_u32_e32 vcc_lo, s90, v3
	s_orn2_b32 s93, vcc_lo, exec_lo
	s_branch .LBB7_326
.LBB7_331:                              ;   in Loop: Header=BB7_6 Depth=1
	s_inst_prefetch 0x2
	s_or_b32 exec_lo, exec_lo, s33
	v_lshrrev_b32_sdwa v33, v31, v4 dst_sel:DWORD dst_unused:UNUSED_PAD src0_sel:DWORD src1_sel:WORD_0
	s_and_b32 s33, s91, exec_lo
.LBB7_332:                              ;   in Loop: Header=BB7_6 Depth=1
	s_or_b32 exec_lo, exec_lo, s89
.LBB7_333:                              ;   in Loop: Header=BB7_6 Depth=1
	s_and_b32 vcc_lo, exec_lo, s88
	s_cbranch_vccz .LBB7_344
; %bb.334:                              ;   in Loop: Header=BB7_6 Depth=1
                                        ; implicit-def: $vgpr33
	s_and_saveexec_b32 s28, s13
	s_cbranch_execz .LBB7_343
; %bb.335:                              ;   in Loop: Header=BB7_6 Depth=1
	v_mov_b32_e32 v3, v18
	v_mov_b32_e32 v4, v0
	s_mov_b32 s29, 0
                                        ; implicit-def: $sgpr34
	s_inst_prefetch 0x1
	s_branch .LBB7_338
	.p2align	6
.LBB7_336:                              ;   in Loop: Header=BB7_338 Depth=2
	s_or_b32 exec_lo, exec_lo, s88
	s_waitcnt lgkmcnt(0)
	s_barrier
	buffer_gl0_inv
	ds_read_u16 v5, v19 offset:3072
	s_mov_b32 s88, -1
	s_waitcnt lgkmcnt(0)
	s_barrier
	buffer_gl0_inv
	v_cmp_eq_u32_sdwa s89, v5, v19 src0_sel:BYTE_0 src1_sel:DWORD
	s_and_b32 vcc_lo, exec_lo, s89
	s_mov_b32 s89, -1
	s_cbranch_vccnz .LBB7_341
.LBB7_337:                              ;   in Loop: Header=BB7_338 Depth=2
	s_and_b32 s88, exec_lo, s88
	s_or_b32 s29, s88, s29
	s_andn2_b32 s34, s34, exec_lo
	s_and_b32 s88, s89, exec_lo
	s_or_b32 s34, s34, s88
	s_andn2_b32 exec_lo, exec_lo, s29
	s_cbranch_execz .LBB7_342
.LBB7_338:                              ;   Parent Loop BB7_6 Depth=1
                                        ; =>  This Inner Loop Header: Depth=2
	s_mov_b32 s88, exec_lo
	v_cmpx_gt_u32_e64 s36, v4
	s_cbranch_execz .LBB7_336
; %bb.339:                              ;   in Loop: Header=BB7_338 Depth=2
	global_load_ubyte v5, v3, s[40:41]
	s_waitcnt vmcnt(0)
	v_and_b32_e32 v6, v5, v32
	v_cmp_eq_u32_sdwa s89, v6, v14 src0_sel:BYTE_0 src1_sel:DWORD
	s_and_b32 exec_lo, exec_lo, s89
	s_cbranch_execz .LBB7_336
; %bb.340:                              ;   in Loop: Header=BB7_338 Depth=2
	v_lshlrev_b16 v5, 8, v5
	v_or_b32_e32 v5, 1, v5
	ds_write_b16 v19, v5 offset:3072
	s_branch .LBB7_336
.LBB7_341:                              ;   in Loop: Header=BB7_338 Depth=2
	v_add_nc_u32_e32 v4, s35, v4
	v_add_nc_u32_e32 v3, s52, v3
	s_mov_b32 s89, 0
	v_cmp_le_u32_e32 vcc_lo, s74, v4
	s_orn2_b32 s88, vcc_lo, exec_lo
	s_branch .LBB7_337
.LBB7_342:                              ;   in Loop: Header=BB7_6 Depth=1
	s_inst_prefetch 0x2
	s_or_b32 exec_lo, exec_lo, s29
	v_lshrrev_b32_sdwa v33, v31, v5 dst_sel:DWORD dst_unused:UNUSED_PAD src0_sel:DWORD src1_sel:WORD_0
	s_andn2_b32 s29, s33, exec_lo
	s_and_b32 s33, s34, exec_lo
	s_or_b32 s33, s29, s33
.LBB7_343:                              ;   in Loop: Header=BB7_6 Depth=1
	s_or_b32 exec_lo, exec_lo, s28
	s_mov_b32 s28, 0
	s_mov_b32 s29, -1
.LBB7_344:                              ;   in Loop: Header=BB7_6 Depth=1
	s_orn2_b32 s33, s33, exec_lo
.LBB7_345:                              ;   in Loop: Header=BB7_6 Depth=1
	s_or_b32 exec_lo, exec_lo, s30
	s_mov_b32 s34, 0
	s_and_saveexec_b32 s30, s33
	s_cbranch_execz .LBB7_395
; %bb.346:                              ;   in Loop: Header=BB7_6 Depth=1
	v_mov_b32_e32 v3, 1
	v_mov_b32_e32 v1, 1
	s_xor_b32 s33, s31, -1
	s_mov_b32 s88, 0
	s_and_saveexec_b32 s31, s33
	s_cbranch_execz .LBB7_355
; %bb.347:                              ;   in Loop: Header=BB7_6 Depth=1
	s_mov_b32 s33, exec_lo
	v_cmpx_ge_u32_e64 s20, v2
	s_xor_b32 s33, exec_lo, s33
	s_cbranch_execz .LBB7_352
; %bb.348:                              ;   in Loop: Header=BB7_6 Depth=1
	ds_read_b32 v1, v19 offset:4096
	s_lshl_b32 s34, 1, s81
	v_or_b32_e32 v32, s18, v32
	v_and_or_b32 v14, v14, s19, s34
	s_waitcnt lgkmcnt(0)
	v_cmp_ne_u32_e32 vcc_lo, 0, v1
	s_cbranch_vccnz .LBB7_352
; %bb.349:                              ;   in Loop: Header=BB7_6 Depth=1
	s_and_saveexec_b32 s34, s3
; %bb.350:                              ;   in Loop: Header=BB7_6 Depth=1
	v_mov_b32_e32 v1, s20
	ds_write_b32 v19, v1 offset:4100
; %bb.351:                              ;   in Loop: Header=BB7_6 Depth=1
	s_or_b32 exec_lo, exec_lo, s34
	s_waitcnt lgkmcnt(0)
	s_barrier
	buffer_gl0_inv
.LBB7_352:                              ;   in Loop: Header=BB7_6 Depth=1
	s_or_saveexec_b32 s33, s33
	v_mov_b32_e32 v1, 5
	s_mov_b32 s34, 0
	s_xor_b32 exec_lo, exec_lo, s33
; %bb.353:                              ;   in Loop: Header=BB7_6 Depth=1
	v_subrev_nc_u32_e32 v2, s20, v2
	v_mov_b32_e32 v1, 0
	s_mov_b32 s34, exec_lo
; %bb.354:                              ;   in Loop: Header=BB7_6 Depth=1
	s_or_b32 exec_lo, exec_lo, s33
	v_mov_b32_e32 v3, v2
	s_and_b32 s88, s34, exec_lo
.LBB7_355:                              ;   in Loop: Header=BB7_6 Depth=1
	s_or_b32 exec_lo, exec_lo, s31
	s_mov_b32 s34, -1
                                        ; implicit-def: $sgpr33
                                        ; implicit-def: $sgpr31
	s_and_saveexec_b32 s20, s88
	s_cbranch_execz .LBB7_394
; %bb.356:                              ;   in Loop: Header=BB7_6 Depth=1
	v_cmp_eq_u32_e32 vcc_lo, 1, v3
	s_cmp_eq_u32 s17, 1
	s_mov_b32 s89, -1
	s_cselect_b32 s31, -1, 0
                                        ; implicit-def: $sgpr33
	s_and_b32 s34, s31, vcc_lo
                                        ; implicit-def: $sgpr31
	s_and_saveexec_b32 s88, s34
	s_cbranch_execz .LBB7_382
; %bb.357:                              ;   in Loop: Header=BB7_6 Depth=1
	ds_read_b32 v2, v19 offset:4096
	s_waitcnt lgkmcnt(0)
	s_barrier
	buffer_gl0_inv
	v_readfirstlane_b32 s90, v2
	s_and_saveexec_b32 s31, s15
; %bb.358:                              ;   in Loop: Header=BB7_6 Depth=1
	ds_write_b8 v0, v19 offset:3072
; %bb.359:                              ;   in Loop: Header=BB7_6 Depth=1
	s_or_b32 exec_lo, exec_lo, s31
	v_and_b32_e32 v14, s19, v14
	v_or_b32_e32 v32, s18, v32
	s_mov_b32 s31, -1
	s_mov_b32 s33, 0
	s_cmp_eq_u32 s90, 0
	s_mov_b32 s89, 0
	s_mov_b32 s91, -1
	s_waitcnt lgkmcnt(0)
	s_barrier
	buffer_gl0_inv
                                        ; implicit-def: $vgpr33
	s_cbranch_scc1 .LBB7_370
; %bb.360:                              ;   in Loop: Header=BB7_6 Depth=1
	s_add_i32 s89, s90, s65
                                        ; implicit-def: $vgpr33
	s_mul_hi_u32 s91, s89, s72
	s_mul_i32 s91, s91, s35
	s_sub_i32 s91, s89, s91
	s_sub_i32 s92, s91, s35
	s_cmp_ge_u32 s91, s35
	s_cselect_b32 s91, s92, s91
	s_sub_i32 s92, s91, s35
	s_cmp_ge_u32 s91, s35
	s_cselect_b32 s91, s92, s91
	s_mov_b32 s92, exec_lo
	s_sub_i32 s93, s89, s91
	s_mov_b32 s91, 0
	s_mov_b32 s89, 0
	v_cmpx_gt_u32_e64 s93, v0
	s_cbranch_execz .LBB7_369
; %bb.361:                              ;   in Loop: Header=BB7_6 Depth=1
	v_mov_b32_e32 v2, v0
                                        ; implicit-def: $sgpr94
	s_inst_prefetch 0x1
	s_branch .LBB7_364
	.p2align	6
.LBB7_362:                              ;   in Loop: Header=BB7_364 Depth=2
	s_or_b32 exec_lo, exec_lo, s95
	s_waitcnt lgkmcnt(0)
	s_barrier
	buffer_gl0_inv
	ds_read_u16 v4, v19 offset:3072
	s_mov_b32 s96, -1
	s_waitcnt lgkmcnt(0)
	s_barrier
	buffer_gl0_inv
	v_cmp_ne_u32_sdwa s95, v4, v19 src0_sel:BYTE_0 src1_sel:DWORD
	s_and_b32 vcc_lo, exec_lo, s95
	s_mov_b32 s95, -1
	s_cbranch_vccz .LBB7_367
.LBB7_363:                              ;   in Loop: Header=BB7_364 Depth=2
	s_and_b32 s96, exec_lo, s96
	s_or_b32 s89, s96, s89
	s_andn2_b32 s94, s94, exec_lo
	s_and_b32 s95, s95, exec_lo
	s_or_b32 s94, s94, s95
	s_andn2_b32 exec_lo, exec_lo, s89
	s_cbranch_execz .LBB7_368
.LBB7_364:                              ;   Parent Loop BB7_6 Depth=1
                                        ; =>  This Inner Loop Header: Depth=2
	s_mov_b32 s95, exec_lo
	v_cmpx_gt_u32_e64 s90, v2
	s_cbranch_execz .LBB7_362
; %bb.365:                              ;   in Loop: Header=BB7_364 Depth=2
	ds_read_u8 v4, v2
	s_waitcnt lgkmcnt(0)
	v_and_b32_e32 v5, v4, v32
	v_cmp_eq_u32_sdwa s96, v5, v14 src0_sel:BYTE_0 src1_sel:DWORD
	s_and_b32 exec_lo, exec_lo, s96
	s_cbranch_execz .LBB7_362
; %bb.366:                              ;   in Loop: Header=BB7_364 Depth=2
	v_lshlrev_b16 v4, 8, v4
	v_or_b32_e32 v4, 1, v4
	ds_write_b16 v19, v4 offset:3072
	s_branch .LBB7_362
	.p2align	6
.LBB7_367:                              ;   in Loop: Header=BB7_364 Depth=2
	v_add_nc_u32_e32 v2, s35, v2
	s_mov_b32 s95, 0
	v_cmp_le_u32_e32 vcc_lo, s93, v2
	s_orn2_b32 s96, vcc_lo, exec_lo
	s_branch .LBB7_363
.LBB7_368:                              ;   in Loop: Header=BB7_6 Depth=1
	s_inst_prefetch 0x2
	s_or_b32 exec_lo, exec_lo, s89
	v_lshrrev_b32_sdwa v33, v31, v4 dst_sel:DWORD dst_unused:UNUSED_PAD src0_sel:DWORD src1_sel:WORD_0
	s_and_b32 s89, s94, exec_lo
.LBB7_369:                              ;   in Loop: Header=BB7_6 Depth=1
	s_or_b32 exec_lo, exec_lo, s92
.LBB7_370:                              ;   in Loop: Header=BB7_6 Depth=1
	s_and_b32 vcc_lo, exec_lo, s91
	s_cbranch_vccz .LBB7_381
; %bb.371:                              ;   in Loop: Header=BB7_6 Depth=1
                                        ; implicit-def: $vgpr33
	s_and_saveexec_b32 s31, s13
	s_cbranch_execz .LBB7_380
; %bb.372:                              ;   in Loop: Header=BB7_6 Depth=1
	v_mov_b32_e32 v2, v18
	v_mov_b32_e32 v4, v0
	s_mov_b32 s33, 0
                                        ; implicit-def: $sgpr90
	s_inst_prefetch 0x1
	s_branch .LBB7_375
	.p2align	6
.LBB7_373:                              ;   in Loop: Header=BB7_375 Depth=2
	s_or_b32 exec_lo, exec_lo, s91
	s_waitcnt lgkmcnt(0)
	s_barrier
	buffer_gl0_inv
	ds_read_u16 v5, v19 offset:3072
	s_mov_b32 s91, -1
	s_waitcnt lgkmcnt(0)
	s_barrier
	buffer_gl0_inv
	v_cmp_eq_u32_sdwa s92, v5, v19 src0_sel:BYTE_0 src1_sel:DWORD
	s_and_b32 vcc_lo, exec_lo, s92
	s_mov_b32 s92, -1
	s_cbranch_vccnz .LBB7_378
.LBB7_374:                              ;   in Loop: Header=BB7_375 Depth=2
	s_and_b32 s91, exec_lo, s91
	s_or_b32 s33, s91, s33
	s_andn2_b32 s90, s90, exec_lo
	s_and_b32 s91, s92, exec_lo
	s_or_b32 s90, s90, s91
	s_andn2_b32 exec_lo, exec_lo, s33
	s_cbranch_execz .LBB7_379
.LBB7_375:                              ;   Parent Loop BB7_6 Depth=1
                                        ; =>  This Inner Loop Header: Depth=2
	s_mov_b32 s91, exec_lo
	v_cmpx_gt_u32_e64 s36, v4
	s_cbranch_execz .LBB7_373
; %bb.376:                              ;   in Loop: Header=BB7_375 Depth=2
	global_load_ubyte v5, v2, s[40:41]
	s_waitcnt vmcnt(0)
	v_and_b32_e32 v6, v5, v32
	v_cmp_eq_u32_sdwa s92, v6, v14 src0_sel:BYTE_0 src1_sel:DWORD
	s_and_b32 exec_lo, exec_lo, s92
	s_cbranch_execz .LBB7_373
; %bb.377:                              ;   in Loop: Header=BB7_375 Depth=2
	v_lshlrev_b16 v5, 8, v5
	v_or_b32_e32 v5, 1, v5
	ds_write_b16 v19, v5 offset:3072
	s_branch .LBB7_373
.LBB7_378:                              ;   in Loop: Header=BB7_375 Depth=2
	v_add_nc_u32_e32 v4, s35, v4
	v_add_nc_u32_e32 v2, s52, v2
	s_mov_b32 s92, 0
	v_cmp_le_u32_e32 vcc_lo, s74, v4
	s_orn2_b32 s91, vcc_lo, exec_lo
	s_branch .LBB7_374
.LBB7_379:                              ;   in Loop: Header=BB7_6 Depth=1
	s_inst_prefetch 0x2
	s_or_b32 exec_lo, exec_lo, s33
	v_lshrrev_b32_sdwa v33, v31, v5 dst_sel:DWORD dst_unused:UNUSED_PAD src0_sel:DWORD src1_sel:WORD_0
	s_andn2_b32 s33, s89, exec_lo
	s_and_b32 s89, s90, exec_lo
	s_or_b32 s89, s33, s89
.LBB7_380:                              ;   in Loop: Header=BB7_6 Depth=1
	s_or_b32 exec_lo, exec_lo, s31
	s_mov_b32 s31, 0
	s_mov_b32 s33, -1
.LBB7_381:                              ;   in Loop: Header=BB7_6 Depth=1
	s_orn2_b32 s89, s89, exec_lo
.LBB7_382:                              ;   in Loop: Header=BB7_6 Depth=1
	s_or_b32 exec_lo, exec_lo, s88
	s_mov_b32 s90, 0
	s_and_saveexec_b32 s88, s89
	s_cbranch_execz .LBB7_393
; %bb.383:                              ;   in Loop: Header=BB7_6 Depth=1
	v_mov_b32_e32 v1, 1
	v_mov_b32_e32 v2, 1
	s_xor_b32 s89, s34, -1
	s_and_saveexec_b32 s34, s89
	s_cbranch_execz .LBB7_392
; %bb.384:                              ;   in Loop: Header=BB7_6 Depth=1
	s_mov_b32 s89, exec_lo
	v_cmpx_ge_u32_e64 s17, v3
	s_xor_b32 s89, exec_lo, s89
	s_cbranch_execz .LBB7_389
; %bb.385:                              ;   in Loop: Header=BB7_6 Depth=1
	ds_read_b32 v1, v19 offset:4096
	v_and_b32_e32 v14, s19, v14
	v_or_b32_e32 v32, s18, v32
	s_waitcnt lgkmcnt(0)
	v_cmp_ne_u32_e32 vcc_lo, 0, v1
	s_cbranch_vccnz .LBB7_389
; %bb.386:                              ;   in Loop: Header=BB7_6 Depth=1
	s_and_saveexec_b32 s18, s3
; %bb.387:                              ;   in Loop: Header=BB7_6 Depth=1
	v_mov_b32_e32 v1, s17
	ds_write_b32 v19, v1 offset:4100
; %bb.388:                              ;   in Loop: Header=BB7_6 Depth=1
	s_or_b32 exec_lo, exec_lo, s18
	s_waitcnt lgkmcnt(0)
	s_barrier
	buffer_gl0_inv
.LBB7_389:                              ;   in Loop: Header=BB7_6 Depth=1
	s_andn2_saveexec_b32 s18, s89
; %bb.390:                              ;   in Loop: Header=BB7_6 Depth=1
	v_subrev_nc_u32_e32 v3, s17, v3
; %bb.391:                              ;   in Loop: Header=BB7_6 Depth=1
	s_or_b32 exec_lo, exec_lo, s18
	v_mov_b32_e32 v1, 5
	v_mov_b32_e32 v2, v3
.LBB7_392:                              ;   in Loop: Header=BB7_6 Depth=1
	s_or_b32 exec_lo, exec_lo, s34
	v_mov_b32_e32 v3, v2
	s_mov_b32 s90, exec_lo
.LBB7_393:                              ;   in Loop: Header=BB7_6 Depth=1
	s_or_b32 exec_lo, exec_lo, s88
	s_orn2_b32 s34, s90, exec_lo
.LBB7_394:                              ;   in Loop: Header=BB7_6 Depth=1
	s_or_b32 exec_lo, exec_lo, s20
	v_mov_b32_e32 v2, v3
	s_andn2_b32 s17, s29, exec_lo
	s_and_b32 s18, s33, exec_lo
	s_andn2_b32 s19, s28, exec_lo
	s_and_b32 s20, s31, exec_lo
	s_or_b32 s29, s17, s18
	s_or_b32 s28, s19, s20
	s_and_b32 s34, s34, exec_lo
.LBB7_395:                              ;   in Loop: Header=BB7_6 Depth=1
	s_or_b32 exec_lo, exec_lo, s30
	s_orn2_b32 s30, s34, exec_lo
.LBB7_396:                              ;   in Loop: Header=BB7_6 Depth=1
	s_or_b32 exec_lo, exec_lo, s21
	v_mov_b32_e32 v4, v2
	s_andn2_b32 s17, s26, exec_lo
	s_and_b32 s18, s29, exec_lo
	s_andn2_b32 s19, s22, exec_lo
	s_and_b32 s20, s28, exec_lo
	s_or_b32 s26, s17, s18
	s_or_b32 s22, s19, s20
	s_and_b32 s30, s30, exec_lo
.LBB7_397:                              ;   in Loop: Header=BB7_6 Depth=1
	s_or_b32 exec_lo, exec_lo, s27
	s_orn2_b32 s27, s30, exec_lo
.LBB7_398:                              ;   in Loop: Header=BB7_6 Depth=1
	s_or_b32 exec_lo, exec_lo, s6
	s_mov_b32 s6, s24
	s_mov_b32 s17, s23
	s_and_saveexec_b32 s18, s27
; %bb.399:                              ;   in Loop: Header=BB7_6 Depth=1
	v_cmp_ne_u32_e32 vcc_lo, 5, v1
	v_cmp_eq_u32_e64 s6, 5, v1
	s_andn2_b32 s17, s23, exec_lo
	s_andn2_b32 s19, s24, exec_lo
	s_and_b32 s20, vcc_lo, exec_lo
	s_and_b32 s6, s6, exec_lo
	s_or_b32 s17, s17, s20
	s_or_b32 s6, s19, s6
; %bb.400:                              ;   in Loop: Header=BB7_6 Depth=1
	s_or_b32 exec_lo, exec_lo, s18
	s_andn2_b32 s14, s14, exec_lo
	s_and_b32 s18, s26, exec_lo
	s_andn2_b32 s16, s16, exec_lo
	s_and_b32 s19, s22, exec_lo
	s_or_b32 s14, s14, s18
	s_or_b32 s16, s16, s19
	s_andn2_b32 s18, s23, exec_lo
	s_and_b32 s17, s17, exec_lo
	s_andn2_b32 s19, s24, exec_lo
	s_and_b32 s6, s6, exec_lo
	s_or_b32 s23, s18, s17
	s_or_b32 s24, s19, s6
.LBB7_401:                              ;   in Loop: Header=BB7_6 Depth=1
	s_or_b32 exec_lo, exec_lo, s25
	s_mov_b32 s25, 0
	s_mov_b32 s26, 0
	s_and_saveexec_b32 s6, s24
.LBB7_402:                              ;   in Loop: Header=BB7_6 Depth=1
	v_mov_b32_e32 v1, 0
	s_or_b32 s23, s23, exec_lo
.LBB7_403:                              ;   in Loop: Header=BB7_6 Depth=1
	s_or_b32 exec_lo, exec_lo, s6
	s_andn2_b32 s6, s85, exec_lo
	s_and_b32 s14, s14, exec_lo
	s_andn2_b32 s18, s83, exec_lo
	s_and_b32 s16, s16, exec_lo
	v_mov_b32_e32 v34, v4
	s_or_b32 s85, s6, s14
	s_or_b32 s83, s18, s16
	s_andn2_b32 s6, s87, exec_lo
	s_and_b32 s14, s26, exec_lo
	s_andn2_b32 s16, s86, exec_lo
	s_and_b32 s18, s25, exec_lo
	s_mov_b32 s17, -1
	s_andn2_b32 s84, s84, exec_lo
	s_or_b32 s87, s6, s14
	s_or_b32 s86, s16, s18
	s_and_saveexec_b32 s6, s23
	s_xor_b32 s6, exec_lo, s6
	s_cbranch_execz .LBB7_5
; %bb.404:                              ;   in Loop: Header=BB7_6 Depth=1
	s_mov_b32 s14, -1
	s_mov_b32 s16, -1
	s_mov_b32 s17, exec_lo
	v_cmpx_eq_u32_e32 0, v1
	s_cbranch_execz .LBB7_4
; %bb.405:                              ;   in Loop: Header=BB7_6 Depth=1
	s_xor_b32 s77, s77, 1
	s_add_i32 s18, s81, -2
	s_cmp_eq_u32 s81, 0
	s_mov_b32 s81, s18
	s_cselect_b32 s14, -1, 0
	s_xor_b32 s16, exec_lo, -1
	s_orn2_b32 s14, s14, exec_lo
	s_branch .LBB7_4
.LBB7_406:
	s_or_b32 exec_lo, exec_lo, s58
	s_xor_b32 s7, s82, -1
	s_xor_b32 s12, s79, -1
	;; [unrolled: 1-line block ×5, first 2 shown]
	s_mov_b32 s9, 0
	s_and_saveexec_b32 s10, s8
	s_xor_b32 s8, exec_lo, s10
	s_cbranch_execnz .LBB7_411
; %bb.407:
	s_andn2_saveexec_b32 s0, s8
	s_cbranch_execnz .LBB7_430
.LBB7_408:
	s_or_b32 exec_lo, exec_lo, s0
	s_and_saveexec_b32 s0, s9
.LBB7_409:
	; divergent unreachable
.LBB7_410:
	s_endpgm
.LBB7_411:
	s_mov_b32 s10, 0
	s_and_saveexec_b32 s9, s11
	s_xor_b32 s9, exec_lo, s9
	s_cbranch_execz .LBB7_428
; %bb.412:
	s_mov_b32 s11, 0
	s_and_saveexec_b32 s10, s12
	s_xor_b32 s10, exec_lo, s10
	s_cbranch_execz .LBB7_426
; %bb.413:
	;; [unrolled: 5-line block ×3, first 2 shown]
	s_and_saveexec_b32 s7, s6
	s_xor_b32 s6, exec_lo, s7
; %bb.415:
	v_mov_b32_e32 v33, v14
; %bb.416:
	s_or_b32 exec_lo, exec_lo, s6
	s_and_saveexec_b32 s6, s3
; %bb.417:
	v_mov_b32_e32 v1, 0
	ds_write_b32 v1, v1 offset:4108
; %bb.418:
	s_or_b32 exec_lo, exec_lo, s6
	v_mov_b32_e32 v3, 0
	s_waitcnt lgkmcnt(0)
	s_barrier
	buffer_gl0_inv
	s_and_saveexec_b32 s3, s1
	s_cbranch_execz .LBB7_420
; %bb.419:
	global_load_ubyte v3, v[9:10], off
.LBB7_420:
	s_or_b32 exec_lo, exec_lo, s3
	s_mul_i32 s3, s57, s55
	s_add_i32 s12, s36, 31
	s_sub_i32 s3, s53, s3
	s_andn2_b32 s12, s12, 31
	s_add_i32 s6, s57, 1
	s_sub_i32 s7, s3, s55
	s_cmp_ge_u32 s3, s55
	v_cmp_gt_u32_e32 vcc_lo, s12, v0
	s_cselect_b32 s6, s6, s57
	s_cselect_b32 s3, s7, s3
	s_add_i32 s7, s6, 1
	s_cmp_ge_u32 s3, s55
	s_mul_i32 s3, s56, s54
	s_cselect_b32 s6, s7, s6
	s_sub_i32 s3, s53, s3
	s_mul_i32 s7, s6, s55
	s_mul_i32 s6, s6, s50
	s_sub_i32 s7, s53, s7
	s_add_i32 s13, s56, 1
	s_mul_i32 s7, s7, s51
	s_sub_i32 s14, s3, s54
	s_add_i32 s6, s6, s7
	s_cmp_ge_u32 s3, s54
	s_mov_b32 s18, -1
	s_cselect_b32 s7, s13, s56
	s_cselect_b32 s3, s14, s3
	s_clause 0x1
	s_load_dword s13, s[4:5], 0x1c8
	s_load_dword s14, s[4:5], 0x2a8
	s_add_i32 s15, s7, 1
	s_cmp_ge_u32 s3, s54
	s_mov_b32 s5, 0
	s_cselect_b32 s3, s15, s7
	s_mul_i32 s4, s3, s54
	s_mul_i32 s3, s3, s48
	s_sub_i32 s4, s53, s4
	s_mul_i32 s4, s4, s49
	s_add_i32 s4, s3, s4
	s_add_u32 s6, s44, s6
	s_addc_u32 s7, s45, 0
	s_lshl_b64 s[16:17], s[4:5], 3
	s_mov_b32 s3, 0
	s_add_u32 s15, s46, s16
	s_addc_u32 s16, s47, s17
	s_and_saveexec_b32 s17, vcc_lo
	s_cbranch_execnz .LBB7_431
; %bb.421:
	s_or_b32 exec_lo, exec_lo, s17
	s_and_saveexec_b32 s2, s18
	s_cbranch_execnz .LBB7_446
.LBB7_422:
	s_or_b32 exec_lo, exec_lo, s2
	s_and_saveexec_b32 s0, s3
	s_xor_b32 s0, exec_lo, s0
	s_cbranch_execnz .LBB7_469
.LBB7_423:
	s_or_b32 exec_lo, exec_lo, s0
	s_and_b32 s12, s5, exec_lo
.LBB7_424:
	s_andn2_saveexec_b32 s0, s11
	s_cbranch_execnz .LBB7_471
.LBB7_425:
	s_or_b32 exec_lo, exec_lo, s0
	s_and_b32 s11, s12, exec_lo
.LBB7_426:
	s_andn2_saveexec_b32 s0, s10
	s_cbranch_execnz .LBB7_470
.LBB7_427:
	s_or_b32 exec_lo, exec_lo, s0
	s_and_b32 s10, s11, exec_lo
.LBB7_428:
	s_andn2_saveexec_b32 s0, s9
	s_cbranch_execnz .LBB7_465
.LBB7_429:
	s_or_b32 exec_lo, exec_lo, s0
	s_and_b32 s9, s10, exec_lo
	s_andn2_saveexec_b32 s0, s8
	s_cbranch_execz .LBB7_408
.LBB7_430:
	s_or_b32 s9, s9, exec_lo
	s_trap 2
	s_or_b32 exec_lo, exec_lo, s0
	s_and_saveexec_b32 s0, s9
	s_cbranch_execnz .LBB7_409
	s_branch .LBB7_410
.LBB7_431:
	v_add_nc_u32_e32 v1, s35, v0
	v_mov_b32_e32 v2, 0
	s_mov_b32 s18, 0
                                        ; implicit-def: $sgpr19
                                        ; implicit-def: $vgpr7
	v_mul_lo_u32 v4, s42, v1
	v_mov_b32_e32 v1, v0
	s_branch .LBB7_433
.LBB7_432:                              ;   in Loop: Header=BB7_433 Depth=1
	s_or_b32 exec_lo, exec_lo, s21
	s_xor_b32 s3, s20, -1
	s_and_b32 s4, exec_lo, s4
	v_mov_b32_e32 v3, v6
	s_or_b32 s18, s4, s18
	v_mov_b32_e32 v1, v5
	s_andn2_b32 s4, s19, exec_lo
	s_and_b32 s3, s3, exec_lo
	s_or_b32 s19, s4, s3
	s_andn2_b32 exec_lo, exec_lo, s18
	s_cbranch_execz .LBB7_445
.LBB7_433:                              ; =>This Inner Loop Header: Depth=1
	v_add_nc_u32_e32 v5, s35, v1
	v_mov_b32_e32 v6, 0
	s_mov_b32 s4, exec_lo
	v_cmpx_gt_u32_e64 s36, v5
	s_cbranch_execz .LBB7_435
; %bb.434:                              ;   in Loop: Header=BB7_433 Depth=1
	global_load_ubyte v6, v4, s[40:41]
.LBB7_435:                              ;   in Loop: Header=BB7_433 Depth=1
	s_or_b32 exec_lo, exec_lo, s4
	s_waitcnt vmcnt(0)
	v_cmp_gt_u16_sdwa s3, v3, v33 src0_sel:BYTE_0 src1_sel:BYTE_0
	v_cndmask_b32_e64 v8, 0, 1, s3
	v_cmp_lt_u16_sdwa s3, v3, v33 src0_sel:BYTE_0 src1_sel:BYTE_0
	v_cndmask_b32_e64 v11, 0, 1, s3
	v_cmp_gt_u32_e64 s3, s36, v1
	v_cndmask_b32_e64 v8, v11, v8, s2
	v_and_b32_e32 v8, 1, v8
	v_cmp_eq_u32_e64 s4, 1, v8
	s_and_b32 s20, s3, s4
	v_cndmask_b32_e64 v8, 0, 1, s20
	v_cmp_ne_u32_e64 s3, 0, v8
	s_cmp_lg_u32 s3, 0
	s_cselect_b32 s4, -1, 0
	s_and_b32 s4, s0, s4
	s_and_saveexec_b32 s21, s4
	s_cbranch_execz .LBB7_439
; %bb.436:                              ;   in Loop: Header=BB7_433 Depth=1
	s_mov_b32 s24, exec_lo
	s_bcnt1_i32_b32 s22, s3
	s_waitcnt lgkmcnt(0)
	v_mbcnt_lo_u32_b32 v7, s24, 0
	s_mov_b32 s23, exec_lo
                                        ; implicit-def: $vgpr8
	v_cmpx_eq_u32_e32 0, v7
; %bb.437:                              ;   in Loop: Header=BB7_433 Depth=1
	s_bcnt1_i32_b32 s4, s24
	s_mul_i32 s4, s22, s4
	v_mov_b32_e32 v8, s4
	ds_add_rtn_u32 v8, v2, v8 offset:4108
; %bb.438:                              ;   in Loop: Header=BB7_433 Depth=1
	s_or_b32 exec_lo, exec_lo, s23
	s_waitcnt lgkmcnt(0)
	v_readfirstlane_b32 s4, v8
	v_mad_u32_u24 v7, s22, v7, s4
.LBB7_439:                              ;   in Loop: Header=BB7_433 Depth=1
	s_or_b32 exec_lo, exec_lo, s21
	s_waitcnt lgkmcnt(0)
	ds_bpermute_b32 v7, v2, v7
	s_mov_b32 s4, -1
	s_mov_b32 s22, -1
	s_and_saveexec_b32 s21, s20
	s_cbranch_execz .LBB7_443
; %bb.440:                              ;   in Loop: Header=BB7_433 Depth=1
	v_and_b32_e32 v8, s3, v15
	s_mov_b32 s20, 0
	s_mov_b32 s22, exec_lo
	s_waitcnt lgkmcnt(0)
	v_bcnt_u32_b32 v8, v8, v7
	v_cmpx_gt_u32_e64 s37, v8
; %bb.441:                              ;   in Loop: Header=BB7_433 Depth=1
	v_mul_lo_u32 v11, v8, s14
	v_mov_b32_e32 v12, v2
	v_mul_lo_u32 v8, v8, s13
	s_mov_b32 s20, exec_lo
	v_lshlrev_b64 v[11:12], 3, v[11:12]
	v_add_co_u32 v11, s3, s15, v11
	v_add_co_ci_u32_e64 v12, null, s16, v12, s3
	global_store_byte v8, v3, s[6:7]
	global_store_dwordx2 v[11:12], v[1:2], off
; %bb.442:                              ;   in Loop: Header=BB7_433 Depth=1
	s_or_b32 exec_lo, exec_lo, s22
	s_orn2_b32 s22, s20, exec_lo
.LBB7_443:                              ;   in Loop: Header=BB7_433 Depth=1
	s_or_b32 exec_lo, exec_lo, s21
	s_mov_b32 s20, -1
	s_and_saveexec_b32 s21, s22
	s_cbranch_execz .LBB7_432
; %bb.444:                              ;   in Loop: Header=BB7_433 Depth=1
	v_cmp_le_u32_e64 s3, s12, v5
	v_add_nc_u32_e32 v4, s52, v4
	s_xor_b32 s20, exec_lo, -1
	s_orn2_b32 s4, s3, exec_lo
	s_branch .LBB7_432
.LBB7_445:
	s_or_b32 exec_lo, exec_lo, s18
	s_mov_b32 s3, exec_lo
	s_orn2_b32 s18, s19, exec_lo
	s_or_b32 exec_lo, exec_lo, s17
	s_and_saveexec_b32 s2, s18
	s_cbranch_execz .LBB7_422
.LBB7_446:
	v_mov_b32_e32 v6, 0
	s_waitcnt vmcnt(0) lgkmcnt(0)
	s_waitcnt_vscnt null, 0x0
	s_barrier
	buffer_gl0_inv
	s_and_saveexec_b32 s4, s1
	s_cbranch_execz .LBB7_448
; %bb.447:
	global_load_ubyte v6, v[9:10], off
.LBB7_448:
	s_or_b32 exec_lo, exec_lo, s4
	s_mov_b32 s1, 0
	s_and_saveexec_b32 s4, vcc_lo
	s_cbranch_execz .LBB7_468
; %bb.449:
	v_add_nc_u32_e32 v1, s35, v0
	s_mov_b32 s5, 0
                                        ; implicit-def: $sgpr17
                                        ; implicit-def: $vgpr5
	v_mul_lo_u32 v2, s42, v1
	v_mov_b32_e32 v1, 0
	s_branch .LBB7_452
.LBB7_450:                              ;   in Loop: Header=BB7_452 Depth=1
	s_or_b32 exec_lo, exec_lo, s18
	s_orn2_b32 s20, s20, exec_lo
	s_orn2_b32 s19, s19, exec_lo
.LBB7_451:                              ;   in Loop: Header=BB7_452 Depth=1
	s_or_b32 exec_lo, exec_lo, s1
	s_xor_b32 s1, s20, -1
	s_and_b32 s18, exec_lo, s19
	v_mov_b32_e32 v0, v3
	s_or_b32 s5, s18, s5
	v_mov_b32_e32 v6, v4
	s_andn2_b32 s17, s17, exec_lo
	s_and_b32 s1, s1, exec_lo
	s_or_b32 s17, s17, s1
	s_andn2_b32 exec_lo, exec_lo, s5
	s_cbranch_execz .LBB7_466
.LBB7_452:                              ; =>This Inner Loop Header: Depth=1
	v_add_nc_u32_e32 v3, s35, v0
	v_mov_b32_e32 v4, 0
	s_mov_b32 s1, exec_lo
	v_cmpx_gt_u32_e64 s36, v3
	s_cbranch_execz .LBB7_454
; %bb.453:                              ;   in Loop: Header=BB7_452 Depth=1
	global_load_ubyte v4, v2, s[40:41]
.LBB7_454:                              ;   in Loop: Header=BB7_452 Depth=1
	s_or_b32 exec_lo, exec_lo, s1
	v_cmp_gt_u32_e32 vcc_lo, s36, v0
	s_waitcnt vmcnt(0)
	v_cmp_eq_u16_sdwa s1, v6, v33 src0_sel:BYTE_0 src1_sel:BYTE_0
	s_and_b32 s18, vcc_lo, s1
	v_cndmask_b32_e64 v6, 0, 1, s18
	v_cmp_ne_u32_e32 vcc_lo, 0, v6
	s_cmp_lg_u32 vcc_lo, 0
	s_cselect_b32 s1, -1, 0
	s_and_b32 s1, s0, s1
	s_and_saveexec_b32 s19, s1
	s_cbranch_execz .LBB7_458
; %bb.455:                              ;   in Loop: Header=BB7_452 Depth=1
	s_mov_b32 s22, exec_lo
	s_bcnt1_i32_b32 s20, vcc_lo
	v_mbcnt_lo_u32_b32 v5, s22, 0
	s_mov_b32 s21, exec_lo
                                        ; implicit-def: $vgpr6
	v_cmpx_eq_u32_e32 0, v5
; %bb.456:                              ;   in Loop: Header=BB7_452 Depth=1
	s_bcnt1_i32_b32 s1, s22
	s_mul_i32 s1, s20, s1
	v_mov_b32_e32 v6, s1
	ds_add_rtn_u32 v6, v1, v6 offset:4108
; %bb.457:                              ;   in Loop: Header=BB7_452 Depth=1
	s_or_b32 exec_lo, exec_lo, s21
	s_waitcnt lgkmcnt(0)
	v_readfirstlane_b32 s1, v6
	v_mad_u32_u24 v5, s20, v5, s1
.LBB7_458:                              ;   in Loop: Header=BB7_452 Depth=1
	s_or_b32 exec_lo, exec_lo, s19
	ds_bpermute_b32 v5, v1, v5
	s_cmp_eq_u32 vcc_lo, 0
	s_mov_b32 s19, -1
	s_cselect_b32 s20, -1, 0
	s_waitcnt lgkmcnt(0)
	v_cmp_gt_u32_e64 s1, s37, v5
	s_or_b32 s21, s20, s1
	s_mov_b32 s20, -1
	s_and_saveexec_b32 s1, s21
	s_cbranch_execz .LBB7_451
; %bb.459:                              ;   in Loop: Header=BB7_452 Depth=1
	v_and_b32_e32 v6, vcc_lo, v15
	v_sub_nc_u32_e32 v7, s37, v5
	s_mov_b32 s21, -1
	v_bcnt_u32_b32 v6, v6, 0
	v_bcnt_u32_b32 v6, 0, v6
	v_cmp_gt_u32_e32 vcc_lo, v7, v6
	s_and_b32 s22, s18, vcc_lo
	s_and_saveexec_b32 s18, s22
	s_cbranch_execz .LBB7_463
; %bb.460:                              ;   in Loop: Header=BB7_452 Depth=1
	v_add_nc_u32_e32 v6, v5, v6
	s_mov_b32 s21, 0
	s_mov_b32 s20, exec_lo
	v_cmpx_gt_u32_e64 s37, v6
; %bb.461:                              ;   in Loop: Header=BB7_452 Depth=1
	v_mul_lo_u32 v7, v6, s14
	v_mov_b32_e32 v8, v1
	v_mul_lo_u32 v9, v6, s13
	s_mov_b32 s21, exec_lo
	v_lshlrev_b64 v[7:8], 3, v[7:8]
	v_add_co_u32 v6, vcc_lo, s15, v7
	v_add_co_ci_u32_e64 v7, null, s16, v8, vcc_lo
	global_store_byte v9, v33, s[6:7]
	global_store_dwordx2 v[6:7], v[0:1], off
; %bb.462:                              ;   in Loop: Header=BB7_452 Depth=1
	s_or_b32 exec_lo, exec_lo, s20
	s_xor_b32 s20, exec_lo, -1
	s_orn2_b32 s21, s21, exec_lo
.LBB7_463:                              ;   in Loop: Header=BB7_452 Depth=1
	s_or_b32 exec_lo, exec_lo, s18
	s_and_saveexec_b32 s18, s21
	s_cbranch_execz .LBB7_450
; %bb.464:                              ;   in Loop: Header=BB7_452 Depth=1
	v_cmp_le_u32_e32 vcc_lo, s12, v3
	v_add_nc_u32_e32 v2, s52, v2
	s_or_b32 s20, s20, exec_lo
	s_orn2_b32 s19, vcc_lo, exec_lo
	s_branch .LBB7_450
.LBB7_465:
	s_or_b32 s10, s10, exec_lo
	s_trap 2
	s_branch .LBB7_429
.LBB7_466:
	s_or_b32 exec_lo, exec_lo, s5
	s_mov_b32 s0, 0
	s_and_saveexec_b32 s1, s17
	s_xor_b32 s1, exec_lo, s1
	s_cbranch_execnz .LBB7_472
.LBB7_467:
	s_or_b32 exec_lo, exec_lo, s1
	s_and_b32 s1, s0, exec_lo
.LBB7_468:
	s_or_b32 exec_lo, exec_lo, s4
	s_and_b32 s5, s1, exec_lo
	s_andn2_b32 s3, s3, exec_lo
	s_or_b32 exec_lo, exec_lo, s2
	s_and_saveexec_b32 s0, s3
	s_xor_b32 s0, exec_lo, s0
	s_cbranch_execz .LBB7_423
.LBB7_469:
	s_or_b32 s5, s5, exec_lo
	s_trap 2
	s_branch .LBB7_423
.LBB7_470:
	s_or_b32 s11, s11, exec_lo
	s_trap 2
	s_branch .LBB7_427
.LBB7_471:
	s_or_b32 s12, s12, exec_lo
	s_trap 2
	s_branch .LBB7_425
.LBB7_472:
	s_mov_b32 s0, exec_lo
	s_trap 2
	s_branch .LBB7_467
	.section	.rodata,"a",@progbits
	.p2align	6, 0x0
	.amdhsa_kernel _ZN2at6native6sbtopk10gatherTopKIhjLi2ELb0EEEvNS_4cuda6detail10TensorInfoIKT_T0_EES8_S8_bS8_S8_NS5_IS6_S8_EES8_NS5_IlS8_EES8_PS6_
		.amdhsa_group_segment_fixed_size 4112
		.amdhsa_private_segment_fixed_size 0
		.amdhsa_kernarg_size 952
		.amdhsa_user_sgpr_count 6
		.amdhsa_user_sgpr_private_segment_buffer 1
		.amdhsa_user_sgpr_dispatch_ptr 0
		.amdhsa_user_sgpr_queue_ptr 0
		.amdhsa_user_sgpr_kernarg_segment_ptr 1
		.amdhsa_user_sgpr_dispatch_id 0
		.amdhsa_user_sgpr_flat_scratch_init 0
		.amdhsa_user_sgpr_private_segment_size 0
		.amdhsa_wavefront_size32 1
		.amdhsa_uses_dynamic_stack 0
		.amdhsa_system_sgpr_private_segment_wavefront_offset 0
		.amdhsa_system_sgpr_workgroup_id_x 1
		.amdhsa_system_sgpr_workgroup_id_y 1
		.amdhsa_system_sgpr_workgroup_id_z 1
		.amdhsa_system_sgpr_workgroup_info 0
		.amdhsa_system_vgpr_workitem_id 0
		.amdhsa_next_free_vgpr 68
		.amdhsa_next_free_sgpr 105
		.amdhsa_reserve_vcc 1
		.amdhsa_reserve_flat_scratch 0
		.amdhsa_float_round_mode_32 0
		.amdhsa_float_round_mode_16_64 0
		.amdhsa_float_denorm_mode_32 3
		.amdhsa_float_denorm_mode_16_64 3
		.amdhsa_dx10_clamp 1
		.amdhsa_ieee_mode 1
		.amdhsa_fp16_overflow 0
		.amdhsa_workgroup_processor_mode 1
		.amdhsa_memory_ordered 1
		.amdhsa_forward_progress 1
		.amdhsa_shared_vgpr_count 0
		.amdhsa_exception_fp_ieee_invalid_op 0
		.amdhsa_exception_fp_denorm_src 0
		.amdhsa_exception_fp_ieee_div_zero 0
		.amdhsa_exception_fp_ieee_overflow 0
		.amdhsa_exception_fp_ieee_underflow 0
		.amdhsa_exception_fp_ieee_inexact 0
		.amdhsa_exception_int_div_zero 0
	.end_amdhsa_kernel
	.section	.text._ZN2at6native6sbtopk10gatherTopKIhjLi2ELb0EEEvNS_4cuda6detail10TensorInfoIKT_T0_EES8_S8_bS8_S8_NS5_IS6_S8_EES8_NS5_IlS8_EES8_PS6_,"axG",@progbits,_ZN2at6native6sbtopk10gatherTopKIhjLi2ELb0EEEvNS_4cuda6detail10TensorInfoIKT_T0_EES8_S8_bS8_S8_NS5_IS6_S8_EES8_NS5_IlS8_EES8_PS6_,comdat
.Lfunc_end7:
	.size	_ZN2at6native6sbtopk10gatherTopKIhjLi2ELb0EEEvNS_4cuda6detail10TensorInfoIKT_T0_EES8_S8_bS8_S8_NS5_IS6_S8_EES8_NS5_IlS8_EES8_PS6_, .Lfunc_end7-_ZN2at6native6sbtopk10gatherTopKIhjLi2ELb0EEEvNS_4cuda6detail10TensorInfoIKT_T0_EES8_S8_bS8_S8_NS5_IS6_S8_EES8_NS5_IlS8_EES8_PS6_
                                        ; -- End function
	.set _ZN2at6native6sbtopk10gatherTopKIhjLi2ELb0EEEvNS_4cuda6detail10TensorInfoIKT_T0_EES8_S8_bS8_S8_NS5_IS6_S8_EES8_NS5_IlS8_EES8_PS6_.num_vgpr, 68
	.set _ZN2at6native6sbtopk10gatherTopKIhjLi2ELb0EEEvNS_4cuda6detail10TensorInfoIKT_T0_EES8_S8_bS8_S8_NS5_IS6_S8_EES8_NS5_IlS8_EES8_PS6_.num_agpr, 0
	.set _ZN2at6native6sbtopk10gatherTopKIhjLi2ELb0EEEvNS_4cuda6detail10TensorInfoIKT_T0_EES8_S8_bS8_S8_NS5_IS6_S8_EES8_NS5_IlS8_EES8_PS6_.numbered_sgpr, 105
	.set _ZN2at6native6sbtopk10gatherTopKIhjLi2ELb0EEEvNS_4cuda6detail10TensorInfoIKT_T0_EES8_S8_bS8_S8_NS5_IS6_S8_EES8_NS5_IlS8_EES8_PS6_.num_named_barrier, 0
	.set _ZN2at6native6sbtopk10gatherTopKIhjLi2ELb0EEEvNS_4cuda6detail10TensorInfoIKT_T0_EES8_S8_bS8_S8_NS5_IS6_S8_EES8_NS5_IlS8_EES8_PS6_.private_seg_size, 0
	.set _ZN2at6native6sbtopk10gatherTopKIhjLi2ELb0EEEvNS_4cuda6detail10TensorInfoIKT_T0_EES8_S8_bS8_S8_NS5_IS6_S8_EES8_NS5_IlS8_EES8_PS6_.uses_vcc, 1
	.set _ZN2at6native6sbtopk10gatherTopKIhjLi2ELb0EEEvNS_4cuda6detail10TensorInfoIKT_T0_EES8_S8_bS8_S8_NS5_IS6_S8_EES8_NS5_IlS8_EES8_PS6_.uses_flat_scratch, 0
	.set _ZN2at6native6sbtopk10gatherTopKIhjLi2ELb0EEEvNS_4cuda6detail10TensorInfoIKT_T0_EES8_S8_bS8_S8_NS5_IS6_S8_EES8_NS5_IlS8_EES8_PS6_.has_dyn_sized_stack, 0
	.set _ZN2at6native6sbtopk10gatherTopKIhjLi2ELb0EEEvNS_4cuda6detail10TensorInfoIKT_T0_EES8_S8_bS8_S8_NS5_IS6_S8_EES8_NS5_IlS8_EES8_PS6_.has_recursion, 0
	.set _ZN2at6native6sbtopk10gatherTopKIhjLi2ELb0EEEvNS_4cuda6detail10TensorInfoIKT_T0_EES8_S8_bS8_S8_NS5_IS6_S8_EES8_NS5_IlS8_EES8_PS6_.has_indirect_call, 0
	.section	.AMDGPU.csdata,"",@progbits
; Kernel info:
; codeLenInByte = 15780
; TotalNumSgprs: 107
; NumVgprs: 68
; ScratchSize: 0
; MemoryBound: 0
; FloatMode: 240
; IeeeMode: 1
; LDSByteSize: 4112 bytes/workgroup (compile time only)
; SGPRBlocks: 0
; VGPRBlocks: 8
; NumSGPRsForWavesPerEU: 107
; NumVGPRsForWavesPerEU: 68
; Occupancy: 12
; WaveLimiterHint : 1
; COMPUTE_PGM_RSRC2:SCRATCH_EN: 0
; COMPUTE_PGM_RSRC2:USER_SGPR: 6
; COMPUTE_PGM_RSRC2:TRAP_HANDLER: 0
; COMPUTE_PGM_RSRC2:TGID_X_EN: 1
; COMPUTE_PGM_RSRC2:TGID_Y_EN: 1
; COMPUTE_PGM_RSRC2:TGID_Z_EN: 1
; COMPUTE_PGM_RSRC2:TIDIG_COMP_CNT: 0
	.section	.text._ZN2at6native6mbtopk23computeBlockDigitCountsIhjjLi3EEEvNS_4cuda6detail10TensorInfoIKT_T0_EEjPjjS8_iijT1_PSB_Ps,"axG",@progbits,_ZN2at6native6mbtopk23computeBlockDigitCountsIhjjLi3EEEvNS_4cuda6detail10TensorInfoIKT_T0_EEjPjjS8_iijT1_PSB_Ps,comdat
	.protected	_ZN2at6native6mbtopk23computeBlockDigitCountsIhjjLi3EEEvNS_4cuda6detail10TensorInfoIKT_T0_EEjPjjS8_iijT1_PSB_Ps ; -- Begin function _ZN2at6native6mbtopk23computeBlockDigitCountsIhjjLi3EEEvNS_4cuda6detail10TensorInfoIKT_T0_EEjPjjS8_iijT1_PSB_Ps
	.globl	_ZN2at6native6mbtopk23computeBlockDigitCountsIhjjLi3EEEvNS_4cuda6detail10TensorInfoIKT_T0_EEjPjjS8_iijT1_PSB_Ps
	.p2align	8
	.type	_ZN2at6native6mbtopk23computeBlockDigitCountsIhjjLi3EEEvNS_4cuda6detail10TensorInfoIKT_T0_EEjPjjS8_iijT1_PSB_Ps,@function
_ZN2at6native6mbtopk23computeBlockDigitCountsIhjjLi3EEEvNS_4cuda6detail10TensorInfoIKT_T0_EEjPjjS8_iijT1_PSB_Ps: ; @_ZN2at6native6mbtopk23computeBlockDigitCountsIhjjLi3EEEvNS_4cuda6detail10TensorInfoIKT_T0_EEjPjjS8_iijT1_PSB_Ps
; %bb.0:
	s_clause 0x2
	s_load_dwordx2 s[10:11], s[4:5], 0xf8
	s_load_dwordx4 s[12:15], s[4:5], 0xe8
	s_load_dwordx2 s[0:1], s[4:5], 0x110
	s_mov_b32 s9, 0
	s_waitcnt lgkmcnt(0)
	v_cvt_f32_u32_e32 v1, s10
	s_sub_i32 s3, 0, s10
	s_mul_i32 s1, s1, s8
	s_add_i32 s1, s1, s7
	v_rcp_iflag_f32_e32 v1, v1
	s_mul_i32 s16, s1, s0
	s_add_i32 s16, s16, s6
	v_mul_f32_e32 v1, 0x4f7ffffe, v1
	v_cvt_u32_f32_e32 v1, v1
	v_readfirstlane_b32 s2, v1
	s_mul_i32 s3, s3, s2
	s_mul_hi_u32 s0, s2, s3
	s_add_i32 s2, s2, s0
	s_mul_hi_u32 s0, s16, s2
	s_mul_i32 s1, s0, s10
	s_add_i32 s2, s0, 1
	s_sub_i32 s1, s16, s1
	s_sub_i32 s3, s1, s10
	s_cmp_ge_u32 s1, s10
	s_cselect_b32 s0, s2, s0
	s_cselect_b32 s1, s3, s1
	s_add_i32 s2, s0, 1
	s_cmp_ge_u32 s1, s10
	s_cselect_b32 s8, s2, s0
	s_cmp_ge_u32 s8, s12
	s_cbranch_scc1 .LBB8_27
; %bb.1:
	s_clause 0x1
	s_load_dwordx2 s[6:7], s[4:5], 0xc
	s_load_dwordx4 s[0:3], s[4:5], 0x100
	s_lshl_b64 s[18:19], s[8:9], 2
	v_cmp_gt_u32_e32 vcc_lo, 0x100, v0
	s_waitcnt lgkmcnt(0)
	v_cvt_f32_u32_e32 v1, s7
	v_cvt_f32_u32_e32 v2, s6
	s_add_u32 s0, s0, s18
	s_addc_u32 s1, s1, s19
	s_sub_i32 s12, 0, s7
	v_rcp_iflag_f32_e32 v1, v1
	v_rcp_iflag_f32_e32 v2, v2
	v_mul_f32_e32 v1, 0x4f7ffffe, v1
	v_cvt_u32_f32_e32 v1, v1
	v_readfirstlane_b32 s9, v1
	v_mul_f32_e32 v1, 0x4f7ffffe, v2
	s_mul_i32 s12, s12, s9
	v_cvt_u32_f32_e32 v1, v1
	s_mul_hi_u32 s12, s9, s12
	s_add_i32 s9, s9, s12
	v_readfirstlane_b32 s18, v1
	s_mul_hi_u32 s9, s8, s9
	v_lshlrev_b32_e32 v1, 2, v0
	s_mul_i32 s12, s9, s7
	s_add_i32 s17, s9, 1
	s_sub_i32 s12, s8, s12
	s_sub_i32 s19, s12, s7
	s_cmp_ge_u32 s12, s7
	s_cselect_b32 s9, s17, s9
	s_cselect_b32 s12, s19, s12
	s_add_i32 s17, s9, 1
	s_cmp_ge_u32 s12, s7
	s_cselect_b32 s17, s17, s9
	s_and_saveexec_b32 s9, vcc_lo
; %bb.2:
	v_mov_b32_e32 v2, 0
	ds_write_b32 v1, v2
; %bb.3:
	s_or_b32 exec_lo, exec_lo, s9
	s_load_dword s9, s[4:5], 0xd8
	s_mul_i32 s12, s8, s10
	s_waitcnt lgkmcnt(0)
	s_sub_i32 s19, s16, s12
	s_barrier
	s_mul_i32 s12, s15, s19
	s_add_i32 s19, s19, 1
	s_lshl_b32 s12, s12, 8
	buffer_gl0_inv
	s_sub_i32 s20, s9, s12
	s_add_u32 s20, s20, 0xff
	s_addc_u32 s21, 0, 0
	s_lshr_b64 s[20:21], s[20:21], 8
	s_cmp_lt_u32 s19, s10
	s_cselect_b32 s10, s15, s20
	s_mov_b32 s15, 0
	s_cmp_lt_i32 s10, 1
	s_cbranch_scc1 .LBB8_25
; %bb.4:
	s_sub_i32 s19, 0, s6
	s_clause 0x1
	s_load_dwordx4 s[20:23], s[4:5], 0x6c
	s_load_dwordx2 s[4:5], s[4:5], 0x0
	s_mul_i32 s19, s19, s18
	s_mul_i32 s7, s17, s7
	s_mul_hi_u32 s19, s18, s19
	s_sub_i32 s7, s8, s7
	s_add_i32 s18, s18, s19
	s_load_dword s1, s[0:1], 0x0
	s_mul_hi_u32 s18, s17, s18
	s_mul_i32 s19, s18, s6
	s_sub_i32 s8, s17, s19
	s_add_i32 s19, s18, 1
	s_waitcnt lgkmcnt(0)
	s_sub_i32 s23, s8, s6
	s_cmp_ge_u32 s8, s6
	s_cselect_b32 s0, s19, s18
	s_cselect_b32 s8, s23, s8
	s_add_i32 s18, s0, 1
	s_cmp_ge_u32 s8, s6
	s_mul_i32 s7, s7, s22
	s_cselect_b32 s0, s18, s0
	s_mul_i32 s6, s0, s6
	s_mul_i32 s0, s0, s20
	s_sub_i32 s6, s17, s6
	s_mul_i32 s6, s6, s21
	s_add_i32 s6, s6, s7
	s_add_i32 s6, s6, s0
	s_add_u32 s4, s4, s6
	s_addc_u32 s5, s5, 0
	s_and_b32 s6, s14, 0xff
	s_cmp_lt_u32 s10, 4
	s_cbranch_scc1 .LBB8_19
; %bb.5:
	v_add_nc_u32_e32 v6, s12, v0
	v_mov_b32_e32 v7, 1
	s_and_b32 s15, s10, 0x7ffffffc
	s_lshl_b32 s7, s13, 10
	s_mov_b32 s8, 0
	v_add_nc_u32_e32 v2, 0x300, v6
	v_add_nc_u32_e32 v4, 0x200, v6
	;; [unrolled: 1-line block ×3, first 2 shown]
	v_mul_lo_u32 v6, s13, v6
	s_mov_b32 s14, 0
	v_mul_lo_u32 v3, s13, v2
	v_mul_lo_u32 v4, s13, v4
	;; [unrolled: 1-line block ×3, first 2 shown]
	s_branch .LBB8_7
.LBB8_6:                                ;   in Loop: Header=BB8_7 Depth=1
	s_or_b32 exec_lo, exec_lo, s17
	v_add_nc_u32_e32 v2, 0x400, v2
	s_add_i32 s14, s14, 4
	s_add_i32 s8, s8, s7
	s_cmp_eq_u32 s15, s14
	s_cbranch_scc1 .LBB8_19
.LBB8_7:                                ; =>This Inner Loop Header: Depth=1
	v_add_nc_u32_e32 v8, 0xfffffd00, v2
	s_mov_b32 s17, exec_lo
	v_cmpx_gt_u32_e64 s9, v8
	s_cbranch_execz .LBB8_10
; %bb.8:                                ;   in Loop: Header=BB8_7 Depth=1
	v_add_nc_u32_e32 v8, s8, v6
	global_load_ubyte v8, v8, s[4:5]
	s_waitcnt vmcnt(0)
	v_xor_b32_e32 v9, s1, v8
	v_and_b32_e32 v9, s11, v9
	v_cmp_eq_u32_e64 s0, 0, v9
	s_and_b32 exec_lo, exec_lo, s0
; %bb.9:                                ;   in Loop: Header=BB8_7 Depth=1
	v_lshrrev_b32_e32 v8, s6, v8
	v_lshlrev_b32_e32 v8, 2, v8
	ds_add_u32 v8, v7
.LBB8_10:                               ;   in Loop: Header=BB8_7 Depth=1
	s_or_b32 exec_lo, exec_lo, s17
	v_add_nc_u32_e32 v8, 0xfffffe00, v2
	s_mov_b32 s17, exec_lo
	v_cmpx_gt_u32_e64 s9, v8
	s_cbranch_execz .LBB8_13
; %bb.11:                               ;   in Loop: Header=BB8_7 Depth=1
	v_add_nc_u32_e32 v8, s8, v5
	global_load_ubyte v8, v8, s[4:5]
	s_waitcnt vmcnt(0)
	v_xor_b32_e32 v9, s1, v8
	v_and_b32_e32 v9, s11, v9
	v_cmp_eq_u32_e64 s0, 0, v9
	s_and_b32 exec_lo, exec_lo, s0
; %bb.12:                               ;   in Loop: Header=BB8_7 Depth=1
	v_lshrrev_b32_e32 v8, s6, v8
	v_lshlrev_b32_e32 v8, 2, v8
	ds_add_u32 v8, v7
.LBB8_13:                               ;   in Loop: Header=BB8_7 Depth=1
	s_or_b32 exec_lo, exec_lo, s17
	v_add_nc_u32_e32 v8, 0xffffff00, v2
	s_mov_b32 s17, exec_lo
	v_cmpx_gt_u32_e64 s9, v8
	s_cbranch_execz .LBB8_16
; %bb.14:                               ;   in Loop: Header=BB8_7 Depth=1
	v_add_nc_u32_e32 v8, s8, v4
	global_load_ubyte v8, v8, s[4:5]
	s_waitcnt vmcnt(0)
	v_xor_b32_e32 v9, s1, v8
	v_and_b32_e32 v9, s11, v9
	v_cmp_eq_u32_e64 s0, 0, v9
	s_and_b32 exec_lo, exec_lo, s0
; %bb.15:                               ;   in Loop: Header=BB8_7 Depth=1
	v_lshrrev_b32_e32 v8, s6, v8
	v_lshlrev_b32_e32 v8, 2, v8
	ds_add_u32 v8, v7
.LBB8_16:                               ;   in Loop: Header=BB8_7 Depth=1
	s_or_b32 exec_lo, exec_lo, s17
	s_mov_b32 s17, exec_lo
	v_cmpx_gt_u32_e64 s9, v2
	s_cbranch_execz .LBB8_6
; %bb.17:                               ;   in Loop: Header=BB8_7 Depth=1
	v_add_nc_u32_e32 v8, s8, v3
	global_load_ubyte v8, v8, s[4:5]
	s_waitcnt vmcnt(0)
	v_xor_b32_e32 v9, s1, v8
	v_and_b32_e32 v9, s11, v9
	v_cmp_eq_u32_e64 s0, 0, v9
	s_and_b32 exec_lo, exec_lo, s0
	s_cbranch_execz .LBB8_6
; %bb.18:                               ;   in Loop: Header=BB8_7 Depth=1
	v_lshrrev_b32_e32 v8, s6, v8
	v_lshlrev_b32_e32 v8, 2, v8
	ds_add_u32 v8, v7
	s_branch .LBB8_6
.LBB8_19:
	s_and_b32 s7, s10, 3
	s_cmp_eq_u32 s7, 0
	s_cbranch_scc1 .LBB8_25
; %bb.20:
	s_lshl_b32 s0, s15, 8
	v_mov_b32_e32 v4, 1
	v_add3_u32 v2, s0, s12, v0
	s_lshl_b32 s8, s13, 8
	v_mul_lo_u32 v3, s13, v2
	s_branch .LBB8_22
	.p2align	6
.LBB8_21:                               ;   in Loop: Header=BB8_22 Depth=1
	s_or_b32 exec_lo, exec_lo, s10
	v_add_nc_u32_e32 v3, s8, v3
	v_add_nc_u32_e32 v2, 0x100, v2
	s_add_i32 s7, s7, -1
	s_cmp_lg_u32 s7, 0
	s_cbranch_scc0 .LBB8_25
.LBB8_22:                               ; =>This Inner Loop Header: Depth=1
	s_mov_b32 s10, exec_lo
	v_cmpx_gt_u32_e64 s9, v2
	s_cbranch_execz .LBB8_21
; %bb.23:                               ;   in Loop: Header=BB8_22 Depth=1
	global_load_ubyte v5, v3, s[4:5]
	s_waitcnt vmcnt(0)
	v_xor_b32_e32 v6, s1, v5
	v_and_b32_e32 v6, s11, v6
	v_cmp_eq_u32_e64 s0, 0, v6
	s_and_b32 exec_lo, exec_lo, s0
	s_cbranch_execz .LBB8_21
; %bb.24:                               ;   in Loop: Header=BB8_22 Depth=1
	v_lshrrev_b32_e32 v5, s6, v5
	v_lshlrev_b32_e32 v5, 2, v5
	ds_add_u32 v5, v4
	s_branch .LBB8_21
.LBB8_25:
	s_waitcnt lgkmcnt(0)
	s_barrier
	buffer_gl0_inv
	s_and_saveexec_b32 s0, vcc_lo
	s_cbranch_execz .LBB8_27
; %bb.26:
	ds_read_b32 v2, v1
	v_lshl_or_b32 v0, s16, 8, v0
	v_mov_b32_e32 v1, 0
	v_lshlrev_b64 v[0:1], 1, v[0:1]
	v_add_co_u32 v0, vcc_lo, s2, v0
	v_add_co_ci_u32_e64 v1, null, s3, v1, vcc_lo
	s_waitcnt lgkmcnt(0)
	global_store_short v[0:1], v2, off
.LBB8_27:
	s_endpgm
	.section	.rodata,"a",@progbits
	.p2align	6, 0x0
	.amdhsa_kernel _ZN2at6native6mbtopk23computeBlockDigitCountsIhjjLi3EEEvNS_4cuda6detail10TensorInfoIKT_T0_EEjPjjS8_iijT1_PSB_Ps
		.amdhsa_group_segment_fixed_size 1024
		.amdhsa_private_segment_fixed_size 0
		.amdhsa_kernarg_size 528
		.amdhsa_user_sgpr_count 6
		.amdhsa_user_sgpr_private_segment_buffer 1
		.amdhsa_user_sgpr_dispatch_ptr 0
		.amdhsa_user_sgpr_queue_ptr 0
		.amdhsa_user_sgpr_kernarg_segment_ptr 1
		.amdhsa_user_sgpr_dispatch_id 0
		.amdhsa_user_sgpr_flat_scratch_init 0
		.amdhsa_user_sgpr_private_segment_size 0
		.amdhsa_wavefront_size32 1
		.amdhsa_uses_dynamic_stack 0
		.amdhsa_system_sgpr_private_segment_wavefront_offset 0
		.amdhsa_system_sgpr_workgroup_id_x 1
		.amdhsa_system_sgpr_workgroup_id_y 1
		.amdhsa_system_sgpr_workgroup_id_z 1
		.amdhsa_system_sgpr_workgroup_info 0
		.amdhsa_system_vgpr_workitem_id 0
		.amdhsa_next_free_vgpr 10
		.amdhsa_next_free_sgpr 24
		.amdhsa_reserve_vcc 1
		.amdhsa_reserve_flat_scratch 0
		.amdhsa_float_round_mode_32 0
		.amdhsa_float_round_mode_16_64 0
		.amdhsa_float_denorm_mode_32 3
		.amdhsa_float_denorm_mode_16_64 3
		.amdhsa_dx10_clamp 1
		.amdhsa_ieee_mode 1
		.amdhsa_fp16_overflow 0
		.amdhsa_workgroup_processor_mode 1
		.amdhsa_memory_ordered 1
		.amdhsa_forward_progress 1
		.amdhsa_shared_vgpr_count 0
		.amdhsa_exception_fp_ieee_invalid_op 0
		.amdhsa_exception_fp_denorm_src 0
		.amdhsa_exception_fp_ieee_div_zero 0
		.amdhsa_exception_fp_ieee_overflow 0
		.amdhsa_exception_fp_ieee_underflow 0
		.amdhsa_exception_fp_ieee_inexact 0
		.amdhsa_exception_int_div_zero 0
	.end_amdhsa_kernel
	.section	.text._ZN2at6native6mbtopk23computeBlockDigitCountsIhjjLi3EEEvNS_4cuda6detail10TensorInfoIKT_T0_EEjPjjS8_iijT1_PSB_Ps,"axG",@progbits,_ZN2at6native6mbtopk23computeBlockDigitCountsIhjjLi3EEEvNS_4cuda6detail10TensorInfoIKT_T0_EEjPjjS8_iijT1_PSB_Ps,comdat
.Lfunc_end8:
	.size	_ZN2at6native6mbtopk23computeBlockDigitCountsIhjjLi3EEEvNS_4cuda6detail10TensorInfoIKT_T0_EEjPjjS8_iijT1_PSB_Ps, .Lfunc_end8-_ZN2at6native6mbtopk23computeBlockDigitCountsIhjjLi3EEEvNS_4cuda6detail10TensorInfoIKT_T0_EEjPjjS8_iijT1_PSB_Ps
                                        ; -- End function
	.set _ZN2at6native6mbtopk23computeBlockDigitCountsIhjjLi3EEEvNS_4cuda6detail10TensorInfoIKT_T0_EEjPjjS8_iijT1_PSB_Ps.num_vgpr, 10
	.set _ZN2at6native6mbtopk23computeBlockDigitCountsIhjjLi3EEEvNS_4cuda6detail10TensorInfoIKT_T0_EEjPjjS8_iijT1_PSB_Ps.num_agpr, 0
	.set _ZN2at6native6mbtopk23computeBlockDigitCountsIhjjLi3EEEvNS_4cuda6detail10TensorInfoIKT_T0_EEjPjjS8_iijT1_PSB_Ps.numbered_sgpr, 24
	.set _ZN2at6native6mbtopk23computeBlockDigitCountsIhjjLi3EEEvNS_4cuda6detail10TensorInfoIKT_T0_EEjPjjS8_iijT1_PSB_Ps.num_named_barrier, 0
	.set _ZN2at6native6mbtopk23computeBlockDigitCountsIhjjLi3EEEvNS_4cuda6detail10TensorInfoIKT_T0_EEjPjjS8_iijT1_PSB_Ps.private_seg_size, 0
	.set _ZN2at6native6mbtopk23computeBlockDigitCountsIhjjLi3EEEvNS_4cuda6detail10TensorInfoIKT_T0_EEjPjjS8_iijT1_PSB_Ps.uses_vcc, 1
	.set _ZN2at6native6mbtopk23computeBlockDigitCountsIhjjLi3EEEvNS_4cuda6detail10TensorInfoIKT_T0_EEjPjjS8_iijT1_PSB_Ps.uses_flat_scratch, 0
	.set _ZN2at6native6mbtopk23computeBlockDigitCountsIhjjLi3EEEvNS_4cuda6detail10TensorInfoIKT_T0_EEjPjjS8_iijT1_PSB_Ps.has_dyn_sized_stack, 0
	.set _ZN2at6native6mbtopk23computeBlockDigitCountsIhjjLi3EEEvNS_4cuda6detail10TensorInfoIKT_T0_EEjPjjS8_iijT1_PSB_Ps.has_recursion, 0
	.set _ZN2at6native6mbtopk23computeBlockDigitCountsIhjjLi3EEEvNS_4cuda6detail10TensorInfoIKT_T0_EEjPjjS8_iijT1_PSB_Ps.has_indirect_call, 0
	.section	.AMDGPU.csdata,"",@progbits
; Kernel info:
; codeLenInByte = 1272
; TotalNumSgprs: 26
; NumVgprs: 10
; ScratchSize: 0
; MemoryBound: 0
; FloatMode: 240
; IeeeMode: 1
; LDSByteSize: 1024 bytes/workgroup (compile time only)
; SGPRBlocks: 0
; VGPRBlocks: 1
; NumSGPRsForWavesPerEU: 26
; NumVGPRsForWavesPerEU: 10
; Occupancy: 16
; WaveLimiterHint : 1
; COMPUTE_PGM_RSRC2:SCRATCH_EN: 0
; COMPUTE_PGM_RSRC2:USER_SGPR: 6
; COMPUTE_PGM_RSRC2:TRAP_HANDLER: 0
; COMPUTE_PGM_RSRC2:TGID_X_EN: 1
; COMPUTE_PGM_RSRC2:TGID_Y_EN: 1
; COMPUTE_PGM_RSRC2:TGID_Z_EN: 1
; COMPUTE_PGM_RSRC2:TIDIG_COMP_CNT: 0
	.section	.text._ZN2at6native6mbtopk10gatherTopKIhjLi3EEEvNS_4cuda6detail10TensorInfoIKT_T0_EES8_S8_bjS8_NS5_IS6_S8_EES8_NS5_IlS8_EES8_jjPS6_PjSD_j,"axG",@progbits,_ZN2at6native6mbtopk10gatherTopKIhjLi3EEEvNS_4cuda6detail10TensorInfoIKT_T0_EES8_S8_bjS8_NS5_IS6_S8_EES8_NS5_IlS8_EES8_jjPS6_PjSD_j,comdat
	.protected	_ZN2at6native6mbtopk10gatherTopKIhjLi3EEEvNS_4cuda6detail10TensorInfoIKT_T0_EES8_S8_bjS8_NS5_IS6_S8_EES8_NS5_IlS8_EES8_jjPS6_PjSD_j ; -- Begin function _ZN2at6native6mbtopk10gatherTopKIhjLi3EEEvNS_4cuda6detail10TensorInfoIKT_T0_EES8_S8_bjS8_NS5_IS6_S8_EES8_NS5_IlS8_EES8_jjPS6_PjSD_j
	.globl	_ZN2at6native6mbtopk10gatherTopKIhjLi3EEEvNS_4cuda6detail10TensorInfoIKT_T0_EES8_S8_bjS8_NS5_IS6_S8_EES8_NS5_IlS8_EES8_jjPS6_PjSD_j
	.p2align	8
	.type	_ZN2at6native6mbtopk10gatherTopKIhjLi3EEEvNS_4cuda6detail10TensorInfoIKT_T0_EES8_S8_bjS8_NS5_IS6_S8_EES8_NS5_IlS8_EES8_jjPS6_PjSD_j,@function
_ZN2at6native6mbtopk10gatherTopKIhjLi3EEEvNS_4cuda6detail10TensorInfoIKT_T0_EES8_S8_bjS8_NS5_IS6_S8_EES8_NS5_IlS8_EES8_jjPS6_PjSD_j: ; @_ZN2at6native6mbtopk10gatherTopKIhjLi3EEEvNS_4cuda6detail10TensorInfoIKT_T0_EES8_S8_bjS8_NS5_IS6_S8_EES8_NS5_IlS8_EES8_jjPS6_PjSD_j
; %bb.0:
	s_clause 0x1
	s_load_dwordx2 s[0:1], s[4:5], 0x2d8
	s_load_dword s2, s[4:5], 0x2d0
	s_waitcnt lgkmcnt(0)
	s_mul_i32 s1, s1, s8
	s_add_i32 s1, s1, s7
	s_mul_i32 s0, s1, s0
	s_add_i32 s0, s0, s6
	s_cmp_ge_u32 s0, s2
	s_cbranch_scc1 .LBB9_40
; %bb.1:
	s_clause 0x4
	s_load_dwordx8 s[8:15], s[4:5], 0x2a8
	s_load_dwordx2 s[40:41], s[4:5], 0xc
	s_load_dwordx2 s[38:39], s[4:5], 0xfc
	;; [unrolled: 1-line block ×3, first 2 shown]
	s_load_dwordx4 s[16:19], s[4:5], 0x23c
	s_waitcnt lgkmcnt(0)
	v_cvt_f32_u32_e32 v1, s10
	s_sub_i32 s2, 0, s10
	v_cvt_f32_u32_e32 v2, s40
	v_cvt_f32_u32_e32 v3, s34
	v_rcp_iflag_f32_e32 v1, v1
	v_rcp_iflag_f32_e32 v2, v2
	v_mul_f32_e32 v1, 0x4f7ffffe, v1
	v_mul_f32_e32 v2, 0x4f7ffffe, v2
	v_cvt_u32_f32_e32 v1, v1
	v_cvt_u32_f32_e32 v2, v2
	v_readfirstlane_b32 s1, v1
	s_mul_i32 s2, s2, s1
	s_mul_hi_u32 s2, s1, s2
	s_add_i32 s1, s1, s2
	s_mul_hi_u32 s1, s0, s1
	s_mul_i32 s2, s1, s10
	s_add_i32 s3, s1, 1
	s_sub_i32 s2, s0, s2
	s_sub_i32 s6, s2, s10
	s_cmp_ge_u32 s2, s10
	s_cselect_b32 s1, s3, s1
	s_cselect_b32 s2, s6, s2
	s_add_i32 s3, s1, 1
	s_cmp_ge_u32 s2, s10
	s_cselect_b32 s11, s3, s1
	s_sub_i32 s6, 0, s41
	v_mov_b32_e32 v1, s11
	global_load_ubyte v6, v1, s[12:13]
	v_cvt_f32_u32_e32 v1, s41
	s_mul_i32 s12, s11, s10
	s_clause 0x1
	s_load_dwordx4 s[20:23], s[4:5], 0x15c
	s_load_dwordx2 s[2:3], s[4:5], 0x0
	s_sub_i32 s19, s0, s12
	s_clause 0x1
	s_load_dwordx2 s[36:37], s[4:5], 0xf0
	s_load_dwordx4 s[24:27], s[4:5], 0x6c
	v_rcp_iflag_f32_e32 v1, v1
	v_mul_f32_e32 v1, 0x4f7ffffe, v1
	v_cvt_u32_f32_e32 v1, v1
	v_readfirstlane_b32 s1, v1
	v_cvt_f32_u32_e32 v1, s39
	s_mul_i32 s6, s6, s1
	v_rcp_iflag_f32_e32 v1, v1
	s_mul_hi_u32 s6, s1, s6
	s_add_i32 s1, s1, s6
	s_mul_hi_u32 s1, s11, s1
	s_mul_i32 s6, s1, s41
	s_add_i32 s13, s1, 1
	s_sub_i32 s0, s11, s6
	v_mul_f32_e32 v1, 0x4f7ffffe, v1
	s_waitcnt lgkmcnt(0)
	s_sub_i32 s23, s0, s41
	s_cmp_ge_u32 s0, s41
	s_load_dwordx2 s[6:7], s[4:5], 0x1d0
	s_cselect_b32 s1, s13, s1
	v_cvt_u32_f32_e32 v1, v1
	s_cselect_b32 s0, s23, s0
	s_add_i32 s13, s1, 1
	s_cmp_ge_u32 s0, s41
	v_readfirstlane_b32 s0, v1
	v_cvt_f32_u32_e32 v1, s35
	s_cselect_b32 s27, s13, s1
	v_readfirstlane_b32 s13, v2
	v_cvt_f32_u32_e32 v2, s38
	s_sub_i32 s23, 0, s39
	v_rcp_iflag_f32_e32 v1, v1
	s_mul_i32 s23, s23, s0
	s_sub_i32 s1, 0, s40
	s_mul_hi_u32 s23, s0, s23
	v_rcp_iflag_f32_e32 v2, v2
	s_add_i32 s0, s0, s23
	s_mul_i32 s1, s1, s13
	s_mul_hi_u32 s0, s11, s0
	s_mul_hi_u32 s1, s13, s1
	s_mul_i32 s23, s0, s39
	v_mul_f32_e32 v1, 0x4f7ffffe, v1
	s_add_i32 s1, s13, s1
	s_sub_i32 s13, s11, s23
	s_add_i32 s23, s0, 1
	s_sub_i32 s28, s13, s39
	v_mul_f32_e32 v2, 0x4f7ffffe, v2
	s_cmp_ge_u32 s13, s39
	v_cvt_u32_f32_e32 v1, v1
	s_cselect_b32 s0, s23, s0
	s_cselect_b32 s13, s28, s13
	s_add_i32 s23, s0, 1
	v_cvt_u32_f32_e32 v2, v2
	s_cmp_ge_u32 s13, s39
	v_readfirstlane_b32 s13, v1
	v_rcp_iflag_f32_e32 v1, v3
	s_cselect_b32 s33, s23, s0
	s_sub_i32 s23, 0, s35
	v_readfirstlane_b32 s0, v2
	s_mul_i32 s23, s23, s13
	s_sub_i32 s28, 0, s38
	s_mul_hi_u32 s23, s13, s23
	s_mul_hi_u32 s50, s27, s1
	s_mul_i32 s28, s28, s0
	s_add_i32 s13, s13, s23
	s_mul_hi_u32 s23, s0, s28
	s_mul_hi_u32 s13, s11, s13
	v_mul_f32_e32 v1, 0x4f7ffffe, v1
	s_add_i32 s28, s0, s23
	s_mul_i32 s0, s13, s35
	s_add_i32 s23, s13, 1
	s_sub_i32 s0, s11, s0
	v_cvt_u32_f32_e32 v1, v1
	s_sub_i32 s29, s0, s35
	s_cmp_ge_u32 s0, s35
	v_cmp_eq_u32_e64 s1, 0, v0
	s_cselect_b32 s13, s23, s13
	s_cselect_b32 s0, s29, s0
	s_add_i32 s23, s13, 1
	v_readfirstlane_b32 s29, v1
	s_cmp_ge_u32 s0, s35
	s_mul_hi_u32 s49, s33, s28
	s_cselect_b32 s23, s23, s13
	s_sub_i32 s0, 0, s34
	s_mov_b32 s13, 0
	s_mul_i32 s0, s0, s29
	s_mul_hi_u32 s30, s29, s0
	v_cmp_ne_u32_e64 s0, 0, v0
	s_add_i32 s29, s29, s30
	s_mul_hi_u32 s48, s23, s29
	s_and_saveexec_b32 s51, s1
	s_cbranch_execz .LBB9_17
; %bb.2:
	s_load_dwordx2 s[42:43], s[4:5], 0x2c8
	s_lshl_b64 s[44:45], s[12:13], 2
	s_mov_b32 s12, 0
	s_add_u32 s28, s14, s44
	s_addc_u32 s29, s15, s45
	s_mov_b32 s52, 0
	s_waitcnt lgkmcnt(0)
	s_add_u32 s30, s42, s44
	s_addc_u32 s31, s43, s45
	s_cmp_lt_u32 s10, 4
	s_cbranch_scc1 .LBB9_14
; %bb.3:
	s_mov_b32 s53, 0
.LBB9_4:                                ; =>This Inner Loop Header: Depth=1
	s_add_u32 s28, s14, s44
	s_addc_u32 s29, s15, s45
	s_add_u32 s46, s42, s44
	s_load_dwordx4 s[28:31], s[28:29], 0x0
	s_addc_u32 s47, s43, s45
	s_cmp_ge_u32 s53, s19
	s_cbranch_scc0 .LBB9_11
; %bb.5:                                ;   in Loop: Header=BB9_4 Depth=1
	s_add_i32 s54, s53, 1
	s_cmp_ge_u32 s54, s19
	s_cbranch_scc0 .LBB9_12
.LBB9_6:                                ;   in Loop: Header=BB9_4 Depth=1
	s_add_i32 s54, s54, 1
	s_cmp_ge_u32 s54, s19
	s_cbranch_scc0 .LBB9_13
.LBB9_7:                                ;   in Loop: Header=BB9_4 Depth=1
	s_add_i32 s54, s54, 1
	s_cmp_ge_u32 s54, s19
	s_cbranch_scc1 .LBB9_9
.LBB9_8:                                ;   in Loop: Header=BB9_4 Depth=1
	s_load_dword s46, s[46:47], 0xc
	s_waitcnt lgkmcnt(0)
	s_add_i32 s13, s13, s31
	s_add_i32 s12, s46, s12
.LBB9_9:                                ;   in Loop: Header=BB9_4 Depth=1
	s_waitcnt lgkmcnt(0)
	s_add_i32 s28, s28, s52
	s_add_i32 s28, s28, s29
	;; [unrolled: 1-line block ×4, first 2 shown]
	s_add_u32 s14, s14, 16
	s_addc_u32 s15, s15, 0
	s_add_u32 s42, s42, 16
	s_addc_u32 s43, s43, 0
	s_add_i32 s47, s54, 4
	s_add_u32 s30, s42, s44
	s_addc_u32 s31, s43, s45
	s_add_u32 s28, s14, s44
	s_addc_u32 s29, s15, s45
	s_add_i32 s46, s54, 1
	s_cmp_ge_u32 s47, s10
	s_cbranch_scc1 .LBB9_15
; %bb.10:                               ;   in Loop: Header=BB9_4 Depth=1
	s_mov_b32 s53, s46
	s_branch .LBB9_4
.LBB9_11:                               ;   in Loop: Header=BB9_4 Depth=1
	s_load_dword s54, s[46:47], 0x0
	s_waitcnt lgkmcnt(0)
	s_add_i32 s13, s28, s13
	s_add_i32 s12, s54, s12
	;; [unrolled: 1-line block ×3, first 2 shown]
	s_cmp_ge_u32 s54, s19
	s_cbranch_scc1 .LBB9_6
.LBB9_12:                               ;   in Loop: Header=BB9_4 Depth=1
	s_load_dword s55, s[46:47], 0x4
	s_waitcnt lgkmcnt(0)
	s_add_i32 s13, s13, s29
	s_add_i32 s12, s55, s12
	;; [unrolled: 1-line block ×3, first 2 shown]
	s_cmp_ge_u32 s54, s19
	s_cbranch_scc1 .LBB9_7
.LBB9_13:                               ;   in Loop: Header=BB9_4 Depth=1
	s_load_dword s55, s[46:47], 0x8
	s_waitcnt lgkmcnt(0)
	s_add_i32 s13, s13, s30
	s_add_i32 s12, s55, s12
	;; [unrolled: 1-line block ×3, first 2 shown]
	s_cmp_ge_u32 s54, s19
	s_cbranch_scc0 .LBB9_8
	s_branch .LBB9_9
.LBB9_14:
	s_mov_b32 s14, 0
	s_cmp_ge_u32 s14, s10
	s_cbranch_scc0 .LBB9_38
	s_branch .LBB9_16
.LBB9_15:
	s_add_i32 s14, s53, 4
	s_cmp_ge_u32 s14, s10
	s_cbranch_scc0 .LBB9_38
.LBB9_16:
	v_mov_b32_e32 v1, s12
	v_mov_b32_e32 v2, s52
	;; [unrolled: 1-line block ×4, first 2 shown]
	ds_write_b96 v4, v[1:3] offset:1056
.LBB9_17:
	s_or_b32 exec_lo, exec_lo, s51
	s_load_dwordx4 s[12:15], s[4:5], 0xd8
	s_waitcnt lgkmcnt(0)
	s_mul_i32 s15, s9, s19
	s_add_i32 s19, s19, 1
	s_lshl_b32 s15, s15, 8
	s_waitcnt vmcnt(0)
	s_barrier
	buffer_gl0_inv
	s_sub_i32 s28, s12, s15
	s_add_u32 s28, s28, 0xff
	s_addc_u32 s29, 0, 0
	s_lshr_b64 s[28:29], s[28:29], 8
	s_cmp_lt_u32 s19, s10
	s_mov_b32 s19, 0
	s_cselect_b32 s9, s9, s28
	s_cmp_eq_u32 s9, 0
	s_cbranch_scc1 .LBB9_40
; %bb.18:
	s_mul_i32 s28, s50, s40
	s_mul_i32 s10, s27, s41
	s_sub_i32 s28, s27, s28
	s_sub_i32 s10, s11, s10
	s_add_i32 s29, s50, 1
	s_sub_i32 s30, s28, s40
	s_cmp_ge_u32 s28, s40
	s_mul_i32 s10, s10, s26
	s_cselect_b32 s29, s29, s50
	s_cselect_b32 s28, s30, s28
	s_add_i32 s30, s29, 1
	s_cmp_ge_u32 s28, s40
	s_mul_i32 s28, s33, s39
	s_cselect_b32 s29, s30, s29
	s_mul_i32 s30, s49, s38
	s_mul_i32 s31, s29, s40
	s_mul_i32 s29, s29, s24
	s_sub_i32 s26, s27, s31
	s_sub_i32 s24, s33, s30
	s_mul_i32 s25, s26, s25
	s_sub_i32 s27, s11, s28
	s_add_i32 s10, s25, s10
	s_add_i32 s25, s49, 1
	;; [unrolled: 1-line block ×3, first 2 shown]
	s_sub_i32 s26, s24, s38
	s_cmp_ge_u32 s24, s38
	s_mul_i32 s28, s48, s34
	s_cselect_b32 s25, s25, s49
	s_cselect_b32 s24, s26, s24
	s_add_i32 s26, s25, 1
	s_cmp_ge_u32 s24, s38
	s_mul_i32 s27, s27, s22
	s_cselect_b32 s24, s26, s25
	s_mul_i32 s25, s23, s35
	s_mul_i32 s26, s24, s38
	;; [unrolled: 1-line block ×3, first 2 shown]
	s_sub_i32 s26, s33, s26
	s_sub_i32 s11, s11, s25
	s_mul_i32 s21, s26, s21
	s_add_i32 s22, s48, 1
	s_add_i32 s20, s21, s27
	s_sub_i32 s21, s23, s28
	s_add_i32 s20, s20, s24
	s_sub_i32 s24, s21, s34
	s_cmp_ge_u32 s21, s34
	v_mov_b32_e32 v5, 0
	s_cselect_b32 s22, s22, s48
	s_cselect_b32 s21, s24, s21
	s_add_i32 s24, s22, 1
	s_cmp_ge_u32 s21, s34
	s_mul_i32 s11, s11, s18
	s_cselect_b32 s21, s24, s22
	ds_read_b96 v[1:3], v5 offset:1056
	s_mul_i32 s22, s21, s34
	s_mul_i32 s21, s21, s16
	s_sub_i32 s18, s23, s22
	v_lshrrev_b32_e32 v4, 3, v0
	s_mul_i32 s17, s18, s17
	v_add_nc_u32_e32 v8, -1, v0
	s_add_i32 s11, s17, s11
	v_and_b32_e32 v9, 0xfc, v0
	s_add_i32 s18, s11, s21
	s_add_u32 s10, s2, s10
	s_addc_u32 s11, s3, 0
	s_add_u32 s16, s36, s20
	s_clause 0x1
	s_load_dword s20, s[4:5], 0xe8
	s_load_dword s4, s[4:5], 0x1c8
	v_and_b32_e32 v4, 28, v4
	v_lshrrev_b32_e32 v7, 3, v8
	s_addc_u32 s17, s37, 0
	s_lshl_b64 s[2:3], s[18:19], 3
	v_lshlrev_b32_e32 v11, 5, v0
	s_waitcnt lgkmcnt(0)
	v_add_nc_u32_e32 v1, v1, v2
	v_lshl_add_u32 v2, v0, 2, v4
	v_and_b32_e32 v10, 0x1ffffffc, v7
	v_add_nc_u32_e32 v4, s15, v0
	v_mbcnt_lo_u32_b32 v7, -1, 0
	s_add_u32 s6, s6, s2
	v_cmp_gt_u32_e64 s2, 32, v0
	v_lshl_add_u32 v0, v8, 2, v10
	s_addc_u32 s7, s7, s3
	v_add_nc_u32_e32 v9, v9, v11
	v_and_b32_e32 v10, 15, v7
	v_bfe_i32 v11, v7, 4, 1
	v_add_nc_u32_e32 v12, -1, v7
	v_mul_lo_u32 v8, s20, v4
	s_bitcmp1_b32 s14, 0
                                        ; implicit-def: $vgpr13
	s_cselect_b32 s3, -1, 0
	s_lshl_b32 s5, s20, 8
	s_branch .LBB9_21
.LBB9_19:                               ;   in Loop: Header=BB9_21 Depth=1
	s_or_b32 exec_lo, exec_lo, s14
	v_add_nc_u32_e32 v1, v16, v1
.LBB9_20:                               ;   in Loop: Header=BB9_21 Depth=1
	v_add_nc_u32_e32 v3, v15, v3
	v_add_nc_u32_e32 v8, s5, v8
	;; [unrolled: 1-line block ×3, first 2 shown]
	s_add_i32 s9, s9, -1
	s_cmp_lg_u32 s9, 0
	s_cbranch_scc0 .LBB9_40
.LBB9_21:                               ; =>This Inner Loop Header: Depth=1
	v_mov_b32_e32 v16, 0
	v_mov_b32_e32 v14, 0
	s_mov_b32 s14, exec_lo
	v_cmpx_gt_u32_e64 s12, v4
	s_cbranch_execz .LBB9_23
; %bb.22:                               ;   in Loop: Header=BB9_21 Depth=1
	global_load_ubyte v13, v8, s[10:11]
	s_waitcnt vmcnt(0)
	v_cmp_gt_u16_sdwa s15, v13, v6 src0_sel:DWORD src1_sel:BYTE_0
	v_cndmask_b32_e64 v14, 0, 1, s15
	v_cmp_lt_u16_sdwa s15, v13, v6 src0_sel:DWORD src1_sel:BYTE_0
	v_cndmask_b32_e64 v15, 0, 1, s15
	v_cmp_eq_u16_sdwa s15, v13, v6 src0_sel:DWORD src1_sel:BYTE_0
	v_cndmask_b32_e64 v14, v15, v14, s3
	v_and_b32_e32 v16, 1, v14
	v_cndmask_b32_e64 v14, 0, 1, s15
.LBB9_23:                               ;   in Loop: Header=BB9_21 Depth=1
	s_or_b32 exec_lo, exec_lo, s14
	ds_write_b32 v2, v16
	s_waitcnt lgkmcnt(0)
	s_barrier
	buffer_gl0_inv
	s_and_saveexec_b32 s14, s2
	s_cbranch_execz .LBB9_25
; %bb.24:                               ;   in Loop: Header=BB9_21 Depth=1
	ds_read2_b32 v[17:18], v9 offset1:1
	ds_read2_b32 v[19:20], v9 offset0:2 offset1:3
	ds_read2_b32 v[21:22], v9 offset0:4 offset1:5
	;; [unrolled: 1-line block ×3, first 2 shown]
	v_cmp_ne_u32_e32 vcc_lo, 0, v10
	; wave barrier
	s_waitcnt lgkmcnt(3)
	v_add_nc_u32_e32 v15, v18, v17
	s_waitcnt lgkmcnt(2)
	v_add3_u32 v15, v15, v19, v20
	s_waitcnt lgkmcnt(1)
	v_add3_u32 v15, v15, v21, v22
	;; [unrolled: 2-line block ×3, first 2 shown]
	v_mov_b32_dpp v18, v15 row_shr:1 row_mask:0xf bank_mask:0xf
	v_cndmask_b32_e32 v18, 0, v18, vcc_lo
	v_cmp_lt_u32_e32 vcc_lo, 1, v10
	v_add_nc_u32_e32 v15, v18, v15
	v_mov_b32_dpp v18, v15 row_shr:2 row_mask:0xf bank_mask:0xf
	v_cndmask_b32_e32 v18, 0, v18, vcc_lo
	v_cmp_lt_u32_e32 vcc_lo, 3, v10
	v_add_nc_u32_e32 v15, v15, v18
	;; [unrolled: 4-line block ×3, first 2 shown]
	v_mov_b32_dpp v18, v15 row_shr:8 row_mask:0xf bank_mask:0xf
	v_cndmask_b32_e32 v18, 0, v18, vcc_lo
	v_cmp_gt_i32_e32 vcc_lo, 0, v12
	v_add_nc_u32_e32 v15, v15, v18
	v_cndmask_b32_e32 v19, v12, v7, vcc_lo
	ds_swizzle_b32 v18, v15 offset:swizzle(BROADCAST,32,15)
	v_lshlrev_b32_e32 v19, 2, v19
	s_waitcnt lgkmcnt(0)
	v_and_b32_e32 v18, v11, v18
	v_add_nc_u32_e32 v15, v15, v18
	ds_bpermute_b32 v15, v19, v15
	s_waitcnt lgkmcnt(0)
	v_add_nc_u32_e32 v15, v15, v17
	v_cndmask_b32_e64 v15, v15, v16, s1
	ds_write_b32 v9, v15
	; wave barrier
	ds_read2_b32 v[17:18], v9 offset0:1 offset1:2
	ds_read2_b32 v[19:20], v9 offset0:3 offset1:4
	;; [unrolled: 1-line block ×3, first 2 shown]
	ds_read_b32 v23, v9 offset:28
	s_waitcnt lgkmcnt(3)
	v_add_nc_u32_e32 v15, v17, v15
	v_add_nc_u32_e32 v17, v18, v15
	s_waitcnt lgkmcnt(2)
	v_add_nc_u32_e32 v18, v19, v17
	v_add_nc_u32_e32 v19, v20, v18
	;; [unrolled: 3-line block ×3, first 2 shown]
	s_waitcnt lgkmcnt(0)
	v_add_nc_u32_e32 v22, v23, v21
	ds_write2_b32 v9, v15, v17 offset0:1 offset1:2
	ds_write2_b32 v9, v18, v19 offset0:3 offset1:4
	;; [unrolled: 1-line block ×3, first 2 shown]
	ds_write_b32 v9, v22 offset:28
.LBB9_25:                               ;   in Loop: Header=BB9_21 Depth=1
	s_or_b32 exec_lo, exec_lo, s14
	v_mov_b32_e32 v17, 0
	s_waitcnt lgkmcnt(0)
	s_barrier
	buffer_gl0_inv
	s_and_saveexec_b32 s14, s0
; %bb.26:                               ;   in Loop: Header=BB9_21 Depth=1
	ds_read_b32 v17, v0
; %bb.27:                               ;   in Loop: Header=BB9_21 Depth=1
	s_or_b32 exec_lo, exec_lo, s14
	ds_read_b32 v15, v5 offset:1048
	s_mov_b32 s14, exec_lo
	s_waitcnt lgkmcnt(0)
	s_barrier
	buffer_gl0_inv
	v_cmpx_ne_u32_e32 0, v16
	s_cbranch_execz .LBB9_29
; %bb.28:                               ;   in Loop: Header=BB9_21 Depth=1
	v_add_nc_u32_e32 v18, v17, v3
	v_mov_b32_e32 v17, v5
	v_mul_lo_u32 v16, v18, s8
	v_mul_lo_u32 v18, v18, s4
	v_lshlrev_b64 v[16:17], 3, v[16:17]
	v_add_co_u32 v16, vcc_lo, s6, v16
	v_add_co_ci_u32_e64 v17, null, s7, v17, vcc_lo
	global_store_byte v18, v13, s[16:17]
	global_store_dwordx2 v[16:17], v[4:5], off
.LBB9_29:                               ;   in Loop: Header=BB9_21 Depth=1
	s_or_b32 exec_lo, exec_lo, s14
	v_cmp_le_u32_e32 vcc_lo, s13, v1
	s_cbranch_vccnz .LBB9_20
; %bb.30:                               ;   in Loop: Header=BB9_21 Depth=1
	ds_write_b32 v2, v14
	s_waitcnt lgkmcnt(0)
	s_waitcnt_vscnt null, 0x0
	s_barrier
	buffer_gl0_inv
	s_and_saveexec_b32 s14, s2
	s_cbranch_execz .LBB9_32
; %bb.31:                               ;   in Loop: Header=BB9_21 Depth=1
	ds_read2_b32 v[16:17], v9 offset1:1
	ds_read2_b32 v[18:19], v9 offset0:2 offset1:3
	ds_read2_b32 v[20:21], v9 offset0:4 offset1:5
	ds_read2_b32 v[22:23], v9 offset0:6 offset1:7
	v_cmp_ne_u32_e32 vcc_lo, 0, v10
	; wave barrier
	s_waitcnt lgkmcnt(3)
	v_add_nc_u32_e32 v17, v17, v16
	s_waitcnt lgkmcnt(2)
	v_add3_u32 v17, v17, v18, v19
	s_waitcnt lgkmcnt(1)
	v_add3_u32 v17, v17, v20, v21
	;; [unrolled: 2-line block ×3, first 2 shown]
	v_mov_b32_dpp v18, v17 row_shr:1 row_mask:0xf bank_mask:0xf
	v_cndmask_b32_e32 v18, 0, v18, vcc_lo
	v_cmp_lt_u32_e32 vcc_lo, 1, v10
	v_add_nc_u32_e32 v17, v18, v17
	v_mov_b32_dpp v18, v17 row_shr:2 row_mask:0xf bank_mask:0xf
	v_cndmask_b32_e32 v18, 0, v18, vcc_lo
	v_cmp_lt_u32_e32 vcc_lo, 3, v10
	v_add_nc_u32_e32 v17, v17, v18
	;; [unrolled: 4-line block ×3, first 2 shown]
	v_mov_b32_dpp v18, v17 row_shr:8 row_mask:0xf bank_mask:0xf
	v_cndmask_b32_e32 v18, 0, v18, vcc_lo
	v_cmp_gt_i32_e32 vcc_lo, 0, v12
	v_add_nc_u32_e32 v17, v17, v18
	v_cndmask_b32_e32 v19, v12, v7, vcc_lo
	ds_swizzle_b32 v18, v17 offset:swizzle(BROADCAST,32,15)
	v_lshlrev_b32_e32 v19, 2, v19
	s_waitcnt lgkmcnt(0)
	v_and_b32_e32 v18, v11, v18
	v_add_nc_u32_e32 v17, v17, v18
	ds_bpermute_b32 v17, v19, v17
	s_waitcnt lgkmcnt(0)
	v_add_nc_u32_e32 v16, v17, v16
	v_cndmask_b32_e64 v22, v16, v14, s1
	ds_write_b32 v9, v22
	; wave barrier
	ds_read2_b32 v[16:17], v9 offset0:1 offset1:2
	ds_read2_b32 v[18:19], v9 offset0:3 offset1:4
	;; [unrolled: 1-line block ×3, first 2 shown]
	ds_read_b32 v23, v9 offset:28
	s_waitcnt lgkmcnt(3)
	v_add_nc_u32_e32 v16, v16, v22
	v_add_nc_u32_e32 v17, v17, v16
	s_waitcnt lgkmcnt(2)
	v_add_nc_u32_e32 v18, v18, v17
	v_add_nc_u32_e32 v19, v19, v18
	;; [unrolled: 3-line block ×3, first 2 shown]
	s_waitcnt lgkmcnt(0)
	v_add_nc_u32_e32 v22, v23, v21
	ds_write2_b32 v9, v16, v17 offset0:1 offset1:2
	ds_write2_b32 v9, v18, v19 offset0:3 offset1:4
	;; [unrolled: 1-line block ×3, first 2 shown]
	ds_write_b32 v9, v22 offset:28
.LBB9_32:                               ;   in Loop: Header=BB9_21 Depth=1
	s_or_b32 exec_lo, exec_lo, s14
	v_mov_b32_e32 v17, 0
	s_waitcnt lgkmcnt(0)
	s_barrier
	buffer_gl0_inv
	s_and_saveexec_b32 s14, s0
; %bb.33:                               ;   in Loop: Header=BB9_21 Depth=1
	ds_read_b32 v17, v0
; %bb.34:                               ;   in Loop: Header=BB9_21 Depth=1
	s_or_b32 exec_lo, exec_lo, s14
	ds_read_b32 v16, v5 offset:1048
	s_mov_b32 s14, exec_lo
	s_waitcnt lgkmcnt(0)
	s_barrier
	buffer_gl0_inv
	v_cmpx_ne_u32_e32 0, v14
	s_cbranch_execz .LBB9_19
; %bb.35:                               ;   in Loop: Header=BB9_21 Depth=1
	v_add_nc_u32_e32 v14, v17, v1
	v_cmp_gt_u32_e32 vcc_lo, s13, v14
	s_and_b32 exec_lo, exec_lo, vcc_lo
	s_cbranch_execz .LBB9_19
; %bb.36:                               ;   in Loop: Header=BB9_21 Depth=1
	v_mul_lo_u32 v17, v14, s8
	v_mov_b32_e32 v18, v5
	v_mul_lo_u32 v14, v14, s4
	v_lshlrev_b64 v[17:18], 3, v[17:18]
	v_add_co_u32 v17, vcc_lo, s6, v17
	v_add_co_ci_u32_e64 v18, null, s7, v18, vcc_lo
	global_store_byte v14, v13, s[16:17]
	global_store_dwordx2 v[17:18], v[4:5], off
	s_branch .LBB9_19
	.p2align	6
.LBB9_37:                               ;   in Loop: Header=BB9_38 Depth=1
	s_add_u32 s28, s28, 4
	s_addc_u32 s29, s29, 0
	s_waitcnt lgkmcnt(0)
	s_add_i32 s52, s15, s52
	s_add_u32 s30, s30, 4
	s_addc_u32 s31, s31, 0
	s_add_i32 s14, s14, 1
	s_cmp_lt_u32 s14, s10
	s_cbranch_scc0 .LBB9_16
.LBB9_38:                               ; =>This Inner Loop Header: Depth=1
	s_load_dword s15, s[28:29], 0x0
	s_cmp_ge_u32 s14, s19
	s_cbranch_scc1 .LBB9_37
; %bb.39:                               ;   in Loop: Header=BB9_38 Depth=1
	s_load_dword s42, s[30:31], 0x0
	s_waitcnt lgkmcnt(0)
	s_add_i32 s13, s15, s13
	s_add_i32 s12, s42, s12
	s_branch .LBB9_37
.LBB9_40:
	s_endpgm
	.section	.rodata,"a",@progbits
	.p2align	6, 0x0
	.amdhsa_kernel _ZN2at6native6mbtopk10gatherTopKIhjLi3EEEvNS_4cuda6detail10TensorInfoIKT_T0_EES8_S8_bjS8_NS5_IS6_S8_EES8_NS5_IlS8_EES8_jjPS6_PjSD_j
		.amdhsa_group_segment_fixed_size 1068
		.amdhsa_private_segment_fixed_size 0
		.amdhsa_kernarg_size 984
		.amdhsa_user_sgpr_count 6
		.amdhsa_user_sgpr_private_segment_buffer 1
		.amdhsa_user_sgpr_dispatch_ptr 0
		.amdhsa_user_sgpr_queue_ptr 0
		.amdhsa_user_sgpr_kernarg_segment_ptr 1
		.amdhsa_user_sgpr_dispatch_id 0
		.amdhsa_user_sgpr_flat_scratch_init 0
		.amdhsa_user_sgpr_private_segment_size 0
		.amdhsa_wavefront_size32 1
		.amdhsa_uses_dynamic_stack 0
		.amdhsa_system_sgpr_private_segment_wavefront_offset 0
		.amdhsa_system_sgpr_workgroup_id_x 1
		.amdhsa_system_sgpr_workgroup_id_y 1
		.amdhsa_system_sgpr_workgroup_id_z 1
		.amdhsa_system_sgpr_workgroup_info 0
		.amdhsa_system_vgpr_workitem_id 0
		.amdhsa_next_free_vgpr 25
		.amdhsa_next_free_sgpr 56
		.amdhsa_reserve_vcc 1
		.amdhsa_reserve_flat_scratch 0
		.amdhsa_float_round_mode_32 0
		.amdhsa_float_round_mode_16_64 0
		.amdhsa_float_denorm_mode_32 3
		.amdhsa_float_denorm_mode_16_64 3
		.amdhsa_dx10_clamp 1
		.amdhsa_ieee_mode 1
		.amdhsa_fp16_overflow 0
		.amdhsa_workgroup_processor_mode 1
		.amdhsa_memory_ordered 1
		.amdhsa_forward_progress 1
		.amdhsa_shared_vgpr_count 0
		.amdhsa_exception_fp_ieee_invalid_op 0
		.amdhsa_exception_fp_denorm_src 0
		.amdhsa_exception_fp_ieee_div_zero 0
		.amdhsa_exception_fp_ieee_overflow 0
		.amdhsa_exception_fp_ieee_underflow 0
		.amdhsa_exception_fp_ieee_inexact 0
		.amdhsa_exception_int_div_zero 0
	.end_amdhsa_kernel
	.section	.text._ZN2at6native6mbtopk10gatherTopKIhjLi3EEEvNS_4cuda6detail10TensorInfoIKT_T0_EES8_S8_bjS8_NS5_IS6_S8_EES8_NS5_IlS8_EES8_jjPS6_PjSD_j,"axG",@progbits,_ZN2at6native6mbtopk10gatherTopKIhjLi3EEEvNS_4cuda6detail10TensorInfoIKT_T0_EES8_S8_bjS8_NS5_IS6_S8_EES8_NS5_IlS8_EES8_jjPS6_PjSD_j,comdat
.Lfunc_end9:
	.size	_ZN2at6native6mbtopk10gatherTopKIhjLi3EEEvNS_4cuda6detail10TensorInfoIKT_T0_EES8_S8_bjS8_NS5_IS6_S8_EES8_NS5_IlS8_EES8_jjPS6_PjSD_j, .Lfunc_end9-_ZN2at6native6mbtopk10gatherTopKIhjLi3EEEvNS_4cuda6detail10TensorInfoIKT_T0_EES8_S8_bjS8_NS5_IS6_S8_EES8_NS5_IlS8_EES8_jjPS6_PjSD_j
                                        ; -- End function
	.set _ZN2at6native6mbtopk10gatherTopKIhjLi3EEEvNS_4cuda6detail10TensorInfoIKT_T0_EES8_S8_bjS8_NS5_IS6_S8_EES8_NS5_IlS8_EES8_jjPS6_PjSD_j.num_vgpr, 25
	.set _ZN2at6native6mbtopk10gatherTopKIhjLi3EEEvNS_4cuda6detail10TensorInfoIKT_T0_EES8_S8_bjS8_NS5_IS6_S8_EES8_NS5_IlS8_EES8_jjPS6_PjSD_j.num_agpr, 0
	.set _ZN2at6native6mbtopk10gatherTopKIhjLi3EEEvNS_4cuda6detail10TensorInfoIKT_T0_EES8_S8_bjS8_NS5_IS6_S8_EES8_NS5_IlS8_EES8_jjPS6_PjSD_j.numbered_sgpr, 56
	.set _ZN2at6native6mbtopk10gatherTopKIhjLi3EEEvNS_4cuda6detail10TensorInfoIKT_T0_EES8_S8_bjS8_NS5_IS6_S8_EES8_NS5_IlS8_EES8_jjPS6_PjSD_j.num_named_barrier, 0
	.set _ZN2at6native6mbtopk10gatherTopKIhjLi3EEEvNS_4cuda6detail10TensorInfoIKT_T0_EES8_S8_bjS8_NS5_IS6_S8_EES8_NS5_IlS8_EES8_jjPS6_PjSD_j.private_seg_size, 0
	.set _ZN2at6native6mbtopk10gatherTopKIhjLi3EEEvNS_4cuda6detail10TensorInfoIKT_T0_EES8_S8_bjS8_NS5_IS6_S8_EES8_NS5_IlS8_EES8_jjPS6_PjSD_j.uses_vcc, 1
	.set _ZN2at6native6mbtopk10gatherTopKIhjLi3EEEvNS_4cuda6detail10TensorInfoIKT_T0_EES8_S8_bjS8_NS5_IS6_S8_EES8_NS5_IlS8_EES8_jjPS6_PjSD_j.uses_flat_scratch, 0
	.set _ZN2at6native6mbtopk10gatherTopKIhjLi3EEEvNS_4cuda6detail10TensorInfoIKT_T0_EES8_S8_bjS8_NS5_IS6_S8_EES8_NS5_IlS8_EES8_jjPS6_PjSD_j.has_dyn_sized_stack, 0
	.set _ZN2at6native6mbtopk10gatherTopKIhjLi3EEEvNS_4cuda6detail10TensorInfoIKT_T0_EES8_S8_bjS8_NS5_IS6_S8_EES8_NS5_IlS8_EES8_jjPS6_PjSD_j.has_recursion, 0
	.set _ZN2at6native6mbtopk10gatherTopKIhjLi3EEEvNS_4cuda6detail10TensorInfoIKT_T0_EES8_S8_bjS8_NS5_IS6_S8_EES8_NS5_IlS8_EES8_jjPS6_PjSD_j.has_indirect_call, 0
	.section	.AMDGPU.csdata,"",@progbits
; Kernel info:
; codeLenInByte = 2832
; TotalNumSgprs: 58
; NumVgprs: 25
; ScratchSize: 0
; MemoryBound: 0
; FloatMode: 240
; IeeeMode: 1
; LDSByteSize: 1068 bytes/workgroup (compile time only)
; SGPRBlocks: 0
; VGPRBlocks: 3
; NumSGPRsForWavesPerEU: 58
; NumVGPRsForWavesPerEU: 25
; Occupancy: 16
; WaveLimiterHint : 1
; COMPUTE_PGM_RSRC2:SCRATCH_EN: 0
; COMPUTE_PGM_RSRC2:USER_SGPR: 6
; COMPUTE_PGM_RSRC2:TRAP_HANDLER: 0
; COMPUTE_PGM_RSRC2:TGID_X_EN: 1
; COMPUTE_PGM_RSRC2:TGID_Y_EN: 1
; COMPUTE_PGM_RSRC2:TGID_Z_EN: 1
; COMPUTE_PGM_RSRC2:TIDIG_COMP_CNT: 0
	.section	.text._ZN2at6native6sbtopk10gatherTopKIhjLi3ELb0EEEvNS_4cuda6detail10TensorInfoIKT_T0_EES8_S8_bS8_S8_NS5_IS6_S8_EES8_NS5_IlS8_EES8_PS6_,"axG",@progbits,_ZN2at6native6sbtopk10gatherTopKIhjLi3ELb0EEEvNS_4cuda6detail10TensorInfoIKT_T0_EES8_S8_bS8_S8_NS5_IS6_S8_EES8_NS5_IlS8_EES8_PS6_,comdat
	.protected	_ZN2at6native6sbtopk10gatherTopKIhjLi3ELb0EEEvNS_4cuda6detail10TensorInfoIKT_T0_EES8_S8_bS8_S8_NS5_IS6_S8_EES8_NS5_IlS8_EES8_PS6_ ; -- Begin function _ZN2at6native6sbtopk10gatherTopKIhjLi3ELb0EEEvNS_4cuda6detail10TensorInfoIKT_T0_EES8_S8_bS8_S8_NS5_IS6_S8_EES8_NS5_IlS8_EES8_PS6_
	.globl	_ZN2at6native6sbtopk10gatherTopKIhjLi3ELb0EEEvNS_4cuda6detail10TensorInfoIKT_T0_EES8_S8_bS8_S8_NS5_IS6_S8_EES8_NS5_IlS8_EES8_PS6_
	.p2align	8
	.type	_ZN2at6native6sbtopk10gatherTopKIhjLi3ELb0EEEvNS_4cuda6detail10TensorInfoIKT_T0_EES8_S8_bS8_S8_NS5_IS6_S8_EES8_NS5_IlS8_EES8_PS6_,@function
_ZN2at6native6sbtopk10gatherTopKIhjLi3ELb0EEEvNS_4cuda6detail10TensorInfoIKT_T0_EES8_S8_bS8_S8_NS5_IS6_S8_EES8_NS5_IlS8_EES8_PS6_: ; @_ZN2at6native6sbtopk10gatherTopKIhjLi3ELb0EEEvNS_4cuda6detail10TensorInfoIKT_T0_EES8_S8_bS8_S8_NS5_IS6_S8_EES8_NS5_IlS8_EES8_PS6_
; %bb.0:
	s_clause 0x1
	s_load_dwordx2 s[12:13], s[4:5], 0x2b8
	s_load_dwordx4 s[36:39], s[4:5], 0xd8
	s_add_u32 s10, s4, 0x2b8
	s_addc_u32 s11, s5, 0
	s_waitcnt lgkmcnt(0)
	s_mul_i32 s0, s13, s8
	s_add_i32 s0, s0, s7
	s_mul_i32 s60, s0, s12
	s_add_i32 s60, s60, s6
	s_cmp_ge_u32 s60, s39
	s_cbranch_scc1 .LBB10_410
; %bb.1:
	s_clause 0x6
	s_load_dwordx2 s[14:15], s[4:5], 0xc
	s_load_dwordx2 s[58:59], s[4:5], 0xfc
	;; [unrolled: 1-line block ×4, first 2 shown]
	s_load_dwordx4 s[40:43], s[4:5], 0x23c
	s_load_dwordx2 s[0:1], s[4:5], 0x1d0
	; meta instruction
	s_load_dwordx2 s[54:55], s[4:5], 0xf0
	s_mov_b32 s64, 0
	s_waitcnt lgkmcnt(0)
	v_cvt_f32_u32_e32 v1, s15
	v_cvt_f32_u32_e32 v3, s59
	;; [unrolled: 1-line block ×3, first 2 shown]
	v_writelane_b32 v68, s0, 0
	v_cvt_f32_u32_e32 v5, s57
	v_rcp_iflag_f32_e32 v1, v1
	v_rcp_iflag_f32_e32 v3, v3
	;; [unrolled: 1-line block ×3, first 2 shown]
	v_writelane_b32 v68, s1, 1
	s_clause 0x1
	s_load_dword s50, s[4:5], 0xe8
	s_load_dwordx4 s[0:3], s[4:5], 0x6c
	s_waitcnt lgkmcnt(0)
	s_sub_i32 s3, 0, s15
	v_rcp_iflag_f32_e32 v5, v5
	v_cvt_f32_u32_e32 v4, s58
	v_cvt_f32_u32_e32 v6, s56
	v_mul_f32_e32 v1, 0x4f7ffffe, v1
	v_mul_f32_e32 v3, 0x4f7ffffe, v3
	;; [unrolled: 1-line block ×3, first 2 shown]
	v_rcp_iflag_f32_e32 v4, v4
	v_cvt_u32_f32_e32 v1, v1
	v_cvt_u32_f32_e32 v3, v3
	;; [unrolled: 1-line block ×3, first 2 shown]
	v_mul_f32_e32 v5, 0x4f7ffffe, v5
	v_readfirstlane_b32 s7, v1
	v_readfirstlane_b32 s17, v3
	v_rcp_iflag_f32_e32 v1, v6
	v_mul_f32_e32 v4, 0x4f7ffffe, v4
	s_mul_i32 s3, s3, s7
	s_mul_hi_u32 s3, s7, s3
	v_cvt_u32_f32_e32 v3, v4
	s_add_i32 s7, s7, s3
	s_mul_hi_u32 s3, s60, s7
	v_mul_f32_e32 v1, 0x4f7ffffe, v1
	s_mul_i32 s7, s3, s15
	s_add_i32 s13, s3, 1
	s_sub_i32 s7, s60, s7
	v_cvt_u32_f32_e32 v1, v1
	s_sub_i32 s16, s7, s15
	s_cmp_ge_u32 s7, s15
	s_cselect_b32 s3, s13, s3
	s_cselect_b32 s7, s16, s7
	s_add_i32 s13, s3, 1
	s_cmp_ge_u32 s7, s15
	v_readfirstlane_b32 s20, v1
	s_cselect_b32 s7, s13, s3
	s_sub_i32 s3, 0, s59
	v_readfirstlane_b32 s13, v2
	s_mul_i32 s3, s3, s17
	s_sub_i32 s16, 0, s14
	s_mul_hi_u32 s3, s17, s3
	v_cvt_u32_f32_e32 v2, v5
	s_add_i32 s17, s17, s3
	s_mul_i32 s16, s16, s13
	s_mul_hi_u32 s3, s60, s17
	s_mul_hi_u32 s16, s13, s16
	s_mul_i32 s17, s3, s59
	s_add_i32 s13, s13, s16
	s_sub_i32 s16, s60, s17
	s_add_i32 s17, s3, 1
	s_sub_i32 s18, s16, s59
	s_cmp_ge_u32 s16, s59
	v_readfirstlane_b32 s19, v2
	s_cselect_b32 s3, s17, s3
	s_cselect_b32 s16, s18, s16
	s_add_i32 s17, s3, 1
	s_cmp_ge_u32 s16, s59
	v_readfirstlane_b32 s16, v3
	s_cselect_b32 s61, s17, s3
	s_sub_i32 s3, 0, s57
	s_sub_i32 s17, 0, s58
	s_mul_i32 s3, s3, s19
	s_mul_i32 s17, s17, s16
	s_mul_hi_u32 s3, s19, s3
	s_mul_hi_u32 s17, s16, s17
	s_add_i32 s19, s19, s3
	s_add_i32 s16, s16, s17
	s_mul_hi_u32 s3, s60, s19
	s_mul_hi_u32 s13, s7, s13
	s_mul_i32 s18, s3, s57
	s_mul_hi_u32 s63, s61, s16
	s_sub_i32 s17, s60, s18
	s_add_i32 s18, s3, 1
	s_sub_i32 s19, s17, s57
	s_cmp_ge_u32 s17, s57
	s_cselect_b32 s3, s18, s3
	s_cselect_b32 s17, s19, s17
	s_add_i32 s18, s3, 1
	s_cmp_ge_u32 s17, s57
	s_cselect_b32 s47, s18, s3
	s_sub_i32 s3, 0, s56
	s_mul_i32 s3, s3, s20
	s_mul_hi_u32 s17, s20, s3
	v_cmp_eq_u32_e64 s3, 0, v0
	s_add_i32 s20, s20, s17
	s_mul_hi_u32 s62, s47, s20
	s_and_saveexec_b32 s16, s3
	s_cbranch_execz .LBB10_3
; %bb.2:
	v_mov_b32_e32 v1, 0
	v_mov_b32_e32 v2, s36
	;; [unrolled: 1-line block ×3, first 2 shown]
	ds_write_b96 v1, v[1:3] offset:4096
.LBB10_3:
	s_or_b32 exec_lo, exec_lo, s16
	s_mul_i32 s16, s13, s14
	s_mul_i32 s15, s7, s15
	s_sub_i32 s16, s7, s16
	s_sub_i32 s15, s60, s15
	s_add_i32 s17, s13, 1
	s_sub_i32 s18, s16, s14
	s_cmp_ge_u32 s16, s14
	s_waitcnt lgkmcnt(0)
	s_cselect_b32 s13, s17, s13
	s_cselect_b32 s16, s18, s16
	s_barrier
	buffer_gl0_inv
	s_load_dword s18, s[10:11], 0xc
	s_add_i32 s17, s13, 1
	s_cmp_ge_u32 s16, s14
	s_mul_i32 s15, s15, s2
	s_cselect_b32 s13, s17, s13
	v_mbcnt_lo_u32_b32 v16, -1, 0
	s_mul_i32 s14, s13, s14
	s_mul_i32 s13, s13, s0
	s_sub_i32 s7, s7, s14
	v_cmp_gt_u32_e32 vcc_lo, 32, v0
	s_mul_i32 s1, s7, s1
	v_lshlrev_b64 v[1:2], v16, -1
	s_add_i32 s0, s1, s15
	v_lshrrev_b32_e32 v3, 1, v0
	s_add_i32 s0, s0, s13
	v_lshlrev_b32_e32 v17, 2, v0
	s_add_u32 s48, s8, s0
	s_addc_u32 s49, s9, 0
	s_bitcmp1_b32 s38, 0
	v_cmp_gt_i32_e64 s0, 4, v16
	s_cselect_b32 s2, -1, 0
	s_waitcnt lgkmcnt(0)
	s_and_b32 s35, s18, 0xffff
	v_not_b32_e32 v15, v1
	s_lshl_b32 s66, s35, 2
	s_bfe_u32 s1, s35, 0x80008
	v_cvt_f32_u32_e32 v2, s66
	s_xor_b32 s65, s2, -1
	s_lshl_b32 s67, s1, 3
	s_bfe_u32 s7, s18, 0xb0005
	s_and_b32 s68, vcc_lo, s0
	v_rcp_iflag_f32_e32 v1, v2
	s_cmpk_gt_u32 s36, 0xc00
	v_cvt_f32_u32_e32 v5, s35
	s_cselect_b32 s69, -1, 0
	s_cmp_gt_u32 s35, 31
	v_add_nc_u32_e32 v2, 2, v0
	s_cselect_b32 s70, -1, 0
	s_add_i32 s71, s35, -1
	v_rcp_iflag_f32_e32 v5, v5
	s_add_i32 s13, s71, s36
	s_cmp_lt_u32 s6, s12
	v_mul_f32_e32 v1, 0x4f7ffffe, v1
	s_cselect_b32 s8, 12, 18
	s_movk_i32 s6, 0x1f0
	s_add_u32 s38, s10, s8
	s_addc_u32 s39, s11, 0
	s_add_i32 s7, s7, -1
	v_cvt_u32_f32_e32 v1, v1
	s_and_b32 s7, s7, 0xffff
	s_bfe_u32 s72, s35, 0x30005
	s_cmp_gt_u32 s7, 6
	v_and_or_b32 v20, v3, s6, 0xc00
	v_readfirstlane_b32 s7, v1
	s_cselect_b32 s73, -1, 0
	s_cmp_lg_u32 s72, 0
	v_mul_f32_e32 v3, 0x4f7ffffe, v5
	s_cselect_b32 s74, -1, 0
	s_sub_i32 s8, 0, s66
	v_max_u32_e32 v2, s36, v2
	s_mul_i32 s8, s8, s7
	v_cvt_u32_f32_e32 v3, v3
	s_mul_hi_u32 s6, s7, s8
	v_mul_lo_u32 v18, s50, v0
	s_add_i32 s75, s7, s6
	v_xad_u32 v2, v0, -1, v2
	s_mul_hi_u32 s6, s36, s75
	v_readfirstlane_b32 s9, v3
	s_mul_i32 s6, s6, s66
	s_mov_b32 s51, s50
	s_sub_i32 s6, s36, s6
	v_add_nc_u32_e32 v4, -4, v2
	s_sub_i32 s8, s6, s66
	s_cmp_ge_u32 s6, s66
	v_and_b32_e32 v21, -4, v2
	s_cselect_b32 s6, s8, s6
	v_lshrrev_b32_e32 v1, 2, v4
	s_sub_i32 s8, s6, s66
	s_cmp_ge_u32 s6, s66
	v_cmp_lt_u32_e64 s7, 31, v2
	s_cselect_b32 s6, s8, s6
	s_sub_i32 s8, 0, s35
	s_sub_i32 s79, s36, s6
	s_mul_i32 s8, s8, s9
	v_add_nc_u32_e32 v1, 1, v1
	s_mul_hi_u32 s10, s9, s8
	v_add_nc_u32_e32 v24, s79, v0
	s_add_i32 s78, s9, s10
	v_mad_u64_u32 v[13:14], null, s50, v17, s[50:51]
	s_mul_hi_u32 s10, s13, s78
	v_and_b32_e32 v3, 3, v1
	s_mul_i32 s10, s10, s35
	v_and_b32_e32 v23, 0x7ffffffc, v1
	s_sub_i32 s11, s13, s10
	v_mul_lo_u32 v1, v24, s50
	s_sub_i32 s12, s11, s35
	s_cmp_ge_u32 s11, s35
	v_cmp_ne_u32_e64 s9, 0, v3
	s_cselect_b32 s12, s12, s11
	v_cmp_ne_u32_e64 s10, v2, v21
	s_sub_i32 s14, s12, s35
	s_cmp_ge_u32 s12, s35
	v_lshlrev_b32_e32 v25, 2, v3
	s_cselect_b32 s14, s14, s12
	v_or_b32_e32 v2, 2, v17
	s_sub_i32 s80, s13, s14
	v_add_co_u32 v11, s13, s48, v1
	v_add3_u32 v1, s35, s36, v0
	v_or_b32_e32 v3, 3, v17
	v_mul_lo_u32 v26, s50, v2
	v_add_co_u32 v9, s1, s48, v18
	v_subrev_nc_u32_e32 v1, s6, v1
	v_mul_lo_u32 v27, s50, v3
	v_cmp_eq_u32_e64 s0, 0, v16
	v_mov_b32_e32 v19, 0
	v_add_co_ci_u32_e64 v10, null, s49, 0, s1
	v_mul_lo_u32 v29, s50, v1
	v_cmp_gt_u32_e64 s1, s36, v0
	v_cmp_gt_u32_e64 s15, 2, v0
	v_add_nc_u32_e32 v22, v0, v21
	v_cmp_lt_u32_e64 s8, 11, v4
	v_cmp_gt_u32_e64 s11, s79, v17
	v_cmp_gt_u32_e64 s12, s36, v24
	v_add_co_ci_u32_e64 v12, null, s49, 0, s13
	v_cmp_gt_u32_e64 s13, s80, v0
	v_lshlrev_b32_e32 v28, 2, v18
	v_lshl_or_b32 v30, v16, 2, 0xc00
	v_mov_b32_e32 v34, s37
	v_mov_b32_e32 v31, 8
	;; [unrolled: 1-line block ×5, first 2 shown]
	s_mul_i32 s43, s50, s35
	s_mov_b32 s76, s50
	s_mov_b32 s77, s50
	;; [unrolled: 1-line block ×3, first 2 shown]
	s_lshl_b32 s82, s43, 2
	s_mov_b32 s83, 0
                                        ; implicit-def: $sgpr81
                                        ; implicit-def: $sgpr86
                                        ; implicit-def: $sgpr85
                                        ; implicit-def: $sgpr88
                                        ; implicit-def: $sgpr84
                                        ; implicit-def: $sgpr92
                                        ; implicit-def: $sgpr93
                                        ; implicit-def: $sgpr89
                                        ; implicit-def: $sgpr91
                                        ; implicit-def: $sgpr90
	s_branch .LBB10_6
.LBB10_4:                               ;   in Loop: Header=BB10_6 Depth=1
	s_or_b32 exec_lo, exec_lo, s17
	v_mov_b32_e32 v34, v4
	s_andn2_b32 s17, s90, exec_lo
	s_and_b32 s16, s16, exec_lo
	s_andn2_b32 s91, s91, exec_lo
	s_or_b32 s90, s17, s16
	s_andn2_b32 s89, s89, exec_lo
	s_andn2_b32 s93, s93, exec_lo
	;; [unrolled: 1-line block ×3, first 2 shown]
	s_orn2_b32 s17, s14, exec_lo
.LBB10_5:                               ;   in Loop: Header=BB10_6 Depth=1
	s_or_b32 exec_lo, exec_lo, s6
	s_and_b32 s6, exec_lo, s17
	s_or_b32 s64, s6, s64
	s_andn2_b32 s6, s84, exec_lo
	s_and_b32 s14, s90, exec_lo
	s_andn2_b32 s16, s88, exec_lo
	s_or_b32 s84, s6, s14
	s_and_b32 s6, s91, exec_lo
	s_andn2_b32 s14, s85, exec_lo
	s_and_b32 s17, s89, exec_lo
	s_or_b32 s88, s16, s6
	s_or_b32 s85, s14, s17
	s_andn2_b32 s6, s86, exec_lo
	s_and_b32 s14, s93, exec_lo
	s_andn2_b32 s16, s81, exec_lo
	s_and_b32 s17, s92, exec_lo
	s_or_b32 s86, s6, s14
	s_or_b32 s81, s16, s17
	s_andn2_b32 exec_lo, exec_lo, s64
	s_cbranch_execz .LBB10_406
.LBB10_6:                               ; =>This Loop Header: Depth=1
                                        ;     Child Loop BB10_11 Depth 2
                                        ;     Child Loop BB10_32 Depth 2
	;; [unrolled: 1-line block ×26, first 2 shown]
	ds_read_b64 v[1:2], v19 offset:4096
	s_waitcnt lgkmcnt(0)
	v_readfirstlane_b32 s94, v1
	s_cmp_lg_u32 s94, 0
	s_cbranch_scc1 .LBB10_51
; %bb.7:                                ;   in Loop: Header=BB10_6 Depth=1
	s_and_b32 vcc_lo, exec_lo, s69
	s_cbranch_vccz .LBB10_19
; %bb.8:                                ;   in Loop: Header=BB10_6 Depth=1
	v_cmp_gt_u32_e32 vcc_lo, 0xc01, v2
	s_mov_b32 s14, 0
	s_mov_b32 s6, 0
	s_cbranch_vccz .LBB10_20
; %bb.9:                                ;   in Loop: Header=BB10_6 Depth=1
	global_load_ushort v1, v19, s[38:39]
	global_load_ubyte v4, v[9:10], off
	v_mov_b32_e32 v5, v0
	s_mov_b32 s16, 0
	s_waitcnt vmcnt(1)
	v_add_nc_u32_e32 v2, v0, v1
	v_mul_lo_u32 v3, s50, v1
	v_mul_lo_u32 v2, s50, v2
	s_branch .LBB10_11
.LBB10_10:                              ;   in Loop: Header=BB10_11 Depth=2
	s_or_b32 exec_lo, exec_lo, s6
	v_add_nc_u32_e32 v2, v2, v3
	v_mov_b32_e32 v4, v6
	s_andn2_b32 exec_lo, exec_lo, s16
	s_cbranch_execz .LBB10_26
.LBB10_11:                              ;   Parent Loop BB10_6 Depth=1
                                        ; =>  This Inner Loop Header: Depth=2
	v_add_nc_u32_e32 v5, v5, v1
	s_waitcnt lgkmcnt(0)
	v_mov_b32_e32 v7, 0
	v_mov_b32_e32 v6, 0
	s_mov_b32 s17, exec_lo
	v_cmp_le_u32_e32 vcc_lo, s36, v5
	v_cmpx_gt_u32_e64 s36, v5
	s_cbranch_execz .LBB10_13
; %bb.12:                               ;   in Loop: Header=BB10_11 Depth=2
	global_load_ubyte v6, v2, s[48:49]
.LBB10_13:                              ;   in Loop: Header=BB10_11 Depth=2
	s_or_b32 exec_lo, exec_lo, s17
	s_waitcnt vmcnt(0)
	v_and_b32_e32 v8, v4, v32
	v_cmp_eq_u32_sdwa s17, v8, v14 src0_sel:BYTE_0 src1_sel:DWORD
	s_cmp_lg_u32 s17, 0
	s_cselect_b32 s6, -1, 0
	s_and_b32 s6, s0, s6
	s_and_saveexec_b32 s18, s6
	s_cbranch_execz .LBB10_17
; %bb.14:                               ;   in Loop: Header=BB10_11 Depth=2
	s_mov_b32 s21, exec_lo
	s_bcnt1_i32_b32 s19, s17
	v_mbcnt_lo_u32_b32 v7, s21, 0
	s_mov_b32 s20, exec_lo
                                        ; implicit-def: $vgpr8
	v_cmpx_eq_u32_e32 0, v7
; %bb.15:                               ;   in Loop: Header=BB10_11 Depth=2
	s_bcnt1_i32_b32 s6, s21
	s_mul_i32 s6, s19, s6
	v_mov_b32_e32 v8, s6
	ds_add_rtn_u32 v8, v19, v8 offset:4104
; %bb.16:                               ;   in Loop: Header=BB10_11 Depth=2
	s_or_b32 exec_lo, exec_lo, s20
	s_waitcnt lgkmcnt(0)
	v_readfirstlane_b32 s6, v8
	v_mad_u32_u24 v7, s19, v7, s6
.LBB10_17:                              ;   in Loop: Header=BB10_11 Depth=2
	s_or_b32 exec_lo, exec_lo, s18
	ds_bpermute_b32 v7, v19, v7
	s_and_b32 s6, exec_lo, vcc_lo
	s_or_b32 s16, s6, s16
	s_and_saveexec_b32 s6, s17
	s_cbranch_execz .LBB10_10
; %bb.18:                               ;   in Loop: Header=BB10_11 Depth=2
	v_and_b32_e32 v8, s17, v15
	s_waitcnt lgkmcnt(0)
	v_bcnt_u32_b32 v7, v8, v7
	ds_write_b8 v7, v4
	s_branch .LBB10_10
.LBB10_19:                              ;   in Loop: Header=BB10_6 Depth=1
	s_mov_b32 s14, -1
	s_mov_b32 s6, 0
.LBB10_20:                              ;   in Loop: Header=BB10_6 Depth=1
	s_and_b32 vcc_lo, exec_lo, s14
	s_cbranch_vccz .LBB10_49
.LBB10_21:                              ;   in Loop: Header=BB10_6 Depth=1
	s_and_saveexec_b32 s14, s1
	s_cbranch_execz .LBB10_46
; %bb.22:                               ;   in Loop: Header=BB10_6 Depth=1
	global_load_ushort v2, v19, s[38:39]
	global_load_ubyte v35, v[9:10], off
	s_mov_b32 s16, exec_lo
	s_waitcnt vmcnt(1)
	v_add_nc_u32_e32 v1, v0, v2
	v_readfirstlane_b32 s17, v2
	v_mov_b32_e32 v2, v0
	v_cmpx_gt_u32_e64 s36, v1
	s_cbranch_execz .LBB10_45
; %bb.23:                               ;   in Loop: Header=BB10_6 Depth=1
	s_mov_b32 s6, 0
	s_mul_i32 s18, s50, s17
                                        ; implicit-def: $vgpr2
                                        ; implicit-def: $vgpr5
                                        ; implicit-def: $vgpr3
                                        ; implicit-def: $vgpr4
	s_and_saveexec_b32 s19, s7
	s_xor_b32 s19, exec_lo, s19
	s_cbranch_execnz .LBB10_29
; %bb.24:                               ;   in Loop: Header=BB10_6 Depth=1
	s_andn2_saveexec_b32 s19, s19
	s_cbranch_execnz .LBB10_40
.LBB10_25:                              ;   in Loop: Header=BB10_6 Depth=1
	s_or_b32 exec_lo, exec_lo, s19
	s_and_saveexec_b32 s18, s6
	s_cbranch_execnz .LBB10_41
	s_branch .LBB10_44
.LBB10_26:                              ;   in Loop: Header=BB10_6 Depth=1
	s_or_b32 exec_lo, exec_lo, s16
	s_waitcnt lgkmcnt(0)
	s_barrier
	buffer_gl0_inv
	s_and_saveexec_b32 s6, s3
	s_cbranch_execz .LBB10_28
; %bb.27:                               ;   in Loop: Header=BB10_6 Depth=1
	ds_read_b32 v1, v19 offset:4104
	s_waitcnt lgkmcnt(0)
	ds_write_b32 v19, v1 offset:4096
.LBB10_28:                              ;   in Loop: Header=BB10_6 Depth=1
	s_or_b32 exec_lo, exec_lo, s6
	s_waitcnt lgkmcnt(0)
	s_mov_b32 s6, -1
	s_barrier
	s_and_b32 vcc_lo, exec_lo, s14
	s_cbranch_vccnz .LBB10_21
	s_branch .LBB10_49
.LBB10_29:                              ;   in Loop: Header=BB10_6 Depth=1
	v_cvt_f32_u32_e32 v2, s17
	v_add_nc_u32_e32 v3, s17, v1
	s_sub_i32 s6, 0, s17
	s_not_b32 s20, s18
	v_rcp_iflag_f32_e32 v2, v2
	v_max_u32_e32 v3, s36, v3
	v_sub_nc_u32_e32 v3, v3, v0
	v_mul_f32_e32 v2, 0x4f7ffffe, v2
	v_cvt_u32_f32_e32 v2, v2
	v_mul_lo_u32 v4, s6, v2
	s_lshl_b32 s6, s17, 1
	v_cmp_ne_u32_e32 vcc_lo, s6, v3
	v_cndmask_b32_e64 v5, 0, 1, vcc_lo
	v_mul_hi_u32 v4, v2, v4
	v_or_b32_e32 v5, s6, v5
	v_add_nc_u32_e32 v2, v2, v4
	v_sub_nc_u32_e32 v3, v3, v5
	v_mul_hi_u32 v2, v3, v2
	v_mul_lo_u32 v4, v2, s17
	v_sub_nc_u32_e32 v3, v3, v4
	v_add_nc_u32_e32 v4, 1, v2
	v_subrev_nc_u32_e32 v5, s17, v3
	v_cmp_le_u32_e64 s6, s17, v3
	v_cndmask_b32_e64 v2, v2, v4, s6
	v_cndmask_b32_e64 v3, v3, v5, s6
	v_add_nc_u32_e32 v4, 1, v2
	v_cmp_le_u32_e64 s6, s17, v3
	v_mul_lo_u32 v3, s50, v1
	v_cndmask_b32_e64 v2, v2, v4, s6
	s_abs_i32 s6, s18
	v_add_co_ci_u32_e64 v2, null, 0, v2, vcc_lo
	v_mul_hi_u32 v4, s6, v2
	v_mul_lo_u32 v2, s6, v2
	s_ashr_i32 s6, s20, 31
	s_cmp_eq_u32 s17, 1
	v_xor_b32_e32 v3, s6, v3
	s_cselect_b32 s20, -1, 0
	v_cmp_eq_u32_e32 vcc_lo, 0, v4
	v_cmp_le_u32_e64 s6, v2, v3
	v_mov_b32_e32 v3, v0
                                        ; implicit-def: $vgpr2
	s_and_b32 s20, vcc_lo, s20
	s_and_b32 s21, s20, s6
	s_mov_b32 s20, -1
	s_and_saveexec_b32 s6, s21
	s_cbranch_execz .LBB10_39
; %bb.30:                               ;   in Loop: Header=BB10_6 Depth=1
	v_add_nc_u32_e32 v4, 3, v1
	v_add_nc_u32_e32 v3, 2, v1
	;; [unrolled: 1-line block ×3, first 2 shown]
	s_waitcnt vmcnt(0)
	v_lshlrev_b32_e32 v36, 24, v35
	v_mov_b32_e32 v38, 0
	v_mov_b32_e32 v8, v4
	;; [unrolled: 1-line block ×5, first 2 shown]
                                        ; implicit-def: $vgpr35
	s_and_saveexec_b32 s20, s8
	s_cbranch_execz .LBB10_34
; %bb.31:                               ;   in Loop: Header=BB10_6 Depth=1
	v_mov_b32_e32 v8, v4
	v_mov_b32_e32 v37, v23
	;; [unrolled: 1-line block ×5, first 2 shown]
	s_mov_b32 s21, 0
	s_mov_b32 s22, 0
.LBB10_32:                              ;   Parent Loop BB10_6 Depth=1
                                        ; =>  This Inner Loop Header: Depth=2
	v_add_nc_u32_e32 v38, 4, v5
	v_add_nc_u32_e32 v39, 4, v6
	;; [unrolled: 1-line block ×3, first 2 shown]
	v_mul_lo_u32 v4, v7, s76
	v_add_nc_u32_e32 v41, 4, v8
	v_add_nc_u32_e32 v42, 8, v5
	;; [unrolled: 1-line block ×9, first 2 shown]
	v_mul_lo_u32 v3, v8, s77
	v_mul_lo_u32 v35, v6, s51
	;; [unrolled: 1-line block ×15, first 2 shown]
	v_add_co_u32 v40, s25, s48, v4
	v_add_co_u32 v42, s26, s48, v3
	;; [unrolled: 1-line block ×4, first 2 shown]
	v_add_co_ci_u32_e64 v41, null, s49, 0, s25
	v_add_co_ci_u32_e64 v43, null, s49, 0, s26
	;; [unrolled: 1-line block ×4, first 2 shown]
	v_add_co_u32 v44, s23, s48, v53
	v_add_co_u32 v46, s24, s48, v52
	;; [unrolled: 1-line block ×12, first 2 shown]
	v_add_co_ci_u32_e64 v45, null, s49, 0, s23
	v_add_co_ci_u32_e64 v47, null, s49, 0, s24
	;; [unrolled: 1-line block ×12, first 2 shown]
	s_clause 0xf
	global_load_ubyte v4, v[40:41], off
	global_load_ubyte v40, v[42:43], off
	;; [unrolled: 1-line block ×16, first 2 shown]
	v_add_nc_u32_e32 v37, -4, v37
	v_add_nc_u32_e32 v51, s22, v0
	s_add_i32 s22, s22, 16
	v_add_nc_u32_e32 v8, 16, v8
	v_add_nc_u32_e32 v7, 16, v7
	v_cmp_eq_u32_e32 vcc_lo, 0, v37
	v_add_nc_u32_e32 v6, 16, v6
	v_add_nc_u32_e32 v5, 16, v5
	v_mov_b32_e32 v38, s22
	s_or_b32 s21, vcc_lo, s21
	s_waitcnt vmcnt(13)
	v_perm_b32 v4, v39, v4, 0xc0c0004
	s_waitcnt vmcnt(12)
	v_perm_b32 v2, v36, v2, 0xc0c0007
	;; [unrolled: 2-line block ×5, first 2 shown]
	v_lshl_or_b32 v39, v4, 16, v2
	s_waitcnt vmcnt(5)
	v_perm_b32 v42, v46, v45, 0xc0c0004
	s_waitcnt vmcnt(3)
	v_perm_b32 v43, v48, v47, 0xc0c0004
	;; [unrolled: 2-line block ×5, first 2 shown]
	v_lshl_or_b32 v40, v36, 16, v3
	v_lshl_or_b32 v41, v42, 16, v41
	;; [unrolled: 1-line block ×4, first 2 shown]
	ds_write_b128 v51, v[39:42]
	s_andn2_b32 exec_lo, exec_lo, s21
	s_cbranch_execnz .LBB10_32
; %bb.33:                               ;   in Loop: Header=BB10_6 Depth=1
	s_or_b32 exec_lo, exec_lo, s21
.LBB10_34:                              ;   in Loop: Header=BB10_6 Depth=1
	s_or_b32 exec_lo, exec_lo, s20
	s_and_saveexec_b32 s20, s9
	s_cbranch_execz .LBB10_38
; %bb.35:                               ;   in Loop: Header=BB10_6 Depth=1
	v_add_nc_u32_e32 v2, v0, v38
	v_mov_b32_e32 v3, v25
	s_mov_b32 s21, 0
.LBB10_36:                              ;   Parent Loop BB10_6 Depth=1
                                        ; =>  This Inner Loop Header: Depth=2
	v_mul_lo_u32 v4, v5, s50
	v_mul_lo_u32 v35, v6, s51
	;; [unrolled: 1-line block ×4, first 2 shown]
	v_add_nc_u32_e32 v3, -4, v3
	v_add_nc_u32_e32 v8, 4, v8
	v_add_nc_u32_e32 v7, 4, v7
	;; [unrolled: 1-line block ×3, first 2 shown]
	v_add_co_u32 v37, s22, s48, v4
	v_add_co_ci_u32_e64 v38, null, s49, 0, s22
	v_add_co_u32 v39, s22, s48, v35
	v_add_co_ci_u32_e64 v40, null, s49, 0, s22
	;; [unrolled: 2-line block ×4, first 2 shown]
	s_clause 0x3
	global_load_ubyte v4, v[39:40], off
	global_load_ubyte v39, v[41:42], off
	;; [unrolled: 1-line block ×4, first 2 shown]
	v_cmp_eq_u32_e32 vcc_lo, 0, v3
	v_add_nc_u32_e32 v5, 4, v5
	s_or_b32 s21, vcc_lo, s21
	s_waitcnt vmcnt(2)
	v_perm_b32 v38, v4, v39, 0xc0c0004
	s_waitcnt vmcnt(1)
	v_perm_b32 v36, v36, v37, 0xc0c0007
	v_perm_b32 v4, v37, v4, 0xc0c0004
	s_waitcnt vmcnt(0)
	v_perm_b32 v37, v39, v35, 0xc0c0004
	v_lshl_or_b32 v36, v38, 16, v36
	v_lshl_or_b32 v4, v37, 16, v4
	ds_write_b32 v2, v36
	v_add_nc_u32_e32 v2, 4, v2
	v_mov_b32_e32 v36, v4
	s_andn2_b32 exec_lo, exec_lo, s21
	s_cbranch_execnz .LBB10_36
; %bb.37:                               ;   in Loop: Header=BB10_6 Depth=1
	s_or_b32 exec_lo, exec_lo, s21
.LBB10_38:                              ;   in Loop: Header=BB10_6 Depth=1
	s_or_b32 exec_lo, exec_lo, s20
	v_add_nc_u32_e32 v1, v1, v21
	v_mov_b32_e32 v3, v22
	s_orn2_b32 s20, s10, exec_lo
	v_add_nc_u32_e32 v2, -1, v1
.LBB10_39:                              ;   in Loop: Header=BB10_6 Depth=1
	s_or_b32 exec_lo, exec_lo, s6
	v_mov_b32_e32 v4, s18
	s_waitcnt vmcnt(0)
	v_mov_b32_e32 v5, v35
	s_and_b32 s6, s20, exec_lo
	s_andn2_saveexec_b32 s19, s19
	s_cbranch_execz .LBB10_25
.LBB10_40:                              ;   in Loop: Header=BB10_6 Depth=1
	v_mov_b32_e32 v4, s18
	s_waitcnt vmcnt(0)
	v_mov_b32_e32 v5, v35
	v_mov_b32_e32 v3, v0
	s_or_b32 s6, s6, exec_lo
	s_or_b32 exec_lo, exec_lo, s19
	s_and_saveexec_b32 s18, s6
	s_cbranch_execz .LBB10_44
.LBB10_41:                              ;   in Loop: Header=BB10_6 Depth=1
	v_mul_lo_u32 v2, s50, v1
	s_mov_b32 s19, 0
	s_sub_i32 s6, 0, s17
.LBB10_42:                              ;   Parent Loop BB10_6 Depth=1
                                        ; =>  This Inner Loop Header: Depth=2
	global_load_ubyte v35, v2, s[48:49]
	v_mov_b32_e32 v6, v1
	ds_write_b8 v3, v5
	v_add_nc_u32_e32 v2, v2, v4
	v_add_nc_u32_e32 v1, s17, v6
	v_mov_b32_e32 v3, v6
	v_cmp_le_u32_e32 vcc_lo, s36, v1
	s_or_b32 s19, vcc_lo, s19
	s_waitcnt vmcnt(0)
	v_mov_b32_e32 v5, v35
	s_andn2_b32 exec_lo, exec_lo, s19
	s_cbranch_execnz .LBB10_42
; %bb.43:                               ;   in Loop: Header=BB10_6 Depth=1
	s_or_b32 exec_lo, exec_lo, s19
	v_add_nc_u32_e32 v2, s6, v1
.LBB10_44:                              ;   in Loop: Header=BB10_6 Depth=1
	s_or_b32 exec_lo, exec_lo, s18
.LBB10_45:                              ;   in Loop: Header=BB10_6 Depth=1
	s_or_b32 exec_lo, exec_lo, s16
	s_waitcnt vmcnt(0)
	ds_write_b8 v2, v35
.LBB10_46:                              ;   in Loop: Header=BB10_6 Depth=1
	s_or_b32 exec_lo, exec_lo, s14
	s_waitcnt lgkmcnt(0)
	s_barrier
	buffer_gl0_inv
	s_and_saveexec_b32 s6, s3
; %bb.47:                               ;   in Loop: Header=BB10_6 Depth=1
	v_mov_b32_e32 v1, s36
	ds_write_b32 v19, v1 offset:4096
; %bb.48:                               ;   in Loop: Header=BB10_6 Depth=1
	s_or_b32 exec_lo, exec_lo, s6
	s_mov_b32 s6, -1
	s_waitcnt lgkmcnt(0)
	s_barrier
.LBB10_49:                              ;   in Loop: Header=BB10_6 Depth=1
	s_and_b32 vcc_lo, exec_lo, s6
	s_mov_b32 s94, 0
	s_cbranch_vccz .LBB10_51
; %bb.50:                               ;   in Loop: Header=BB10_6 Depth=1
	buffer_gl0_inv
	ds_read_b32 v1, v19 offset:4096
	s_waitcnt lgkmcnt(0)
	v_readfirstlane_b32 s94, v1
.LBB10_51:                              ;   in Loop: Header=BB10_6 Depth=1
	s_cmp_lt_i32 s94, 1
	s_mov_b32 s6, -1
                                        ; implicit-def: $vgpr4
	s_cbranch_scc1 .LBB10_61
; %bb.52:                               ;   in Loop: Header=BB10_6 Depth=1
	s_and_b32 vcc_lo, exec_lo, s6
	s_cbranch_vccnz .LBB10_72
.LBB10_53:                              ;   in Loop: Header=BB10_6 Depth=1
	s_lshl_b32 s6, s83, 7
	s_and_saveexec_b32 s14, s0
.LBB10_54:                              ;   in Loop: Header=BB10_6 Depth=1
	v_lshl_add_u32 v5, s6, 2, v20
	ds_write_b128 v5, v[1:4]
.LBB10_55:                              ;   in Loop: Header=BB10_6 Depth=1
	s_or_b32 exec_lo, exec_lo, s14
	s_waitcnt lgkmcnt(0)
	s_barrier
	buffer_gl0_inv
	s_and_saveexec_b32 s14, s68
	s_cbranch_execz .LBB10_85
; %bb.56:                               ;   in Loop: Header=BB10_6 Depth=1
	v_mov_b32_e32 v1, 0
	s_andn2_b32 vcc_lo, exec_lo, s70
	s_cbranch_vccnz .LBB10_84
; %bb.57:                               ;   in Loop: Header=BB10_6 Depth=1
	s_andn2_b32 vcc_lo, exec_lo, s73
	s_cbranch_vccnz .LBB10_81
; %bb.58:                               ;   in Loop: Header=BB10_6 Depth=1
	v_lshl_add_u32 v2, s83, 9, v30
	v_mov_b32_e32 v1, 0
	s_mov_b32 s16, 0
	.p2align	6
.LBB10_59:                              ;   Parent Loop BB10_6 Depth=1
                                        ; =>  This Inner Loop Header: Depth=2
	ds_read2_b32 v[3:4], v2 offset1:4
	ds_read2_b32 v[5:6], v2 offset0:8 offset1:12
	ds_read2_b32 v[7:8], v2 offset0:16 offset1:20
	;; [unrolled: 1-line block ×3, first 2 shown]
	v_add_nc_u32_e32 v2, 0x80, v2
	s_add_i32 s16, s16, 8
	s_cmp_eq_u32 s67, s16
	s_waitcnt lgkmcnt(3)
	v_add3_u32 v1, v3, v1, v4
	s_waitcnt lgkmcnt(2)
	v_add3_u32 v1, v5, v1, v6
	;; [unrolled: 2-line block ×4, first 2 shown]
	s_cbranch_scc0 .LBB10_59
; %bb.60:                               ;   in Loop: Header=BB10_6 Depth=1
	s_mov_b32 s16, s67
	s_andn2_b32 vcc_lo, exec_lo, s74
	s_cbranch_vccz .LBB10_82
	s_branch .LBB10_84
.LBB10_61:                              ;   in Loop: Header=BB10_6 Depth=1
	v_mov_b32_e32 v1, 0
	v_mov_b32_e32 v2, 0
	v_mov_b32_e32 v3, 0
	v_mov_b32_e32 v4, 0
	s_and_saveexec_b32 s95, s11
	s_cbranch_execz .LBB10_65
; %bb.62:                               ;   in Loop: Header=BB10_6 Depth=1
	v_mov_b32_e32 v5, v17
	s_mov_b32 s96, 0
	s_mov_b32 s97, 0
	;; [unrolled: 1-line block ×5, first 2 shown]
	s_mov_b32 vcc_hi, 0
.LBB10_63:                              ;   Parent Loop BB10_6 Depth=1
                                        ; =>  This Inner Loop Header: Depth=2
	v_add_nc_u32_e32 v1, s97, v28
	v_add_nc_u32_e32 v2, s97, v13
	v_add_nc_u32_e32 v3, s97, v26
	v_add_nc_u32_e32 v4, s97, v27
	v_add_nc_u32_e32 v5, s66, v5
	s_clause 0x3
	global_load_ubyte v1, v1, s[48:49]
	global_load_ubyte v2, v2, s[48:49]
	;; [unrolled: 1-line block ×4, first 2 shown]
	s_add_i32 s97, s97, s82
	v_cmp_le_u32_e32 vcc_lo, s79, v5
	s_waitcnt vmcnt(3)
	v_and_b32_e32 v6, v32, v1
	v_bfe_u32 v1, v1, s87, 2
	s_waitcnt vmcnt(2)
	v_and_b32_e32 v7, v32, v2
	v_bfe_u32 v2, v2, s87, 2
	;; [unrolled: 3-line block ×3, first 2 shown]
	v_cmp_eq_u32_e64 s6, v6, v14
	v_cmp_eq_u32_e64 s18, 0, v1
	s_waitcnt vmcnt(0)
	v_and_b32_e32 v35, v32, v4
	v_bfe_u32 v4, v4, s87, 2
	v_cmp_eq_u32_e64 s14, v7, v14
	v_cmp_eq_u32_e64 s19, 0, v2
	v_cmp_eq_u32_e64 s16, v8, v14
	v_cmp_eq_u32_e64 s20, 0, v3
	s_and_b32 s18, s6, s18
	v_cmp_eq_u32_e64 s17, v35, v14
	v_cmp_eq_u32_e64 s21, 0, v4
	;; [unrolled: 1-line block ×5, first 2 shown]
	v_cndmask_b32_e64 v1, 0, 1, s18
	s_and_b32 s18, s14, s19
	v_cmp_eq_u32_e64 s23, 1, v2
	v_cmp_eq_u32_e64 s27, 2, v2
	v_cmp_eq_u32_e64 s31, 3, v2
	v_cndmask_b32_e64 v2, 0, 1, s18
	s_and_b32 s18, s16, s20
	v_cmp_eq_u32_e64 s24, 1, v3
	v_cmp_eq_u32_e64 s28, 2, v3
	v_cmp_eq_u32_e64 s33, 3, v3
	;; [unrolled: 5-line block ×3, first 2 shown]
	v_cndmask_b32_e64 v4, 0, 1, s18
	s_and_b32 s18, s6, s22
	v_cndmask_b32_e64 v6, 0, 1, s18
	s_and_b32 s18, s14, s23
	;; [unrolled: 2-line block ×4, first 2 shown]
	v_cmp_ne_u32_e64 s19, 0, v7
	v_cndmask_b32_e64 v35, 0, 1, s18
	s_and_b32 s18, s6, s26
	s_and_b32 s6, s6, s30
	v_cndmask_b32_e64 v36, 0, 1, s18
	s_and_b32 s18, s14, s27
	v_cndmask_b32_e64 v40, 0, 1, s6
	;; [unrolled: 2-line block ×7, first 2 shown]
	v_cndmask_b32_e64 v43, 0, 1, s6
	v_cmp_ne_u32_e64 s6, 0, v1
	v_cmp_ne_u32_e64 s18, 0, v6
	;; [unrolled: 1-line block ×11, first 2 shown]
	s_bcnt1_i32_b32 s6, s6
	s_bcnt1_i32_b32 s18, s18
	;; [unrolled: 1-line block ×4, first 2 shown]
	v_cmp_ne_u32_e64 s17, 0, v4
	v_cmp_ne_u32_e64 s21, 0, v35
	;; [unrolled: 1-line block ×4, first 2 shown]
	s_bcnt1_i32_b32 s14, s14
	s_bcnt1_i32_b32 s19, s19
	;; [unrolled: 1-line block ×4, first 2 shown]
	s_add_i32 s6, s6, vcc_hi
	s_add_i32 s18, s18, s104
	s_add_i32 s22, s22, s99
	;; [unrolled: 1-line block ×3, first 2 shown]
	s_bcnt1_i32_b32 s16, s16
	s_bcnt1_i32_b32 s20, s20
	s_bcnt1_i32_b32 s24, s24
	s_bcnt1_i32_b32 s28, s28
	s_add_i32 s6, s6, s14
	s_add_i32 s14, s18, s19
	s_add_i32 s18, s22, s23
	s_add_i32 s19, s26, s27
	s_bcnt1_i32_b32 s17, s17
	s_bcnt1_i32_b32 s21, s21
	;; [unrolled: 1-line block ×4, first 2 shown]
	s_add_i32 s6, s6, s16
	s_add_i32 s14, s14, s20
	;; [unrolled: 1-line block ×4, first 2 shown]
	s_add_i32 vcc_hi, s6, s17
	s_add_i32 s104, s14, s21
	s_add_i32 s99, s16, s25
	;; [unrolled: 1-line block ×3, first 2 shown]
	v_mov_b32_e32 v1, vcc_hi
	v_mov_b32_e32 v2, s104
	v_mov_b32_e32 v3, s99
	v_mov_b32_e32 v4, s98
	s_or_b32 s96, vcc_lo, s96
	s_andn2_b32 exec_lo, exec_lo, s96
	s_cbranch_execnz .LBB10_63
; %bb.64:                               ;   in Loop: Header=BB10_6 Depth=1
	s_or_b32 exec_lo, exec_lo, s96
.LBB10_65:                              ;   in Loop: Header=BB10_6 Depth=1
	s_or_b32 exec_lo, exec_lo, s95
	s_and_saveexec_b32 s18, s12
	s_cbranch_execz .LBB10_71
; %bb.66:                               ;   in Loop: Header=BB10_6 Depth=1
	global_load_ubyte v8, v[11:12], off
	v_mov_b32_e32 v5, v29
	v_mov_b32_e32 v6, v24
	s_mov_b32 s19, 0
	s_branch .LBB10_68
.LBB10_67:                              ;   in Loop: Header=BB10_68 Depth=2
	s_or_b32 exec_lo, exec_lo, s14
	s_waitcnt vmcnt(0)
	v_and_b32_e32 v8, 0xff, v8
	s_and_b32 s14, exec_lo, vcc_lo
	v_add_nc_u32_e32 v5, s43, v5
	s_or_b32 s19, s14, s19
	v_and_b32_e32 v35, v32, v8
	v_bfe_u32 v8, v8, s87, 2
	v_cmp_eq_u32_e32 vcc_lo, v35, v14
	v_cmp_eq_u32_e64 s6, 0, v8
	v_cmp_eq_u32_e64 s14, 1, v8
	;; [unrolled: 1-line block ×4, first 2 shown]
	s_and_b32 s6, vcc_lo, s6
	v_cndmask_b32_e64 v8, 0, 1, s6
	s_and_b32 s6, vcc_lo, s14
	v_cndmask_b32_e64 v35, 0, 1, s6
	;; [unrolled: 2-line block ×3, first 2 shown]
	s_and_b32 s6, vcc_lo, s17
	v_cmp_ne_u32_e32 vcc_lo, 0, v8
	v_cndmask_b32_e64 v37, 0, 1, s6
	v_cmp_ne_u32_e64 s6, 0, v35
	v_cmp_ne_u32_e64 s14, 0, v36
	v_mov_b32_e32 v8, v7
	s_bcnt1_i32_b32 s17, vcc_lo
	v_cmp_ne_u32_e64 s16, 0, v37
	s_bcnt1_i32_b32 s6, s6
	s_bcnt1_i32_b32 s14, s14
	v_add_nc_u32_e32 v1, s17, v1
	v_add_nc_u32_e32 v2, s6, v2
	s_bcnt1_i32_b32 s16, s16
	v_add_nc_u32_e32 v3, s14, v3
	v_add_nc_u32_e32 v4, s16, v4
	s_andn2_b32 exec_lo, exec_lo, s19
	s_cbranch_execz .LBB10_70
.LBB10_68:                              ;   Parent Loop BB10_6 Depth=1
                                        ; =>  This Inner Loop Header: Depth=2
	v_add_nc_u32_e32 v6, s35, v6
	v_mov_b32_e32 v7, 0
	s_mov_b32 s14, exec_lo
	v_cmp_le_u32_e32 vcc_lo, s36, v6
	v_cmpx_gt_u32_e64 s36, v6
	s_cbranch_execz .LBB10_67
; %bb.69:                               ;   in Loop: Header=BB10_68 Depth=2
	global_load_ubyte v7, v5, s[48:49]
	s_branch .LBB10_67
.LBB10_70:                              ;   in Loop: Header=BB10_6 Depth=1
	s_or_b32 exec_lo, exec_lo, s19
.LBB10_71:                              ;   in Loop: Header=BB10_6 Depth=1
	s_or_b32 exec_lo, exec_lo, s18
	s_branch .LBB10_53
.LBB10_72:                              ;   in Loop: Header=BB10_6 Depth=1
	s_mul_hi_u32 s6, s94, s75
	v_mov_b32_e32 v1, 0
	s_mul_i32 s6, s6, s66
	v_mov_b32_e32 v2, 0
	s_sub_i32 s6, s94, s6
	v_mov_b32_e32 v3, 0
	s_sub_i32 s14, s6, s66
	s_cmp_ge_u32 s6, s66
	v_mov_b32_e32 v4, 0
	s_cselect_b32 s6, s14, s6
	s_mov_b32 s96, exec_lo
	s_sub_i32 s14, s6, s66
	s_cmp_ge_u32 s6, s66
	s_cselect_b32 s6, s14, s6
	s_sub_i32 s95, s94, s6
	v_cmpx_gt_u32_e64 s95, v17
	s_cbranch_execz .LBB10_76
; %bb.73:                               ;   in Loop: Header=BB10_6 Depth=1
	v_mov_b32_e32 v5, v17
	s_mov_b32 s97, 0
	s_mov_b32 s98, 0
	;; [unrolled: 1-line block ×4, first 2 shown]
	s_mov_b32 vcc_hi, 0
.LBB10_74:                              ;   Parent Loop BB10_6 Depth=1
                                        ; =>  This Inner Loop Header: Depth=2
	ds_read_b32 v1, v5
	v_add_nc_u32_e32 v5, s66, v5
	v_cmp_le_u32_e32 vcc_lo, s95, v5
	s_waitcnt lgkmcnt(0)
	v_and_b32_e32 v2, 0xff, v1
	v_bfe_u32 v3, v1, 8, 8
	v_bfe_u32 v4, v1, 16, 8
	v_lshrrev_b32_e32 v1, 24, v1
	v_and_b32_e32 v6, v32, v2
	v_bfe_u32 v2, v2, s87, 2
	v_and_b32_e32 v7, v32, v3
	v_bfe_u32 v3, v3, s87, 2
	;; [unrolled: 2-line block ×3, first 2 shown]
	v_cmp_eq_u32_e64 s6, v6, v14
	v_cmp_eq_u32_e64 s18, 0, v2
	v_and_b32_e32 v35, v32, v1
	v_bfe_u32 v1, v1, s87, 2
	v_cmp_eq_u32_e64 s14, v7, v14
	v_cmp_eq_u32_e64 s19, 0, v3
	;; [unrolled: 1-line block ×4, first 2 shown]
	s_and_b32 s18, s6, s18
	v_cmp_eq_u32_e64 s17, v35, v14
	v_cmp_eq_u32_e64 s21, 0, v1
	;; [unrolled: 1-line block ×5, first 2 shown]
	v_cndmask_b32_e64 v1, 0, 1, s18
	s_and_b32 s18, s14, s19
	v_cmp_eq_u32_e64 s22, 1, v2
	v_cmp_eq_u32_e64 s26, 2, v2
	v_cmp_eq_u32_e64 s30, 3, v2
	v_cndmask_b32_e64 v2, 0, 1, s18
	s_and_b32 s18, s16, s20
	v_cmp_eq_u32_e64 s23, 1, v3
	v_cmp_eq_u32_e64 s27, 2, v3
	v_cmp_eq_u32_e64 s31, 3, v3
	;; [unrolled: 5-line block ×3, first 2 shown]
	v_cndmask_b32_e64 v4, 0, 1, s18
	s_and_b32 s18, s6, s22
	v_cndmask_b32_e64 v6, 0, 1, s18
	s_and_b32 s18, s14, s23
	;; [unrolled: 2-line block ×4, first 2 shown]
	v_cmp_ne_u32_e64 s19, 0, v7
	v_cndmask_b32_e64 v35, 0, 1, s18
	s_and_b32 s18, s6, s26
	s_and_b32 s6, s6, s30
	v_cndmask_b32_e64 v36, 0, 1, s18
	s_and_b32 s18, s14, s27
	v_cndmask_b32_e64 v40, 0, 1, s6
	;; [unrolled: 2-line block ×7, first 2 shown]
	v_cndmask_b32_e64 v43, 0, 1, s6
	v_cmp_ne_u32_e64 s6, 0, v1
	v_cmp_ne_u32_e64 s18, 0, v6
	;; [unrolled: 1-line block ×11, first 2 shown]
	s_bcnt1_i32_b32 s6, s6
	s_bcnt1_i32_b32 s18, s18
	;; [unrolled: 1-line block ×4, first 2 shown]
	v_cmp_ne_u32_e64 s17, 0, v4
	v_cmp_ne_u32_e64 s21, 0, v35
	v_cmp_ne_u32_e64 s25, 0, v39
	v_cmp_ne_u32_e64 s29, 0, v43
	s_bcnt1_i32_b32 s14, s14
	s_bcnt1_i32_b32 s19, s19
	;; [unrolled: 1-line block ×4, first 2 shown]
	s_add_i32 s6, s6, vcc_hi
	s_add_i32 s18, s18, s104
	s_add_i32 s22, s22, s99
	;; [unrolled: 1-line block ×3, first 2 shown]
	s_bcnt1_i32_b32 s16, s16
	s_bcnt1_i32_b32 s20, s20
	;; [unrolled: 1-line block ×4, first 2 shown]
	s_add_i32 s6, s6, s14
	s_add_i32 s14, s18, s19
	s_add_i32 s18, s22, s23
	s_add_i32 s19, s26, s27
	s_bcnt1_i32_b32 s17, s17
	s_bcnt1_i32_b32 s21, s21
	;; [unrolled: 1-line block ×4, first 2 shown]
	s_add_i32 s6, s6, s16
	s_add_i32 s14, s14, s20
	;; [unrolled: 1-line block ×4, first 2 shown]
	s_add_i32 vcc_hi, s6, s17
	s_add_i32 s104, s14, s21
	s_add_i32 s99, s16, s25
	;; [unrolled: 1-line block ×3, first 2 shown]
	v_mov_b32_e32 v1, vcc_hi
	v_mov_b32_e32 v2, s104
	v_mov_b32_e32 v3, s99
	v_mov_b32_e32 v4, s98
	s_or_b32 s97, vcc_lo, s97
	s_andn2_b32 exec_lo, exec_lo, s97
	s_cbranch_execnz .LBB10_74
; %bb.75:                               ;   in Loop: Header=BB10_6 Depth=1
	s_or_b32 exec_lo, exec_lo, s97
.LBB10_76:                              ;   in Loop: Header=BB10_6 Depth=1
	s_or_b32 exec_lo, exec_lo, s96
	v_add_nc_u32_e32 v5, s95, v0
	s_mov_b32 s19, exec_lo
	v_cmpx_gt_u32_e64 s94, v5
	s_cbranch_execz .LBB10_80
; %bb.77:                               ;   in Loop: Header=BB10_6 Depth=1
	s_mov_b32 s20, 0
	s_inst_prefetch 0x1
	.p2align	6
.LBB10_78:                              ;   Parent Loop BB10_6 Depth=1
                                        ; =>  This Inner Loop Header: Depth=2
	ds_read_u8 v6, v5
	v_add_nc_u32_e32 v5, s35, v5
	v_cmp_le_u32_e32 vcc_lo, s94, v5
	s_waitcnt lgkmcnt(0)
	v_and_b32_e32 v7, v32, v6
	v_bfe_u32 v6, v6, s87, 2
	v_cmp_eq_u32_e64 s6, v7, v14
	v_cmp_eq_u32_e64 s14, 0, v6
	;; [unrolled: 1-line block ×5, first 2 shown]
	s_and_b32 s14, s6, s14
	v_cndmask_b32_e64 v6, 0, 1, s14
	s_and_b32 s14, s6, s16
	v_cndmask_b32_e64 v7, 0, 1, s14
	s_and_b32 s14, s6, s17
	s_and_b32 s6, s6, s18
	v_cndmask_b32_e64 v8, 0, 1, s14
	v_cndmask_b32_e64 v35, 0, 1, s6
	v_cmp_ne_u32_e64 s6, 0, v6
	v_cmp_ne_u32_e64 s14, 0, v7
	;; [unrolled: 1-line block ×4, first 2 shown]
	s_bcnt1_i32_b32 s6, s6
	s_bcnt1_i32_b32 s14, s14
	v_add_nc_u32_e32 v1, s6, v1
	s_bcnt1_i32_b32 s16, s16
	s_bcnt1_i32_b32 s17, s17
	v_add_nc_u32_e32 v2, s14, v2
	v_add_nc_u32_e32 v3, s16, v3
	;; [unrolled: 1-line block ×3, first 2 shown]
	s_or_b32 s20, vcc_lo, s20
	s_andn2_b32 exec_lo, exec_lo, s20
	s_cbranch_execnz .LBB10_78
; %bb.79:                               ;   in Loop: Header=BB10_6 Depth=1
	s_inst_prefetch 0x2
	s_or_b32 exec_lo, exec_lo, s20
.LBB10_80:                              ;   in Loop: Header=BB10_6 Depth=1
	s_or_b32 exec_lo, exec_lo, s19
	s_lshl_b32 s6, s83, 7
	s_and_saveexec_b32 s14, s0
	s_cbranch_execnz .LBB10_54
	s_branch .LBB10_55
.LBB10_81:                              ;   in Loop: Header=BB10_6 Depth=1
	v_mov_b32_e32 v1, 0
	s_mov_b32 s16, 0
	s_andn2_b32 vcc_lo, exec_lo, s74
	s_cbranch_vccnz .LBB10_84
.LBB10_82:                              ;   in Loop: Header=BB10_6 Depth=1
	s_lshl_b32 s17, s83, 9
	s_lshl_b32 s16, s16, 4
	v_add3_u32 v2, s17, s16, v30
	s_mov_b32 s16, s72
.LBB10_83:                              ;   Parent Loop BB10_6 Depth=1
                                        ; =>  This Inner Loop Header: Depth=2
	ds_read_b32 v3, v2
	v_add_nc_u32_e32 v2, 16, v2
	s_add_i32 s16, s16, -1
	s_cmp_lg_u32 s16, 0
	s_waitcnt lgkmcnt(0)
	v_add_nc_u32_e32 v1, v3, v1
	s_cbranch_scc1 .LBB10_83
.LBB10_84:                              ;   in Loop: Header=BB10_6 Depth=1
	v_add_lshl_u32 v2, s6, v16, 2
	ds_write_b32 v2, v1 offset:3072
.LBB10_85:                              ;   in Loop: Header=BB10_6 Depth=1
	s_or_b32 exec_lo, exec_lo, s14
	s_lshl_b32 s6, s6, 2
	s_waitcnt lgkmcnt(0)
	v_mov_b32_e32 v1, s6
	s_barrier
	buffer_gl0_inv
	v_cmp_eq_u32_e64 s14, 1, v34
	s_lshl_b32 s18, 3, s87
	ds_read_b128 v[1:4], v1 offset:3072
	s_mov_b32 s27, -1
	s_not_b32 s19, s18
	s_mov_b32 s16, 0
	s_andn2_b32 vcc_lo, exec_lo, s65
	s_mov_b32 s24, 0
	s_mov_b32 s23, 0
                                        ; implicit-def: $sgpr25
                                        ; implicit-def: $sgpr26
                                        ; implicit-def: $vgpr5
	s_waitcnt lgkmcnt(0)
	v_readfirstlane_b32 s17, v1
	v_readfirstlane_b32 s20, v2
	;; [unrolled: 1-line block ×4, first 2 shown]
                                        ; implicit-def: $vgpr4
                                        ; implicit-def: $vgpr1
                                        ; implicit-def: $vgpr2
                                        ; implicit-def: $vgpr3
	s_cbranch_vccnz .LBB10_243
; %bb.86:                               ;   in Loop: Header=BB10_6 Depth=1
	s_cmp_eq_u32 s17, 1
	v_mov_b32_e32 v2, v14
	v_mov_b32_e32 v3, v32
	;; [unrolled: 1-line block ×3, first 2 shown]
	s_cselect_b32 s6, -1, 0
	s_mov_b32 s29, -1
	s_and_b32 s6, s6, s14
                                        ; implicit-def: $sgpr26
                                        ; implicit-def: $sgpr25
	s_and_saveexec_b32 s23, s6
	s_cbranch_execz .LBB10_112
; %bb.87:                               ;   in Loop: Header=BB10_6 Depth=1
	ds_read_b32 v1, v19 offset:4096
	s_waitcnt lgkmcnt(0)
	s_barrier
	buffer_gl0_inv
	v_readfirstlane_b32 s27, v1
	s_and_saveexec_b32 s24, s15
; %bb.88:                               ;   in Loop: Header=BB10_6 Depth=1
	ds_write_b8 v0, v19 offset:3072
; %bb.89:                               ;   in Loop: Header=BB10_6 Depth=1
	s_or_b32 exec_lo, exec_lo, s24
	v_and_b32_e32 v2, s19, v14
	v_or_b32_e32 v3, s18, v32
	s_mov_b32 s25, -1
	s_mov_b32 s26, 0
	s_cmp_eq_u32 s27, 0
	s_mov_b32 s24, 0
	s_mov_b32 s28, -1
	s_waitcnt lgkmcnt(0)
	s_barrier
	buffer_gl0_inv
                                        ; implicit-def: $vgpr5
	s_cbranch_scc1 .LBB10_100
; %bb.90:                               ;   in Loop: Header=BB10_6 Depth=1
	s_add_i32 s24, s27, s71
                                        ; implicit-def: $vgpr5
	s_mul_hi_u32 s28, s24, s78
	s_mul_i32 s28, s28, s35
	s_sub_i32 s28, s24, s28
	s_sub_i32 s29, s28, s35
	s_cmp_ge_u32 s28, s35
	s_cselect_b32 s28, s29, s28
	s_sub_i32 s29, s28, s35
	s_cmp_ge_u32 s28, s35
	s_cselect_b32 s28, s29, s28
	s_mov_b32 s29, exec_lo
	s_sub_i32 s30, s24, s28
	s_mov_b32 s28, 0
	s_mov_b32 s24, 0
	v_cmpx_gt_u32_e64 s30, v0
	s_cbranch_execz .LBB10_99
; %bb.91:                               ;   in Loop: Header=BB10_6 Depth=1
	v_mov_b32_e32 v1, v0
                                        ; implicit-def: $sgpr31
	s_inst_prefetch 0x1
	s_branch .LBB10_94
	.p2align	6
.LBB10_92:                              ;   in Loop: Header=BB10_94 Depth=2
	s_or_b32 exec_lo, exec_lo, s33
	s_waitcnt lgkmcnt(0)
	s_barrier
	buffer_gl0_inv
	ds_read_u16 v4, v19 offset:3072
	s_mov_b32 s34, -1
	s_waitcnt lgkmcnt(0)
	s_barrier
	buffer_gl0_inv
	v_cmp_ne_u32_sdwa s33, v4, v19 src0_sel:BYTE_0 src1_sel:DWORD
	s_and_b32 vcc_lo, exec_lo, s33
	s_mov_b32 s33, -1
	s_cbranch_vccz .LBB10_97
.LBB10_93:                              ;   in Loop: Header=BB10_94 Depth=2
	s_and_b32 s34, exec_lo, s34
	s_or_b32 s24, s34, s24
	s_andn2_b32 s31, s31, exec_lo
	s_and_b32 s33, s33, exec_lo
	s_or_b32 s31, s31, s33
	s_andn2_b32 exec_lo, exec_lo, s24
	s_cbranch_execz .LBB10_98
.LBB10_94:                              ;   Parent Loop BB10_6 Depth=1
                                        ; =>  This Inner Loop Header: Depth=2
	s_mov_b32 s33, exec_lo
	v_cmpx_gt_u32_e64 s27, v1
	s_cbranch_execz .LBB10_92
; %bb.95:                               ;   in Loop: Header=BB10_94 Depth=2
	ds_read_u8 v4, v1
	s_waitcnt lgkmcnt(0)
	v_and_b32_e32 v5, v4, v3
	v_cmp_eq_u32_sdwa s34, v5, v2 src0_sel:BYTE_0 src1_sel:DWORD
	s_and_b32 exec_lo, exec_lo, s34
	s_cbranch_execz .LBB10_92
; %bb.96:                               ;   in Loop: Header=BB10_94 Depth=2
	v_lshlrev_b16 v4, 8, v4
	v_or_b32_e32 v4, 1, v4
	ds_write_b16 v19, v4 offset:3072
	s_branch .LBB10_92
	.p2align	6
.LBB10_97:                              ;   in Loop: Header=BB10_94 Depth=2
	v_add_nc_u32_e32 v1, s35, v1
	s_mov_b32 s33, 0
	v_cmp_le_u32_e32 vcc_lo, s30, v1
	s_orn2_b32 s34, vcc_lo, exec_lo
	s_branch .LBB10_93
.LBB10_98:                              ;   in Loop: Header=BB10_6 Depth=1
	s_inst_prefetch 0x2
	s_or_b32 exec_lo, exec_lo, s24
	v_lshrrev_b32_sdwa v5, v31, v4 dst_sel:DWORD dst_unused:UNUSED_PAD src0_sel:DWORD src1_sel:WORD_0
	s_and_b32 s24, s31, exec_lo
.LBB10_99:                              ;   in Loop: Header=BB10_6 Depth=1
	s_or_b32 exec_lo, exec_lo, s29
.LBB10_100:                             ;   in Loop: Header=BB10_6 Depth=1
	s_and_b32 vcc_lo, exec_lo, s28
	s_cbranch_vccz .LBB10_111
; %bb.101:                              ;   in Loop: Header=BB10_6 Depth=1
                                        ; implicit-def: $vgpr5
	s_and_saveexec_b32 s25, s13
	s_cbranch_execz .LBB10_110
; %bb.102:                              ;   in Loop: Header=BB10_6 Depth=1
	v_mov_b32_e32 v1, v18
	v_mov_b32_e32 v4, v0
	s_mov_b32 s26, 0
                                        ; implicit-def: $sgpr27
	s_inst_prefetch 0x1
	s_branch .LBB10_105
	.p2align	6
.LBB10_103:                             ;   in Loop: Header=BB10_105 Depth=2
	s_or_b32 exec_lo, exec_lo, s28
	s_waitcnt lgkmcnt(0)
	s_barrier
	buffer_gl0_inv
	ds_read_u16 v5, v19 offset:3072
	s_mov_b32 s28, -1
	s_waitcnt lgkmcnt(0)
	s_barrier
	buffer_gl0_inv
	v_cmp_ne_u32_sdwa s29, v5, v19 src0_sel:BYTE_0 src1_sel:DWORD
	s_and_b32 vcc_lo, exec_lo, s29
	s_mov_b32 s29, -1
	s_cbranch_vccz .LBB10_108
.LBB10_104:                             ;   in Loop: Header=BB10_105 Depth=2
	s_and_b32 s28, exec_lo, s28
	s_or_b32 s26, s28, s26
	s_andn2_b32 s27, s27, exec_lo
	s_and_b32 s28, s29, exec_lo
	s_or_b32 s27, s27, s28
	s_andn2_b32 exec_lo, exec_lo, s26
	s_cbranch_execz .LBB10_109
.LBB10_105:                             ;   Parent Loop BB10_6 Depth=1
                                        ; =>  This Inner Loop Header: Depth=2
	s_mov_b32 s28, exec_lo
	v_cmpx_gt_u32_e64 s36, v4
	s_cbranch_execz .LBB10_103
; %bb.106:                              ;   in Loop: Header=BB10_105 Depth=2
	global_load_ubyte v5, v1, s[48:49]
	s_waitcnt vmcnt(0)
	v_and_b32_e32 v6, v5, v3
	v_cmp_eq_u32_sdwa s29, v6, v2 src0_sel:BYTE_0 src1_sel:DWORD
	s_and_b32 exec_lo, exec_lo, s29
	s_cbranch_execz .LBB10_103
; %bb.107:                              ;   in Loop: Header=BB10_105 Depth=2
	v_lshlrev_b16 v5, 8, v5
	v_or_b32_e32 v5, 1, v5
	ds_write_b16 v19, v5 offset:3072
	s_branch .LBB10_103
.LBB10_108:                             ;   in Loop: Header=BB10_105 Depth=2
	v_add_nc_u32_e32 v4, s35, v4
	v_add_nc_u32_e32 v1, s43, v1
	s_mov_b32 s29, 0
	v_cmp_le_u32_e32 vcc_lo, s80, v4
	s_orn2_b32 s28, vcc_lo, exec_lo
	s_branch .LBB10_104
.LBB10_109:                             ;   in Loop: Header=BB10_6 Depth=1
	s_inst_prefetch 0x2
	s_or_b32 exec_lo, exec_lo, s26
	v_lshrrev_b32_sdwa v5, v31, v5 dst_sel:DWORD dst_unused:UNUSED_PAD src0_sel:DWORD src1_sel:WORD_0
	s_andn2_b32 s24, s24, exec_lo
	s_and_b32 s26, s27, exec_lo
	s_or_b32 s24, s24, s26
.LBB10_110:                             ;   in Loop: Header=BB10_6 Depth=1
	s_or_b32 exec_lo, exec_lo, s25
	s_mov_b32 s25, 0
	s_mov_b32 s26, -1
.LBB10_111:                             ;   in Loop: Header=BB10_6 Depth=1
	s_orn2_b32 s29, s24, exec_lo
.LBB10_112:                             ;   in Loop: Header=BB10_6 Depth=1
	s_or_b32 exec_lo, exec_lo, s23
	s_mov_b32 s27, 0
	s_mov_b32 s24, 0
	s_mov_b32 s23, 0
                                        ; implicit-def: $vgpr4
                                        ; implicit-def: $vgpr1
	s_and_saveexec_b32 s28, s29
	s_cbranch_execz .LBB10_242
; %bb.113:                              ;   in Loop: Header=BB10_6 Depth=1
	v_mov_b32_e32 v4, 1
	v_mov_b32_e32 v1, 1
	s_xor_b32 s23, s6, -1
	s_mov_b32 s30, 0
	s_and_saveexec_b32 s6, s23
	s_cbranch_execz .LBB10_122
; %bb.114:                              ;   in Loop: Header=BB10_6 Depth=1
	s_mov_b32 s23, exec_lo
	v_cmpx_ge_u32_e64 s17, v34
	s_xor_b32 s23, exec_lo, s23
	s_cbranch_execz .LBB10_119
; %bb.115:                              ;   in Loop: Header=BB10_6 Depth=1
	ds_read_b32 v1, v19 offset:4096
	v_and_b32_e32 v2, s19, v2
	v_or_b32_e32 v3, s18, v3
	s_waitcnt lgkmcnt(0)
	v_cmp_ne_u32_e32 vcc_lo, 0, v1
	s_cbranch_vccnz .LBB10_119
; %bb.116:                              ;   in Loop: Header=BB10_6 Depth=1
	s_and_saveexec_b32 s24, s3
; %bb.117:                              ;   in Loop: Header=BB10_6 Depth=1
	v_mov_b32_e32 v1, s17
	ds_write_b32 v19, v1 offset:4100
; %bb.118:                              ;   in Loop: Header=BB10_6 Depth=1
	s_or_b32 exec_lo, exec_lo, s24
	s_waitcnt lgkmcnt(0)
	s_barrier
	buffer_gl0_inv
.LBB10_119:                             ;   in Loop: Header=BB10_6 Depth=1
	s_or_saveexec_b32 s23, s23
	v_mov_b32_e32 v1, 8
	v_mov_b32_e32 v4, v34
	s_mov_b32 s24, 0
	s_xor_b32 exec_lo, exec_lo, s23
; %bb.120:                              ;   in Loop: Header=BB10_6 Depth=1
	v_subrev_nc_u32_e32 v4, s17, v34
	v_mov_b32_e32 v1, 0
	s_mov_b32 s24, exec_lo
; %bb.121:                              ;   in Loop: Header=BB10_6 Depth=1
	s_or_b32 exec_lo, exec_lo, s23
	s_and_b32 s30, s24, exec_lo
.LBB10_122:                             ;   in Loop: Header=BB10_6 Depth=1
	s_or_b32 exec_lo, exec_lo, s6
	s_mov_b32 s29, -1
                                        ; implicit-def: $sgpr23
                                        ; implicit-def: $sgpr24
	s_and_saveexec_b32 s6, s30
	s_xor_b32 s6, exec_lo, s6
	s_cbranch_execz .LBB10_239
; %bb.123:                              ;   in Loop: Header=BB10_6 Depth=1
	v_cmp_eq_u32_e32 vcc_lo, 1, v4
	s_cmp_eq_u32 s20, 1
	s_mov_b32 s31, -1
	s_cselect_b32 s23, -1, 0
                                        ; implicit-def: $sgpr24
	s_and_b32 s30, s23, vcc_lo
                                        ; implicit-def: $sgpr23
	s_and_saveexec_b32 s29, s30
	s_cbranch_execz .LBB10_149
; %bb.124:                              ;   in Loop: Header=BB10_6 Depth=1
	ds_read_b32 v5, v19 offset:4096
	s_waitcnt lgkmcnt(0)
	s_barrier
	buffer_gl0_inv
	v_readfirstlane_b32 s33, v5
	s_and_saveexec_b32 s23, s15
; %bb.125:                              ;   in Loop: Header=BB10_6 Depth=1
	ds_write_b8 v0, v19 offset:3072
; %bb.126:                              ;   in Loop: Header=BB10_6 Depth=1
	s_or_b32 exec_lo, exec_lo, s23
	s_lshl_b32 s23, 1, s87
	v_or_b32_e32 v3, s18, v3
	v_and_or_b32 v2, v2, s19, s23
	s_mov_b32 s23, -1
	s_mov_b32 s24, 0
	s_cmp_eq_u32 s33, 0
	s_mov_b32 s31, 0
	s_mov_b32 s34, -1
	s_waitcnt lgkmcnt(0)
	s_barrier
	buffer_gl0_inv
                                        ; implicit-def: $vgpr5
	s_cbranch_scc1 .LBB10_137
; %bb.127:                              ;   in Loop: Header=BB10_6 Depth=1
	s_add_i32 s31, s33, s71
	s_mov_b32 s94, exec_lo
	s_mul_hi_u32 s34, s31, s78
                                        ; implicit-def: $vgpr5
	s_mul_i32 s34, s34, s35
	s_sub_i32 s34, s31, s34
	s_sub_i32 s44, s34, s35
	s_cmp_ge_u32 s34, s35
	s_cselect_b32 s34, s44, s34
	s_sub_i32 s44, s34, s35
	s_cmp_ge_u32 s34, s35
	s_cselect_b32 s34, s44, s34
	s_sub_i32 s44, s31, s34
	s_mov_b32 s34, 0
	s_mov_b32 s31, 0
	v_cmpx_gt_u32_e64 s44, v0
	s_cbranch_execz .LBB10_136
; %bb.128:                              ;   in Loop: Header=BB10_6 Depth=1
	v_mov_b32_e32 v5, v0
                                        ; implicit-def: $sgpr45
	s_inst_prefetch 0x1
	s_branch .LBB10_131
	.p2align	6
.LBB10_129:                             ;   in Loop: Header=BB10_131 Depth=2
	s_or_b32 exec_lo, exec_lo, s46
	s_waitcnt lgkmcnt(0)
	s_barrier
	buffer_gl0_inv
	ds_read_u16 v6, v19 offset:3072
	s_mov_b32 s52, -1
	s_waitcnt lgkmcnt(0)
	s_barrier
	buffer_gl0_inv
	v_cmp_ne_u32_sdwa s46, v6, v19 src0_sel:BYTE_0 src1_sel:DWORD
	s_and_b32 vcc_lo, exec_lo, s46
	s_mov_b32 s46, -1
	s_cbranch_vccz .LBB10_134
.LBB10_130:                             ;   in Loop: Header=BB10_131 Depth=2
	s_and_b32 s52, exec_lo, s52
	s_or_b32 s31, s52, s31
	s_andn2_b32 s45, s45, exec_lo
	s_and_b32 s46, s46, exec_lo
	s_or_b32 s45, s45, s46
	s_andn2_b32 exec_lo, exec_lo, s31
	s_cbranch_execz .LBB10_135
.LBB10_131:                             ;   Parent Loop BB10_6 Depth=1
                                        ; =>  This Inner Loop Header: Depth=2
	s_mov_b32 s46, exec_lo
	v_cmpx_gt_u32_e64 s33, v5
	s_cbranch_execz .LBB10_129
; %bb.132:                              ;   in Loop: Header=BB10_131 Depth=2
	ds_read_u8 v6, v5
	s_waitcnt lgkmcnt(0)
	v_and_b32_e32 v7, v6, v3
	v_cmp_eq_u32_sdwa s52, v7, v2 src0_sel:BYTE_0 src1_sel:DWORD
	s_and_b32 exec_lo, exec_lo, s52
	s_cbranch_execz .LBB10_129
; %bb.133:                              ;   in Loop: Header=BB10_131 Depth=2
	v_lshlrev_b16 v6, 8, v6
	v_or_b32_e32 v6, 1, v6
	ds_write_b16 v19, v6 offset:3072
	s_branch .LBB10_129
	.p2align	6
.LBB10_134:                             ;   in Loop: Header=BB10_131 Depth=2
	v_add_nc_u32_e32 v5, s35, v5
	s_mov_b32 s46, 0
	v_cmp_le_u32_e32 vcc_lo, s44, v5
	s_orn2_b32 s52, vcc_lo, exec_lo
	s_branch .LBB10_130
.LBB10_135:                             ;   in Loop: Header=BB10_6 Depth=1
	s_inst_prefetch 0x2
	s_or_b32 exec_lo, exec_lo, s31
	v_lshrrev_b32_sdwa v5, v31, v6 dst_sel:DWORD dst_unused:UNUSED_PAD src0_sel:DWORD src1_sel:WORD_0
	s_and_b32 s31, s45, exec_lo
.LBB10_136:                             ;   in Loop: Header=BB10_6 Depth=1
	s_or_b32 exec_lo, exec_lo, s94
.LBB10_137:                             ;   in Loop: Header=BB10_6 Depth=1
	s_and_b32 vcc_lo, exec_lo, s34
	s_cbranch_vccz .LBB10_148
; %bb.138:                              ;   in Loop: Header=BB10_6 Depth=1
                                        ; implicit-def: $vgpr5
	s_and_saveexec_b32 s23, s13
	s_cbranch_execz .LBB10_147
; %bb.139:                              ;   in Loop: Header=BB10_6 Depth=1
	v_mov_b32_e32 v5, v18
	v_mov_b32_e32 v6, v0
	s_mov_b32 s24, 0
                                        ; implicit-def: $sgpr33
	s_inst_prefetch 0x1
	s_branch .LBB10_142
	.p2align	6
.LBB10_140:                             ;   in Loop: Header=BB10_142 Depth=2
	s_or_b32 exec_lo, exec_lo, s34
	s_waitcnt lgkmcnt(0)
	s_barrier
	buffer_gl0_inv
	ds_read_u16 v7, v19 offset:3072
	s_mov_b32 s34, -1
	s_waitcnt lgkmcnt(0)
	s_barrier
	buffer_gl0_inv
	v_cmp_eq_u32_sdwa s44, v7, v19 src0_sel:BYTE_0 src1_sel:DWORD
	s_and_b32 vcc_lo, exec_lo, s44
	s_mov_b32 s44, -1
	s_cbranch_vccnz .LBB10_145
.LBB10_141:                             ;   in Loop: Header=BB10_142 Depth=2
	s_and_b32 s34, exec_lo, s34
	s_or_b32 s24, s34, s24
	s_andn2_b32 s33, s33, exec_lo
	s_and_b32 s34, s44, exec_lo
	s_or_b32 s33, s33, s34
	s_andn2_b32 exec_lo, exec_lo, s24
	s_cbranch_execz .LBB10_146
.LBB10_142:                             ;   Parent Loop BB10_6 Depth=1
                                        ; =>  This Inner Loop Header: Depth=2
	s_mov_b32 s34, exec_lo
	v_cmpx_gt_u32_e64 s36, v6
	s_cbranch_execz .LBB10_140
; %bb.143:                              ;   in Loop: Header=BB10_142 Depth=2
	global_load_ubyte v7, v5, s[48:49]
	s_waitcnt vmcnt(0)
	v_and_b32_e32 v8, v7, v3
	v_cmp_eq_u32_sdwa s44, v8, v2 src0_sel:BYTE_0 src1_sel:DWORD
	s_and_b32 exec_lo, exec_lo, s44
	s_cbranch_execz .LBB10_140
; %bb.144:                              ;   in Loop: Header=BB10_142 Depth=2
	v_lshlrev_b16 v7, 8, v7
	v_or_b32_e32 v7, 1, v7
	ds_write_b16 v19, v7 offset:3072
	s_branch .LBB10_140
.LBB10_145:                             ;   in Loop: Header=BB10_142 Depth=2
	v_add_nc_u32_e32 v6, s35, v6
	v_add_nc_u32_e32 v5, s43, v5
	s_mov_b32 s44, 0
	v_cmp_le_u32_e32 vcc_lo, s80, v6
	s_orn2_b32 s34, vcc_lo, exec_lo
	s_branch .LBB10_141
.LBB10_146:                             ;   in Loop: Header=BB10_6 Depth=1
	s_inst_prefetch 0x2
	s_or_b32 exec_lo, exec_lo, s24
	v_lshrrev_b32_sdwa v5, v31, v7 dst_sel:DWORD dst_unused:UNUSED_PAD src0_sel:DWORD src1_sel:WORD_0
	s_andn2_b32 s24, s31, exec_lo
	s_and_b32 s31, s33, exec_lo
	s_or_b32 s31, s24, s31
.LBB10_147:                             ;   in Loop: Header=BB10_6 Depth=1
	s_or_b32 exec_lo, exec_lo, s23
	s_mov_b32 s23, 0
	s_mov_b32 s24, -1
.LBB10_148:                             ;   in Loop: Header=BB10_6 Depth=1
	s_orn2_b32 s31, s31, exec_lo
.LBB10_149:                             ;   in Loop: Header=BB10_6 Depth=1
	s_or_b32 exec_lo, exec_lo, s29
	s_mov_b32 s33, 0
	s_and_saveexec_b32 s29, s31
	s_cbranch_execz .LBB10_238
; %bb.150:                              ;   in Loop: Header=BB10_6 Depth=1
	v_mov_b32_e32 v6, 1
	v_mov_b32_e32 v1, 1
	s_xor_b32 s31, s30, -1
	s_mov_b32 s44, 0
	s_and_saveexec_b32 s30, s31
	s_cbranch_execz .LBB10_159
; %bb.151:                              ;   in Loop: Header=BB10_6 Depth=1
	s_mov_b32 s31, exec_lo
	v_cmpx_ge_u32_e64 s20, v4
	s_xor_b32 s31, exec_lo, s31
	s_cbranch_execz .LBB10_156
; %bb.152:                              ;   in Loop: Header=BB10_6 Depth=1
	ds_read_b32 v1, v19 offset:4096
	s_lshl_b32 s33, 1, s87
	v_or_b32_e32 v3, s18, v3
	v_and_or_b32 v2, v2, s19, s33
	s_waitcnt lgkmcnt(0)
	v_cmp_ne_u32_e32 vcc_lo, 0, v1
	s_cbranch_vccnz .LBB10_156
; %bb.153:                              ;   in Loop: Header=BB10_6 Depth=1
	s_and_saveexec_b32 s33, s3
; %bb.154:                              ;   in Loop: Header=BB10_6 Depth=1
	v_mov_b32_e32 v1, s20
	ds_write_b32 v19, v1 offset:4100
; %bb.155:                              ;   in Loop: Header=BB10_6 Depth=1
	s_or_b32 exec_lo, exec_lo, s33
	s_waitcnt lgkmcnt(0)
	s_barrier
	buffer_gl0_inv
.LBB10_156:                             ;   in Loop: Header=BB10_6 Depth=1
	s_or_saveexec_b32 s31, s31
	v_mov_b32_e32 v1, 8
	s_mov_b32 s33, 0
	s_xor_b32 exec_lo, exec_lo, s31
; %bb.157:                              ;   in Loop: Header=BB10_6 Depth=1
	v_subrev_nc_u32_e32 v4, s20, v4
	v_mov_b32_e32 v1, 0
	s_mov_b32 s33, exec_lo
; %bb.158:                              ;   in Loop: Header=BB10_6 Depth=1
	s_or_b32 exec_lo, exec_lo, s31
	v_mov_b32_e32 v6, v4
	s_and_b32 s44, s33, exec_lo
.LBB10_159:                             ;   in Loop: Header=BB10_6 Depth=1
	s_or_b32 exec_lo, exec_lo, s30
	s_mov_b32 s34, -1
                                        ; implicit-def: $sgpr31
                                        ; implicit-def: $sgpr33
	s_and_saveexec_b32 s30, s44
	s_cbranch_execz .LBB10_237
; %bb.160:                              ;   in Loop: Header=BB10_6 Depth=1
	v_cmp_eq_u32_e32 vcc_lo, 1, v6
	s_cmp_eq_u32 s21, 1
	s_mov_b32 s44, -1
	s_cselect_b32 s31, -1, 0
                                        ; implicit-def: $sgpr33
	s_and_b32 s94, s31, vcc_lo
                                        ; implicit-def: $sgpr31
	s_and_saveexec_b32 s34, s94
	s_cbranch_execz .LBB10_186
; %bb.161:                              ;   in Loop: Header=BB10_6 Depth=1
	ds_read_b32 v4, v19 offset:4096
	s_waitcnt lgkmcnt(0)
	s_barrier
	buffer_gl0_inv
	v_readfirstlane_b32 s96, v4
	s_and_saveexec_b32 s31, s15
; %bb.162:                              ;   in Loop: Header=BB10_6 Depth=1
	ds_write_b8 v0, v19 offset:3072
; %bb.163:                              ;   in Loop: Header=BB10_6 Depth=1
	s_or_b32 exec_lo, exec_lo, s31
	s_lshl_b32 s31, 2, s87
	v_or_b32_e32 v3, s18, v3
	v_and_or_b32 v2, v2, s19, s31
	s_mov_b32 s31, -1
	s_mov_b32 s33, 0
	s_cmp_eq_u32 s96, 0
	s_mov_b32 s95, 0
	s_mov_b32 s97, -1
	s_waitcnt lgkmcnt(0)
	s_barrier
	buffer_gl0_inv
                                        ; implicit-def: $vgpr5
	s_cbranch_scc1 .LBB10_174
; %bb.164:                              ;   in Loop: Header=BB10_6 Depth=1
	s_add_i32 s44, s96, s71
	s_mov_b32 s97, 0
	s_mul_hi_u32 s45, s44, s78
	s_mov_b32 s98, exec_lo
	s_mul_i32 s45, s45, s35
                                        ; implicit-def: $vgpr5
	s_sub_i32 s45, s44, s45
	s_sub_i32 s46, s45, s35
	s_cmp_ge_u32 s45, s35
	s_cselect_b32 s45, s46, s45
	s_sub_i32 s46, s45, s35
	s_cmp_ge_u32 s45, s35
	s_cselect_b32 s45, s46, s45
	s_sub_i32 s44, s44, s45
	v_cmpx_gt_u32_e64 s44, v0
	s_cbranch_execz .LBB10_173
; %bb.165:                              ;   in Loop: Header=BB10_6 Depth=1
	v_mov_b32_e32 v4, v0
	s_mov_b32 s45, 0
                                        ; implicit-def: $sgpr46
	s_inst_prefetch 0x1
	s_branch .LBB10_168
	.p2align	6
.LBB10_166:                             ;   in Loop: Header=BB10_168 Depth=2
	s_or_b32 exec_lo, exec_lo, s95
	s_waitcnt lgkmcnt(0)
	s_barrier
	buffer_gl0_inv
	ds_read_u16 v5, v19 offset:3072
	s_mov_b32 s53, -1
	s_waitcnt lgkmcnt(0)
	s_barrier
	buffer_gl0_inv
	v_cmp_ne_u32_sdwa s52, v5, v19 src0_sel:BYTE_0 src1_sel:DWORD
	s_and_b32 vcc_lo, exec_lo, s52
	s_mov_b32 s52, -1
	s_cbranch_vccz .LBB10_171
.LBB10_167:                             ;   in Loop: Header=BB10_168 Depth=2
	s_and_b32 s53, exec_lo, s53
	s_or_b32 s45, s53, s45
	s_andn2_b32 s46, s46, exec_lo
	s_and_b32 s52, s52, exec_lo
	s_or_b32 s46, s46, s52
	s_andn2_b32 exec_lo, exec_lo, s45
	s_cbranch_execz .LBB10_172
.LBB10_168:                             ;   Parent Loop BB10_6 Depth=1
                                        ; =>  This Inner Loop Header: Depth=2
	s_mov_b32 s95, exec_lo
	v_cmpx_gt_u32_e64 s96, v4
	s_cbranch_execz .LBB10_166
; %bb.169:                              ;   in Loop: Header=BB10_168 Depth=2
	ds_read_u8 v5, v4
	s_waitcnt lgkmcnt(0)
	v_and_b32_e32 v7, v5, v3
	v_cmp_eq_u32_sdwa s52, v7, v2 src0_sel:BYTE_0 src1_sel:DWORD
	s_and_b32 exec_lo, exec_lo, s52
	s_cbranch_execz .LBB10_166
; %bb.170:                              ;   in Loop: Header=BB10_168 Depth=2
	v_lshlrev_b16 v5, 8, v5
	v_or_b32_e32 v5, 1, v5
	ds_write_b16 v19, v5 offset:3072
	s_branch .LBB10_166
	.p2align	6
.LBB10_171:                             ;   in Loop: Header=BB10_168 Depth=2
	v_add_nc_u32_e32 v4, s35, v4
	s_mov_b32 s52, 0
	v_cmp_le_u32_e32 vcc_lo, s44, v4
	s_orn2_b32 s53, vcc_lo, exec_lo
	s_branch .LBB10_167
.LBB10_172:                             ;   in Loop: Header=BB10_6 Depth=1
	s_inst_prefetch 0x2
	s_or_b32 exec_lo, exec_lo, s45
	v_lshrrev_b32_sdwa v5, v31, v5 dst_sel:DWORD dst_unused:UNUSED_PAD src0_sel:DWORD src1_sel:WORD_0
	s_and_b32 s95, s46, exec_lo
.LBB10_173:                             ;   in Loop: Header=BB10_6 Depth=1
	s_or_b32 exec_lo, exec_lo, s98
.LBB10_174:                             ;   in Loop: Header=BB10_6 Depth=1
	s_and_b32 vcc_lo, exec_lo, s97
	s_cbranch_vccz .LBB10_185
; %bb.175:                              ;   in Loop: Header=BB10_6 Depth=1
                                        ; implicit-def: $vgpr5
	s_and_saveexec_b32 s31, s13
	s_cbranch_execz .LBB10_184
; %bb.176:                              ;   in Loop: Header=BB10_6 Depth=1
	v_mov_b32_e32 v4, v18
	v_mov_b32_e32 v5, v0
	s_mov_b32 s33, 0
                                        ; implicit-def: $sgpr44
	s_inst_prefetch 0x1
	s_branch .LBB10_179
	.p2align	6
.LBB10_177:                             ;   in Loop: Header=BB10_179 Depth=2
	s_or_b32 exec_lo, exec_lo, s45
	s_waitcnt lgkmcnt(0)
	s_barrier
	buffer_gl0_inv
	ds_read_u16 v7, v19 offset:3072
	s_mov_b32 s45, -1
	s_waitcnt lgkmcnt(0)
	s_barrier
	buffer_gl0_inv
	v_cmp_eq_u32_sdwa s46, v7, v19 src0_sel:BYTE_0 src1_sel:DWORD
	s_and_b32 vcc_lo, exec_lo, s46
	s_mov_b32 s46, -1
	s_cbranch_vccnz .LBB10_182
.LBB10_178:                             ;   in Loop: Header=BB10_179 Depth=2
	s_and_b32 s45, exec_lo, s45
	s_or_b32 s33, s45, s33
	s_andn2_b32 s44, s44, exec_lo
	s_and_b32 s45, s46, exec_lo
	s_or_b32 s44, s44, s45
	s_andn2_b32 exec_lo, exec_lo, s33
	s_cbranch_execz .LBB10_183
.LBB10_179:                             ;   Parent Loop BB10_6 Depth=1
                                        ; =>  This Inner Loop Header: Depth=2
	s_mov_b32 s45, exec_lo
	v_cmpx_gt_u32_e64 s36, v5
	s_cbranch_execz .LBB10_177
; %bb.180:                              ;   in Loop: Header=BB10_179 Depth=2
	global_load_ubyte v7, v4, s[48:49]
	s_waitcnt vmcnt(0)
	v_and_b32_e32 v8, v7, v3
	v_cmp_eq_u32_sdwa s46, v8, v2 src0_sel:BYTE_0 src1_sel:DWORD
	s_and_b32 exec_lo, exec_lo, s46
	s_cbranch_execz .LBB10_177
; %bb.181:                              ;   in Loop: Header=BB10_179 Depth=2
	v_lshlrev_b16 v7, 8, v7
	v_or_b32_e32 v7, 1, v7
	ds_write_b16 v19, v7 offset:3072
	s_branch .LBB10_177
.LBB10_182:                             ;   in Loop: Header=BB10_179 Depth=2
	v_add_nc_u32_e32 v5, s35, v5
	v_add_nc_u32_e32 v4, s43, v4
	s_mov_b32 s46, 0
	v_cmp_le_u32_e32 vcc_lo, s80, v5
	s_orn2_b32 s45, vcc_lo, exec_lo
	s_branch .LBB10_178
.LBB10_183:                             ;   in Loop: Header=BB10_6 Depth=1
	s_inst_prefetch 0x2
	s_or_b32 exec_lo, exec_lo, s33
	v_lshrrev_b32_sdwa v5, v31, v7 dst_sel:DWORD dst_unused:UNUSED_PAD src0_sel:DWORD src1_sel:WORD_0
	s_andn2_b32 s33, s95, exec_lo
	s_and_b32 s44, s44, exec_lo
	s_or_b32 s95, s33, s44
.LBB10_184:                             ;   in Loop: Header=BB10_6 Depth=1
	s_or_b32 exec_lo, exec_lo, s31
	s_mov_b32 s31, 0
	s_mov_b32 s33, -1
.LBB10_185:                             ;   in Loop: Header=BB10_6 Depth=1
	s_orn2_b32 s44, s95, exec_lo
.LBB10_186:                             ;   in Loop: Header=BB10_6 Depth=1
	s_or_b32 exec_lo, exec_lo, s34
	s_mov_b32 s45, 0
	s_and_saveexec_b32 s34, s44
	s_cbranch_execz .LBB10_236
; %bb.187:                              ;   in Loop: Header=BB10_6 Depth=1
	v_mov_b32_e32 v4, 1
	v_mov_b32_e32 v1, 1
	s_xor_b32 s44, s94, -1
	s_and_saveexec_b32 s94, s44
	s_cbranch_execz .LBB10_196
; %bb.188:                              ;   in Loop: Header=BB10_6 Depth=1
	s_mov_b32 s44, exec_lo
	v_cmpx_ge_u32_e64 s21, v6
	s_xor_b32 s44, exec_lo, s44
	s_cbranch_execz .LBB10_193
; %bb.189:                              ;   in Loop: Header=BB10_6 Depth=1
	ds_read_b32 v1, v19 offset:4096
	s_lshl_b32 s45, 2, s87
	v_or_b32_e32 v3, s18, v3
	v_and_or_b32 v2, v2, s19, s45
	s_waitcnt lgkmcnt(0)
	v_cmp_ne_u32_e32 vcc_lo, 0, v1
	s_cbranch_vccnz .LBB10_193
; %bb.190:                              ;   in Loop: Header=BB10_6 Depth=1
	s_and_saveexec_b32 s45, s3
; %bb.191:                              ;   in Loop: Header=BB10_6 Depth=1
	v_mov_b32_e32 v1, s21
	ds_write_b32 v19, v1 offset:4100
; %bb.192:                              ;   in Loop: Header=BB10_6 Depth=1
	s_or_b32 exec_lo, exec_lo, s45
	s_waitcnt lgkmcnt(0)
	s_barrier
	buffer_gl0_inv
.LBB10_193:                             ;   in Loop: Header=BB10_6 Depth=1
	s_or_saveexec_b32 s44, s44
	v_mov_b32_e32 v1, 8
	s_mov_b32 s45, 0
	s_xor_b32 exec_lo, exec_lo, s44
; %bb.194:                              ;   in Loop: Header=BB10_6 Depth=1
	v_subrev_nc_u32_e32 v6, s21, v6
	v_mov_b32_e32 v1, 0
	s_mov_b32 s45, exec_lo
; %bb.195:                              ;   in Loop: Header=BB10_6 Depth=1
	s_or_b32 exec_lo, exec_lo, s44
	v_mov_b32_e32 v4, v6
	s_and_b32 s45, s45, exec_lo
.LBB10_196:                             ;   in Loop: Header=BB10_6 Depth=1
	s_or_b32 exec_lo, exec_lo, s94
	s_mov_b32 s44, -1
                                        ; implicit-def: $sgpr96
                                        ; implicit-def: $sgpr95
	s_and_saveexec_b32 s94, s45
	s_cbranch_execz .LBB10_235
; %bb.197:                              ;   in Loop: Header=BB10_6 Depth=1
	v_cmp_eq_u32_e32 vcc_lo, 1, v4
	s_cmp_eq_u32 s22, 1
                                        ; implicit-def: $sgpr96
                                        ; implicit-def: $sgpr95
	s_cselect_b32 s44, -1, 0
	s_and_b32 s97, s44, vcc_lo
	s_mov_b32 s44, -1
	s_and_saveexec_b32 s98, s97
	s_cbranch_execz .LBB10_223
; %bb.198:                              ;   in Loop: Header=BB10_6 Depth=1
	ds_read_b32 v5, v19 offset:4096
	s_waitcnt lgkmcnt(0)
	s_barrier
	buffer_gl0_inv
	v_readfirstlane_b32 s104, v5
	s_and_saveexec_b32 s44, s15
; %bb.199:                              ;   in Loop: Header=BB10_6 Depth=1
	ds_write_b8 v0, v19 offset:3072
; %bb.200:                              ;   in Loop: Header=BB10_6 Depth=1
	s_or_b32 exec_lo, exec_lo, s44
	v_or_b32_e32 v2, s18, v2
	v_or_b32_e32 v3, s18, v3
	s_mov_b32 s95, -1
	s_mov_b32 s96, 0
	s_cmp_eq_u32 s104, 0
	s_mov_b32 s99, 0
	s_mov_b32 vcc_hi, -1
	s_waitcnt lgkmcnt(0)
	s_barrier
	buffer_gl0_inv
                                        ; implicit-def: $vgpr5
	s_cbranch_scc1 .LBB10_211
; %bb.201:                              ;   in Loop: Header=BB10_6 Depth=1
	s_add_i32 s44, s104, s71
	s_mov_b32 vcc_hi, 0
	s_mul_hi_u32 s45, s44, s78
                                        ; implicit-def: $vgpr5
	s_mul_i32 s45, s45, s35
	s_sub_i32 s45, s44, s45
	s_sub_i32 s46, s45, s35
	s_cmp_ge_u32 s45, s35
	s_cselect_b32 s45, s46, s45
	s_sub_i32 s46, s45, s35
	s_cmp_ge_u32 s45, s35
	s_cselect_b32 s45, s46, s45
	s_sub_i32 s45, s44, s45
	s_mov_b32 s44, exec_lo
	v_cmpx_gt_u32_e64 s45, v0
	s_cbranch_execz .LBB10_210
; %bb.202:                              ;   in Loop: Header=BB10_6 Depth=1
	v_mov_b32_e32 v5, v0
	s_mov_b32 s46, 0
                                        ; implicit-def: $sgpr99
	s_inst_prefetch 0x1
	s_branch .LBB10_205
	.p2align	6
.LBB10_203:                             ;   in Loop: Header=BB10_205 Depth=2
	s_or_b32 exec_lo, exec_lo, s52
	s_waitcnt lgkmcnt(0)
	s_barrier
	buffer_gl0_inv
	ds_read_u16 v6, v19 offset:3072
	s_mov_b32 s53, -1
	s_waitcnt lgkmcnt(0)
	s_barrier
	buffer_gl0_inv
	v_cmp_ne_u32_sdwa s52, v6, v19 src0_sel:BYTE_0 src1_sel:DWORD
	s_and_b32 vcc_lo, exec_lo, s52
	s_mov_b32 s52, -1
	s_cbranch_vccz .LBB10_208
.LBB10_204:                             ;   in Loop: Header=BB10_205 Depth=2
	s_and_b32 s53, exec_lo, s53
	s_or_b32 s46, s53, s46
	s_andn2_b32 s53, s99, exec_lo
	s_and_b32 s52, s52, exec_lo
	s_or_b32 s99, s53, s52
	s_andn2_b32 exec_lo, exec_lo, s46
	s_cbranch_execz .LBB10_209
.LBB10_205:                             ;   Parent Loop BB10_6 Depth=1
                                        ; =>  This Inner Loop Header: Depth=2
	s_mov_b32 s52, exec_lo
	v_cmpx_gt_u32_e64 s104, v5
	s_cbranch_execz .LBB10_203
; %bb.206:                              ;   in Loop: Header=BB10_205 Depth=2
	ds_read_u8 v6, v5
	s_waitcnt lgkmcnt(0)
	v_and_b32_e32 v7, v6, v3
	v_cmp_eq_u32_sdwa s53, v7, v2 src0_sel:BYTE_0 src1_sel:DWORD
	s_and_b32 exec_lo, exec_lo, s53
	s_cbranch_execz .LBB10_203
; %bb.207:                              ;   in Loop: Header=BB10_205 Depth=2
	v_lshlrev_b16 v6, 8, v6
	v_or_b32_e32 v6, 1, v6
	ds_write_b16 v19, v6 offset:3072
	s_branch .LBB10_203
	.p2align	6
.LBB10_208:                             ;   in Loop: Header=BB10_205 Depth=2
	v_add_nc_u32_e32 v5, s35, v5
	s_mov_b32 s52, 0
	v_cmp_le_u32_e32 vcc_lo, s45, v5
	s_orn2_b32 s53, vcc_lo, exec_lo
	s_branch .LBB10_204
.LBB10_209:                             ;   in Loop: Header=BB10_6 Depth=1
	s_inst_prefetch 0x2
	s_or_b32 exec_lo, exec_lo, s46
	v_lshrrev_b32_sdwa v5, v31, v6 dst_sel:DWORD dst_unused:UNUSED_PAD src0_sel:DWORD src1_sel:WORD_0
	s_and_b32 s99, s99, exec_lo
.LBB10_210:                             ;   in Loop: Header=BB10_6 Depth=1
	s_or_b32 exec_lo, exec_lo, s44
.LBB10_211:                             ;   in Loop: Header=BB10_6 Depth=1
	s_and_b32 vcc_lo, exec_lo, vcc_hi
	s_cbranch_vccz .LBB10_222
; %bb.212:                              ;   in Loop: Header=BB10_6 Depth=1
                                        ; implicit-def: $vgpr5
	s_and_saveexec_b32 s95, s13
	s_cbranch_execz .LBB10_221
; %bb.213:                              ;   in Loop: Header=BB10_6 Depth=1
	v_mov_b32_e32 v5, v18
	v_mov_b32_e32 v6, v0
	s_mov_b32 s44, 0
                                        ; implicit-def: $sgpr45
	s_inst_prefetch 0x1
	s_branch .LBB10_216
	.p2align	6
.LBB10_214:                             ;   in Loop: Header=BB10_216 Depth=2
	s_or_b32 exec_lo, exec_lo, s46
	s_waitcnt lgkmcnt(0)
	s_barrier
	buffer_gl0_inv
	ds_read_u16 v7, v19 offset:3072
	s_mov_b32 s46, -1
	s_waitcnt lgkmcnt(0)
	s_barrier
	buffer_gl0_inv
	v_cmp_eq_u32_sdwa s52, v7, v19 src0_sel:BYTE_0 src1_sel:DWORD
	s_and_b32 vcc_lo, exec_lo, s52
	s_mov_b32 s52, -1
	s_cbranch_vccnz .LBB10_219
.LBB10_215:                             ;   in Loop: Header=BB10_216 Depth=2
	s_and_b32 s46, exec_lo, s46
	s_or_b32 s44, s46, s44
	s_andn2_b32 s45, s45, exec_lo
	s_and_b32 s46, s52, exec_lo
	s_or_b32 s45, s45, s46
	s_andn2_b32 exec_lo, exec_lo, s44
	s_cbranch_execz .LBB10_220
.LBB10_216:                             ;   Parent Loop BB10_6 Depth=1
                                        ; =>  This Inner Loop Header: Depth=2
	s_mov_b32 s46, exec_lo
	v_cmpx_gt_u32_e64 s36, v6
	s_cbranch_execz .LBB10_214
; %bb.217:                              ;   in Loop: Header=BB10_216 Depth=2
	global_load_ubyte v7, v5, s[48:49]
	s_waitcnt vmcnt(0)
	v_and_b32_e32 v8, v7, v3
	v_cmp_eq_u32_sdwa s52, v8, v2 src0_sel:BYTE_0 src1_sel:DWORD
	s_and_b32 exec_lo, exec_lo, s52
	s_cbranch_execz .LBB10_214
; %bb.218:                              ;   in Loop: Header=BB10_216 Depth=2
	v_lshlrev_b16 v7, 8, v7
	v_or_b32_e32 v7, 1, v7
	ds_write_b16 v19, v7 offset:3072
	s_branch .LBB10_214
.LBB10_219:                             ;   in Loop: Header=BB10_216 Depth=2
	v_add_nc_u32_e32 v6, s35, v6
	v_add_nc_u32_e32 v5, s43, v5
	s_mov_b32 s52, 0
	v_cmp_le_u32_e32 vcc_lo, s80, v6
	s_orn2_b32 s46, vcc_lo, exec_lo
	s_branch .LBB10_215
.LBB10_220:                             ;   in Loop: Header=BB10_6 Depth=1
	s_inst_prefetch 0x2
	s_or_b32 exec_lo, exec_lo, s44
	v_lshrrev_b32_sdwa v5, v31, v7 dst_sel:DWORD dst_unused:UNUSED_PAD src0_sel:DWORD src1_sel:WORD_0
	s_andn2_b32 s44, s99, exec_lo
	s_and_b32 s45, s45, exec_lo
	s_or_b32 s99, s44, s45
.LBB10_221:                             ;   in Loop: Header=BB10_6 Depth=1
	s_or_b32 exec_lo, exec_lo, s95
	s_mov_b32 s95, 0
	s_mov_b32 s96, -1
.LBB10_222:                             ;   in Loop: Header=BB10_6 Depth=1
	s_orn2_b32 s44, s99, exec_lo
.LBB10_223:                             ;   in Loop: Header=BB10_6 Depth=1
	s_or_b32 exec_lo, exec_lo, s98
	s_mov_b32 s45, 0
	s_and_saveexec_b32 s98, s44
	s_cbranch_execz .LBB10_234
; %bb.224:                              ;   in Loop: Header=BB10_6 Depth=1
	v_mov_b32_e32 v1, 1
	v_mov_b32_e32 v6, 1
	s_xor_b32 s45, s97, -1
	s_and_saveexec_b32 s44, s45
	s_cbranch_execz .LBB10_233
; %bb.225:                              ;   in Loop: Header=BB10_6 Depth=1
	s_mov_b32 s45, exec_lo
	v_cmpx_ge_u32_e64 s22, v4
	s_xor_b32 s45, exec_lo, s45
	s_cbranch_execz .LBB10_230
; %bb.226:                              ;   in Loop: Header=BB10_6 Depth=1
	ds_read_b32 v1, v19 offset:4096
	v_or_b32_e32 v2, s18, v2
	v_or_b32_e32 v3, s18, v3
	s_waitcnt lgkmcnt(0)
	v_cmp_ne_u32_e32 vcc_lo, 0, v1
	s_cbranch_vccnz .LBB10_230
; %bb.227:                              ;   in Loop: Header=BB10_6 Depth=1
	s_and_saveexec_b32 s46, s3
; %bb.228:                              ;   in Loop: Header=BB10_6 Depth=1
	v_mov_b32_e32 v1, s22
	ds_write_b32 v19, v1 offset:4100
; %bb.229:                              ;   in Loop: Header=BB10_6 Depth=1
	s_or_b32 exec_lo, exec_lo, s46
	s_waitcnt lgkmcnt(0)
	s_barrier
	buffer_gl0_inv
.LBB10_230:                             ;   in Loop: Header=BB10_6 Depth=1
	s_andn2_saveexec_b32 s45, s45
; %bb.231:                              ;   in Loop: Header=BB10_6 Depth=1
	v_subrev_nc_u32_e32 v4, s22, v4
; %bb.232:                              ;   in Loop: Header=BB10_6 Depth=1
	s_or_b32 exec_lo, exec_lo, s45
	v_mov_b32_e32 v1, 8
	v_mov_b32_e32 v6, v4
.LBB10_233:                             ;   in Loop: Header=BB10_6 Depth=1
	s_or_b32 exec_lo, exec_lo, s44
	v_mov_b32_e32 v4, v6
	s_mov_b32 s45, exec_lo
.LBB10_234:                             ;   in Loop: Header=BB10_6 Depth=1
	s_or_b32 exec_lo, exec_lo, s98
	s_orn2_b32 s44, s45, exec_lo
.LBB10_235:                             ;   in Loop: Header=BB10_6 Depth=1
	s_or_b32 exec_lo, exec_lo, s94
	v_mov_b32_e32 v6, v4
	s_andn2_b32 s33, s33, exec_lo
	s_and_b32 s45, s96, exec_lo
	s_andn2_b32 s31, s31, exec_lo
	s_and_b32 s46, s95, exec_lo
	s_or_b32 s33, s33, s45
	s_or_b32 s31, s31, s46
	s_and_b32 s45, s44, exec_lo
.LBB10_236:                             ;   in Loop: Header=BB10_6 Depth=1
	s_or_b32 exec_lo, exec_lo, s34
	s_orn2_b32 s34, s45, exec_lo
.LBB10_237:                             ;   in Loop: Header=BB10_6 Depth=1
	s_or_b32 exec_lo, exec_lo, s30
	v_mov_b32_e32 v4, v6
	s_andn2_b32 s24, s24, exec_lo
	s_and_b32 s30, s33, exec_lo
	s_andn2_b32 s23, s23, exec_lo
	s_and_b32 s31, s31, exec_lo
	s_or_b32 s24, s24, s30
	s_or_b32 s23, s23, s31
	s_and_b32 s33, s34, exec_lo
.LBB10_238:                             ;   in Loop: Header=BB10_6 Depth=1
	s_or_b32 exec_lo, exec_lo, s29
	s_orn2_b32 s29, s33, exec_lo
.LBB10_239:                             ;   in Loop: Header=BB10_6 Depth=1
	s_or_b32 exec_lo, exec_lo, s6
	s_mov_b32 s6, 0
	s_mov_b32 s30, 0
	s_and_saveexec_b32 s31, s29
	s_xor_b32 s29, exec_lo, s31
; %bb.240:                              ;   in Loop: Header=BB10_6 Depth=1
	v_cmp_ne_u32_e32 vcc_lo, 8, v1
	v_cmp_eq_u32_e64 s6, 8, v1
	s_and_b32 s30, vcc_lo, exec_lo
	s_and_b32 s6, s6, exec_lo
; %bb.241:                              ;   in Loop: Header=BB10_6 Depth=1
	s_or_b32 exec_lo, exec_lo, s29
	s_andn2_b32 s26, s26, exec_lo
	s_and_b32 s24, s24, exec_lo
	s_andn2_b32 s25, s25, exec_lo
	s_and_b32 s23, s23, exec_lo
	s_or_b32 s26, s26, s24
	s_or_b32 s25, s25, s23
	s_and_b32 s23, s30, exec_lo
	s_and_b32 s24, s6, exec_lo
.LBB10_242:                             ;   in Loop: Header=BB10_6 Depth=1
	s_or_b32 exec_lo, exec_lo, s28
.LBB10_243:                             ;   in Loop: Header=BB10_6 Depth=1
	s_and_b32 vcc_lo, exec_lo, s27
	s_cbranch_vccz .LBB10_256
; %bb.244:                              ;   in Loop: Header=BB10_6 Depth=1
	s_cmp_eq_u32 s22, 1
	s_mov_b32 s26, -1
	s_cselect_b32 s6, -1, 0
                                        ; implicit-def: $sgpr16
	s_and_b32 s6, s6, s14
                                        ; implicit-def: $sgpr14
	s_and_saveexec_b32 s25, s6
	s_cbranch_execz .LBB10_271
; %bb.245:                              ;   in Loop: Header=BB10_6 Depth=1
	ds_read_b32 v1, v19 offset:4096
	s_waitcnt lgkmcnt(0)
	s_barrier
	buffer_gl0_inv
	v_readfirstlane_b32 s27, v1
	s_and_saveexec_b32 s14, s15
; %bb.246:                              ;   in Loop: Header=BB10_6 Depth=1
	ds_write_b8 v0, v19 offset:3072
; %bb.247:                              ;   in Loop: Header=BB10_6 Depth=1
	s_or_b32 exec_lo, exec_lo, s14
	v_or_b32_e32 v14, s18, v14
	v_or_b32_e32 v32, s18, v32
	s_mov_b32 s16, -1
	s_mov_b32 s14, 0
	s_cmp_eq_u32 s27, 0
	s_mov_b32 s26, 0
	s_mov_b32 s28, -1
	s_waitcnt lgkmcnt(0)
	s_barrier
	buffer_gl0_inv
                                        ; implicit-def: $vgpr33
	s_cbranch_scc1 .LBB10_259
; %bb.248:                              ;   in Loop: Header=BB10_6 Depth=1
	s_add_i32 s26, s27, s71
                                        ; implicit-def: $vgpr33
	s_mul_hi_u32 s28, s26, s78
	s_mul_i32 s28, s28, s35
	s_sub_i32 s28, s26, s28
	s_sub_i32 s29, s28, s35
	s_cmp_ge_u32 s28, s35
	s_cselect_b32 s28, s29, s28
	s_sub_i32 s29, s28, s35
	s_cmp_ge_u32 s28, s35
	s_cselect_b32 s28, s29, s28
	s_mov_b32 s29, exec_lo
	s_sub_i32 s30, s26, s28
	s_mov_b32 s28, 0
	s_mov_b32 s26, 0
	v_cmpx_gt_u32_e64 s30, v0
	s_cbranch_execz .LBB10_258
; %bb.249:                              ;   in Loop: Header=BB10_6 Depth=1
	v_mov_b32_e32 v1, v0
                                        ; implicit-def: $sgpr31
	s_inst_prefetch 0x1
	s_branch .LBB10_252
	.p2align	6
.LBB10_250:                             ;   in Loop: Header=BB10_252 Depth=2
	s_or_b32 exec_lo, exec_lo, s33
	s_waitcnt lgkmcnt(0)
	s_barrier
	buffer_gl0_inv
	ds_read_u16 v2, v19 offset:3072
	s_mov_b32 s34, -1
	s_waitcnt lgkmcnt(0)
	s_barrier
	buffer_gl0_inv
	v_cmp_ne_u32_sdwa s33, v2, v19 src0_sel:BYTE_0 src1_sel:DWORD
	s_and_b32 vcc_lo, exec_lo, s33
	s_mov_b32 s33, -1
	s_cbranch_vccz .LBB10_255
.LBB10_251:                             ;   in Loop: Header=BB10_252 Depth=2
	s_and_b32 s34, exec_lo, s34
	s_or_b32 s26, s34, s26
	s_andn2_b32 s31, s31, exec_lo
	s_and_b32 s33, s33, exec_lo
	s_or_b32 s31, s31, s33
	s_andn2_b32 exec_lo, exec_lo, s26
	s_cbranch_execz .LBB10_257
.LBB10_252:                             ;   Parent Loop BB10_6 Depth=1
                                        ; =>  This Inner Loop Header: Depth=2
	s_mov_b32 s33, exec_lo
	v_cmpx_gt_u32_e64 s27, v1
	s_cbranch_execz .LBB10_250
; %bb.253:                              ;   in Loop: Header=BB10_252 Depth=2
	ds_read_u8 v2, v1
	s_waitcnt lgkmcnt(0)
	v_and_b32_e32 v3, v2, v32
	v_cmp_eq_u32_sdwa s34, v3, v14 src0_sel:BYTE_0 src1_sel:DWORD
	s_and_b32 exec_lo, exec_lo, s34
	s_cbranch_execz .LBB10_250
; %bb.254:                              ;   in Loop: Header=BB10_252 Depth=2
	v_lshlrev_b16 v2, 8, v2
	v_or_b32_e32 v2, 1, v2
	ds_write_b16 v19, v2 offset:3072
	s_branch .LBB10_250
	.p2align	6
.LBB10_255:                             ;   in Loop: Header=BB10_252 Depth=2
	v_add_nc_u32_e32 v1, s35, v1
	s_mov_b32 s33, 0
	v_cmp_le_u32_e32 vcc_lo, s30, v1
	s_orn2_b32 s34, vcc_lo, exec_lo
	s_branch .LBB10_251
.LBB10_256:                             ;   in Loop: Header=BB10_6 Depth=1
	v_mov_b32_e32 v14, v2
	v_mov_b32_e32 v32, v3
	;; [unrolled: 1-line block ×3, first 2 shown]
	s_mov_b32 s14, 0
	s_and_saveexec_b32 s6, s24
	s_cbranch_execnz .LBB10_402
	s_branch .LBB10_403
.LBB10_257:                             ;   in Loop: Header=BB10_6 Depth=1
	s_inst_prefetch 0x2
	s_or_b32 exec_lo, exec_lo, s26
	v_lshrrev_b32_sdwa v33, v31, v2 dst_sel:DWORD dst_unused:UNUSED_PAD src0_sel:DWORD src1_sel:WORD_0
	s_and_b32 s26, s31, exec_lo
.LBB10_258:                             ;   in Loop: Header=BB10_6 Depth=1
	s_or_b32 exec_lo, exec_lo, s29
.LBB10_259:                             ;   in Loop: Header=BB10_6 Depth=1
	s_and_b32 vcc_lo, exec_lo, s28
	s_cbranch_vccz .LBB10_270
; %bb.260:                              ;   in Loop: Header=BB10_6 Depth=1
                                        ; implicit-def: $vgpr33
	s_and_saveexec_b32 s14, s13
	s_cbranch_execz .LBB10_269
; %bb.261:                              ;   in Loop: Header=BB10_6 Depth=1
	v_mov_b32_e32 v1, v18
	v_mov_b32_e32 v2, v0
	s_mov_b32 s16, 0
                                        ; implicit-def: $sgpr27
	s_inst_prefetch 0x1
	s_branch .LBB10_264
	.p2align	6
.LBB10_262:                             ;   in Loop: Header=BB10_264 Depth=2
	s_or_b32 exec_lo, exec_lo, s28
	s_waitcnt lgkmcnt(0)
	s_barrier
	buffer_gl0_inv
	ds_read_u16 v3, v19 offset:3072
	s_mov_b32 s28, -1
	s_waitcnt lgkmcnt(0)
	s_barrier
	buffer_gl0_inv
	v_cmp_ne_u32_sdwa s29, v3, v19 src0_sel:BYTE_0 src1_sel:DWORD
	s_and_b32 vcc_lo, exec_lo, s29
	s_mov_b32 s29, -1
	s_cbranch_vccz .LBB10_267
.LBB10_263:                             ;   in Loop: Header=BB10_264 Depth=2
	s_and_b32 s28, exec_lo, s28
	s_or_b32 s16, s28, s16
	s_andn2_b32 s27, s27, exec_lo
	s_and_b32 s28, s29, exec_lo
	s_or_b32 s27, s27, s28
	s_andn2_b32 exec_lo, exec_lo, s16
	s_cbranch_execz .LBB10_268
.LBB10_264:                             ;   Parent Loop BB10_6 Depth=1
                                        ; =>  This Inner Loop Header: Depth=2
	s_mov_b32 s28, exec_lo
	v_cmpx_gt_u32_e64 s36, v2
	s_cbranch_execz .LBB10_262
; %bb.265:                              ;   in Loop: Header=BB10_264 Depth=2
	global_load_ubyte v3, v1, s[48:49]
	s_waitcnt vmcnt(0)
	v_and_b32_e32 v4, v3, v32
	v_cmp_eq_u32_sdwa s29, v4, v14 src0_sel:BYTE_0 src1_sel:DWORD
	s_and_b32 exec_lo, exec_lo, s29
	s_cbranch_execz .LBB10_262
; %bb.266:                              ;   in Loop: Header=BB10_264 Depth=2
	v_lshlrev_b16 v3, 8, v3
	v_or_b32_e32 v3, 1, v3
	ds_write_b16 v19, v3 offset:3072
	s_branch .LBB10_262
.LBB10_267:                             ;   in Loop: Header=BB10_264 Depth=2
	v_add_nc_u32_e32 v2, s35, v2
	v_add_nc_u32_e32 v1, s43, v1
	s_mov_b32 s29, 0
	v_cmp_le_u32_e32 vcc_lo, s80, v2
	s_orn2_b32 s28, vcc_lo, exec_lo
	s_branch .LBB10_263
.LBB10_268:                             ;   in Loop: Header=BB10_6 Depth=1
	s_inst_prefetch 0x2
	s_or_b32 exec_lo, exec_lo, s16
	v_lshrrev_b32_sdwa v33, v31, v3 dst_sel:DWORD dst_unused:UNUSED_PAD src0_sel:DWORD src1_sel:WORD_0
	s_andn2_b32 s16, s26, exec_lo
	s_and_b32 s26, s27, exec_lo
	s_or_b32 s26, s16, s26
.LBB10_269:                             ;   in Loop: Header=BB10_6 Depth=1
	s_or_b32 exec_lo, exec_lo, s14
	s_mov_b32 s16, 0
	s_mov_b32 s14, -1
.LBB10_270:                             ;   in Loop: Header=BB10_6 Depth=1
	s_orn2_b32 s26, s26, exec_lo
.LBB10_271:                             ;   in Loop: Header=BB10_6 Depth=1
	s_or_b32 exec_lo, exec_lo, s25
                                        ; implicit-def: $vgpr4
                                        ; implicit-def: $vgpr1
	s_and_saveexec_b32 s25, s26
	s_cbranch_execz .LBB10_401
; %bb.272:                              ;   in Loop: Header=BB10_6 Depth=1
	v_mov_b32_e32 v4, 1
	v_mov_b32_e32 v1, 1
	s_xor_b32 s26, s6, -1
	s_mov_b32 s28, 0
	s_and_saveexec_b32 s6, s26
	s_cbranch_execz .LBB10_281
; %bb.273:                              ;   in Loop: Header=BB10_6 Depth=1
	s_mov_b32 s26, exec_lo
	v_cmpx_ge_u32_e64 s22, v34
	s_xor_b32 s26, exec_lo, s26
	s_cbranch_execz .LBB10_278
; %bb.274:                              ;   in Loop: Header=BB10_6 Depth=1
	ds_read_b32 v1, v19 offset:4096
	v_or_b32_e32 v14, s18, v14
	v_or_b32_e32 v32, s18, v32
	s_waitcnt lgkmcnt(0)
	v_cmp_ne_u32_e32 vcc_lo, 0, v1
	s_cbranch_vccnz .LBB10_278
; %bb.275:                              ;   in Loop: Header=BB10_6 Depth=1
	s_and_saveexec_b32 s27, s3
; %bb.276:                              ;   in Loop: Header=BB10_6 Depth=1
	v_mov_b32_e32 v1, s22
	ds_write_b32 v19, v1 offset:4100
; %bb.277:                              ;   in Loop: Header=BB10_6 Depth=1
	s_or_b32 exec_lo, exec_lo, s27
	s_waitcnt lgkmcnt(0)
	s_barrier
	buffer_gl0_inv
.LBB10_278:                             ;   in Loop: Header=BB10_6 Depth=1
	s_or_saveexec_b32 s26, s26
	v_mov_b32_e32 v1, 5
	s_mov_b32 s27, 0
	s_xor_b32 exec_lo, exec_lo, s26
; %bb.279:                              ;   in Loop: Header=BB10_6 Depth=1
	v_subrev_nc_u32_e32 v34, s22, v34
	v_mov_b32_e32 v1, 0
	s_mov_b32 s27, exec_lo
; %bb.280:                              ;   in Loop: Header=BB10_6 Depth=1
	s_or_b32 exec_lo, exec_lo, s26
	v_mov_b32_e32 v4, v34
	s_and_b32 s28, s27, exec_lo
.LBB10_281:                             ;   in Loop: Header=BB10_6 Depth=1
	s_or_b32 exec_lo, exec_lo, s6
	s_mov_b32 s27, -1
                                        ; implicit-def: $sgpr22
                                        ; implicit-def: $sgpr26
	s_and_saveexec_b32 s6, s28
	s_xor_b32 s6, exec_lo, s6
	s_cbranch_execz .LBB10_398
; %bb.282:                              ;   in Loop: Header=BB10_6 Depth=1
	v_cmp_eq_u32_e32 vcc_lo, 1, v4
	s_cmp_eq_u32 s21, 1
	s_mov_b32 s29, -1
	s_cselect_b32 s22, -1, 0
                                        ; implicit-def: $sgpr26
	s_and_b32 s28, s22, vcc_lo
                                        ; implicit-def: $sgpr22
	s_and_saveexec_b32 s27, s28
	s_cbranch_execz .LBB10_308
; %bb.283:                              ;   in Loop: Header=BB10_6 Depth=1
	ds_read_b32 v2, v19 offset:4096
	s_waitcnt lgkmcnt(0)
	s_barrier
	buffer_gl0_inv
	v_readfirstlane_b32 s30, v2
	s_and_saveexec_b32 s22, s15
; %bb.284:                              ;   in Loop: Header=BB10_6 Depth=1
	ds_write_b8 v0, v19 offset:3072
; %bb.285:                              ;   in Loop: Header=BB10_6 Depth=1
	s_or_b32 exec_lo, exec_lo, s22
	s_lshl_b32 s22, 2, s87
	v_or_b32_e32 v32, s18, v32
	v_and_or_b32 v14, v14, s19, s22
	s_mov_b32 s22, -1
	s_mov_b32 s26, 0
	s_cmp_eq_u32 s30, 0
	s_mov_b32 s29, 0
	s_mov_b32 s31, -1
	s_waitcnt lgkmcnt(0)
	s_barrier
	buffer_gl0_inv
                                        ; implicit-def: $vgpr33
	s_cbranch_scc1 .LBB10_296
; %bb.286:                              ;   in Loop: Header=BB10_6 Depth=1
	s_add_i32 s29, s30, s71
                                        ; implicit-def: $vgpr33
	s_mul_hi_u32 s31, s29, s78
	s_mul_i32 s31, s31, s35
	s_sub_i32 s31, s29, s31
	s_sub_i32 s33, s31, s35
	s_cmp_ge_u32 s31, s35
	s_cselect_b32 s31, s33, s31
	s_sub_i32 s33, s31, s35
	s_cmp_ge_u32 s31, s35
	s_cselect_b32 s31, s33, s31
	s_mov_b32 s33, exec_lo
	s_sub_i32 s34, s29, s31
	s_mov_b32 s31, 0
	s_mov_b32 s29, 0
	v_cmpx_gt_u32_e64 s34, v0
	s_cbranch_execz .LBB10_295
; %bb.287:                              ;   in Loop: Header=BB10_6 Depth=1
	v_mov_b32_e32 v2, v0
                                        ; implicit-def: $sgpr44
	s_inst_prefetch 0x1
	s_branch .LBB10_290
	.p2align	6
.LBB10_288:                             ;   in Loop: Header=BB10_290 Depth=2
	s_or_b32 exec_lo, exec_lo, s45
	s_waitcnt lgkmcnt(0)
	s_barrier
	buffer_gl0_inv
	ds_read_u16 v3, v19 offset:3072
	s_mov_b32 s46, -1
	s_waitcnt lgkmcnt(0)
	s_barrier
	buffer_gl0_inv
	v_cmp_ne_u32_sdwa s45, v3, v19 src0_sel:BYTE_0 src1_sel:DWORD
	s_and_b32 vcc_lo, exec_lo, s45
	s_mov_b32 s45, -1
	s_cbranch_vccz .LBB10_293
.LBB10_289:                             ;   in Loop: Header=BB10_290 Depth=2
	s_and_b32 s46, exec_lo, s46
	s_or_b32 s29, s46, s29
	s_andn2_b32 s44, s44, exec_lo
	s_and_b32 s45, s45, exec_lo
	s_or_b32 s44, s44, s45
	s_andn2_b32 exec_lo, exec_lo, s29
	s_cbranch_execz .LBB10_294
.LBB10_290:                             ;   Parent Loop BB10_6 Depth=1
                                        ; =>  This Inner Loop Header: Depth=2
	s_mov_b32 s45, exec_lo
	v_cmpx_gt_u32_e64 s30, v2
	s_cbranch_execz .LBB10_288
; %bb.291:                              ;   in Loop: Header=BB10_290 Depth=2
	ds_read_u8 v3, v2
	s_waitcnt lgkmcnt(0)
	v_and_b32_e32 v5, v3, v32
	v_cmp_eq_u32_sdwa s46, v5, v14 src0_sel:BYTE_0 src1_sel:DWORD
	s_and_b32 exec_lo, exec_lo, s46
	s_cbranch_execz .LBB10_288
; %bb.292:                              ;   in Loop: Header=BB10_290 Depth=2
	v_lshlrev_b16 v3, 8, v3
	v_or_b32_e32 v3, 1, v3
	ds_write_b16 v19, v3 offset:3072
	s_branch .LBB10_288
	.p2align	6
.LBB10_293:                             ;   in Loop: Header=BB10_290 Depth=2
	v_add_nc_u32_e32 v2, s35, v2
	s_mov_b32 s45, 0
	v_cmp_le_u32_e32 vcc_lo, s34, v2
	s_orn2_b32 s46, vcc_lo, exec_lo
	s_branch .LBB10_289
.LBB10_294:                             ;   in Loop: Header=BB10_6 Depth=1
	s_inst_prefetch 0x2
	s_or_b32 exec_lo, exec_lo, s29
	v_lshrrev_b32_sdwa v33, v31, v3 dst_sel:DWORD dst_unused:UNUSED_PAD src0_sel:DWORD src1_sel:WORD_0
	s_and_b32 s29, s44, exec_lo
.LBB10_295:                             ;   in Loop: Header=BB10_6 Depth=1
	s_or_b32 exec_lo, exec_lo, s33
.LBB10_296:                             ;   in Loop: Header=BB10_6 Depth=1
	s_and_b32 vcc_lo, exec_lo, s31
	s_cbranch_vccz .LBB10_307
; %bb.297:                              ;   in Loop: Header=BB10_6 Depth=1
                                        ; implicit-def: $vgpr33
	s_and_saveexec_b32 s22, s13
	s_cbranch_execz .LBB10_306
; %bb.298:                              ;   in Loop: Header=BB10_6 Depth=1
	v_mov_b32_e32 v2, v18
	v_mov_b32_e32 v3, v0
	s_mov_b32 s26, 0
                                        ; implicit-def: $sgpr30
	s_inst_prefetch 0x1
	s_branch .LBB10_301
	.p2align	6
.LBB10_299:                             ;   in Loop: Header=BB10_301 Depth=2
	s_or_b32 exec_lo, exec_lo, s31
	s_waitcnt lgkmcnt(0)
	s_barrier
	buffer_gl0_inv
	ds_read_u16 v5, v19 offset:3072
	s_mov_b32 s31, -1
	s_waitcnt lgkmcnt(0)
	s_barrier
	buffer_gl0_inv
	v_cmp_eq_u32_sdwa s33, v5, v19 src0_sel:BYTE_0 src1_sel:DWORD
	s_and_b32 vcc_lo, exec_lo, s33
	s_mov_b32 s33, -1
	s_cbranch_vccnz .LBB10_304
.LBB10_300:                             ;   in Loop: Header=BB10_301 Depth=2
	s_and_b32 s31, exec_lo, s31
	s_or_b32 s26, s31, s26
	s_andn2_b32 s30, s30, exec_lo
	s_and_b32 s31, s33, exec_lo
	s_or_b32 s30, s30, s31
	s_andn2_b32 exec_lo, exec_lo, s26
	s_cbranch_execz .LBB10_305
.LBB10_301:                             ;   Parent Loop BB10_6 Depth=1
                                        ; =>  This Inner Loop Header: Depth=2
	s_mov_b32 s31, exec_lo
	v_cmpx_gt_u32_e64 s36, v3
	s_cbranch_execz .LBB10_299
; %bb.302:                              ;   in Loop: Header=BB10_301 Depth=2
	global_load_ubyte v5, v2, s[48:49]
	s_waitcnt vmcnt(0)
	v_and_b32_e32 v6, v5, v32
	v_cmp_eq_u32_sdwa s33, v6, v14 src0_sel:BYTE_0 src1_sel:DWORD
	s_and_b32 exec_lo, exec_lo, s33
	s_cbranch_execz .LBB10_299
; %bb.303:                              ;   in Loop: Header=BB10_301 Depth=2
	v_lshlrev_b16 v5, 8, v5
	v_or_b32_e32 v5, 1, v5
	ds_write_b16 v19, v5 offset:3072
	s_branch .LBB10_299
.LBB10_304:                             ;   in Loop: Header=BB10_301 Depth=2
	v_add_nc_u32_e32 v3, s35, v3
	v_add_nc_u32_e32 v2, s43, v2
	s_mov_b32 s33, 0
	v_cmp_le_u32_e32 vcc_lo, s80, v3
	s_orn2_b32 s31, vcc_lo, exec_lo
	s_branch .LBB10_300
.LBB10_305:                             ;   in Loop: Header=BB10_6 Depth=1
	s_inst_prefetch 0x2
	s_or_b32 exec_lo, exec_lo, s26
	v_lshrrev_b32_sdwa v33, v31, v5 dst_sel:DWORD dst_unused:UNUSED_PAD src0_sel:DWORD src1_sel:WORD_0
	s_andn2_b32 s26, s29, exec_lo
	s_and_b32 s29, s30, exec_lo
	s_or_b32 s29, s26, s29
.LBB10_306:                             ;   in Loop: Header=BB10_6 Depth=1
	s_or_b32 exec_lo, exec_lo, s22
	s_mov_b32 s22, 0
	s_mov_b32 s26, -1
.LBB10_307:                             ;   in Loop: Header=BB10_6 Depth=1
	s_orn2_b32 s29, s29, exec_lo
.LBB10_308:                             ;   in Loop: Header=BB10_6 Depth=1
	s_or_b32 exec_lo, exec_lo, s27
	s_mov_b32 s30, 0
	s_and_saveexec_b32 s27, s29
	s_cbranch_execz .LBB10_397
; %bb.309:                              ;   in Loop: Header=BB10_6 Depth=1
	v_mov_b32_e32 v2, 1
	v_mov_b32_e32 v1, 1
	s_xor_b32 s29, s28, -1
	s_mov_b32 s31, 0
	s_and_saveexec_b32 s28, s29
	s_cbranch_execz .LBB10_318
; %bb.310:                              ;   in Loop: Header=BB10_6 Depth=1
	s_mov_b32 s29, exec_lo
	v_cmpx_ge_u32_e64 s21, v4
	s_xor_b32 s29, exec_lo, s29
	s_cbranch_execz .LBB10_315
; %bb.311:                              ;   in Loop: Header=BB10_6 Depth=1
	ds_read_b32 v1, v19 offset:4096
	s_lshl_b32 s30, 2, s87
	v_or_b32_e32 v32, s18, v32
	v_and_or_b32 v14, v14, s19, s30
	s_waitcnt lgkmcnt(0)
	v_cmp_ne_u32_e32 vcc_lo, 0, v1
	s_cbranch_vccnz .LBB10_315
; %bb.312:                              ;   in Loop: Header=BB10_6 Depth=1
	s_and_saveexec_b32 s30, s3
; %bb.313:                              ;   in Loop: Header=BB10_6 Depth=1
	v_mov_b32_e32 v1, s21
	ds_write_b32 v19, v1 offset:4100
; %bb.314:                              ;   in Loop: Header=BB10_6 Depth=1
	s_or_b32 exec_lo, exec_lo, s30
	s_waitcnt lgkmcnt(0)
	s_barrier
	buffer_gl0_inv
.LBB10_315:                             ;   in Loop: Header=BB10_6 Depth=1
	s_or_saveexec_b32 s29, s29
	v_mov_b32_e32 v1, 5
	s_mov_b32 s30, 0
	s_xor_b32 exec_lo, exec_lo, s29
; %bb.316:                              ;   in Loop: Header=BB10_6 Depth=1
	v_subrev_nc_u32_e32 v4, s21, v4
	v_mov_b32_e32 v1, 0
	s_mov_b32 s30, exec_lo
; %bb.317:                              ;   in Loop: Header=BB10_6 Depth=1
	s_or_b32 exec_lo, exec_lo, s29
	v_mov_b32_e32 v2, v4
	s_and_b32 s31, s30, exec_lo
.LBB10_318:                             ;   in Loop: Header=BB10_6 Depth=1
	s_or_b32 exec_lo, exec_lo, s28
	s_mov_b32 s30, -1
                                        ; implicit-def: $sgpr28
                                        ; implicit-def: $sgpr29
	s_and_saveexec_b32 s21, s31
	s_cbranch_execz .LBB10_396
; %bb.319:                              ;   in Loop: Header=BB10_6 Depth=1
	v_cmp_eq_u32_e32 vcc_lo, 1, v2
	s_cmp_eq_u32 s20, 1
	s_mov_b32 s33, -1
	s_cselect_b32 s28, -1, 0
                                        ; implicit-def: $sgpr29
	s_and_b32 s31, s28, vcc_lo
                                        ; implicit-def: $sgpr28
	s_and_saveexec_b32 s30, s31
	s_cbranch_execz .LBB10_345
; %bb.320:                              ;   in Loop: Header=BB10_6 Depth=1
	ds_read_b32 v3, v19 offset:4096
	s_waitcnt lgkmcnt(0)
	s_barrier
	buffer_gl0_inv
	v_readfirstlane_b32 s34, v3
	s_and_saveexec_b32 s28, s15
; %bb.321:                              ;   in Loop: Header=BB10_6 Depth=1
	ds_write_b8 v0, v19 offset:3072
; %bb.322:                              ;   in Loop: Header=BB10_6 Depth=1
	s_or_b32 exec_lo, exec_lo, s28
	s_lshl_b32 s28, 1, s87
	v_or_b32_e32 v32, s18, v32
	v_and_or_b32 v14, v14, s19, s28
	s_mov_b32 s28, -1
	s_mov_b32 s29, 0
	s_cmp_eq_u32 s34, 0
	s_mov_b32 s33, 0
	s_mov_b32 s94, -1
	s_waitcnt lgkmcnt(0)
	s_barrier
	buffer_gl0_inv
                                        ; implicit-def: $vgpr33
	s_cbranch_scc1 .LBB10_333
; %bb.323:                              ;   in Loop: Header=BB10_6 Depth=1
	s_add_i32 s33, s34, s71
	s_mov_b32 s94, 0
	s_mul_hi_u32 s44, s33, s78
	s_mov_b32 s95, exec_lo
	s_mul_i32 s44, s44, s35
                                        ; implicit-def: $vgpr33
	s_sub_i32 s44, s33, s44
	s_sub_i32 s45, s44, s35
	s_cmp_ge_u32 s44, s35
	s_cselect_b32 s44, s45, s44
	s_sub_i32 s45, s44, s35
	s_cmp_ge_u32 s44, s35
	s_cselect_b32 s44, s45, s44
	s_sub_i32 s44, s33, s44
	s_mov_b32 s33, 0
	v_cmpx_gt_u32_e64 s44, v0
	s_cbranch_execz .LBB10_332
; %bb.324:                              ;   in Loop: Header=BB10_6 Depth=1
	v_mov_b32_e32 v3, v0
                                        ; implicit-def: $sgpr45
	s_inst_prefetch 0x1
	s_branch .LBB10_327
	.p2align	6
.LBB10_325:                             ;   in Loop: Header=BB10_327 Depth=2
	s_or_b32 exec_lo, exec_lo, s46
	s_waitcnt lgkmcnt(0)
	s_barrier
	buffer_gl0_inv
	ds_read_u16 v4, v19 offset:3072
	s_mov_b32 s52, -1
	s_waitcnt lgkmcnt(0)
	s_barrier
	buffer_gl0_inv
	v_cmp_ne_u32_sdwa s46, v4, v19 src0_sel:BYTE_0 src1_sel:DWORD
	s_and_b32 vcc_lo, exec_lo, s46
	s_mov_b32 s46, -1
	s_cbranch_vccz .LBB10_330
.LBB10_326:                             ;   in Loop: Header=BB10_327 Depth=2
	s_and_b32 s52, exec_lo, s52
	s_or_b32 s33, s52, s33
	s_andn2_b32 s45, s45, exec_lo
	s_and_b32 s46, s46, exec_lo
	s_or_b32 s45, s45, s46
	s_andn2_b32 exec_lo, exec_lo, s33
	s_cbranch_execz .LBB10_331
.LBB10_327:                             ;   Parent Loop BB10_6 Depth=1
                                        ; =>  This Inner Loop Header: Depth=2
	s_mov_b32 s46, exec_lo
	v_cmpx_gt_u32_e64 s34, v3
	s_cbranch_execz .LBB10_325
; %bb.328:                              ;   in Loop: Header=BB10_327 Depth=2
	ds_read_u8 v4, v3
	s_waitcnt lgkmcnt(0)
	v_and_b32_e32 v5, v4, v32
	v_cmp_eq_u32_sdwa s52, v5, v14 src0_sel:BYTE_0 src1_sel:DWORD
	s_and_b32 exec_lo, exec_lo, s52
	s_cbranch_execz .LBB10_325
; %bb.329:                              ;   in Loop: Header=BB10_327 Depth=2
	v_lshlrev_b16 v4, 8, v4
	v_or_b32_e32 v4, 1, v4
	ds_write_b16 v19, v4 offset:3072
	s_branch .LBB10_325
	.p2align	6
.LBB10_330:                             ;   in Loop: Header=BB10_327 Depth=2
	v_add_nc_u32_e32 v3, s35, v3
	s_mov_b32 s46, 0
	v_cmp_le_u32_e32 vcc_lo, s44, v3
	s_orn2_b32 s52, vcc_lo, exec_lo
	s_branch .LBB10_326
.LBB10_331:                             ;   in Loop: Header=BB10_6 Depth=1
	s_inst_prefetch 0x2
	s_or_b32 exec_lo, exec_lo, s33
	v_lshrrev_b32_sdwa v33, v31, v4 dst_sel:DWORD dst_unused:UNUSED_PAD src0_sel:DWORD src1_sel:WORD_0
	s_and_b32 s33, s45, exec_lo
.LBB10_332:                             ;   in Loop: Header=BB10_6 Depth=1
	s_or_b32 exec_lo, exec_lo, s95
.LBB10_333:                             ;   in Loop: Header=BB10_6 Depth=1
	s_and_b32 vcc_lo, exec_lo, s94
	s_cbranch_vccz .LBB10_344
; %bb.334:                              ;   in Loop: Header=BB10_6 Depth=1
                                        ; implicit-def: $vgpr33
	s_and_saveexec_b32 s28, s13
	s_cbranch_execz .LBB10_343
; %bb.335:                              ;   in Loop: Header=BB10_6 Depth=1
	v_mov_b32_e32 v3, v18
	v_mov_b32_e32 v4, v0
	s_mov_b32 s29, 0
                                        ; implicit-def: $sgpr34
	s_inst_prefetch 0x1
	s_branch .LBB10_338
	.p2align	6
.LBB10_336:                             ;   in Loop: Header=BB10_338 Depth=2
	s_or_b32 exec_lo, exec_lo, s44
	s_waitcnt lgkmcnt(0)
	s_barrier
	buffer_gl0_inv
	ds_read_u16 v5, v19 offset:3072
	s_mov_b32 s44, -1
	s_waitcnt lgkmcnt(0)
	s_barrier
	buffer_gl0_inv
	v_cmp_eq_u32_sdwa s45, v5, v19 src0_sel:BYTE_0 src1_sel:DWORD
	s_and_b32 vcc_lo, exec_lo, s45
	s_mov_b32 s45, -1
	s_cbranch_vccnz .LBB10_341
.LBB10_337:                             ;   in Loop: Header=BB10_338 Depth=2
	s_and_b32 s44, exec_lo, s44
	s_or_b32 s29, s44, s29
	s_andn2_b32 s34, s34, exec_lo
	s_and_b32 s44, s45, exec_lo
	s_or_b32 s34, s34, s44
	s_andn2_b32 exec_lo, exec_lo, s29
	s_cbranch_execz .LBB10_342
.LBB10_338:                             ;   Parent Loop BB10_6 Depth=1
                                        ; =>  This Inner Loop Header: Depth=2
	s_mov_b32 s44, exec_lo
	v_cmpx_gt_u32_e64 s36, v4
	s_cbranch_execz .LBB10_336
; %bb.339:                              ;   in Loop: Header=BB10_338 Depth=2
	global_load_ubyte v5, v3, s[48:49]
	s_waitcnt vmcnt(0)
	v_and_b32_e32 v6, v5, v32
	v_cmp_eq_u32_sdwa s45, v6, v14 src0_sel:BYTE_0 src1_sel:DWORD
	s_and_b32 exec_lo, exec_lo, s45
	s_cbranch_execz .LBB10_336
; %bb.340:                              ;   in Loop: Header=BB10_338 Depth=2
	v_lshlrev_b16 v5, 8, v5
	v_or_b32_e32 v5, 1, v5
	ds_write_b16 v19, v5 offset:3072
	s_branch .LBB10_336
.LBB10_341:                             ;   in Loop: Header=BB10_338 Depth=2
	v_add_nc_u32_e32 v4, s35, v4
	v_add_nc_u32_e32 v3, s43, v3
	s_mov_b32 s45, 0
	v_cmp_le_u32_e32 vcc_lo, s80, v4
	s_orn2_b32 s44, vcc_lo, exec_lo
	s_branch .LBB10_337
.LBB10_342:                             ;   in Loop: Header=BB10_6 Depth=1
	s_inst_prefetch 0x2
	s_or_b32 exec_lo, exec_lo, s29
	v_lshrrev_b32_sdwa v33, v31, v5 dst_sel:DWORD dst_unused:UNUSED_PAD src0_sel:DWORD src1_sel:WORD_0
	s_andn2_b32 s29, s33, exec_lo
	s_and_b32 s33, s34, exec_lo
	s_or_b32 s33, s29, s33
.LBB10_343:                             ;   in Loop: Header=BB10_6 Depth=1
	s_or_b32 exec_lo, exec_lo, s28
	s_mov_b32 s28, 0
	s_mov_b32 s29, -1
.LBB10_344:                             ;   in Loop: Header=BB10_6 Depth=1
	s_orn2_b32 s33, s33, exec_lo
.LBB10_345:                             ;   in Loop: Header=BB10_6 Depth=1
	s_or_b32 exec_lo, exec_lo, s30
	s_mov_b32 s34, 0
	s_and_saveexec_b32 s30, s33
	s_cbranch_execz .LBB10_395
; %bb.346:                              ;   in Loop: Header=BB10_6 Depth=1
	v_mov_b32_e32 v3, 1
	v_mov_b32_e32 v1, 1
	s_xor_b32 s33, s31, -1
	s_mov_b32 s44, 0
	s_and_saveexec_b32 s31, s33
	s_cbranch_execz .LBB10_355
; %bb.347:                              ;   in Loop: Header=BB10_6 Depth=1
	s_mov_b32 s33, exec_lo
	v_cmpx_ge_u32_e64 s20, v2
	s_xor_b32 s33, exec_lo, s33
	s_cbranch_execz .LBB10_352
; %bb.348:                              ;   in Loop: Header=BB10_6 Depth=1
	ds_read_b32 v1, v19 offset:4096
	s_lshl_b32 s34, 1, s87
	v_or_b32_e32 v32, s18, v32
	v_and_or_b32 v14, v14, s19, s34
	s_waitcnt lgkmcnt(0)
	v_cmp_ne_u32_e32 vcc_lo, 0, v1
	s_cbranch_vccnz .LBB10_352
; %bb.349:                              ;   in Loop: Header=BB10_6 Depth=1
	s_and_saveexec_b32 s34, s3
; %bb.350:                              ;   in Loop: Header=BB10_6 Depth=1
	v_mov_b32_e32 v1, s20
	ds_write_b32 v19, v1 offset:4100
; %bb.351:                              ;   in Loop: Header=BB10_6 Depth=1
	s_or_b32 exec_lo, exec_lo, s34
	s_waitcnt lgkmcnt(0)
	s_barrier
	buffer_gl0_inv
.LBB10_352:                             ;   in Loop: Header=BB10_6 Depth=1
	s_or_saveexec_b32 s33, s33
	v_mov_b32_e32 v1, 5
	s_mov_b32 s34, 0
	s_xor_b32 exec_lo, exec_lo, s33
; %bb.353:                              ;   in Loop: Header=BB10_6 Depth=1
	v_subrev_nc_u32_e32 v2, s20, v2
	v_mov_b32_e32 v1, 0
	s_mov_b32 s34, exec_lo
; %bb.354:                              ;   in Loop: Header=BB10_6 Depth=1
	s_or_b32 exec_lo, exec_lo, s33
	v_mov_b32_e32 v3, v2
	s_and_b32 s44, s34, exec_lo
.LBB10_355:                             ;   in Loop: Header=BB10_6 Depth=1
	s_or_b32 exec_lo, exec_lo, s31
	s_mov_b32 s34, -1
                                        ; implicit-def: $sgpr33
                                        ; implicit-def: $sgpr31
	s_and_saveexec_b32 s20, s44
	s_cbranch_execz .LBB10_394
; %bb.356:                              ;   in Loop: Header=BB10_6 Depth=1
	v_cmp_eq_u32_e32 vcc_lo, 1, v3
	s_cmp_eq_u32 s17, 1
	s_mov_b32 s44, -1
	s_cselect_b32 s31, -1, 0
                                        ; implicit-def: $sgpr33
	s_and_b32 s34, s31, vcc_lo
                                        ; implicit-def: $sgpr31
	s_and_saveexec_b32 s94, s34
	s_cbranch_execz .LBB10_382
; %bb.357:                              ;   in Loop: Header=BB10_6 Depth=1
	ds_read_b32 v2, v19 offset:4096
	s_waitcnt lgkmcnt(0)
	s_barrier
	buffer_gl0_inv
	v_readfirstlane_b32 s96, v2
	s_and_saveexec_b32 s31, s15
; %bb.358:                              ;   in Loop: Header=BB10_6 Depth=1
	ds_write_b8 v0, v19 offset:3072
; %bb.359:                              ;   in Loop: Header=BB10_6 Depth=1
	s_or_b32 exec_lo, exec_lo, s31
	v_and_b32_e32 v14, s19, v14
	v_or_b32_e32 v32, s18, v32
	s_mov_b32 s31, -1
	s_mov_b32 s33, 0
	s_cmp_eq_u32 s96, 0
	s_mov_b32 s95, 0
	s_mov_b32 s97, -1
	s_waitcnt lgkmcnt(0)
	s_barrier
	buffer_gl0_inv
                                        ; implicit-def: $vgpr33
	s_cbranch_scc1 .LBB10_370
; %bb.360:                              ;   in Loop: Header=BB10_6 Depth=1
	s_add_i32 s44, s96, s71
	s_mov_b32 s97, 0
	s_mul_hi_u32 s45, s44, s78
	s_mov_b32 s98, exec_lo
	s_mul_i32 s45, s45, s35
                                        ; implicit-def: $vgpr33
	s_sub_i32 s45, s44, s45
	s_sub_i32 s46, s45, s35
	s_cmp_ge_u32 s45, s35
	s_cselect_b32 s45, s46, s45
	s_sub_i32 s46, s45, s35
	s_cmp_ge_u32 s45, s35
	s_cselect_b32 s45, s46, s45
	s_sub_i32 s44, s44, s45
	v_cmpx_gt_u32_e64 s44, v0
	s_cbranch_execz .LBB10_369
; %bb.361:                              ;   in Loop: Header=BB10_6 Depth=1
	v_mov_b32_e32 v2, v0
	s_mov_b32 s45, 0
                                        ; implicit-def: $sgpr46
	s_inst_prefetch 0x1
	s_branch .LBB10_364
	.p2align	6
.LBB10_362:                             ;   in Loop: Header=BB10_364 Depth=2
	s_or_b32 exec_lo, exec_lo, s95
	s_waitcnt lgkmcnt(0)
	s_barrier
	buffer_gl0_inv
	ds_read_u16 v4, v19 offset:3072
	s_mov_b32 s53, -1
	s_waitcnt lgkmcnt(0)
	s_barrier
	buffer_gl0_inv
	v_cmp_ne_u32_sdwa s52, v4, v19 src0_sel:BYTE_0 src1_sel:DWORD
	s_and_b32 vcc_lo, exec_lo, s52
	s_mov_b32 s52, -1
	s_cbranch_vccz .LBB10_367
.LBB10_363:                             ;   in Loop: Header=BB10_364 Depth=2
	s_and_b32 s53, exec_lo, s53
	s_or_b32 s45, s53, s45
	s_andn2_b32 s46, s46, exec_lo
	s_and_b32 s52, s52, exec_lo
	s_or_b32 s46, s46, s52
	s_andn2_b32 exec_lo, exec_lo, s45
	s_cbranch_execz .LBB10_368
.LBB10_364:                             ;   Parent Loop BB10_6 Depth=1
                                        ; =>  This Inner Loop Header: Depth=2
	s_mov_b32 s95, exec_lo
	v_cmpx_gt_u32_e64 s96, v2
	s_cbranch_execz .LBB10_362
; %bb.365:                              ;   in Loop: Header=BB10_364 Depth=2
	ds_read_u8 v4, v2
	s_waitcnt lgkmcnt(0)
	v_and_b32_e32 v5, v4, v32
	v_cmp_eq_u32_sdwa s52, v5, v14 src0_sel:BYTE_0 src1_sel:DWORD
	s_and_b32 exec_lo, exec_lo, s52
	s_cbranch_execz .LBB10_362
; %bb.366:                              ;   in Loop: Header=BB10_364 Depth=2
	v_lshlrev_b16 v4, 8, v4
	v_or_b32_e32 v4, 1, v4
	ds_write_b16 v19, v4 offset:3072
	s_branch .LBB10_362
	.p2align	6
.LBB10_367:                             ;   in Loop: Header=BB10_364 Depth=2
	v_add_nc_u32_e32 v2, s35, v2
	s_mov_b32 s52, 0
	v_cmp_le_u32_e32 vcc_lo, s44, v2
	s_orn2_b32 s53, vcc_lo, exec_lo
	s_branch .LBB10_363
.LBB10_368:                             ;   in Loop: Header=BB10_6 Depth=1
	s_inst_prefetch 0x2
	s_or_b32 exec_lo, exec_lo, s45
	v_lshrrev_b32_sdwa v33, v31, v4 dst_sel:DWORD dst_unused:UNUSED_PAD src0_sel:DWORD src1_sel:WORD_0
	s_and_b32 s95, s46, exec_lo
.LBB10_369:                             ;   in Loop: Header=BB10_6 Depth=1
	s_or_b32 exec_lo, exec_lo, s98
.LBB10_370:                             ;   in Loop: Header=BB10_6 Depth=1
	s_and_b32 vcc_lo, exec_lo, s97
	s_cbranch_vccz .LBB10_381
; %bb.371:                              ;   in Loop: Header=BB10_6 Depth=1
                                        ; implicit-def: $vgpr33
	s_and_saveexec_b32 s31, s13
	s_cbranch_execz .LBB10_380
; %bb.372:                              ;   in Loop: Header=BB10_6 Depth=1
	v_mov_b32_e32 v2, v18
	v_mov_b32_e32 v4, v0
	s_mov_b32 s33, 0
                                        ; implicit-def: $sgpr44
	s_inst_prefetch 0x1
	s_branch .LBB10_375
	.p2align	6
.LBB10_373:                             ;   in Loop: Header=BB10_375 Depth=2
	s_or_b32 exec_lo, exec_lo, s45
	s_waitcnt lgkmcnt(0)
	s_barrier
	buffer_gl0_inv
	ds_read_u16 v5, v19 offset:3072
	s_mov_b32 s45, -1
	s_waitcnt lgkmcnt(0)
	s_barrier
	buffer_gl0_inv
	v_cmp_eq_u32_sdwa s46, v5, v19 src0_sel:BYTE_0 src1_sel:DWORD
	s_and_b32 vcc_lo, exec_lo, s46
	s_mov_b32 s46, -1
	s_cbranch_vccnz .LBB10_378
.LBB10_374:                             ;   in Loop: Header=BB10_375 Depth=2
	s_and_b32 s45, exec_lo, s45
	s_or_b32 s33, s45, s33
	s_andn2_b32 s44, s44, exec_lo
	s_and_b32 s45, s46, exec_lo
	s_or_b32 s44, s44, s45
	s_andn2_b32 exec_lo, exec_lo, s33
	s_cbranch_execz .LBB10_379
.LBB10_375:                             ;   Parent Loop BB10_6 Depth=1
                                        ; =>  This Inner Loop Header: Depth=2
	s_mov_b32 s45, exec_lo
	v_cmpx_gt_u32_e64 s36, v4
	s_cbranch_execz .LBB10_373
; %bb.376:                              ;   in Loop: Header=BB10_375 Depth=2
	global_load_ubyte v5, v2, s[48:49]
	s_waitcnt vmcnt(0)
	v_and_b32_e32 v6, v5, v32
	v_cmp_eq_u32_sdwa s46, v6, v14 src0_sel:BYTE_0 src1_sel:DWORD
	s_and_b32 exec_lo, exec_lo, s46
	s_cbranch_execz .LBB10_373
; %bb.377:                              ;   in Loop: Header=BB10_375 Depth=2
	v_lshlrev_b16 v5, 8, v5
	v_or_b32_e32 v5, 1, v5
	ds_write_b16 v19, v5 offset:3072
	s_branch .LBB10_373
.LBB10_378:                             ;   in Loop: Header=BB10_375 Depth=2
	v_add_nc_u32_e32 v4, s35, v4
	v_add_nc_u32_e32 v2, s43, v2
	s_mov_b32 s46, 0
	v_cmp_le_u32_e32 vcc_lo, s80, v4
	s_orn2_b32 s45, vcc_lo, exec_lo
	s_branch .LBB10_374
.LBB10_379:                             ;   in Loop: Header=BB10_6 Depth=1
	s_inst_prefetch 0x2
	s_or_b32 exec_lo, exec_lo, s33
	v_lshrrev_b32_sdwa v33, v31, v5 dst_sel:DWORD dst_unused:UNUSED_PAD src0_sel:DWORD src1_sel:WORD_0
	s_andn2_b32 s33, s95, exec_lo
	s_and_b32 s44, s44, exec_lo
	s_or_b32 s95, s33, s44
.LBB10_380:                             ;   in Loop: Header=BB10_6 Depth=1
	s_or_b32 exec_lo, exec_lo, s31
	s_mov_b32 s31, 0
	s_mov_b32 s33, -1
.LBB10_381:                             ;   in Loop: Header=BB10_6 Depth=1
	s_orn2_b32 s44, s95, exec_lo
.LBB10_382:                             ;   in Loop: Header=BB10_6 Depth=1
	s_or_b32 exec_lo, exec_lo, s94
	s_mov_b32 s45, 0
	s_and_saveexec_b32 s94, s44
	s_cbranch_execz .LBB10_393
; %bb.383:                              ;   in Loop: Header=BB10_6 Depth=1
	v_mov_b32_e32 v1, 1
	v_mov_b32_e32 v2, 1
	s_xor_b32 s44, s34, -1
	s_and_saveexec_b32 s34, s44
	s_cbranch_execz .LBB10_392
; %bb.384:                              ;   in Loop: Header=BB10_6 Depth=1
	s_mov_b32 s44, exec_lo
	v_cmpx_ge_u32_e64 s17, v3
	s_xor_b32 s44, exec_lo, s44
	s_cbranch_execz .LBB10_389
; %bb.385:                              ;   in Loop: Header=BB10_6 Depth=1
	ds_read_b32 v1, v19 offset:4096
	v_and_b32_e32 v14, s19, v14
	v_or_b32_e32 v32, s18, v32
	s_waitcnt lgkmcnt(0)
	v_cmp_ne_u32_e32 vcc_lo, 0, v1
	s_cbranch_vccnz .LBB10_389
; %bb.386:                              ;   in Loop: Header=BB10_6 Depth=1
	s_and_saveexec_b32 s18, s3
; %bb.387:                              ;   in Loop: Header=BB10_6 Depth=1
	v_mov_b32_e32 v1, s17
	ds_write_b32 v19, v1 offset:4100
; %bb.388:                              ;   in Loop: Header=BB10_6 Depth=1
	s_or_b32 exec_lo, exec_lo, s18
	s_waitcnt lgkmcnt(0)
	s_barrier
	buffer_gl0_inv
.LBB10_389:                             ;   in Loop: Header=BB10_6 Depth=1
	s_andn2_saveexec_b32 s18, s44
; %bb.390:                              ;   in Loop: Header=BB10_6 Depth=1
	v_subrev_nc_u32_e32 v3, s17, v3
; %bb.391:                              ;   in Loop: Header=BB10_6 Depth=1
	s_or_b32 exec_lo, exec_lo, s18
	v_mov_b32_e32 v1, 5
	v_mov_b32_e32 v2, v3
.LBB10_392:                             ;   in Loop: Header=BB10_6 Depth=1
	s_or_b32 exec_lo, exec_lo, s34
	v_mov_b32_e32 v3, v2
	s_mov_b32 s45, exec_lo
.LBB10_393:                             ;   in Loop: Header=BB10_6 Depth=1
	s_or_b32 exec_lo, exec_lo, s94
	s_orn2_b32 s34, s45, exec_lo
.LBB10_394:                             ;   in Loop: Header=BB10_6 Depth=1
	s_or_b32 exec_lo, exec_lo, s20
	v_mov_b32_e32 v2, v3
	s_andn2_b32 s17, s29, exec_lo
	s_and_b32 s18, s33, exec_lo
	s_andn2_b32 s19, s28, exec_lo
	s_and_b32 s20, s31, exec_lo
	s_or_b32 s29, s17, s18
	s_or_b32 s28, s19, s20
	s_and_b32 s34, s34, exec_lo
.LBB10_395:                             ;   in Loop: Header=BB10_6 Depth=1
	s_or_b32 exec_lo, exec_lo, s30
	s_orn2_b32 s30, s34, exec_lo
.LBB10_396:                             ;   in Loop: Header=BB10_6 Depth=1
	s_or_b32 exec_lo, exec_lo, s21
	v_mov_b32_e32 v4, v2
	s_andn2_b32 s17, s26, exec_lo
	s_and_b32 s18, s29, exec_lo
	s_andn2_b32 s19, s22, exec_lo
	s_and_b32 s20, s28, exec_lo
	s_or_b32 s26, s17, s18
	s_or_b32 s22, s19, s20
	s_and_b32 s30, s30, exec_lo
.LBB10_397:                             ;   in Loop: Header=BB10_6 Depth=1
	s_or_b32 exec_lo, exec_lo, s27
	s_orn2_b32 s27, s30, exec_lo
.LBB10_398:                             ;   in Loop: Header=BB10_6 Depth=1
	s_or_b32 exec_lo, exec_lo, s6
	s_mov_b32 s6, s24
	s_mov_b32 s17, s23
	s_and_saveexec_b32 s18, s27
; %bb.399:                              ;   in Loop: Header=BB10_6 Depth=1
	v_cmp_ne_u32_e32 vcc_lo, 5, v1
	v_cmp_eq_u32_e64 s6, 5, v1
	s_andn2_b32 s17, s23, exec_lo
	s_andn2_b32 s19, s24, exec_lo
	s_and_b32 s20, vcc_lo, exec_lo
	s_and_b32 s6, s6, exec_lo
	s_or_b32 s17, s17, s20
	s_or_b32 s6, s19, s6
; %bb.400:                              ;   in Loop: Header=BB10_6 Depth=1
	s_or_b32 exec_lo, exec_lo, s18
	s_andn2_b32 s14, s14, exec_lo
	s_and_b32 s18, s26, exec_lo
	s_andn2_b32 s16, s16, exec_lo
	s_and_b32 s19, s22, exec_lo
	s_or_b32 s14, s14, s18
	s_or_b32 s16, s16, s19
	s_andn2_b32 s18, s23, exec_lo
	s_and_b32 s17, s17, exec_lo
	s_andn2_b32 s19, s24, exec_lo
	s_and_b32 s6, s6, exec_lo
	s_or_b32 s23, s18, s17
	s_or_b32 s24, s19, s6
.LBB10_401:                             ;   in Loop: Header=BB10_6 Depth=1
	s_or_b32 exec_lo, exec_lo, s25
	s_mov_b32 s25, 0
	s_mov_b32 s26, 0
	s_and_saveexec_b32 s6, s24
.LBB10_402:                             ;   in Loop: Header=BB10_6 Depth=1
	v_mov_b32_e32 v1, 0
	s_or_b32 s23, s23, exec_lo
.LBB10_403:                             ;   in Loop: Header=BB10_6 Depth=1
	s_or_b32 exec_lo, exec_lo, s6
	s_andn2_b32 s6, s91, exec_lo
	s_and_b32 s14, s14, exec_lo
	s_andn2_b32 s18, s89, exec_lo
	s_and_b32 s16, s16, exec_lo
	v_mov_b32_e32 v34, v4
	s_or_b32 s91, s6, s14
	s_or_b32 s89, s18, s16
	s_andn2_b32 s6, s93, exec_lo
	s_and_b32 s14, s26, exec_lo
	s_andn2_b32 s16, s92, exec_lo
	s_and_b32 s18, s25, exec_lo
	s_mov_b32 s17, -1
	s_andn2_b32 s90, s90, exec_lo
	s_or_b32 s93, s6, s14
	s_or_b32 s92, s16, s18
	s_and_saveexec_b32 s6, s23
	s_xor_b32 s6, exec_lo, s6
	s_cbranch_execz .LBB10_5
; %bb.404:                              ;   in Loop: Header=BB10_6 Depth=1
	s_mov_b32 s14, -1
	s_mov_b32 s16, -1
	s_mov_b32 s17, exec_lo
	v_cmpx_eq_u32_e32 0, v1
	s_cbranch_execz .LBB10_4
; %bb.405:                              ;   in Loop: Header=BB10_6 Depth=1
	s_xor_b32 s83, s83, 1
	s_add_i32 s18, s87, -2
	s_cmp_eq_u32 s87, 0
	s_mov_b32 s87, s18
	s_cselect_b32 s14, -1, 0
	s_xor_b32 s16, exec_lo, -1
	s_orn2_b32 s14, s14, exec_lo
	s_branch .LBB10_4
.LBB10_406:
	s_or_b32 exec_lo, exec_lo, s64
	s_xor_b32 s7, s88, -1
	s_xor_b32 s12, s85, -1
	;; [unrolled: 1-line block ×5, first 2 shown]
	s_mov_b32 s9, 0
	s_and_saveexec_b32 s10, s8
	s_xor_b32 s8, exec_lo, s10
	s_cbranch_execnz .LBB10_411
; %bb.407:
	s_andn2_saveexec_b32 s0, s8
	s_cbranch_execnz .LBB10_430
.LBB10_408:
	s_or_b32 exec_lo, exec_lo, s0
	s_and_saveexec_b32 s0, s9
.LBB10_409:
	; divergent unreachable
.LBB10_410:
	s_endpgm
.LBB10_411:
	s_mov_b32 s10, 0
	s_and_saveexec_b32 s9, s11
	s_xor_b32 s9, exec_lo, s9
	s_cbranch_execz .LBB10_428
; %bb.412:
	s_mov_b32 s11, 0
	s_and_saveexec_b32 s10, s12
	s_xor_b32 s10, exec_lo, s10
	s_cbranch_execz .LBB10_426
; %bb.413:
	;; [unrolled: 5-line block ×3, first 2 shown]
	s_and_saveexec_b32 s7, s6
	s_xor_b32 s6, exec_lo, s7
; %bb.415:
	v_mov_b32_e32 v33, v14
; %bb.416:
	s_or_b32 exec_lo, exec_lo, s6
	s_and_saveexec_b32 s6, s3
; %bb.417:
	v_mov_b32_e32 v1, 0
	ds_write_b32 v1, v1 offset:4108
; %bb.418:
	s_or_b32 exec_lo, exec_lo, s6
	v_mov_b32_e32 v3, 0
	s_waitcnt lgkmcnt(0)
	s_barrier
	buffer_gl0_inv
	s_and_saveexec_b32 s3, s1
	s_cbranch_execz .LBB10_420
; %bb.419:
	global_load_ubyte v3, v[9:10], off
.LBB10_420:
	s_or_b32 exec_lo, exec_lo, s3
	s_load_dwordx4 s[16:19], s[4:5], 0x15c
	s_mul_i32 s6, s63, s58
	s_add_i32 s12, s36, 31
	s_mul_i32 s3, s61, s59
	s_sub_i32 s6, s61, s6
	s_andn2_b32 s12, s12, 31
	s_sub_i32 s3, s60, s3
	s_add_i32 s7, s63, 1
	s_sub_i32 s13, s6, s58
	s_cmp_ge_u32 s6, s58
	v_cmp_gt_u32_e32 vcc_lo, s12, v0
	s_cselect_b32 s7, s7, s63
	s_cselect_b32 s6, s13, s6
	s_add_i32 s13, s7, 1
	s_cmp_ge_u32 s6, s58
	s_cselect_b32 s6, s13, s7
	s_mul_i32 s13, s47, s57
	s_mul_i32 s7, s6, s58
	s_sub_i32 s7, s61, s7
	s_waitcnt lgkmcnt(0)
	s_mul_i32 s3, s3, s18
	s_mul_i32 s7, s7, s17
	;; [unrolled: 1-line block ×3, first 2 shown]
	s_add_i32 s3, s7, s3
	s_mul_i32 s7, s62, s56
	s_add_i32 s3, s3, s6
	s_sub_i32 s7, s47, s7
	s_sub_i32 s6, s60, s13
	s_add_i32 s13, s62, 1
	s_sub_i32 s14, s7, s56
	s_cmp_ge_u32 s7, s56
	s_mul_i32 s6, s6, s42
	s_cselect_b32 s13, s13, s62
	s_cselect_b32 s7, s14, s7
	s_add_i32 s14, s13, 1
	s_cmp_ge_u32 s7, s56
	v_readlane_b32 s18, v68, 0
	s_cselect_b32 s7, s14, s13
	s_clause 0x1
	s_load_dword s13, s[4:5], 0x1c8
	s_load_dword s14, s[4:5], 0x2a8
	s_mul_i32 s15, s7, s56
	s_mul_i32 s7, s7, s40
	s_sub_i32 s4, s47, s15
	s_mov_b32 s5, 0
	s_mul_i32 s4, s4, s41
	v_readlane_b32 s19, v68, 1
	s_add_i32 s4, s4, s6
	s_add_i32 s4, s4, s7
	s_add_u32 s6, s54, s3
	s_addc_u32 s7, s55, 0
	s_lshl_b64 s[16:17], s[4:5], 3
	s_mov_b32 s4, -1
	s_add_u32 s15, s18, s16
	s_addc_u32 s16, s19, s17
	s_mov_b32 s3, 0
	s_and_saveexec_b32 s17, vcc_lo
	s_cbranch_execnz .LBB10_431
; %bb.421:
	s_or_b32 exec_lo, exec_lo, s17
	s_and_saveexec_b32 s2, s4
	s_cbranch_execnz .LBB10_446
.LBB10_422:
	s_or_b32 exec_lo, exec_lo, s2
	s_and_saveexec_b32 s0, s3
	s_xor_b32 s0, exec_lo, s0
	s_cbranch_execnz .LBB10_469
.LBB10_423:
	s_or_b32 exec_lo, exec_lo, s0
	s_and_b32 s12, s5, exec_lo
.LBB10_424:
	s_andn2_saveexec_b32 s0, s11
	s_cbranch_execnz .LBB10_471
.LBB10_425:
	s_or_b32 exec_lo, exec_lo, s0
	s_and_b32 s11, s12, exec_lo
.LBB10_426:
	s_andn2_saveexec_b32 s0, s10
	s_cbranch_execnz .LBB10_470
.LBB10_427:
	s_or_b32 exec_lo, exec_lo, s0
	s_and_b32 s10, s11, exec_lo
.LBB10_428:
	s_andn2_saveexec_b32 s0, s9
	s_cbranch_execnz .LBB10_465
.LBB10_429:
	s_or_b32 exec_lo, exec_lo, s0
	s_and_b32 s9, s10, exec_lo
	s_andn2_saveexec_b32 s0, s8
	s_cbranch_execz .LBB10_408
.LBB10_430:
	s_or_b32 s9, s9, exec_lo
	s_trap 2
	s_or_b32 exec_lo, exec_lo, s0
	s_and_saveexec_b32 s0, s9
	s_cbranch_execnz .LBB10_409
	s_branch .LBB10_410
.LBB10_431:
	v_add_nc_u32_e32 v1, s35, v0
	v_mov_b32_e32 v2, 0
	s_mov_b32 s18, 0
                                        ; implicit-def: $sgpr19
                                        ; implicit-def: $vgpr7
	v_mul_lo_u32 v4, s50, v1
	v_mov_b32_e32 v1, v0
	s_branch .LBB10_433
.LBB10_432:                             ;   in Loop: Header=BB10_433 Depth=1
	s_or_b32 exec_lo, exec_lo, s21
	s_xor_b32 s3, s20, -1
	s_and_b32 s4, exec_lo, s4
	v_mov_b32_e32 v3, v6
	s_or_b32 s18, s4, s18
	v_mov_b32_e32 v1, v5
	s_andn2_b32 s4, s19, exec_lo
	s_and_b32 s3, s3, exec_lo
	s_or_b32 s19, s4, s3
	s_andn2_b32 exec_lo, exec_lo, s18
	s_cbranch_execz .LBB10_445
.LBB10_433:                             ; =>This Inner Loop Header: Depth=1
	v_add_nc_u32_e32 v5, s35, v1
	v_mov_b32_e32 v6, 0
	s_mov_b32 s4, exec_lo
	v_cmpx_gt_u32_e64 s36, v5
	s_cbranch_execz .LBB10_435
; %bb.434:                              ;   in Loop: Header=BB10_433 Depth=1
	global_load_ubyte v6, v4, s[48:49]
.LBB10_435:                             ;   in Loop: Header=BB10_433 Depth=1
	s_or_b32 exec_lo, exec_lo, s4
	s_waitcnt vmcnt(0)
	v_cmp_gt_u16_sdwa s3, v3, v33 src0_sel:BYTE_0 src1_sel:BYTE_0
	v_cndmask_b32_e64 v8, 0, 1, s3
	v_cmp_lt_u16_sdwa s3, v3, v33 src0_sel:BYTE_0 src1_sel:BYTE_0
	v_cndmask_b32_e64 v11, 0, 1, s3
	v_cmp_gt_u32_e64 s3, s36, v1
	v_cndmask_b32_e64 v8, v11, v8, s2
	v_and_b32_e32 v8, 1, v8
	v_cmp_eq_u32_e64 s4, 1, v8
	s_and_b32 s20, s3, s4
	v_cndmask_b32_e64 v8, 0, 1, s20
	v_cmp_ne_u32_e64 s3, 0, v8
	s_cmp_lg_u32 s3, 0
	s_cselect_b32 s4, -1, 0
	s_and_b32 s4, s0, s4
	s_and_saveexec_b32 s21, s4
	s_cbranch_execz .LBB10_439
; %bb.436:                              ;   in Loop: Header=BB10_433 Depth=1
	s_mov_b32 s24, exec_lo
	s_bcnt1_i32_b32 s22, s3
	s_waitcnt lgkmcnt(0)
	v_mbcnt_lo_u32_b32 v7, s24, 0
	s_mov_b32 s23, exec_lo
                                        ; implicit-def: $vgpr8
	v_cmpx_eq_u32_e32 0, v7
; %bb.437:                              ;   in Loop: Header=BB10_433 Depth=1
	s_bcnt1_i32_b32 s4, s24
	s_mul_i32 s4, s22, s4
	v_mov_b32_e32 v8, s4
	ds_add_rtn_u32 v8, v2, v8 offset:4108
; %bb.438:                              ;   in Loop: Header=BB10_433 Depth=1
	s_or_b32 exec_lo, exec_lo, s23
	s_waitcnt lgkmcnt(0)
	v_readfirstlane_b32 s4, v8
	v_mad_u32_u24 v7, s22, v7, s4
.LBB10_439:                             ;   in Loop: Header=BB10_433 Depth=1
	s_or_b32 exec_lo, exec_lo, s21
	s_waitcnt lgkmcnt(0)
	ds_bpermute_b32 v7, v2, v7
	s_mov_b32 s4, -1
	s_mov_b32 s22, -1
	s_and_saveexec_b32 s21, s20
	s_cbranch_execz .LBB10_443
; %bb.440:                              ;   in Loop: Header=BB10_433 Depth=1
	v_and_b32_e32 v8, s3, v15
	s_mov_b32 s20, 0
	s_mov_b32 s22, exec_lo
	s_waitcnt lgkmcnt(0)
	v_bcnt_u32_b32 v8, v8, v7
	v_cmpx_gt_u32_e64 s37, v8
; %bb.441:                              ;   in Loop: Header=BB10_433 Depth=1
	v_mul_lo_u32 v11, v8, s14
	v_mov_b32_e32 v12, v2
	v_mul_lo_u32 v8, v8, s13
	s_mov_b32 s20, exec_lo
	v_lshlrev_b64 v[11:12], 3, v[11:12]
	v_add_co_u32 v11, s3, s15, v11
	v_add_co_ci_u32_e64 v12, null, s16, v12, s3
	global_store_byte v8, v3, s[6:7]
	global_store_dwordx2 v[11:12], v[1:2], off
; %bb.442:                              ;   in Loop: Header=BB10_433 Depth=1
	s_or_b32 exec_lo, exec_lo, s22
	s_orn2_b32 s22, s20, exec_lo
.LBB10_443:                             ;   in Loop: Header=BB10_433 Depth=1
	s_or_b32 exec_lo, exec_lo, s21
	s_mov_b32 s20, -1
	s_and_saveexec_b32 s21, s22
	s_cbranch_execz .LBB10_432
; %bb.444:                              ;   in Loop: Header=BB10_433 Depth=1
	v_cmp_le_u32_e64 s3, s12, v5
	v_add_nc_u32_e32 v4, s43, v4
	s_xor_b32 s20, exec_lo, -1
	s_orn2_b32 s4, s3, exec_lo
	s_branch .LBB10_432
.LBB10_445:
	s_or_b32 exec_lo, exec_lo, s18
	s_mov_b32 s3, exec_lo
	s_orn2_b32 s4, s19, exec_lo
	s_or_b32 exec_lo, exec_lo, s17
	s_and_saveexec_b32 s2, s4
	s_cbranch_execz .LBB10_422
.LBB10_446:
	v_mov_b32_e32 v6, 0
	s_waitcnt vmcnt(0) lgkmcnt(0)
	s_waitcnt_vscnt null, 0x0
	s_barrier
	buffer_gl0_inv
	s_and_saveexec_b32 s4, s1
	s_cbranch_execz .LBB10_448
; %bb.447:
	global_load_ubyte v6, v[9:10], off
.LBB10_448:
	s_or_b32 exec_lo, exec_lo, s4
	s_mov_b32 s1, 0
	s_and_saveexec_b32 s4, vcc_lo
	s_cbranch_execz .LBB10_468
; %bb.449:
	v_add_nc_u32_e32 v1, s35, v0
	s_mov_b32 s5, 0
                                        ; implicit-def: $sgpr17
                                        ; implicit-def: $vgpr5
	v_mul_lo_u32 v2, s50, v1
	v_mov_b32_e32 v1, 0
	s_branch .LBB10_452
.LBB10_450:                             ;   in Loop: Header=BB10_452 Depth=1
	s_or_b32 exec_lo, exec_lo, s18
	s_orn2_b32 s20, s20, exec_lo
	s_orn2_b32 s19, s19, exec_lo
.LBB10_451:                             ;   in Loop: Header=BB10_452 Depth=1
	s_or_b32 exec_lo, exec_lo, s1
	s_xor_b32 s1, s20, -1
	s_and_b32 s18, exec_lo, s19
	v_mov_b32_e32 v0, v3
	s_or_b32 s5, s18, s5
	v_mov_b32_e32 v6, v4
	s_andn2_b32 s17, s17, exec_lo
	s_and_b32 s1, s1, exec_lo
	s_or_b32 s17, s17, s1
	s_andn2_b32 exec_lo, exec_lo, s5
	s_cbranch_execz .LBB10_466
.LBB10_452:                             ; =>This Inner Loop Header: Depth=1
	v_add_nc_u32_e32 v3, s35, v0
	v_mov_b32_e32 v4, 0
	s_mov_b32 s1, exec_lo
	v_cmpx_gt_u32_e64 s36, v3
	s_cbranch_execz .LBB10_454
; %bb.453:                              ;   in Loop: Header=BB10_452 Depth=1
	global_load_ubyte v4, v2, s[48:49]
.LBB10_454:                             ;   in Loop: Header=BB10_452 Depth=1
	s_or_b32 exec_lo, exec_lo, s1
	v_cmp_gt_u32_e32 vcc_lo, s36, v0
	s_waitcnt vmcnt(0)
	v_cmp_eq_u16_sdwa s1, v6, v33 src0_sel:BYTE_0 src1_sel:BYTE_0
	s_and_b32 s18, vcc_lo, s1
	v_cndmask_b32_e64 v6, 0, 1, s18
	v_cmp_ne_u32_e32 vcc_lo, 0, v6
	s_cmp_lg_u32 vcc_lo, 0
	s_cselect_b32 s1, -1, 0
	s_and_b32 s1, s0, s1
	s_and_saveexec_b32 s19, s1
	s_cbranch_execz .LBB10_458
; %bb.455:                              ;   in Loop: Header=BB10_452 Depth=1
	s_mov_b32 s22, exec_lo
	s_bcnt1_i32_b32 s20, vcc_lo
	v_mbcnt_lo_u32_b32 v5, s22, 0
	s_mov_b32 s21, exec_lo
                                        ; implicit-def: $vgpr6
	v_cmpx_eq_u32_e32 0, v5
; %bb.456:                              ;   in Loop: Header=BB10_452 Depth=1
	s_bcnt1_i32_b32 s1, s22
	s_mul_i32 s1, s20, s1
	v_mov_b32_e32 v6, s1
	ds_add_rtn_u32 v6, v1, v6 offset:4108
; %bb.457:                              ;   in Loop: Header=BB10_452 Depth=1
	s_or_b32 exec_lo, exec_lo, s21
	s_waitcnt lgkmcnt(0)
	v_readfirstlane_b32 s1, v6
	v_mad_u32_u24 v5, s20, v5, s1
.LBB10_458:                             ;   in Loop: Header=BB10_452 Depth=1
	s_or_b32 exec_lo, exec_lo, s19
	ds_bpermute_b32 v5, v1, v5
	s_cmp_eq_u32 vcc_lo, 0
	s_mov_b32 s19, -1
	s_cselect_b32 s20, -1, 0
	s_waitcnt lgkmcnt(0)
	v_cmp_gt_u32_e64 s1, s37, v5
	s_or_b32 s21, s20, s1
	s_mov_b32 s20, -1
	s_and_saveexec_b32 s1, s21
	s_cbranch_execz .LBB10_451
; %bb.459:                              ;   in Loop: Header=BB10_452 Depth=1
	v_and_b32_e32 v6, vcc_lo, v15
	v_sub_nc_u32_e32 v7, s37, v5
	s_mov_b32 s21, -1
	v_bcnt_u32_b32 v6, v6, 0
	v_bcnt_u32_b32 v6, 0, v6
	v_cmp_gt_u32_e32 vcc_lo, v7, v6
	s_and_b32 s22, s18, vcc_lo
	s_and_saveexec_b32 s18, s22
	s_cbranch_execz .LBB10_463
; %bb.460:                              ;   in Loop: Header=BB10_452 Depth=1
	v_add_nc_u32_e32 v6, v5, v6
	s_mov_b32 s21, 0
	s_mov_b32 s20, exec_lo
	v_cmpx_gt_u32_e64 s37, v6
; %bb.461:                              ;   in Loop: Header=BB10_452 Depth=1
	v_mul_lo_u32 v7, v6, s14
	v_mov_b32_e32 v8, v1
	v_mul_lo_u32 v9, v6, s13
	s_mov_b32 s21, exec_lo
	v_lshlrev_b64 v[7:8], 3, v[7:8]
	v_add_co_u32 v6, vcc_lo, s15, v7
	v_add_co_ci_u32_e64 v7, null, s16, v8, vcc_lo
	global_store_byte v9, v33, s[6:7]
	global_store_dwordx2 v[6:7], v[0:1], off
; %bb.462:                              ;   in Loop: Header=BB10_452 Depth=1
	s_or_b32 exec_lo, exec_lo, s20
	s_xor_b32 s20, exec_lo, -1
	s_orn2_b32 s21, s21, exec_lo
.LBB10_463:                             ;   in Loop: Header=BB10_452 Depth=1
	s_or_b32 exec_lo, exec_lo, s18
	s_and_saveexec_b32 s18, s21
	s_cbranch_execz .LBB10_450
; %bb.464:                              ;   in Loop: Header=BB10_452 Depth=1
	v_cmp_le_u32_e32 vcc_lo, s12, v3
	v_add_nc_u32_e32 v2, s43, v2
	s_or_b32 s20, s20, exec_lo
	s_orn2_b32 s19, vcc_lo, exec_lo
	s_branch .LBB10_450
.LBB10_465:
	s_or_b32 s10, s10, exec_lo
	s_trap 2
	s_branch .LBB10_429
.LBB10_466:
	s_or_b32 exec_lo, exec_lo, s5
	s_mov_b32 s0, 0
	s_and_saveexec_b32 s1, s17
	s_xor_b32 s1, exec_lo, s1
	s_cbranch_execnz .LBB10_472
.LBB10_467:
	s_or_b32 exec_lo, exec_lo, s1
	s_and_b32 s1, s0, exec_lo
.LBB10_468:
	s_or_b32 exec_lo, exec_lo, s4
	s_and_b32 s5, s1, exec_lo
	s_andn2_b32 s3, s3, exec_lo
	s_or_b32 exec_lo, exec_lo, s2
	s_and_saveexec_b32 s0, s3
	s_xor_b32 s0, exec_lo, s0
	s_cbranch_execz .LBB10_423
.LBB10_469:
	s_or_b32 s5, s5, exec_lo
	s_trap 2
	s_branch .LBB10_423
.LBB10_470:
	s_or_b32 s11, s11, exec_lo
	s_trap 2
	s_branch .LBB10_427
.LBB10_471:
	s_or_b32 s12, s12, exec_lo
	s_trap 2
	s_branch .LBB10_425
.LBB10_472:
	s_mov_b32 s0, exec_lo
	s_trap 2
	s_branch .LBB10_467
	.section	.rodata,"a",@progbits
	.p2align	6, 0x0
	.amdhsa_kernel _ZN2at6native6sbtopk10gatherTopKIhjLi3ELb0EEEvNS_4cuda6detail10TensorInfoIKT_T0_EES8_S8_bS8_S8_NS5_IS6_S8_EES8_NS5_IlS8_EES8_PS6_
		.amdhsa_group_segment_fixed_size 4112
		.amdhsa_private_segment_fixed_size 0
		.amdhsa_kernarg_size 952
		.amdhsa_user_sgpr_count 6
		.amdhsa_user_sgpr_private_segment_buffer 1
		.amdhsa_user_sgpr_dispatch_ptr 0
		.amdhsa_user_sgpr_queue_ptr 0
		.amdhsa_user_sgpr_kernarg_segment_ptr 1
		.amdhsa_user_sgpr_dispatch_id 0
		.amdhsa_user_sgpr_flat_scratch_init 0
		.amdhsa_user_sgpr_private_segment_size 0
		.amdhsa_wavefront_size32 1
		.amdhsa_uses_dynamic_stack 0
		.amdhsa_system_sgpr_private_segment_wavefront_offset 0
		.amdhsa_system_sgpr_workgroup_id_x 1
		.amdhsa_system_sgpr_workgroup_id_y 1
		.amdhsa_system_sgpr_workgroup_id_z 1
		.amdhsa_system_sgpr_workgroup_info 0
		.amdhsa_system_vgpr_workitem_id 0
		.amdhsa_next_free_vgpr 69
		.amdhsa_next_free_sgpr 105
		.amdhsa_reserve_vcc 1
		.amdhsa_reserve_flat_scratch 0
		.amdhsa_float_round_mode_32 0
		.amdhsa_float_round_mode_16_64 0
		.amdhsa_float_denorm_mode_32 3
		.amdhsa_float_denorm_mode_16_64 3
		.amdhsa_dx10_clamp 1
		.amdhsa_ieee_mode 1
		.amdhsa_fp16_overflow 0
		.amdhsa_workgroup_processor_mode 1
		.amdhsa_memory_ordered 1
		.amdhsa_forward_progress 1
		.amdhsa_shared_vgpr_count 0
		.amdhsa_exception_fp_ieee_invalid_op 0
		.amdhsa_exception_fp_denorm_src 0
		.amdhsa_exception_fp_ieee_div_zero 0
		.amdhsa_exception_fp_ieee_overflow 0
		.amdhsa_exception_fp_ieee_underflow 0
		.amdhsa_exception_fp_ieee_inexact 0
		.amdhsa_exception_int_div_zero 0
	.end_amdhsa_kernel
	.section	.text._ZN2at6native6sbtopk10gatherTopKIhjLi3ELb0EEEvNS_4cuda6detail10TensorInfoIKT_T0_EES8_S8_bS8_S8_NS5_IS6_S8_EES8_NS5_IlS8_EES8_PS6_,"axG",@progbits,_ZN2at6native6sbtopk10gatherTopKIhjLi3ELb0EEEvNS_4cuda6detail10TensorInfoIKT_T0_EES8_S8_bS8_S8_NS5_IS6_S8_EES8_NS5_IlS8_EES8_PS6_,comdat
.Lfunc_end10:
	.size	_ZN2at6native6sbtopk10gatherTopKIhjLi3ELb0EEEvNS_4cuda6detail10TensorInfoIKT_T0_EES8_S8_bS8_S8_NS5_IS6_S8_EES8_NS5_IlS8_EES8_PS6_, .Lfunc_end10-_ZN2at6native6sbtopk10gatherTopKIhjLi3ELb0EEEvNS_4cuda6detail10TensorInfoIKT_T0_EES8_S8_bS8_S8_NS5_IS6_S8_EES8_NS5_IlS8_EES8_PS6_
                                        ; -- End function
	.set _ZN2at6native6sbtopk10gatherTopKIhjLi3ELb0EEEvNS_4cuda6detail10TensorInfoIKT_T0_EES8_S8_bS8_S8_NS5_IS6_S8_EES8_NS5_IlS8_EES8_PS6_.num_vgpr, 69
	.set _ZN2at6native6sbtopk10gatherTopKIhjLi3ELb0EEEvNS_4cuda6detail10TensorInfoIKT_T0_EES8_S8_bS8_S8_NS5_IS6_S8_EES8_NS5_IlS8_EES8_PS6_.num_agpr, 0
	.set _ZN2at6native6sbtopk10gatherTopKIhjLi3ELb0EEEvNS_4cuda6detail10TensorInfoIKT_T0_EES8_S8_bS8_S8_NS5_IS6_S8_EES8_NS5_IlS8_EES8_PS6_.numbered_sgpr, 105
	.set _ZN2at6native6sbtopk10gatherTopKIhjLi3ELb0EEEvNS_4cuda6detail10TensorInfoIKT_T0_EES8_S8_bS8_S8_NS5_IS6_S8_EES8_NS5_IlS8_EES8_PS6_.num_named_barrier, 0
	.set _ZN2at6native6sbtopk10gatherTopKIhjLi3ELb0EEEvNS_4cuda6detail10TensorInfoIKT_T0_EES8_S8_bS8_S8_NS5_IS6_S8_EES8_NS5_IlS8_EES8_PS6_.private_seg_size, 0
	.set _ZN2at6native6sbtopk10gatherTopKIhjLi3ELb0EEEvNS_4cuda6detail10TensorInfoIKT_T0_EES8_S8_bS8_S8_NS5_IS6_S8_EES8_NS5_IlS8_EES8_PS6_.uses_vcc, 1
	.set _ZN2at6native6sbtopk10gatherTopKIhjLi3ELb0EEEvNS_4cuda6detail10TensorInfoIKT_T0_EES8_S8_bS8_S8_NS5_IS6_S8_EES8_NS5_IlS8_EES8_PS6_.uses_flat_scratch, 0
	.set _ZN2at6native6sbtopk10gatherTopKIhjLi3ELb0EEEvNS_4cuda6detail10TensorInfoIKT_T0_EES8_S8_bS8_S8_NS5_IS6_S8_EES8_NS5_IlS8_EES8_PS6_.has_dyn_sized_stack, 0
	.set _ZN2at6native6sbtopk10gatherTopKIhjLi3ELb0EEEvNS_4cuda6detail10TensorInfoIKT_T0_EES8_S8_bS8_S8_NS5_IS6_S8_EES8_NS5_IlS8_EES8_PS6_.has_recursion, 0
	.set _ZN2at6native6sbtopk10gatherTopKIhjLi3ELb0EEEvNS_4cuda6detail10TensorInfoIKT_T0_EES8_S8_bS8_S8_NS5_IS6_S8_EES8_NS5_IlS8_EES8_PS6_.has_indirect_call, 0
	.section	.AMDGPU.csdata,"",@progbits
; Kernel info:
; codeLenInByte = 16160
; TotalNumSgprs: 107
; NumVgprs: 69
; ScratchSize: 0
; MemoryBound: 0
; FloatMode: 240
; IeeeMode: 1
; LDSByteSize: 4112 bytes/workgroup (compile time only)
; SGPRBlocks: 0
; VGPRBlocks: 8
; NumSGPRsForWavesPerEU: 107
; NumVGPRsForWavesPerEU: 69
; Occupancy: 12
; WaveLimiterHint : 1
; COMPUTE_PGM_RSRC2:SCRATCH_EN: 0
; COMPUTE_PGM_RSRC2:USER_SGPR: 6
; COMPUTE_PGM_RSRC2:TRAP_HANDLER: 0
; COMPUTE_PGM_RSRC2:TGID_X_EN: 1
; COMPUTE_PGM_RSRC2:TGID_Y_EN: 1
; COMPUTE_PGM_RSRC2:TGID_Z_EN: 1
; COMPUTE_PGM_RSRC2:TIDIG_COMP_CNT: 0
	.section	.text._ZN2at6native6mbtopk23computeBlockDigitCountsIhjjLin1EEEvNS_4cuda6detail10TensorInfoIKT_T0_EEjPjjS8_iijT1_PSB_Ps,"axG",@progbits,_ZN2at6native6mbtopk23computeBlockDigitCountsIhjjLin1EEEvNS_4cuda6detail10TensorInfoIKT_T0_EEjPjjS8_iijT1_PSB_Ps,comdat
	.protected	_ZN2at6native6mbtopk23computeBlockDigitCountsIhjjLin1EEEvNS_4cuda6detail10TensorInfoIKT_T0_EEjPjjS8_iijT1_PSB_Ps ; -- Begin function _ZN2at6native6mbtopk23computeBlockDigitCountsIhjjLin1EEEvNS_4cuda6detail10TensorInfoIKT_T0_EEjPjjS8_iijT1_PSB_Ps
	.globl	_ZN2at6native6mbtopk23computeBlockDigitCountsIhjjLin1EEEvNS_4cuda6detail10TensorInfoIKT_T0_EEjPjjS8_iijT1_PSB_Ps
	.p2align	8
	.type	_ZN2at6native6mbtopk23computeBlockDigitCountsIhjjLin1EEEvNS_4cuda6detail10TensorInfoIKT_T0_EEjPjjS8_iijT1_PSB_Ps,@function
_ZN2at6native6mbtopk23computeBlockDigitCountsIhjjLin1EEEvNS_4cuda6detail10TensorInfoIKT_T0_EEjPjjS8_iijT1_PSB_Ps: ; @_ZN2at6native6mbtopk23computeBlockDigitCountsIhjjLin1EEEvNS_4cuda6detail10TensorInfoIKT_T0_EEjPjjS8_iijT1_PSB_Ps
; %bb.0:
	s_clause 0x2
	s_load_dwordx2 s[10:11], s[4:5], 0xf8
	s_load_dwordx4 s[12:15], s[4:5], 0xe8
	s_load_dwordx2 s[0:1], s[4:5], 0x110
	s_waitcnt lgkmcnt(0)
	v_cvt_f32_u32_e32 v1, s10
	s_sub_i32 s3, 0, s10
	s_mul_i32 s1, s1, s8
	s_add_i32 s1, s1, s7
	v_rcp_iflag_f32_e32 v1, v1
	s_mul_i32 s16, s1, s0
	s_mov_b32 s7, 0
	s_add_i32 s16, s16, s6
	v_mul_f32_e32 v1, 0x4f7ffffe, v1
	v_cvt_u32_f32_e32 v1, v1
	v_readfirstlane_b32 s2, v1
	s_mul_i32 s3, s3, s2
	s_mul_hi_u32 s0, s2, s3
	s_add_i32 s2, s2, s0
	s_mul_hi_u32 s0, s16, s2
	s_mul_i32 s1, s0, s10
	s_add_i32 s2, s0, 1
	s_sub_i32 s1, s16, s1
	s_sub_i32 s3, s1, s10
	s_cmp_ge_u32 s1, s10
	s_cselect_b32 s0, s2, s0
	s_cselect_b32 s1, s3, s1
	s_add_i32 s2, s0, 1
	s_cmp_ge_u32 s1, s10
	s_cselect_b32 s6, s2, s0
	s_cmp_ge_u32 s6, s12
	s_cbranch_scc1 .LBB11_30
; %bb.1:
	s_clause 0x1
	s_load_dwordx4 s[0:3], s[4:5], 0x100
	s_load_dword s8, s[4:5], 0xd0
	s_lshl_b64 s[18:19], s[6:7], 2
	s_mov_b32 s17, s6
	s_waitcnt lgkmcnt(0)
	s_add_u32 s0, s0, s18
	s_addc_u32 s1, s1, s19
	s_cmp_lt_i32 s8, 2
	s_cbranch_scc1 .LBB11_4
; %bb.2:
	s_add_i32 s18, s8, -1
	s_mov_b32 s19, 0
	s_add_i32 s12, s8, 1
	s_lshl_b64 s[20:21], s[18:19], 2
	s_mov_b32 s17, s6
	s_add_u32 s7, s4, s20
	s_addc_u32 s9, s5, s21
	s_add_u32 s8, s7, 8
	s_addc_u32 s9, s9, 0
	s_mov_b32 s7, s19
	s_inst_prefetch 0x1
	.p2align	6
.LBB11_3:                               ; =>This Inner Loop Header: Depth=1
	s_clause 0x1
	s_load_dword s18, s[8:9], 0x0
	s_load_dword s19, s[8:9], 0x64
	s_mov_b32 s22, s17
	s_waitcnt lgkmcnt(0)
	v_cvt_f32_u32_e32 v1, s18
	s_sub_i32 s21, 0, s18
	v_rcp_iflag_f32_e32 v1, v1
	v_mul_f32_e32 v1, 0x4f7ffffe, v1
	v_cvt_u32_f32_e32 v1, v1
	v_readfirstlane_b32 s20, v1
	s_mul_i32 s21, s21, s20
	s_mul_hi_u32 s21, s20, s21
	s_add_i32 s20, s20, s21
	s_mul_hi_u32 s17, s17, s20
	s_mul_i32 s20, s17, s18
	s_add_i32 s21, s17, 1
	s_sub_i32 s20, s22, s20
	s_sub_i32 s23, s20, s18
	s_cmp_ge_u32 s20, s18
	s_cselect_b32 s17, s21, s17
	s_cselect_b32 s20, s23, s20
	s_add_i32 s21, s17, 1
	s_cmp_ge_u32 s20, s18
	s_cselect_b32 s17, s21, s17
	s_add_i32 s12, s12, -1
	s_mul_i32 s18, s17, s18
	s_sub_i32 s18, s22, s18
	s_mul_i32 s18, s19, s18
	s_add_i32 s7, s18, s7
	s_add_u32 s8, s8, -4
	s_addc_u32 s9, s9, -1
	s_cmp_gt_u32 s12, 2
	s_cbranch_scc1 .LBB11_3
.LBB11_4:
	s_inst_prefetch 0x2
	s_load_dword s1, s[0:1], 0x0
	v_cmp_gt_u32_e32 vcc_lo, 0x100, v0
	v_lshlrev_b32_e32 v1, 2, v0
	s_and_saveexec_b32 s0, vcc_lo
; %bb.5:
	v_mov_b32_e32 v2, 0
	ds_write_b32 v1, v2
; %bb.6:
	s_or_b32 exec_lo, exec_lo, s0
	s_load_dword s8, s[4:5], 0xd8
	s_mul_i32 s0, s6, s10
	s_mov_b32 s12, 0
	s_sub_i32 s0, s16, s0
	s_waitcnt lgkmcnt(0)
	s_mul_i32 s6, s15, s0
	s_add_i32 s0, s0, 1
	s_lshl_b32 s9, s6, 8
	s_barrier
	buffer_gl0_inv
	s_sub_i32 s6, s8, s9
	s_add_u32 s18, s6, 0xff
	s_addc_u32 s19, 0, 0
	s_lshr_b64 s[18:19], s[18:19], 8
	s_cmp_lt_u32 s0, s10
	s_cselect_b32 s10, s15, s18
	s_cmp_lt_i32 s10, 1
	s_cbranch_scc1 .LBB11_28
; %bb.7:
	s_clause 0x1
	s_load_dword s0, s[4:5], 0x6c
	s_load_dwordx2 s[4:5], s[4:5], 0x0
	s_waitcnt lgkmcnt(0)
	s_mul_i32 s0, s0, s17
	s_add_i32 s0, s0, s7
	s_add_u32 s4, s4, s0
	s_addc_u32 s5, s5, 0
	s_and_b32 s6, s14, 0xff
	s_cmp_lt_u32 s10, 4
	s_cbranch_scc1 .LBB11_22
; %bb.8:
	v_add_nc_u32_e32 v6, s9, v0
	v_mov_b32_e32 v7, 1
	s_and_b32 s12, s10, 0x7ffffffc
	s_lshl_b32 s7, s13, 10
	s_mov_b32 s14, 0
	v_add_nc_u32_e32 v2, 0x300, v6
	v_add_nc_u32_e32 v4, 0x200, v6
	;; [unrolled: 1-line block ×3, first 2 shown]
	v_mul_lo_u32 v6, s13, v6
	s_mov_b32 s15, 0
	v_mul_lo_u32 v3, s13, v2
	v_mul_lo_u32 v4, s13, v4
	;; [unrolled: 1-line block ×3, first 2 shown]
	s_branch .LBB11_10
.LBB11_9:                               ;   in Loop: Header=BB11_10 Depth=1
	s_or_b32 exec_lo, exec_lo, s17
	v_add_nc_u32_e32 v2, 0x400, v2
	s_add_i32 s15, s15, 4
	s_add_i32 s14, s14, s7
	s_cmp_eq_u32 s12, s15
	s_cbranch_scc1 .LBB11_22
.LBB11_10:                              ; =>This Inner Loop Header: Depth=1
	v_add_nc_u32_e32 v8, 0xfffffd00, v2
	s_mov_b32 s17, exec_lo
	v_cmpx_gt_u32_e64 s8, v8
	s_cbranch_execz .LBB11_13
; %bb.11:                               ;   in Loop: Header=BB11_10 Depth=1
	v_add_nc_u32_e32 v8, s14, v6
	global_load_ubyte v8, v8, s[4:5]
	s_waitcnt vmcnt(0)
	v_xor_b32_e32 v9, s1, v8
	v_and_b32_e32 v9, s11, v9
	v_cmp_eq_u32_e64 s0, 0, v9
	s_and_b32 exec_lo, exec_lo, s0
; %bb.12:                               ;   in Loop: Header=BB11_10 Depth=1
	v_lshrrev_b32_e32 v8, s6, v8
	v_lshlrev_b32_e32 v8, 2, v8
	ds_add_u32 v8, v7
.LBB11_13:                              ;   in Loop: Header=BB11_10 Depth=1
	s_or_b32 exec_lo, exec_lo, s17
	v_add_nc_u32_e32 v8, 0xfffffe00, v2
	s_mov_b32 s17, exec_lo
	v_cmpx_gt_u32_e64 s8, v8
	s_cbranch_execz .LBB11_16
; %bb.14:                               ;   in Loop: Header=BB11_10 Depth=1
	v_add_nc_u32_e32 v8, s14, v5
	global_load_ubyte v8, v8, s[4:5]
	s_waitcnt vmcnt(0)
	v_xor_b32_e32 v9, s1, v8
	v_and_b32_e32 v9, s11, v9
	v_cmp_eq_u32_e64 s0, 0, v9
	s_and_b32 exec_lo, exec_lo, s0
; %bb.15:                               ;   in Loop: Header=BB11_10 Depth=1
	v_lshrrev_b32_e32 v8, s6, v8
	v_lshlrev_b32_e32 v8, 2, v8
	ds_add_u32 v8, v7
.LBB11_16:                              ;   in Loop: Header=BB11_10 Depth=1
	s_or_b32 exec_lo, exec_lo, s17
	;; [unrolled: 18-line block ×3, first 2 shown]
	s_mov_b32 s17, exec_lo
	v_cmpx_gt_u32_e64 s8, v2
	s_cbranch_execz .LBB11_9
; %bb.20:                               ;   in Loop: Header=BB11_10 Depth=1
	v_add_nc_u32_e32 v8, s14, v3
	global_load_ubyte v8, v8, s[4:5]
	s_waitcnt vmcnt(0)
	v_xor_b32_e32 v9, s1, v8
	v_and_b32_e32 v9, s11, v9
	v_cmp_eq_u32_e64 s0, 0, v9
	s_and_b32 exec_lo, exec_lo, s0
	s_cbranch_execz .LBB11_9
; %bb.21:                               ;   in Loop: Header=BB11_10 Depth=1
	v_lshrrev_b32_e32 v8, s6, v8
	v_lshlrev_b32_e32 v8, 2, v8
	ds_add_u32 v8, v7
	s_branch .LBB11_9
.LBB11_22:
	s_and_b32 s7, s10, 3
	s_cmp_eq_u32 s7, 0
	s_cbranch_scc1 .LBB11_28
; %bb.23:
	s_lshl_b32 s0, s12, 8
	v_mov_b32_e32 v4, 1
	v_add3_u32 v2, s0, s9, v0
	s_lshl_b32 s9, s13, 8
	v_mul_lo_u32 v3, s13, v2
	s_branch .LBB11_25
	.p2align	6
.LBB11_24:                              ;   in Loop: Header=BB11_25 Depth=1
	s_or_b32 exec_lo, exec_lo, s10
	v_add_nc_u32_e32 v3, s9, v3
	v_add_nc_u32_e32 v2, 0x100, v2
	s_add_i32 s7, s7, -1
	s_cmp_lg_u32 s7, 0
	s_cbranch_scc0 .LBB11_28
.LBB11_25:                              ; =>This Inner Loop Header: Depth=1
	s_mov_b32 s10, exec_lo
	v_cmpx_gt_u32_e64 s8, v2
	s_cbranch_execz .LBB11_24
; %bb.26:                               ;   in Loop: Header=BB11_25 Depth=1
	global_load_ubyte v5, v3, s[4:5]
	s_waitcnt vmcnt(0)
	v_xor_b32_e32 v6, s1, v5
	v_and_b32_e32 v6, s11, v6
	v_cmp_eq_u32_e64 s0, 0, v6
	s_and_b32 exec_lo, exec_lo, s0
	s_cbranch_execz .LBB11_24
; %bb.27:                               ;   in Loop: Header=BB11_25 Depth=1
	v_lshrrev_b32_e32 v5, s6, v5
	v_lshlrev_b32_e32 v5, 2, v5
	ds_add_u32 v5, v4
	s_branch .LBB11_24
.LBB11_28:
	s_waitcnt lgkmcnt(0)
	s_barrier
	buffer_gl0_inv
	s_and_saveexec_b32 s0, vcc_lo
	s_cbranch_execz .LBB11_30
; %bb.29:
	ds_read_b32 v2, v1
	v_lshl_or_b32 v0, s16, 8, v0
	v_mov_b32_e32 v1, 0
	v_lshlrev_b64 v[0:1], 1, v[0:1]
	v_add_co_u32 v0, vcc_lo, s2, v0
	v_add_co_ci_u32_e64 v1, null, s3, v1, vcc_lo
	s_waitcnt lgkmcnt(0)
	global_store_short v[0:1], v2, off
.LBB11_30:
	s_endpgm
	.section	.rodata,"a",@progbits
	.p2align	6, 0x0
	.amdhsa_kernel _ZN2at6native6mbtopk23computeBlockDigitCountsIhjjLin1EEEvNS_4cuda6detail10TensorInfoIKT_T0_EEjPjjS8_iijT1_PSB_Ps
		.amdhsa_group_segment_fixed_size 1024
		.amdhsa_private_segment_fixed_size 0
		.amdhsa_kernarg_size 528
		.amdhsa_user_sgpr_count 6
		.amdhsa_user_sgpr_private_segment_buffer 1
		.amdhsa_user_sgpr_dispatch_ptr 0
		.amdhsa_user_sgpr_queue_ptr 0
		.amdhsa_user_sgpr_kernarg_segment_ptr 1
		.amdhsa_user_sgpr_dispatch_id 0
		.amdhsa_user_sgpr_flat_scratch_init 0
		.amdhsa_user_sgpr_private_segment_size 0
		.amdhsa_wavefront_size32 1
		.amdhsa_uses_dynamic_stack 0
		.amdhsa_system_sgpr_private_segment_wavefront_offset 0
		.amdhsa_system_sgpr_workgroup_id_x 1
		.amdhsa_system_sgpr_workgroup_id_y 1
		.amdhsa_system_sgpr_workgroup_id_z 1
		.amdhsa_system_sgpr_workgroup_info 0
		.amdhsa_system_vgpr_workitem_id 0
		.amdhsa_next_free_vgpr 10
		.amdhsa_next_free_sgpr 24
		.amdhsa_reserve_vcc 1
		.amdhsa_reserve_flat_scratch 0
		.amdhsa_float_round_mode_32 0
		.amdhsa_float_round_mode_16_64 0
		.amdhsa_float_denorm_mode_32 3
		.amdhsa_float_denorm_mode_16_64 3
		.amdhsa_dx10_clamp 1
		.amdhsa_ieee_mode 1
		.amdhsa_fp16_overflow 0
		.amdhsa_workgroup_processor_mode 1
		.amdhsa_memory_ordered 1
		.amdhsa_forward_progress 1
		.amdhsa_shared_vgpr_count 0
		.amdhsa_exception_fp_ieee_invalid_op 0
		.amdhsa_exception_fp_denorm_src 0
		.amdhsa_exception_fp_ieee_div_zero 0
		.amdhsa_exception_fp_ieee_overflow 0
		.amdhsa_exception_fp_ieee_underflow 0
		.amdhsa_exception_fp_ieee_inexact 0
		.amdhsa_exception_int_div_zero 0
	.end_amdhsa_kernel
	.section	.text._ZN2at6native6mbtopk23computeBlockDigitCountsIhjjLin1EEEvNS_4cuda6detail10TensorInfoIKT_T0_EEjPjjS8_iijT1_PSB_Ps,"axG",@progbits,_ZN2at6native6mbtopk23computeBlockDigitCountsIhjjLin1EEEvNS_4cuda6detail10TensorInfoIKT_T0_EEjPjjS8_iijT1_PSB_Ps,comdat
.Lfunc_end11:
	.size	_ZN2at6native6mbtopk23computeBlockDigitCountsIhjjLin1EEEvNS_4cuda6detail10TensorInfoIKT_T0_EEjPjjS8_iijT1_PSB_Ps, .Lfunc_end11-_ZN2at6native6mbtopk23computeBlockDigitCountsIhjjLin1EEEvNS_4cuda6detail10TensorInfoIKT_T0_EEjPjjS8_iijT1_PSB_Ps
                                        ; -- End function
	.set _ZN2at6native6mbtopk23computeBlockDigitCountsIhjjLin1EEEvNS_4cuda6detail10TensorInfoIKT_T0_EEjPjjS8_iijT1_PSB_Ps.num_vgpr, 10
	.set _ZN2at6native6mbtopk23computeBlockDigitCountsIhjjLin1EEEvNS_4cuda6detail10TensorInfoIKT_T0_EEjPjjS8_iijT1_PSB_Ps.num_agpr, 0
	.set _ZN2at6native6mbtopk23computeBlockDigitCountsIhjjLin1EEEvNS_4cuda6detail10TensorInfoIKT_T0_EEjPjjS8_iijT1_PSB_Ps.numbered_sgpr, 24
	.set _ZN2at6native6mbtopk23computeBlockDigitCountsIhjjLin1EEEvNS_4cuda6detail10TensorInfoIKT_T0_EEjPjjS8_iijT1_PSB_Ps.num_named_barrier, 0
	.set _ZN2at6native6mbtopk23computeBlockDigitCountsIhjjLin1EEEvNS_4cuda6detail10TensorInfoIKT_T0_EEjPjjS8_iijT1_PSB_Ps.private_seg_size, 0
	.set _ZN2at6native6mbtopk23computeBlockDigitCountsIhjjLin1EEEvNS_4cuda6detail10TensorInfoIKT_T0_EEjPjjS8_iijT1_PSB_Ps.uses_vcc, 1
	.set _ZN2at6native6mbtopk23computeBlockDigitCountsIhjjLin1EEEvNS_4cuda6detail10TensorInfoIKT_T0_EEjPjjS8_iijT1_PSB_Ps.uses_flat_scratch, 0
	.set _ZN2at6native6mbtopk23computeBlockDigitCountsIhjjLin1EEEvNS_4cuda6detail10TensorInfoIKT_T0_EEjPjjS8_iijT1_PSB_Ps.has_dyn_sized_stack, 0
	.set _ZN2at6native6mbtopk23computeBlockDigitCountsIhjjLin1EEEvNS_4cuda6detail10TensorInfoIKT_T0_EEjPjjS8_iijT1_PSB_Ps.has_recursion, 0
	.set _ZN2at6native6mbtopk23computeBlockDigitCountsIhjjLin1EEEvNS_4cuda6detail10TensorInfoIKT_T0_EEjPjjS8_iijT1_PSB_Ps.has_indirect_call, 0
	.section	.AMDGPU.csdata,"",@progbits
; Kernel info:
; codeLenInByte = 1272
; TotalNumSgprs: 26
; NumVgprs: 10
; ScratchSize: 0
; MemoryBound: 0
; FloatMode: 240
; IeeeMode: 1
; LDSByteSize: 1024 bytes/workgroup (compile time only)
; SGPRBlocks: 0
; VGPRBlocks: 1
; NumSGPRsForWavesPerEU: 26
; NumVGPRsForWavesPerEU: 10
; Occupancy: 16
; WaveLimiterHint : 1
; COMPUTE_PGM_RSRC2:SCRATCH_EN: 0
; COMPUTE_PGM_RSRC2:USER_SGPR: 6
; COMPUTE_PGM_RSRC2:TRAP_HANDLER: 0
; COMPUTE_PGM_RSRC2:TGID_X_EN: 1
; COMPUTE_PGM_RSRC2:TGID_Y_EN: 1
; COMPUTE_PGM_RSRC2:TGID_Z_EN: 1
; COMPUTE_PGM_RSRC2:TIDIG_COMP_CNT: 0
	.section	.text._ZN2at6native6mbtopk10gatherTopKIhjLin1EEEvNS_4cuda6detail10TensorInfoIKT_T0_EES8_S8_bjS8_NS5_IS6_S8_EES8_NS5_IlS8_EES8_jjPS6_PjSD_j,"axG",@progbits,_ZN2at6native6mbtopk10gatherTopKIhjLin1EEEvNS_4cuda6detail10TensorInfoIKT_T0_EES8_S8_bjS8_NS5_IS6_S8_EES8_NS5_IlS8_EES8_jjPS6_PjSD_j,comdat
	.protected	_ZN2at6native6mbtopk10gatherTopKIhjLin1EEEvNS_4cuda6detail10TensorInfoIKT_T0_EES8_S8_bjS8_NS5_IS6_S8_EES8_NS5_IlS8_EES8_jjPS6_PjSD_j ; -- Begin function _ZN2at6native6mbtopk10gatherTopKIhjLin1EEEvNS_4cuda6detail10TensorInfoIKT_T0_EES8_S8_bjS8_NS5_IS6_S8_EES8_NS5_IlS8_EES8_jjPS6_PjSD_j
	.globl	_ZN2at6native6mbtopk10gatherTopKIhjLin1EEEvNS_4cuda6detail10TensorInfoIKT_T0_EES8_S8_bjS8_NS5_IS6_S8_EES8_NS5_IlS8_EES8_jjPS6_PjSD_j
	.p2align	8
	.type	_ZN2at6native6mbtopk10gatherTopKIhjLin1EEEvNS_4cuda6detail10TensorInfoIKT_T0_EES8_S8_bjS8_NS5_IS6_S8_EES8_NS5_IlS8_EES8_jjPS6_PjSD_j,@function
_ZN2at6native6mbtopk10gatherTopKIhjLin1EEEvNS_4cuda6detail10TensorInfoIKT_T0_EES8_S8_bjS8_NS5_IS6_S8_EES8_NS5_IlS8_EES8_jjPS6_PjSD_j: ; @_ZN2at6native6mbtopk10gatherTopKIhjLin1EEEvNS_4cuda6detail10TensorInfoIKT_T0_EES8_S8_bjS8_NS5_IS6_S8_EES8_NS5_IlS8_EES8_jjPS6_PjSD_j
; %bb.0:
	s_clause 0x1
	s_load_dwordx2 s[0:1], s[4:5], 0x2d8
	s_load_dword s2, s[4:5], 0x2d0
	s_waitcnt lgkmcnt(0)
	s_mul_i32 s1, s1, s8
	s_add_i32 s1, s1, s7
	s_mul_i32 s12, s1, s0
	s_add_i32 s12, s12, s6
	s_cmp_ge_u32 s12, s2
	s_cbranch_scc1 .LBB12_49
; %bb.1:
	s_clause 0x1
	s_load_dwordx4 s[8:11], s[4:5], 0x2a8
	s_load_dword s0, s[4:5], 0xd0
	s_mov_b32 s7, 0
	s_waitcnt lgkmcnt(0)
	v_cvt_f32_u32_e32 v1, s10
	s_sub_i32 s2, 0, s10
	v_rcp_iflag_f32_e32 v1, v1
	v_mul_f32_e32 v1, 0x4f7ffffe, v1
	v_cvt_u32_f32_e32 v1, v1
	v_readfirstlane_b32 s1, v1
	s_mul_i32 s2, s2, s1
	s_mul_hi_u32 s2, s1, s2
	s_add_i32 s1, s1, s2
	s_mul_hi_u32 s1, s12, s1
	s_mul_i32 s2, s1, s10
	s_add_i32 s3, s1, 1
	s_sub_i32 s2, s12, s2
	s_sub_i32 s6, s2, s10
	s_cmp_ge_u32 s2, s10
	s_cselect_b32 s1, s3, s1
	s_cselect_b32 s2, s6, s2
	s_add_i32 s3, s1, 1
	s_cmp_ge_u32 s2, s10
	s_cselect_b32 s13, s3, s1
	s_cmp_lt_i32 s0, 2
	s_mov_b32 s6, s13
	s_cbranch_scc1 .LBB12_4
; %bb.2:
	s_add_i32 s6, s0, -1
	s_add_i32 s2, s0, 1
	s_lshl_b64 s[14:15], s[6:7], 2
	s_mov_b32 s6, s13
	s_add_u32 s0, s4, s14
	s_addc_u32 s1, s5, s15
	s_add_u32 s0, s0, 8
	s_addc_u32 s1, s1, 0
	s_inst_prefetch 0x1
	.p2align	6
.LBB12_3:                               ; =>This Inner Loop Header: Depth=1
	s_clause 0x1
	s_load_dword s3, s[0:1], 0x0
	s_load_dword s11, s[0:1], 0x64
	s_mov_b32 s16, s6
	s_waitcnt lgkmcnt(0)
	v_cvt_f32_u32_e32 v1, s3
	s_sub_i32 s15, 0, s3
	v_rcp_iflag_f32_e32 v1, v1
	v_mul_f32_e32 v1, 0x4f7ffffe, v1
	v_cvt_u32_f32_e32 v1, v1
	v_readfirstlane_b32 s14, v1
	s_mul_i32 s15, s15, s14
	s_mul_hi_u32 s15, s14, s15
	s_add_i32 s14, s14, s15
	s_mul_hi_u32 s6, s6, s14
	s_mul_i32 s14, s6, s3
	s_add_i32 s15, s6, 1
	s_sub_i32 s14, s16, s14
	s_sub_i32 s17, s14, s3
	s_cmp_ge_u32 s14, s3
	s_cselect_b32 s6, s15, s6
	s_cselect_b32 s14, s17, s14
	s_add_i32 s15, s6, 1
	s_cmp_ge_u32 s14, s3
	s_cselect_b32 s6, s15, s6
	s_add_i32 s2, s2, -1
	s_mul_i32 s3, s6, s3
	s_sub_i32 s3, s16, s3
	s_mul_i32 s3, s11, s3
	s_add_i32 s7, s3, s7
	s_add_u32 s0, s0, -4
	s_addc_u32 s1, s1, -1
	s_cmp_gt_u32 s2, 2
	s_cbranch_scc1 .LBB12_3
.LBB12_4:
	s_inst_prefetch 0x2
	s_load_dword s2, s[4:5], 0x1c0
	s_add_u32 s0, s4, 0xf0
	s_addc_u32 s1, s5, 0
	s_mov_b32 s17, 0
	s_mov_b32 s11, s13
	s_waitcnt lgkmcnt(0)
	s_cmp_lt_i32 s2, 2
	s_cbranch_scc1 .LBB12_7
; %bb.5:
	s_add_i32 s16, s2, -1
	s_add_i32 s14, s2, 1
	s_lshl_b64 s[18:19], s[16:17], 2
	s_mov_b32 s11, s13
	s_add_u32 s2, s0, s18
	s_addc_u32 s3, s1, s19
	s_add_u32 s2, s2, 8
	s_addc_u32 s3, s3, 0
	s_inst_prefetch 0x1
	.p2align	6
.LBB12_6:                               ; =>This Inner Loop Header: Depth=1
	s_clause 0x1
	s_load_dword s15, s[2:3], 0x0
	s_load_dword s16, s[2:3], 0x64
	s_mov_b32 s20, s11
	s_waitcnt lgkmcnt(0)
	v_cvt_f32_u32_e32 v1, s15
	s_sub_i32 s19, 0, s15
	v_rcp_iflag_f32_e32 v1, v1
	v_mul_f32_e32 v1, 0x4f7ffffe, v1
	v_cvt_u32_f32_e32 v1, v1
	v_readfirstlane_b32 s18, v1
	s_mul_i32 s19, s19, s18
	s_mul_hi_u32 s19, s18, s19
	s_add_i32 s18, s18, s19
	s_mul_hi_u32 s11, s11, s18
	s_mul_i32 s18, s11, s15
	s_add_i32 s19, s11, 1
	s_sub_i32 s18, s20, s18
	s_sub_i32 s21, s18, s15
	s_cmp_ge_u32 s18, s15
	s_cselect_b32 s11, s19, s11
	s_cselect_b32 s18, s21, s18
	s_add_i32 s19, s11, 1
	s_cmp_ge_u32 s18, s15
	s_cselect_b32 s11, s19, s11
	s_add_i32 s14, s14, -1
	s_mul_i32 s15, s11, s15
	s_sub_i32 s15, s20, s15
	s_mul_i32 s15, s16, s15
	s_add_i32 s17, s15, s17
	s_add_u32 s2, s2, -4
	s_addc_u32 s3, s3, -1
	s_cmp_gt_u32 s14, 2
	s_cbranch_scc1 .LBB12_6
.LBB12_7:
	s_inst_prefetch 0x2
	s_clause 0x1
	s_load_dword s16, s[4:5], 0x6c
	s_load_dword s2, s[4:5], 0x2a0
	s_add_u32 s3, s4, 0x1d0
	s_addc_u32 s15, s5, 0
	s_mov_b32 s19, 0
	s_mov_b32 s18, s13
	s_waitcnt lgkmcnt(0)
	s_cmp_lt_i32 s2, 2
	s_cbranch_scc1 .LBB12_10
; %bb.8:
	s_add_i32 s18, s2, -1
	s_add_i32 s14, s2, 1
	s_lshl_b64 s[20:21], s[18:19], 2
	s_mov_b32 s18, s13
	s_add_u32 s2, s3, s20
	s_addc_u32 s3, s15, s21
	s_add_u32 s2, s2, 8
	s_addc_u32 s3, s3, 0
	s_inst_prefetch 0x1
	.p2align	6
.LBB12_9:                               ; =>This Inner Loop Header: Depth=1
	s_clause 0x1
	s_load_dword s15, s[2:3], 0x0
	s_load_dword s20, s[2:3], 0x64
	s_mov_b32 s23, s18
	s_waitcnt lgkmcnt(0)
	v_cvt_f32_u32_e32 v1, s15
	s_sub_i32 s22, 0, s15
	v_rcp_iflag_f32_e32 v1, v1
	v_mul_f32_e32 v1, 0x4f7ffffe, v1
	v_cvt_u32_f32_e32 v1, v1
	v_readfirstlane_b32 s21, v1
	s_mul_i32 s22, s22, s21
	s_mul_hi_u32 s22, s21, s22
	s_add_i32 s21, s21, s22
	s_mul_hi_u32 s18, s18, s21
	s_mul_i32 s21, s18, s15
	s_add_i32 s22, s18, 1
	s_sub_i32 s21, s23, s21
	s_sub_i32 s24, s21, s15
	s_cmp_ge_u32 s21, s15
	s_cselect_b32 s18, s22, s18
	s_cselect_b32 s21, s24, s21
	s_add_i32 s22, s18, 1
	s_cmp_ge_u32 s21, s15
	s_cselect_b32 s18, s22, s18
	s_add_i32 s14, s14, -1
	s_mul_i32 s15, s18, s15
	s_sub_i32 s15, s23, s15
	s_mul_i32 s15, s20, s15
	s_add_i32 s19, s15, s19
	s_add_u32 s2, s2, -4
	s_addc_u32 s3, s3, -1
	s_cmp_gt_u32 s14, 2
	s_cbranch_scc1 .LBB12_9
.LBB12_10:
	s_inst_prefetch 0x2
	s_clause 0x1
	s_load_dword s33, s[0:1], 0x6c
	s_load_dwordx4 s[0:3], s[4:5], 0x2b8
	v_mov_b32_e32 v1, s13
	s_mul_i32 s26, s13, s10
	s_mov_b32 s27, 0
	s_sub_i32 s36, s12, s26
	s_waitcnt lgkmcnt(0)
	global_load_ubyte v6, v1, s[0:1]
	s_clause 0x2
	s_load_dwordx2 s[24:25], s[4:5], 0x0
	s_load_dwordx2 s[22:23], s[4:5], 0xf0
	;; [unrolled: 1-line block ×3, first 2 shown]
	v_cmp_ne_u32_e64 s0, 0, v0
	v_cmp_eq_u32_e64 s1, 0, v0
	s_and_saveexec_b32 s37, s1
	s_cbranch_execz .LBB12_26
; %bb.11:
	s_load_dwordx2 s[28:29], s[4:5], 0x2c8
	s_lshl_b64 s[30:31], s[26:27], 2
	s_mov_b32 s26, 0
	s_add_u32 s12, s2, s30
	s_addc_u32 s13, s3, s31
	s_mov_b32 s38, 0
	s_waitcnt lgkmcnt(0)
	s_add_u32 s14, s28, s30
	s_addc_u32 s15, s29, s31
	s_cmp_lt_u32 s10, 4
	s_cbranch_scc1 .LBB12_23
; %bb.12:
	s_mov_b32 s39, 0
.LBB12_13:                              ; =>This Inner Loop Header: Depth=1
	s_add_u32 s12, s2, s30
	s_addc_u32 s13, s3, s31
	s_add_u32 s34, s28, s30
	s_load_dwordx4 s[12:15], s[12:13], 0x0
	s_addc_u32 s35, s29, s31
	s_cmp_ge_u32 s39, s36
	s_cbranch_scc0 .LBB12_20
; %bb.14:                               ;   in Loop: Header=BB12_13 Depth=1
	s_add_i32 s40, s39, 1
	s_cmp_ge_u32 s40, s36
	s_cbranch_scc0 .LBB12_21
.LBB12_15:                              ;   in Loop: Header=BB12_13 Depth=1
	s_add_i32 s40, s40, 1
	s_cmp_ge_u32 s40, s36
	s_cbranch_scc0 .LBB12_22
.LBB12_16:                              ;   in Loop: Header=BB12_13 Depth=1
	s_add_i32 s40, s40, 1
	s_cmp_ge_u32 s40, s36
	s_cbranch_scc1 .LBB12_18
.LBB12_17:                              ;   in Loop: Header=BB12_13 Depth=1
	s_load_dword s34, s[34:35], 0xc
	s_waitcnt lgkmcnt(0)
	s_add_i32 s27, s27, s15
	s_add_i32 s26, s34, s26
.LBB12_18:                              ;   in Loop: Header=BB12_13 Depth=1
	s_waitcnt lgkmcnt(0)
	s_add_i32 s12, s12, s38
	s_add_i32 s12, s12, s13
	;; [unrolled: 1-line block ×4, first 2 shown]
	s_add_u32 s2, s2, 16
	s_addc_u32 s3, s3, 0
	s_add_u32 s28, s28, 16
	s_addc_u32 s29, s29, 0
	s_add_i32 s35, s40, 4
	s_add_u32 s14, s28, s30
	s_addc_u32 s15, s29, s31
	s_add_u32 s12, s2, s30
	s_addc_u32 s13, s3, s31
	s_add_i32 s34, s40, 1
	s_cmp_ge_u32 s35, s10
	s_cbranch_scc1 .LBB12_24
; %bb.19:                               ;   in Loop: Header=BB12_13 Depth=1
	s_mov_b32 s39, s34
	s_branch .LBB12_13
.LBB12_20:                              ;   in Loop: Header=BB12_13 Depth=1
	s_load_dword s40, s[34:35], 0x0
	s_waitcnt lgkmcnt(0)
	s_add_i32 s27, s12, s27
	s_add_i32 s26, s40, s26
	s_add_i32 s40, s39, 1
	s_cmp_ge_u32 s40, s36
	s_cbranch_scc1 .LBB12_15
.LBB12_21:                              ;   in Loop: Header=BB12_13 Depth=1
	s_load_dword s41, s[34:35], 0x4
	s_waitcnt lgkmcnt(0)
	s_add_i32 s27, s27, s13
	s_add_i32 s26, s41, s26
	;; [unrolled: 1-line block ×3, first 2 shown]
	s_cmp_ge_u32 s40, s36
	s_cbranch_scc1 .LBB12_16
.LBB12_22:                              ;   in Loop: Header=BB12_13 Depth=1
	s_load_dword s41, s[34:35], 0x8
	s_waitcnt lgkmcnt(0)
	s_add_i32 s27, s27, s14
	s_add_i32 s26, s41, s26
	;; [unrolled: 1-line block ×3, first 2 shown]
	s_cmp_ge_u32 s40, s36
	s_cbranch_scc0 .LBB12_17
	s_branch .LBB12_18
.LBB12_23:
	s_mov_b32 s2, 0
	s_cmp_ge_u32 s2, s10
	s_cbranch_scc0 .LBB12_47
	s_branch .LBB12_25
.LBB12_24:
	s_add_i32 s2, s39, 4
	s_cmp_ge_u32 s2, s10
	s_cbranch_scc0 .LBB12_47
.LBB12_25:
	v_mov_b32_e32 v1, s26
	v_mov_b32_e32 v2, s38
	;; [unrolled: 1-line block ×4, first 2 shown]
	ds_write_b96 v4, v[1:3] offset:1056
.LBB12_26:
	s_or_b32 exec_lo, exec_lo, s37
	s_clause 0x1
	s_load_dword s2, s[4:5], 0x23c
	s_load_dwordx4 s[12:15], s[4:5], 0xd8
	s_mul_i32 s3, s9, s36
	s_add_i32 s36, s36, 1
	s_lshl_b32 s26, s3, 8
	s_waitcnt vmcnt(0) lgkmcnt(0)
	s_barrier
	buffer_gl0_inv
	s_sub_i32 s3, s12, s26
	s_add_u32 s28, s3, 0xff
	s_addc_u32 s29, 0, 0
	s_mov_b32 s3, 0
	s_lshr_b64 s[28:29], s[28:29], 8
	s_cmp_lt_u32 s36, s10
	s_cselect_b32 s9, s9, s28
	s_cmp_eq_u32 s9, 0
	s_cbranch_scc1 .LBB12_49
; %bb.27:
	v_mov_b32_e32 v5, 0
	s_mul_i32 s6, s16, s6
	v_lshrrev_b32_e32 v4, 3, v0
	v_add_nc_u32_e32 v8, -1, v0
	s_mul_i32 s11, s33, s11
	ds_read_b96 v[1:3], v5 offset:1056
	s_clause 0x1
	s_load_dword s16, s[4:5], 0xe8
	s_load_dword s10, s[4:5], 0x1c8
	v_and_b32_e32 v4, 28, v4
	v_lshrrev_b32_e32 v9, 3, v8
	s_mul_i32 s2, s2, s18
	s_add_i32 s6, s6, s7
	s_add_i32 s11, s11, s17
	s_add_i32 s2, s2, s19
	s_add_u32 s4, s24, s6
	v_lshl_add_u32 v7, v0, 2, v4
	v_and_b32_e32 v9, 0x1ffffffc, v9
	v_add_nc_u32_e32 v4, s26, v0
	s_addc_u32 s5, s25, 0
	s_add_u32 s6, s22, s11
	s_addc_u32 s7, s23, 0
	s_lshl_b64 s[2:3], s[2:3], 3
	v_and_b32_e32 v10, 0xfc, v0
	v_lshlrev_b32_e32 v11, 5, v0
	s_add_u32 s11, s20, s2
	v_cmp_gt_u32_e64 s2, 32, v0
	s_waitcnt lgkmcnt(0)
	v_add_nc_u32_e32 v1, v1, v2
	v_mbcnt_lo_u32_b32 v2, -1, 0
	v_lshl_add_u32 v0, v8, 2, v9
	v_mul_lo_u32 v8, s16, v4
	s_addc_u32 s15, s21, s3
	v_add_nc_u32_e32 v9, v10, v11
	v_and_b32_e32 v10, 15, v2
	v_bfe_i32 v11, v2, 4, 1
	v_add_nc_u32_e32 v12, -1, v2
	s_bitcmp1_b32 s14, 0
                                        ; implicit-def: $vgpr13
	s_cselect_b32 s3, -1, 0
	s_lshl_b32 s14, s16, 8
	s_branch .LBB12_30
.LBB12_28:                              ;   in Loop: Header=BB12_30 Depth=1
	s_or_b32 exec_lo, exec_lo, s16
	v_add_nc_u32_e32 v1, v16, v1
.LBB12_29:                              ;   in Loop: Header=BB12_30 Depth=1
	v_add_nc_u32_e32 v3, v15, v3
	v_add_nc_u32_e32 v8, s14, v8
	;; [unrolled: 1-line block ×3, first 2 shown]
	s_add_i32 s9, s9, -1
	s_cmp_lg_u32 s9, 0
	s_cbranch_scc0 .LBB12_49
.LBB12_30:                              ; =>This Inner Loop Header: Depth=1
	v_mov_b32_e32 v16, 0
	v_mov_b32_e32 v14, 0
	s_mov_b32 s16, exec_lo
	v_cmpx_gt_u32_e64 s12, v4
	s_cbranch_execz .LBB12_32
; %bb.31:                               ;   in Loop: Header=BB12_30 Depth=1
	global_load_ubyte v13, v8, s[4:5]
	s_waitcnt vmcnt(0)
	v_cmp_gt_u16_sdwa s17, v13, v6 src0_sel:DWORD src1_sel:BYTE_0
	v_cndmask_b32_e64 v14, 0, 1, s17
	v_cmp_lt_u16_sdwa s17, v13, v6 src0_sel:DWORD src1_sel:BYTE_0
	v_cndmask_b32_e64 v15, 0, 1, s17
	v_cmp_eq_u16_sdwa s17, v13, v6 src0_sel:DWORD src1_sel:BYTE_0
	v_cndmask_b32_e64 v14, v15, v14, s3
	v_and_b32_e32 v16, 1, v14
	v_cndmask_b32_e64 v14, 0, 1, s17
.LBB12_32:                              ;   in Loop: Header=BB12_30 Depth=1
	s_or_b32 exec_lo, exec_lo, s16
	ds_write_b32 v7, v16
	s_waitcnt lgkmcnt(0)
	s_barrier
	buffer_gl0_inv
	s_and_saveexec_b32 s16, s2
	s_cbranch_execz .LBB12_34
; %bb.33:                               ;   in Loop: Header=BB12_30 Depth=1
	ds_read2_b32 v[17:18], v9 offset1:1
	ds_read2_b32 v[19:20], v9 offset0:2 offset1:3
	ds_read2_b32 v[21:22], v9 offset0:4 offset1:5
	;; [unrolled: 1-line block ×3, first 2 shown]
	v_cmp_ne_u32_e32 vcc_lo, 0, v10
	; wave barrier
	s_waitcnt lgkmcnt(3)
	v_add_nc_u32_e32 v15, v18, v17
	s_waitcnt lgkmcnt(2)
	v_add3_u32 v15, v15, v19, v20
	s_waitcnt lgkmcnt(1)
	v_add3_u32 v15, v15, v21, v22
	;; [unrolled: 2-line block ×3, first 2 shown]
	v_mov_b32_dpp v18, v15 row_shr:1 row_mask:0xf bank_mask:0xf
	v_cndmask_b32_e32 v18, 0, v18, vcc_lo
	v_cmp_lt_u32_e32 vcc_lo, 1, v10
	v_add_nc_u32_e32 v15, v18, v15
	v_mov_b32_dpp v18, v15 row_shr:2 row_mask:0xf bank_mask:0xf
	v_cndmask_b32_e32 v18, 0, v18, vcc_lo
	v_cmp_lt_u32_e32 vcc_lo, 3, v10
	v_add_nc_u32_e32 v15, v15, v18
	;; [unrolled: 4-line block ×3, first 2 shown]
	v_mov_b32_dpp v18, v15 row_shr:8 row_mask:0xf bank_mask:0xf
	v_cndmask_b32_e32 v18, 0, v18, vcc_lo
	v_cmp_gt_i32_e32 vcc_lo, 0, v12
	v_add_nc_u32_e32 v15, v15, v18
	v_cndmask_b32_e32 v19, v12, v2, vcc_lo
	ds_swizzle_b32 v18, v15 offset:swizzle(BROADCAST,32,15)
	v_lshlrev_b32_e32 v19, 2, v19
	s_waitcnt lgkmcnt(0)
	v_and_b32_e32 v18, v11, v18
	v_add_nc_u32_e32 v15, v15, v18
	ds_bpermute_b32 v15, v19, v15
	s_waitcnt lgkmcnt(0)
	v_add_nc_u32_e32 v15, v15, v17
	v_cndmask_b32_e64 v15, v15, v16, s1
	ds_write_b32 v9, v15
	; wave barrier
	ds_read2_b32 v[17:18], v9 offset0:1 offset1:2
	ds_read2_b32 v[19:20], v9 offset0:3 offset1:4
	;; [unrolled: 1-line block ×3, first 2 shown]
	ds_read_b32 v23, v9 offset:28
	s_waitcnt lgkmcnt(3)
	v_add_nc_u32_e32 v15, v17, v15
	v_add_nc_u32_e32 v17, v18, v15
	s_waitcnt lgkmcnt(2)
	v_add_nc_u32_e32 v18, v19, v17
	v_add_nc_u32_e32 v19, v20, v18
	;; [unrolled: 3-line block ×3, first 2 shown]
	s_waitcnt lgkmcnt(0)
	v_add_nc_u32_e32 v22, v23, v21
	ds_write2_b32 v9, v15, v17 offset0:1 offset1:2
	ds_write2_b32 v9, v18, v19 offset0:3 offset1:4
	;; [unrolled: 1-line block ×3, first 2 shown]
	ds_write_b32 v9, v22 offset:28
.LBB12_34:                              ;   in Loop: Header=BB12_30 Depth=1
	s_or_b32 exec_lo, exec_lo, s16
	v_mov_b32_e32 v17, 0
	s_waitcnt lgkmcnt(0)
	s_barrier
	buffer_gl0_inv
	s_and_saveexec_b32 s16, s0
; %bb.35:                               ;   in Loop: Header=BB12_30 Depth=1
	ds_read_b32 v17, v0
; %bb.36:                               ;   in Loop: Header=BB12_30 Depth=1
	s_or_b32 exec_lo, exec_lo, s16
	ds_read_b32 v15, v5 offset:1048
	s_mov_b32 s16, exec_lo
	s_waitcnt lgkmcnt(0)
	s_barrier
	buffer_gl0_inv
	v_cmpx_ne_u32_e32 0, v16
	s_cbranch_execz .LBB12_38
; %bb.37:                               ;   in Loop: Header=BB12_30 Depth=1
	v_add_nc_u32_e32 v18, v17, v3
	v_mov_b32_e32 v17, v5
	v_mul_lo_u32 v16, v18, s8
	v_mul_lo_u32 v18, v18, s10
	v_lshlrev_b64 v[16:17], 3, v[16:17]
	v_add_co_u32 v16, vcc_lo, s11, v16
	v_add_co_ci_u32_e64 v17, null, s15, v17, vcc_lo
	global_store_byte v18, v13, s[6:7]
	global_store_dwordx2 v[16:17], v[4:5], off
.LBB12_38:                              ;   in Loop: Header=BB12_30 Depth=1
	s_or_b32 exec_lo, exec_lo, s16
	v_cmp_le_u32_e32 vcc_lo, s13, v1
	s_cbranch_vccnz .LBB12_29
; %bb.39:                               ;   in Loop: Header=BB12_30 Depth=1
	ds_write_b32 v7, v14
	s_waitcnt lgkmcnt(0)
	s_waitcnt_vscnt null, 0x0
	s_barrier
	buffer_gl0_inv
	s_and_saveexec_b32 s16, s2
	s_cbranch_execz .LBB12_41
; %bb.40:                               ;   in Loop: Header=BB12_30 Depth=1
	ds_read2_b32 v[16:17], v9 offset1:1
	ds_read2_b32 v[18:19], v9 offset0:2 offset1:3
	ds_read2_b32 v[20:21], v9 offset0:4 offset1:5
	;; [unrolled: 1-line block ×3, first 2 shown]
	v_cmp_ne_u32_e32 vcc_lo, 0, v10
	; wave barrier
	s_waitcnt lgkmcnt(3)
	v_add_nc_u32_e32 v17, v17, v16
	s_waitcnt lgkmcnt(2)
	v_add3_u32 v17, v17, v18, v19
	s_waitcnt lgkmcnt(1)
	v_add3_u32 v17, v17, v20, v21
	;; [unrolled: 2-line block ×3, first 2 shown]
	v_mov_b32_dpp v18, v17 row_shr:1 row_mask:0xf bank_mask:0xf
	v_cndmask_b32_e32 v18, 0, v18, vcc_lo
	v_cmp_lt_u32_e32 vcc_lo, 1, v10
	v_add_nc_u32_e32 v17, v18, v17
	v_mov_b32_dpp v18, v17 row_shr:2 row_mask:0xf bank_mask:0xf
	v_cndmask_b32_e32 v18, 0, v18, vcc_lo
	v_cmp_lt_u32_e32 vcc_lo, 3, v10
	v_add_nc_u32_e32 v17, v17, v18
	;; [unrolled: 4-line block ×3, first 2 shown]
	v_mov_b32_dpp v18, v17 row_shr:8 row_mask:0xf bank_mask:0xf
	v_cndmask_b32_e32 v18, 0, v18, vcc_lo
	v_cmp_gt_i32_e32 vcc_lo, 0, v12
	v_add_nc_u32_e32 v17, v17, v18
	v_cndmask_b32_e32 v19, v12, v2, vcc_lo
	ds_swizzle_b32 v18, v17 offset:swizzle(BROADCAST,32,15)
	v_lshlrev_b32_e32 v19, 2, v19
	s_waitcnt lgkmcnt(0)
	v_and_b32_e32 v18, v11, v18
	v_add_nc_u32_e32 v17, v17, v18
	ds_bpermute_b32 v17, v19, v17
	s_waitcnt lgkmcnt(0)
	v_add_nc_u32_e32 v16, v17, v16
	v_cndmask_b32_e64 v22, v16, v14, s1
	ds_write_b32 v9, v22
	; wave barrier
	ds_read2_b32 v[16:17], v9 offset0:1 offset1:2
	ds_read2_b32 v[18:19], v9 offset0:3 offset1:4
	;; [unrolled: 1-line block ×3, first 2 shown]
	ds_read_b32 v23, v9 offset:28
	s_waitcnt lgkmcnt(3)
	v_add_nc_u32_e32 v16, v16, v22
	v_add_nc_u32_e32 v17, v17, v16
	s_waitcnt lgkmcnt(2)
	v_add_nc_u32_e32 v18, v18, v17
	v_add_nc_u32_e32 v19, v19, v18
	;; [unrolled: 3-line block ×3, first 2 shown]
	s_waitcnt lgkmcnt(0)
	v_add_nc_u32_e32 v22, v23, v21
	ds_write2_b32 v9, v16, v17 offset0:1 offset1:2
	ds_write2_b32 v9, v18, v19 offset0:3 offset1:4
	;; [unrolled: 1-line block ×3, first 2 shown]
	ds_write_b32 v9, v22 offset:28
.LBB12_41:                              ;   in Loop: Header=BB12_30 Depth=1
	s_or_b32 exec_lo, exec_lo, s16
	v_mov_b32_e32 v17, 0
	s_waitcnt lgkmcnt(0)
	s_barrier
	buffer_gl0_inv
	s_and_saveexec_b32 s16, s0
; %bb.42:                               ;   in Loop: Header=BB12_30 Depth=1
	ds_read_b32 v17, v0
; %bb.43:                               ;   in Loop: Header=BB12_30 Depth=1
	s_or_b32 exec_lo, exec_lo, s16
	ds_read_b32 v16, v5 offset:1048
	s_mov_b32 s16, exec_lo
	s_waitcnt lgkmcnt(0)
	s_barrier
	buffer_gl0_inv
	v_cmpx_ne_u32_e32 0, v14
	s_cbranch_execz .LBB12_28
; %bb.44:                               ;   in Loop: Header=BB12_30 Depth=1
	v_add_nc_u32_e32 v14, v17, v1
	v_cmp_gt_u32_e32 vcc_lo, s13, v14
	s_and_b32 exec_lo, exec_lo, vcc_lo
	s_cbranch_execz .LBB12_28
; %bb.45:                               ;   in Loop: Header=BB12_30 Depth=1
	v_mul_lo_u32 v17, v14, s8
	v_mov_b32_e32 v18, v5
	v_mul_lo_u32 v14, v14, s10
	v_lshlrev_b64 v[17:18], 3, v[17:18]
	v_add_co_u32 v17, vcc_lo, s11, v17
	v_add_co_ci_u32_e64 v18, null, s15, v18, vcc_lo
	global_store_byte v14, v13, s[6:7]
	global_store_dwordx2 v[17:18], v[4:5], off
	s_branch .LBB12_28
	.p2align	6
.LBB12_46:                              ;   in Loop: Header=BB12_47 Depth=1
	s_add_u32 s12, s12, 4
	s_addc_u32 s13, s13, 0
	s_waitcnt lgkmcnt(0)
	s_add_i32 s38, s3, s38
	s_add_u32 s14, s14, 4
	s_addc_u32 s15, s15, 0
	s_add_i32 s2, s2, 1
	s_cmp_lt_u32 s2, s10
	s_cbranch_scc0 .LBB12_25
.LBB12_47:                              ; =>This Inner Loop Header: Depth=1
	s_load_dword s3, s[12:13], 0x0
	s_cmp_ge_u32 s2, s36
	s_cbranch_scc1 .LBB12_46
; %bb.48:                               ;   in Loop: Header=BB12_47 Depth=1
	s_load_dword s28, s[14:15], 0x0
	s_waitcnt lgkmcnt(0)
	s_add_i32 s27, s3, s27
	s_add_i32 s26, s28, s26
	s_branch .LBB12_46
.LBB12_49:
	s_endpgm
	.section	.rodata,"a",@progbits
	.p2align	6, 0x0
	.amdhsa_kernel _ZN2at6native6mbtopk10gatherTopKIhjLin1EEEvNS_4cuda6detail10TensorInfoIKT_T0_EES8_S8_bjS8_NS5_IS6_S8_EES8_NS5_IlS8_EES8_jjPS6_PjSD_j
		.amdhsa_group_segment_fixed_size 1068
		.amdhsa_private_segment_fixed_size 0
		.amdhsa_kernarg_size 984
		.amdhsa_user_sgpr_count 6
		.amdhsa_user_sgpr_private_segment_buffer 1
		.amdhsa_user_sgpr_dispatch_ptr 0
		.amdhsa_user_sgpr_queue_ptr 0
		.amdhsa_user_sgpr_kernarg_segment_ptr 1
		.amdhsa_user_sgpr_dispatch_id 0
		.amdhsa_user_sgpr_flat_scratch_init 0
		.amdhsa_user_sgpr_private_segment_size 0
		.amdhsa_wavefront_size32 1
		.amdhsa_uses_dynamic_stack 0
		.amdhsa_system_sgpr_private_segment_wavefront_offset 0
		.amdhsa_system_sgpr_workgroup_id_x 1
		.amdhsa_system_sgpr_workgroup_id_y 1
		.amdhsa_system_sgpr_workgroup_id_z 1
		.amdhsa_system_sgpr_workgroup_info 0
		.amdhsa_system_vgpr_workitem_id 0
		.amdhsa_next_free_vgpr 25
		.amdhsa_next_free_sgpr 42
		.amdhsa_reserve_vcc 1
		.amdhsa_reserve_flat_scratch 0
		.amdhsa_float_round_mode_32 0
		.amdhsa_float_round_mode_16_64 0
		.amdhsa_float_denorm_mode_32 3
		.amdhsa_float_denorm_mode_16_64 3
		.amdhsa_dx10_clamp 1
		.amdhsa_ieee_mode 1
		.amdhsa_fp16_overflow 0
		.amdhsa_workgroup_processor_mode 1
		.amdhsa_memory_ordered 1
		.amdhsa_forward_progress 1
		.amdhsa_shared_vgpr_count 0
		.amdhsa_exception_fp_ieee_invalid_op 0
		.amdhsa_exception_fp_denorm_src 0
		.amdhsa_exception_fp_ieee_div_zero 0
		.amdhsa_exception_fp_ieee_overflow 0
		.amdhsa_exception_fp_ieee_underflow 0
		.amdhsa_exception_fp_ieee_inexact 0
		.amdhsa_exception_int_div_zero 0
	.end_amdhsa_kernel
	.section	.text._ZN2at6native6mbtopk10gatherTopKIhjLin1EEEvNS_4cuda6detail10TensorInfoIKT_T0_EES8_S8_bjS8_NS5_IS6_S8_EES8_NS5_IlS8_EES8_jjPS6_PjSD_j,"axG",@progbits,_ZN2at6native6mbtopk10gatherTopKIhjLin1EEEvNS_4cuda6detail10TensorInfoIKT_T0_EES8_S8_bjS8_NS5_IS6_S8_EES8_NS5_IlS8_EES8_jjPS6_PjSD_j,comdat
.Lfunc_end12:
	.size	_ZN2at6native6mbtopk10gatherTopKIhjLin1EEEvNS_4cuda6detail10TensorInfoIKT_T0_EES8_S8_bjS8_NS5_IS6_S8_EES8_NS5_IlS8_EES8_jjPS6_PjSD_j, .Lfunc_end12-_ZN2at6native6mbtopk10gatherTopKIhjLin1EEEvNS_4cuda6detail10TensorInfoIKT_T0_EES8_S8_bjS8_NS5_IS6_S8_EES8_NS5_IlS8_EES8_jjPS6_PjSD_j
                                        ; -- End function
	.set _ZN2at6native6mbtopk10gatherTopKIhjLin1EEEvNS_4cuda6detail10TensorInfoIKT_T0_EES8_S8_bjS8_NS5_IS6_S8_EES8_NS5_IlS8_EES8_jjPS6_PjSD_j.num_vgpr, 25
	.set _ZN2at6native6mbtopk10gatherTopKIhjLin1EEEvNS_4cuda6detail10TensorInfoIKT_T0_EES8_S8_bjS8_NS5_IS6_S8_EES8_NS5_IlS8_EES8_jjPS6_PjSD_j.num_agpr, 0
	.set _ZN2at6native6mbtopk10gatherTopKIhjLin1EEEvNS_4cuda6detail10TensorInfoIKT_T0_EES8_S8_bjS8_NS5_IS6_S8_EES8_NS5_IlS8_EES8_jjPS6_PjSD_j.numbered_sgpr, 42
	.set _ZN2at6native6mbtopk10gatherTopKIhjLin1EEEvNS_4cuda6detail10TensorInfoIKT_T0_EES8_S8_bjS8_NS5_IS6_S8_EES8_NS5_IlS8_EES8_jjPS6_PjSD_j.num_named_barrier, 0
	.set _ZN2at6native6mbtopk10gatherTopKIhjLin1EEEvNS_4cuda6detail10TensorInfoIKT_T0_EES8_S8_bjS8_NS5_IS6_S8_EES8_NS5_IlS8_EES8_jjPS6_PjSD_j.private_seg_size, 0
	.set _ZN2at6native6mbtopk10gatherTopKIhjLin1EEEvNS_4cuda6detail10TensorInfoIKT_T0_EES8_S8_bjS8_NS5_IS6_S8_EES8_NS5_IlS8_EES8_jjPS6_PjSD_j.uses_vcc, 1
	.set _ZN2at6native6mbtopk10gatherTopKIhjLin1EEEvNS_4cuda6detail10TensorInfoIKT_T0_EES8_S8_bjS8_NS5_IS6_S8_EES8_NS5_IlS8_EES8_jjPS6_PjSD_j.uses_flat_scratch, 0
	.set _ZN2at6native6mbtopk10gatherTopKIhjLin1EEEvNS_4cuda6detail10TensorInfoIKT_T0_EES8_S8_bjS8_NS5_IS6_S8_EES8_NS5_IlS8_EES8_jjPS6_PjSD_j.has_dyn_sized_stack, 0
	.set _ZN2at6native6mbtopk10gatherTopKIhjLin1EEEvNS_4cuda6detail10TensorInfoIKT_T0_EES8_S8_bjS8_NS5_IS6_S8_EES8_NS5_IlS8_EES8_jjPS6_PjSD_j.has_recursion, 0
	.set _ZN2at6native6mbtopk10gatherTopKIhjLin1EEEvNS_4cuda6detail10TensorInfoIKT_T0_EES8_S8_bjS8_NS5_IS6_S8_EES8_NS5_IlS8_EES8_jjPS6_PjSD_j.has_indirect_call, 0
	.section	.AMDGPU.csdata,"",@progbits
; Kernel info:
; codeLenInByte = 2960
; TotalNumSgprs: 44
; NumVgprs: 25
; ScratchSize: 0
; MemoryBound: 0
; FloatMode: 240
; IeeeMode: 1
; LDSByteSize: 1068 bytes/workgroup (compile time only)
; SGPRBlocks: 0
; VGPRBlocks: 3
; NumSGPRsForWavesPerEU: 44
; NumVGPRsForWavesPerEU: 25
; Occupancy: 16
; WaveLimiterHint : 1
; COMPUTE_PGM_RSRC2:SCRATCH_EN: 0
; COMPUTE_PGM_RSRC2:USER_SGPR: 6
; COMPUTE_PGM_RSRC2:TRAP_HANDLER: 0
; COMPUTE_PGM_RSRC2:TGID_X_EN: 1
; COMPUTE_PGM_RSRC2:TGID_Y_EN: 1
; COMPUTE_PGM_RSRC2:TGID_Z_EN: 1
; COMPUTE_PGM_RSRC2:TIDIG_COMP_CNT: 0
	.section	.text._ZN2at6native6sbtopk10gatherTopKIhjLin1ELb0EEEvNS_4cuda6detail10TensorInfoIKT_T0_EES8_S8_bS8_S8_NS5_IS6_S8_EES8_NS5_IlS8_EES8_PS6_,"axG",@progbits,_ZN2at6native6sbtopk10gatherTopKIhjLin1ELb0EEEvNS_4cuda6detail10TensorInfoIKT_T0_EES8_S8_bS8_S8_NS5_IS6_S8_EES8_NS5_IlS8_EES8_PS6_,comdat
	.protected	_ZN2at6native6sbtopk10gatherTopKIhjLin1ELb0EEEvNS_4cuda6detail10TensorInfoIKT_T0_EES8_S8_bS8_S8_NS5_IS6_S8_EES8_NS5_IlS8_EES8_PS6_ ; -- Begin function _ZN2at6native6sbtopk10gatherTopKIhjLin1ELb0EEEvNS_4cuda6detail10TensorInfoIKT_T0_EES8_S8_bS8_S8_NS5_IS6_S8_EES8_NS5_IlS8_EES8_PS6_
	.globl	_ZN2at6native6sbtopk10gatherTopKIhjLin1ELb0EEEvNS_4cuda6detail10TensorInfoIKT_T0_EES8_S8_bS8_S8_NS5_IS6_S8_EES8_NS5_IlS8_EES8_PS6_
	.p2align	8
	.type	_ZN2at6native6sbtopk10gatherTopKIhjLin1ELb0EEEvNS_4cuda6detail10TensorInfoIKT_T0_EES8_S8_bS8_S8_NS5_IS6_S8_EES8_NS5_IlS8_EES8_PS6_,@function
_ZN2at6native6sbtopk10gatherTopKIhjLin1ELb0EEEvNS_4cuda6detail10TensorInfoIKT_T0_EES8_S8_bS8_S8_NS5_IS6_S8_EES8_NS5_IlS8_EES8_PS6_: ; @_ZN2at6native6sbtopk10gatherTopKIhjLin1ELb0EEEvNS_4cuda6detail10TensorInfoIKT_T0_EES8_S8_bS8_S8_NS5_IS6_S8_EES8_NS5_IlS8_EES8_PS6_
; %bb.0:
	s_clause 0x1
	s_load_dwordx2 s[12:13], s[4:5], 0x2b8
	s_load_dwordx4 s[36:39], s[4:5], 0xd8
	s_add_u32 s10, s4, 0x2b8
	s_addc_u32 s11, s5, 0
	s_waitcnt lgkmcnt(0)
	s_mul_i32 s0, s13, s8
	s_add_i32 s0, s0, s7
	s_mul_i32 s0, s0, s12
	s_add_i32 s50, s0, s6
	s_cmp_ge_u32 s50, s39
	s_cbranch_scc1 .LBB13_419
; %bb.1:
	s_clause 0x1
	s_load_dword s2, s[4:5], 0xd0
	s_load_dword s40, s[4:5], 0xe8
	s_mov_b32 s1, 0
	s_mov_b32 s0, s50
	s_waitcnt lgkmcnt(0)
	s_cmp_lt_i32 s2, 2
	s_cbranch_scc1 .LBB13_4
; %bb.2:
	s_add_i32 s0, s2, -1
	s_add_i32 s7, s2, 1
	s_lshl_b64 s[8:9], s[0:1], 2
	s_add_u32 s0, s4, s8
	s_addc_u32 s3, s5, s9
	s_add_u32 s2, s0, 8
	s_addc_u32 s3, s3, 0
	s_mov_b32 s0, s50
	s_inst_prefetch 0x1
	.p2align	6
.LBB13_3:                               ; =>This Inner Loop Header: Depth=1
	s_clause 0x1
	s_load_dword s8, s[2:3], 0x0
	s_load_dword s9, s[2:3], 0x64
	s_mov_b32 s15, s0
	s_waitcnt lgkmcnt(0)
	v_cvt_f32_u32_e32 v1, s8
	s_sub_i32 s14, 0, s8
	v_rcp_iflag_f32_e32 v1, v1
	v_mul_f32_e32 v1, 0x4f7ffffe, v1
	v_cvt_u32_f32_e32 v1, v1
	v_readfirstlane_b32 s13, v1
	s_mul_i32 s14, s14, s13
	s_mul_hi_u32 s14, s13, s14
	s_add_i32 s13, s13, s14
	s_mul_hi_u32 s0, s0, s13
	s_mul_i32 s13, s0, s8
	s_add_i32 s14, s0, 1
	s_sub_i32 s13, s15, s13
	s_sub_i32 s16, s13, s8
	s_cmp_ge_u32 s13, s8
	s_cselect_b32 s0, s14, s0
	s_cselect_b32 s13, s16, s13
	s_add_i32 s14, s0, 1
	s_cmp_ge_u32 s13, s8
	s_cselect_b32 s0, s14, s0
	s_add_i32 s7, s7, -1
	s_mul_i32 s8, s0, s8
	s_sub_i32 s8, s15, s8
	s_mul_i32 s8, s9, s8
	s_add_i32 s1, s8, s1
	s_add_u32 s2, s2, -4
	s_addc_u32 s3, s3, -1
	s_cmp_gt_u32 s7, 2
	s_cbranch_scc1 .LBB13_3
.LBB13_4:
	s_inst_prefetch 0x2
	s_load_dword s7, s[4:5], 0x1c0
	s_add_u32 s2, s4, 0xf0
	s_addc_u32 s3, s5, 0
	s_mov_b32 s35, 0
	s_mov_b32 s52, s50
	s_waitcnt lgkmcnt(0)
	s_cmp_lt_i32 s7, 2
	s_cbranch_scc1 .LBB13_7
; %bb.5:
	s_add_i32 s34, s7, -1
	s_add_i32 s7, s7, 1
	s_lshl_b64 s[8:9], s[34:35], 2
	s_mov_b32 s52, s50
	s_add_u32 s8, s2, s8
	s_addc_u32 s9, s3, s9
	s_add_u32 s8, s8, 8
	s_addc_u32 s9, s9, 0
	s_inst_prefetch 0x1
	.p2align	6
.LBB13_6:                               ; =>This Inner Loop Header: Depth=1
	s_clause 0x1
	s_load_dword s13, s[8:9], 0x0
	s_load_dword s14, s[8:9], 0x64
	s_mov_b32 s17, s52
	s_waitcnt lgkmcnt(0)
	v_cvt_f32_u32_e32 v1, s13
	s_sub_i32 s16, 0, s13
	v_rcp_iflag_f32_e32 v1, v1
	v_mul_f32_e32 v1, 0x4f7ffffe, v1
	v_cvt_u32_f32_e32 v1, v1
	v_readfirstlane_b32 s15, v1
	s_mul_i32 s16, s16, s15
	s_mul_hi_u32 s16, s15, s16
	s_add_i32 s15, s15, s16
	s_mul_hi_u32 s15, s52, s15
	s_mul_i32 s16, s15, s13
	s_add_i32 s18, s15, 1
	s_sub_i32 s16, s52, s16
	s_sub_i32 s19, s16, s13
	s_cmp_ge_u32 s16, s13
	s_cselect_b32 s15, s18, s15
	s_cselect_b32 s16, s19, s16
	s_add_i32 s18, s15, 1
	s_cmp_ge_u32 s16, s13
	s_cselect_b32 s52, s18, s15
	s_add_i32 s7, s7, -1
	s_mul_i32 s13, s52, s13
	s_sub_i32 s13, s17, s13
	s_mul_i32 s13, s14, s13
	s_add_i32 s35, s13, s35
	s_add_u32 s8, s8, -4
	s_addc_u32 s9, s9, -1
	s_cmp_gt_u32 s7, 2
	s_cbranch_scc1 .LBB13_6
.LBB13_7:
	s_inst_prefetch 0x2
	s_clause 0x1
	s_load_dword s7, s[4:5], 0x6c
	s_load_dword s8, s[4:5], 0x2a0
	s_add_u32 s9, s4, 0x1d0
	s_addc_u32 s14, s5, 0
	s_mov_b32 s45, 0
	s_waitcnt lgkmcnt(0)
	s_cmp_lt_i32 s8, 2
	s_cbranch_scc1 .LBB13_10
; %bb.8:
	s_add_i32 s44, s8, -1
	s_add_i32 s13, s8, 1
	s_lshl_b64 s[16:17], s[44:45], 2
	s_add_u32 s8, s9, s16
	s_addc_u32 s9, s14, s17
	s_add_u32 s8, s8, 8
	s_addc_u32 s9, s9, 0
	s_inst_prefetch 0x1
	.p2align	6
.LBB13_9:                               ; =>This Inner Loop Header: Depth=1
	s_clause 0x1
	s_load_dword s14, s[8:9], 0x0
	s_load_dword s15, s[8:9], 0x64
	s_mov_b32 s18, s50
	s_waitcnt lgkmcnt(0)
	v_cvt_f32_u32_e32 v1, s14
	s_sub_i32 s17, 0, s14
	v_rcp_iflag_f32_e32 v1, v1
	v_mul_f32_e32 v1, 0x4f7ffffe, v1
	v_cvt_u32_f32_e32 v1, v1
	v_readfirstlane_b32 s16, v1
	s_mul_i32 s17, s17, s16
	s_mul_hi_u32 s17, s16, s17
	s_add_i32 s16, s16, s17
	s_mul_hi_u32 s16, s50, s16
	s_mul_i32 s17, s16, s14
	s_add_i32 s19, s16, 1
	s_sub_i32 s17, s50, s17
	s_sub_i32 s20, s17, s14
	s_cmp_ge_u32 s17, s14
	s_cselect_b32 s16, s19, s16
	s_cselect_b32 s17, s20, s17
	s_add_i32 s19, s16, 1
	s_cmp_ge_u32 s17, s14
	s_cselect_b32 s50, s19, s16
	s_add_i32 s13, s13, -1
	s_mul_i32 s14, s50, s14
	s_sub_i32 s14, s18, s14
	s_mul_i32 s14, s15, s14
	s_add_i32 s45, s14, s45
	s_add_u32 s8, s8, -4
	s_addc_u32 s9, s9, -1
	s_cmp_gt_u32 s13, 2
	s_cbranch_scc1 .LBB13_9
.LBB13_10:
	s_inst_prefetch 0x2
	s_clause 0x3
	s_load_dword s53, s[2:3], 0x6c
	s_load_dwordx2 s[8:9], s[4:5], 0x0
	s_load_dwordx2 s[48:49], s[4:5], 0xf0
	;; [unrolled: 1-line block ×3, first 2 shown]
	v_cmp_eq_u32_e64 s3, 0, v0
	s_mov_b32 s55, 0
	s_and_saveexec_b32 s2, s3
	s_cbranch_execz .LBB13_12
; %bb.11:
	v_mov_b32_e32 v1, 0
	v_mov_b32_e32 v2, s36
	v_mov_b32_e32 v3, v1
	ds_write_b96 v1, v[1:3] offset:4096
.LBB13_12:
	s_or_b32 exec_lo, exec_lo, s2
	s_waitcnt lgkmcnt(0)
	s_barrier
	buffer_gl0_inv
	s_load_dword s13, s[10:11], 0xc
	s_load_dword s54, s[4:5], 0x23c
	s_mul_i32 s0, s7, s0
	v_mbcnt_lo_u32_b32 v17, -1, 0
	s_add_i32 s0, s0, s1
	v_cmp_gt_u32_e32 vcc_lo, 32, v0
	s_add_u32 s42, s8, s0
	s_addc_u32 s43, s9, 0
	s_bitcmp1_b32 s38, 0
	v_lshlrev_b64 v[1:2], v17, -1
	s_cselect_b32 s2, -1, 0
	v_cmp_gt_i32_e64 s0, 4, v17
	s_xor_b32 s56, s2, -1
	v_lshrrev_b32_e32 v3, 1, v0
	v_lshlrev_b32_e32 v16, 2, v0
	v_not_b32_e32 v15, v1
	s_and_b32 s57, vcc_lo, s0
	v_mul_lo_u32 v18, s40, v0
	s_mov_b32 s41, s40
	v_mov_b32_e32 v19, 0
	s_waitcnt lgkmcnt(0)
	s_and_b32 s44, s13, 0xffff
	s_bfe_u32 s7, s13, 0xb0005
	s_lshl_b32 s58, s44, 2
	s_bfe_u32 s0, s44, 0x80008
	v_cvt_f32_u32_e32 v2, s58
	s_lshl_b32 s59, s0, 3
	s_cmpk_gt_u32 s36, 0xc00
	v_cvt_f32_u32_e32 v5, s44
	s_cselect_b32 s60, -1, 0
	v_rcp_iflag_f32_e32 v1, v2
	s_cmp_gt_u32 s44, 31
	v_add_nc_u32_e32 v2, 2, v0
	s_cselect_b32 s61, -1, 0
	s_add_i32 s62, s44, -1
	v_rcp_iflag_f32_e32 v5, v5
	s_add_i32 s13, s62, s36
	s_cmp_lt_u32 s6, s12
	s_movk_i32 s6, 0x1f0
	s_cselect_b32 s8, 12, 18
	v_mul_f32_e32 v1, 0x4f7ffffe, v1
	s_add_u32 s38, s10, s8
	s_addc_u32 s39, s11, 0
	s_add_i32 s7, s7, -1
	s_bfe_u32 s63, s44, 0x30005
	v_cvt_u32_f32_e32 v1, v1
	s_and_b32 s7, s7, 0xffff
	v_and_or_b32 v20, v3, s6, 0xc00
	s_cmp_gt_u32 s7, 6
	v_mul_f32_e32 v3, 0x4f7ffffe, v5
	v_readfirstlane_b32 s7, v1
	s_cselect_b32 s64, -1, 0
	s_cmp_lg_u32 s63, 0
	v_max_u32_e32 v2, s36, v2
	s_cselect_b32 s65, -1, 0
	s_sub_i32 s8, 0, s58
	v_cvt_u32_f32_e32 v3, v3
	s_mul_i32 s8, s8, s7
	v_xad_u32 v2, v0, -1, v2
	s_mul_hi_u32 s6, s7, s8
	v_mad_u64_u32 v[13:14], null, s40, v16, s[40:41]
	s_add_i32 s66, s7, s6
	v_readfirstlane_b32 s9, v3
	s_mul_hi_u32 s6, s36, s66
	v_add_nc_u32_e32 v4, -4, v2
	s_mul_i32 s6, s6, s58
	v_and_b32_e32 v21, -4, v2
	s_sub_i32 s6, s36, s6
	v_cmp_lt_u32_e64 s7, 31, v2
	s_sub_i32 s8, s6, s58
	s_cmp_ge_u32 s6, s58
	v_lshrrev_b32_e32 v1, 2, v4
	s_cselect_b32 s6, s8, s6
	v_add_co_u32 v9, s1, s42, v18
	s_sub_i32 s8, s6, s58
	s_cmp_ge_u32 s6, s58
	v_add_nc_u32_e32 v1, 1, v1
	s_cselect_b32 s6, s8, s6
	s_sub_i32 s8, 0, s44
	s_sub_i32 s70, s36, s6
	s_mul_i32 s8, s8, s9
	v_add_nc_u32_e32 v24, s70, v0
	s_mul_hi_u32 s10, s9, s8
	v_and_b32_e32 v3, 3, v1
	s_add_i32 s69, s9, s10
	v_and_b32_e32 v23, 0x7ffffffc, v1
	s_mul_hi_u32 s10, s13, s69
	v_mul_lo_u32 v1, v24, s40
	s_mul_i32 s10, s10, s44
	v_cmp_ne_u32_e64 s9, 0, v3
	s_sub_i32 s11, s13, s10
	v_cmp_ne_u32_e64 s10, v2, v21
	s_sub_i32 s12, s11, s44
	s_cmp_ge_u32 s11, s44
	v_lshlrev_b32_e32 v25, 2, v3
	s_cselect_b32 s12, s12, s11
	v_or_b32_e32 v2, 2, v16
	s_sub_i32 s14, s12, s44
	s_cmp_ge_u32 s12, s44
	v_or_b32_e32 v3, 3, v16
	s_cselect_b32 s14, s14, s12
	v_mul_lo_u32 v26, s40, v2
	s_sub_i32 s71, s13, s14
	v_add_co_u32 v11, s13, s42, v1
	v_add3_u32 v1, s44, s36, v0
	v_mul_lo_u32 v27, s40, v3
	v_cmp_eq_u32_e64 s0, 0, v17
	v_add_co_ci_u32_e64 v10, null, s43, 0, s1
	v_subrev_nc_u32_e32 v1, s6, v1
	v_cmp_gt_u32_e64 s1, s36, v0
	v_cmp_gt_u32_e64 s15, 2, v0
	v_add_nc_u32_e32 v22, v0, v21
	v_cmp_lt_u32_e64 s8, 11, v4
	v_mul_lo_u32 v29, s40, v1
	v_cmp_gt_u32_e64 s11, s70, v16
	v_cmp_gt_u32_e64 s12, s36, v24
	v_add_co_ci_u32_e64 v12, null, s43, 0, s13
	v_cmp_gt_u32_e64 s13, s71, v0
	v_lshlrev_b32_e32 v28, 2, v18
	v_lshl_or_b32 v30, v17, 2, 0xc00
	v_mov_b32_e32 v34, s37
	v_mov_b32_e32 v31, 8
	;; [unrolled: 1-line block ×5, first 2 shown]
	s_mul_i32 s51, s40, s44
	s_mov_b32 s67, s40
	s_mov_b32 s68, s40
	;; [unrolled: 1-line block ×3, first 2 shown]
	s_lshl_b32 s73, s51, 2
	s_mov_b32 s74, 0
                                        ; implicit-def: $sgpr72
                                        ; implicit-def: $sgpr77
                                        ; implicit-def: $sgpr76
                                        ; implicit-def: $sgpr79
                                        ; implicit-def: $sgpr75
                                        ; implicit-def: $sgpr83
                                        ; implicit-def: $sgpr84
                                        ; implicit-def: $sgpr80
                                        ; implicit-def: $sgpr82
                                        ; implicit-def: $sgpr81
	s_branch .LBB13_15
.LBB13_13:                              ;   in Loop: Header=BB13_15 Depth=1
	s_or_b32 exec_lo, exec_lo, s17
	v_mov_b32_e32 v34, v4
	s_andn2_b32 s17, s81, exec_lo
	s_and_b32 s16, s16, exec_lo
	s_andn2_b32 s82, s82, exec_lo
	s_or_b32 s81, s17, s16
	s_andn2_b32 s80, s80, exec_lo
	s_andn2_b32 s84, s84, exec_lo
	s_andn2_b32 s83, s83, exec_lo
	s_orn2_b32 s17, s14, exec_lo
.LBB13_14:                              ;   in Loop: Header=BB13_15 Depth=1
	s_or_b32 exec_lo, exec_lo, s6
	s_and_b32 s6, exec_lo, s17
	s_or_b32 s55, s6, s55
	s_andn2_b32 s6, s75, exec_lo
	s_and_b32 s14, s81, exec_lo
	s_andn2_b32 s16, s79, exec_lo
	s_or_b32 s75, s6, s14
	s_and_b32 s6, s82, exec_lo
	s_andn2_b32 s14, s76, exec_lo
	s_and_b32 s17, s80, exec_lo
	s_or_b32 s79, s16, s6
	s_or_b32 s76, s14, s17
	s_andn2_b32 s6, s77, exec_lo
	s_and_b32 s14, s84, exec_lo
	s_andn2_b32 s16, s72, exec_lo
	s_and_b32 s17, s83, exec_lo
	s_or_b32 s77, s6, s14
	s_or_b32 s72, s16, s17
	s_andn2_b32 exec_lo, exec_lo, s55
	s_cbranch_execz .LBB13_415
.LBB13_15:                              ; =>This Loop Header: Depth=1
                                        ;     Child Loop BB13_20 Depth 2
                                        ;     Child Loop BB13_41 Depth 2
	;; [unrolled: 1-line block ×26, first 2 shown]
	ds_read_b64 v[1:2], v19 offset:4096
	s_waitcnt lgkmcnt(0)
	v_readfirstlane_b32 s85, v1
	s_cmp_lg_u32 s85, 0
	s_cbranch_scc1 .LBB13_60
; %bb.16:                               ;   in Loop: Header=BB13_15 Depth=1
	s_and_b32 vcc_lo, exec_lo, s60
	s_cbranch_vccz .LBB13_28
; %bb.17:                               ;   in Loop: Header=BB13_15 Depth=1
	v_cmp_gt_u32_e32 vcc_lo, 0xc01, v2
	s_mov_b32 s14, 0
	s_mov_b32 s6, 0
	s_cbranch_vccz .LBB13_29
; %bb.18:                               ;   in Loop: Header=BB13_15 Depth=1
	global_load_ushort v1, v19, s[38:39]
	global_load_ubyte v4, v[9:10], off
	v_mov_b32_e32 v5, v0
	s_mov_b32 s16, 0
	s_waitcnt vmcnt(1)
	v_add_nc_u32_e32 v2, v0, v1
	v_mul_lo_u32 v3, s40, v1
	v_mul_lo_u32 v2, s40, v2
	s_branch .LBB13_20
.LBB13_19:                              ;   in Loop: Header=BB13_20 Depth=2
	s_or_b32 exec_lo, exec_lo, s6
	v_add_nc_u32_e32 v2, v2, v3
	v_mov_b32_e32 v4, v6
	s_andn2_b32 exec_lo, exec_lo, s16
	s_cbranch_execz .LBB13_35
.LBB13_20:                              ;   Parent Loop BB13_15 Depth=1
                                        ; =>  This Inner Loop Header: Depth=2
	v_add_nc_u32_e32 v5, v5, v1
	s_waitcnt lgkmcnt(0)
	v_mov_b32_e32 v7, 0
	v_mov_b32_e32 v6, 0
	s_mov_b32 s17, exec_lo
	v_cmp_le_u32_e32 vcc_lo, s36, v5
	v_cmpx_gt_u32_e64 s36, v5
	s_cbranch_execz .LBB13_22
; %bb.21:                               ;   in Loop: Header=BB13_20 Depth=2
	global_load_ubyte v6, v2, s[42:43]
.LBB13_22:                              ;   in Loop: Header=BB13_20 Depth=2
	s_or_b32 exec_lo, exec_lo, s17
	s_waitcnt vmcnt(0)
	v_and_b32_e32 v8, v4, v32
	v_cmp_eq_u32_sdwa s17, v8, v14 src0_sel:BYTE_0 src1_sel:DWORD
	s_cmp_lg_u32 s17, 0
	s_cselect_b32 s6, -1, 0
	s_and_b32 s6, s0, s6
	s_and_saveexec_b32 s18, s6
	s_cbranch_execz .LBB13_26
; %bb.23:                               ;   in Loop: Header=BB13_20 Depth=2
	s_mov_b32 s21, exec_lo
	s_bcnt1_i32_b32 s19, s17
	v_mbcnt_lo_u32_b32 v7, s21, 0
	s_mov_b32 s20, exec_lo
                                        ; implicit-def: $vgpr8
	v_cmpx_eq_u32_e32 0, v7
; %bb.24:                               ;   in Loop: Header=BB13_20 Depth=2
	s_bcnt1_i32_b32 s6, s21
	s_mul_i32 s6, s19, s6
	v_mov_b32_e32 v8, s6
	ds_add_rtn_u32 v8, v19, v8 offset:4104
; %bb.25:                               ;   in Loop: Header=BB13_20 Depth=2
	s_or_b32 exec_lo, exec_lo, s20
	s_waitcnt lgkmcnt(0)
	v_readfirstlane_b32 s6, v8
	v_mad_u32_u24 v7, s19, v7, s6
.LBB13_26:                              ;   in Loop: Header=BB13_20 Depth=2
	s_or_b32 exec_lo, exec_lo, s18
	ds_bpermute_b32 v7, v19, v7
	s_and_b32 s6, exec_lo, vcc_lo
	s_or_b32 s16, s6, s16
	s_and_saveexec_b32 s6, s17
	s_cbranch_execz .LBB13_19
; %bb.27:                               ;   in Loop: Header=BB13_20 Depth=2
	v_and_b32_e32 v8, s17, v15
	s_waitcnt lgkmcnt(0)
	v_bcnt_u32_b32 v7, v8, v7
	ds_write_b8 v7, v4
	s_branch .LBB13_19
.LBB13_28:                              ;   in Loop: Header=BB13_15 Depth=1
	s_mov_b32 s14, -1
	s_mov_b32 s6, 0
.LBB13_29:                              ;   in Loop: Header=BB13_15 Depth=1
	s_and_b32 vcc_lo, exec_lo, s14
	s_cbranch_vccz .LBB13_58
.LBB13_30:                              ;   in Loop: Header=BB13_15 Depth=1
	s_and_saveexec_b32 s14, s1
	s_cbranch_execz .LBB13_55
; %bb.31:                               ;   in Loop: Header=BB13_15 Depth=1
	global_load_ushort v2, v19, s[38:39]
	global_load_ubyte v35, v[9:10], off
	s_mov_b32 s16, exec_lo
	s_waitcnt vmcnt(1)
	v_add_nc_u32_e32 v1, v0, v2
	v_readfirstlane_b32 s17, v2
	v_mov_b32_e32 v2, v0
	v_cmpx_gt_u32_e64 s36, v1
	s_cbranch_execz .LBB13_54
; %bb.32:                               ;   in Loop: Header=BB13_15 Depth=1
	s_mov_b32 s6, 0
	s_mul_i32 s18, s40, s17
                                        ; implicit-def: $vgpr2
                                        ; implicit-def: $vgpr5
                                        ; implicit-def: $vgpr3
                                        ; implicit-def: $vgpr4
	s_and_saveexec_b32 s19, s7
	s_xor_b32 s19, exec_lo, s19
	s_cbranch_execnz .LBB13_38
; %bb.33:                               ;   in Loop: Header=BB13_15 Depth=1
	s_andn2_saveexec_b32 s19, s19
	s_cbranch_execnz .LBB13_49
.LBB13_34:                              ;   in Loop: Header=BB13_15 Depth=1
	s_or_b32 exec_lo, exec_lo, s19
	s_and_saveexec_b32 s18, s6
	s_cbranch_execnz .LBB13_50
	s_branch .LBB13_53
.LBB13_35:                              ;   in Loop: Header=BB13_15 Depth=1
	s_or_b32 exec_lo, exec_lo, s16
	s_waitcnt lgkmcnt(0)
	s_barrier
	buffer_gl0_inv
	s_and_saveexec_b32 s6, s3
	s_cbranch_execz .LBB13_37
; %bb.36:                               ;   in Loop: Header=BB13_15 Depth=1
	ds_read_b32 v1, v19 offset:4104
	s_waitcnt lgkmcnt(0)
	ds_write_b32 v19, v1 offset:4096
.LBB13_37:                              ;   in Loop: Header=BB13_15 Depth=1
	s_or_b32 exec_lo, exec_lo, s6
	s_waitcnt lgkmcnt(0)
	s_mov_b32 s6, -1
	s_barrier
	s_and_b32 vcc_lo, exec_lo, s14
	s_cbranch_vccnz .LBB13_30
	s_branch .LBB13_58
.LBB13_38:                              ;   in Loop: Header=BB13_15 Depth=1
	v_cvt_f32_u32_e32 v2, s17
	v_add_nc_u32_e32 v3, s17, v1
	s_sub_i32 s6, 0, s17
	s_not_b32 s20, s18
	v_rcp_iflag_f32_e32 v2, v2
	v_max_u32_e32 v3, s36, v3
	v_sub_nc_u32_e32 v3, v3, v0
	v_mul_f32_e32 v2, 0x4f7ffffe, v2
	v_cvt_u32_f32_e32 v2, v2
	v_mul_lo_u32 v4, s6, v2
	s_lshl_b32 s6, s17, 1
	v_cmp_ne_u32_e32 vcc_lo, s6, v3
	v_cndmask_b32_e64 v5, 0, 1, vcc_lo
	v_mul_hi_u32 v4, v2, v4
	v_or_b32_e32 v5, s6, v5
	v_add_nc_u32_e32 v2, v2, v4
	v_sub_nc_u32_e32 v3, v3, v5
	v_mul_hi_u32 v2, v3, v2
	v_mul_lo_u32 v4, v2, s17
	v_sub_nc_u32_e32 v3, v3, v4
	v_add_nc_u32_e32 v4, 1, v2
	v_subrev_nc_u32_e32 v5, s17, v3
	v_cmp_le_u32_e64 s6, s17, v3
	v_cndmask_b32_e64 v2, v2, v4, s6
	v_cndmask_b32_e64 v3, v3, v5, s6
	v_add_nc_u32_e32 v4, 1, v2
	v_cmp_le_u32_e64 s6, s17, v3
	v_mul_lo_u32 v3, s40, v1
	v_cndmask_b32_e64 v2, v2, v4, s6
	s_abs_i32 s6, s18
	v_add_co_ci_u32_e64 v2, null, 0, v2, vcc_lo
	v_mul_hi_u32 v4, s6, v2
	v_mul_lo_u32 v2, s6, v2
	s_ashr_i32 s6, s20, 31
	s_cmp_eq_u32 s17, 1
	v_xor_b32_e32 v3, s6, v3
	s_cselect_b32 s20, -1, 0
	v_cmp_eq_u32_e32 vcc_lo, 0, v4
	v_cmp_le_u32_e64 s6, v2, v3
	v_mov_b32_e32 v3, v0
                                        ; implicit-def: $vgpr2
	s_and_b32 s20, vcc_lo, s20
	s_and_b32 s21, s20, s6
	s_mov_b32 s20, -1
	s_and_saveexec_b32 s6, s21
	s_cbranch_execz .LBB13_48
; %bb.39:                               ;   in Loop: Header=BB13_15 Depth=1
	v_add_nc_u32_e32 v4, 3, v1
	v_add_nc_u32_e32 v3, 2, v1
	;; [unrolled: 1-line block ×3, first 2 shown]
	s_waitcnt vmcnt(0)
	v_lshlrev_b32_e32 v36, 24, v35
	v_mov_b32_e32 v38, 0
	v_mov_b32_e32 v8, v4
	;; [unrolled: 1-line block ×5, first 2 shown]
                                        ; implicit-def: $vgpr35
	s_and_saveexec_b32 s20, s8
	s_cbranch_execz .LBB13_43
; %bb.40:                               ;   in Loop: Header=BB13_15 Depth=1
	v_mov_b32_e32 v8, v4
	v_mov_b32_e32 v37, v23
	;; [unrolled: 1-line block ×5, first 2 shown]
	s_mov_b32 s21, 0
	s_mov_b32 s22, 0
.LBB13_41:                              ;   Parent Loop BB13_15 Depth=1
                                        ; =>  This Inner Loop Header: Depth=2
	v_mul_lo_u32 v2, v5, s40
	v_mul_lo_u32 v38, v6, s41
	v_add_nc_u32_e32 v3, 4, v5
	v_mul_lo_u32 v35, v7, s67
	v_add_nc_u32_e32 v39, 4, v6
	;; [unrolled: 2-line block ×3, first 2 shown]
	v_mul_lo_u32 v53, v3, s40
	v_add_co_u32 v2, s23, s42, v2
	v_add_nc_u32_e32 v41, 4, v8
	v_add_nc_u32_e32 v42, 8, v5
	v_mul_lo_u32 v52, v39, s41
	v_add_co_ci_u32_e64 v3, null, s43, 0, s23
	v_add_co_u32 v38, s23, s42, v38
	v_add_nc_u32_e32 v43, 8, v6
	v_add_nc_u32_e32 v44, 8, v7
	v_mul_lo_u32 v51, v40, s67
	v_add_co_ci_u32_e64 v39, null, s43, 0, s23
	v_add_co_u32 v40, s23, s42, v35
	v_add_nc_u32_e32 v45, 8, v8
	v_add_nc_u32_e32 v46, 12, v5
	v_mul_lo_u32 v50, v41, s68
	v_mul_lo_u32 v55, v42, s40
	v_add_co_ci_u32_e64 v41, null, s43, 0, s23
	v_add_co_u32 v42, s23, s42, v4
	v_add_nc_u32_e32 v47, 12, v6
	v_add_nc_u32_e32 v48, 12, v7
	v_mul_lo_u32 v56, v44, s67
	v_mul_lo_u32 v54, v43, s41
	v_add_co_ci_u32_e64 v43, null, s43, 0, s23
	v_add_co_u32 v44, s23, s42, v53
	v_add_nc_u32_e32 v49, 12, v8
	v_mul_lo_u32 v58, v45, s68
	v_mul_lo_u32 v60, v46, s40
	v_add_co_ci_u32_e64 v45, null, s43, 0, s23
	v_add_co_u32 v46, s23, s42, v52
	v_mul_lo_u32 v64, v48, s67
	v_mul_lo_u32 v62, v47, s41
	v_add_co_ci_u32_e64 v47, null, s43, 0, s23
	v_add_co_u32 v48, s23, s42, v51
	v_mul_lo_u32 v66, v49, s68
	v_add_co_ci_u32_e64 v49, null, s43, 0, s23
	v_add_co_u32 v50, s23, s42, v50
	v_add_co_ci_u32_e64 v51, null, s43, 0, s23
	v_add_co_u32 v52, s23, s42, v55
	;; [unrolled: 2-line block ×9, first 2 shown]
	v_add_co_ci_u32_e64 v67, null, s43, 0, s23
	s_clause 0xf
	global_load_ubyte v4, v[40:41], off
	global_load_ubyte v40, v[42:43], off
	;; [unrolled: 1-line block ×16, first 2 shown]
	v_add_nc_u32_e32 v37, -4, v37
	v_add_nc_u32_e32 v51, s22, v0
	s_add_i32 s22, s22, 16
	v_add_nc_u32_e32 v8, 16, v8
	v_add_nc_u32_e32 v7, 16, v7
	v_cmp_eq_u32_e32 vcc_lo, 0, v37
	v_add_nc_u32_e32 v6, 16, v6
	v_add_nc_u32_e32 v5, 16, v5
	v_mov_b32_e32 v38, s22
	s_or_b32 s21, vcc_lo, s21
	s_waitcnt vmcnt(9)
	v_perm_b32 v4, v39, v4, 0xc0c0004
	s_waitcnt vmcnt(8)
	v_perm_b32 v2, v36, v2, 0xc0c0007
	v_perm_b32 v36, v40, v41, 0xc0c0004
	;; [unrolled: 1-line block ×3, first 2 shown]
	s_waitcnt vmcnt(7)
	v_perm_b32 v3, v43, v3, 0xc0c0004
	s_waitcnt vmcnt(4)
	v_perm_b32 v41, v47, v45, 0xc0c0004
	v_lshl_or_b32 v39, v4, 16, v2
	s_waitcnt vmcnt(2)
	v_perm_b32 v44, v48, v49, 0xc0c0004
	s_waitcnt vmcnt(1)
	v_perm_b32 v43, v50, v48, 0xc0c0004
	v_perm_b32 v42, v46, v50, 0xc0c0004
	s_waitcnt vmcnt(0)
	v_perm_b32 v45, v49, v35, 0xc0c0004
	v_lshl_or_b32 v40, v40, 16, v36
	v_lshl_or_b32 v41, v41, 16, v3
	;; [unrolled: 1-line block ×4, first 2 shown]
	ds_write_b128 v51, v[39:42]
	s_andn2_b32 exec_lo, exec_lo, s21
	s_cbranch_execnz .LBB13_41
; %bb.42:                               ;   in Loop: Header=BB13_15 Depth=1
	s_or_b32 exec_lo, exec_lo, s21
.LBB13_43:                              ;   in Loop: Header=BB13_15 Depth=1
	s_or_b32 exec_lo, exec_lo, s20
	s_and_saveexec_b32 s20, s9
	s_cbranch_execz .LBB13_47
; %bb.44:                               ;   in Loop: Header=BB13_15 Depth=1
	v_add_nc_u32_e32 v2, v0, v38
	v_mov_b32_e32 v3, v25
	s_mov_b32 s21, 0
.LBB13_45:                              ;   Parent Loop BB13_15 Depth=1
                                        ; =>  This Inner Loop Header: Depth=2
	v_mul_lo_u32 v4, v5, s40
	v_mul_lo_u32 v35, v6, s41
	;; [unrolled: 1-line block ×4, first 2 shown]
	v_add_nc_u32_e32 v3, -4, v3
	v_add_nc_u32_e32 v8, 4, v8
	v_add_nc_u32_e32 v7, 4, v7
	;; [unrolled: 1-line block ×3, first 2 shown]
	v_add_co_u32 v37, s22, s42, v4
	v_add_co_ci_u32_e64 v38, null, s43, 0, s22
	v_add_co_u32 v39, s22, s42, v35
	v_add_co_ci_u32_e64 v40, null, s43, 0, s22
	;; [unrolled: 2-line block ×4, first 2 shown]
	s_clause 0x3
	global_load_ubyte v4, v[39:40], off
	global_load_ubyte v39, v[41:42], off
	;; [unrolled: 1-line block ×4, first 2 shown]
	v_cmp_eq_u32_e32 vcc_lo, 0, v3
	v_add_nc_u32_e32 v5, 4, v5
	s_or_b32 s21, vcc_lo, s21
	s_waitcnt vmcnt(2)
	v_perm_b32 v38, v4, v39, 0xc0c0004
	s_waitcnt vmcnt(1)
	v_perm_b32 v36, v36, v37, 0xc0c0007
	v_perm_b32 v4, v37, v4, 0xc0c0004
	s_waitcnt vmcnt(0)
	v_perm_b32 v37, v39, v35, 0xc0c0004
	v_lshl_or_b32 v36, v38, 16, v36
	v_lshl_or_b32 v4, v37, 16, v4
	ds_write_b32 v2, v36
	v_add_nc_u32_e32 v2, 4, v2
	v_mov_b32_e32 v36, v4
	s_andn2_b32 exec_lo, exec_lo, s21
	s_cbranch_execnz .LBB13_45
; %bb.46:                               ;   in Loop: Header=BB13_15 Depth=1
	s_or_b32 exec_lo, exec_lo, s21
.LBB13_47:                              ;   in Loop: Header=BB13_15 Depth=1
	s_or_b32 exec_lo, exec_lo, s20
	v_add_nc_u32_e32 v1, v1, v21
	v_mov_b32_e32 v3, v22
	s_orn2_b32 s20, s10, exec_lo
	v_add_nc_u32_e32 v2, -1, v1
.LBB13_48:                              ;   in Loop: Header=BB13_15 Depth=1
	s_or_b32 exec_lo, exec_lo, s6
	v_mov_b32_e32 v4, s18
	s_waitcnt vmcnt(0)
	v_mov_b32_e32 v5, v35
	s_and_b32 s6, s20, exec_lo
	s_andn2_saveexec_b32 s19, s19
	s_cbranch_execz .LBB13_34
.LBB13_49:                              ;   in Loop: Header=BB13_15 Depth=1
	v_mov_b32_e32 v4, s18
	s_waitcnt vmcnt(0)
	v_mov_b32_e32 v5, v35
	v_mov_b32_e32 v3, v0
	s_or_b32 s6, s6, exec_lo
	s_or_b32 exec_lo, exec_lo, s19
	s_and_saveexec_b32 s18, s6
	s_cbranch_execz .LBB13_53
.LBB13_50:                              ;   in Loop: Header=BB13_15 Depth=1
	v_mul_lo_u32 v2, s40, v1
	s_mov_b32 s19, 0
	s_sub_i32 s6, 0, s17
.LBB13_51:                              ;   Parent Loop BB13_15 Depth=1
                                        ; =>  This Inner Loop Header: Depth=2
	global_load_ubyte v35, v2, s[42:43]
	v_mov_b32_e32 v6, v1
	ds_write_b8 v3, v5
	v_add_nc_u32_e32 v2, v2, v4
	v_add_nc_u32_e32 v1, s17, v6
	v_mov_b32_e32 v3, v6
	v_cmp_le_u32_e32 vcc_lo, s36, v1
	s_or_b32 s19, vcc_lo, s19
	s_waitcnt vmcnt(0)
	v_mov_b32_e32 v5, v35
	s_andn2_b32 exec_lo, exec_lo, s19
	s_cbranch_execnz .LBB13_51
; %bb.52:                               ;   in Loop: Header=BB13_15 Depth=1
	s_or_b32 exec_lo, exec_lo, s19
	v_add_nc_u32_e32 v2, s6, v1
.LBB13_53:                              ;   in Loop: Header=BB13_15 Depth=1
	s_or_b32 exec_lo, exec_lo, s18
.LBB13_54:                              ;   in Loop: Header=BB13_15 Depth=1
	s_or_b32 exec_lo, exec_lo, s16
	s_waitcnt vmcnt(0)
	ds_write_b8 v2, v35
.LBB13_55:                              ;   in Loop: Header=BB13_15 Depth=1
	s_or_b32 exec_lo, exec_lo, s14
	s_waitcnt lgkmcnt(0)
	s_barrier
	buffer_gl0_inv
	s_and_saveexec_b32 s6, s3
; %bb.56:                               ;   in Loop: Header=BB13_15 Depth=1
	v_mov_b32_e32 v1, s36
	ds_write_b32 v19, v1 offset:4096
; %bb.57:                               ;   in Loop: Header=BB13_15 Depth=1
	s_or_b32 exec_lo, exec_lo, s6
	s_mov_b32 s6, -1
	s_waitcnt lgkmcnt(0)
	s_barrier
.LBB13_58:                              ;   in Loop: Header=BB13_15 Depth=1
	s_and_b32 vcc_lo, exec_lo, s6
	s_mov_b32 s85, 0
	s_cbranch_vccz .LBB13_60
; %bb.59:                               ;   in Loop: Header=BB13_15 Depth=1
	buffer_gl0_inv
	ds_read_b32 v1, v19 offset:4096
	s_waitcnt lgkmcnt(0)
	v_readfirstlane_b32 s85, v1
.LBB13_60:                              ;   in Loop: Header=BB13_15 Depth=1
	s_cmp_lt_i32 s85, 1
	s_mov_b32 s6, -1
                                        ; implicit-def: $vgpr4
	s_cbranch_scc1 .LBB13_70
; %bb.61:                               ;   in Loop: Header=BB13_15 Depth=1
	s_and_b32 vcc_lo, exec_lo, s6
	s_cbranch_vccnz .LBB13_81
.LBB13_62:                              ;   in Loop: Header=BB13_15 Depth=1
	s_lshl_b32 s6, s74, 7
	s_and_saveexec_b32 s14, s0
.LBB13_63:                              ;   in Loop: Header=BB13_15 Depth=1
	v_lshl_add_u32 v5, s6, 2, v20
	ds_write_b128 v5, v[1:4]
.LBB13_64:                              ;   in Loop: Header=BB13_15 Depth=1
	s_or_b32 exec_lo, exec_lo, s14
	s_waitcnt lgkmcnt(0)
	s_barrier
	buffer_gl0_inv
	s_and_saveexec_b32 s14, s57
	s_cbranch_execz .LBB13_94
; %bb.65:                               ;   in Loop: Header=BB13_15 Depth=1
	v_mov_b32_e32 v1, 0
	s_andn2_b32 vcc_lo, exec_lo, s61
	s_cbranch_vccnz .LBB13_93
; %bb.66:                               ;   in Loop: Header=BB13_15 Depth=1
	s_andn2_b32 vcc_lo, exec_lo, s64
	s_cbranch_vccnz .LBB13_90
; %bb.67:                               ;   in Loop: Header=BB13_15 Depth=1
	v_lshl_add_u32 v2, s74, 9, v30
	v_mov_b32_e32 v1, 0
	s_mov_b32 s16, 0
	.p2align	6
.LBB13_68:                              ;   Parent Loop BB13_15 Depth=1
                                        ; =>  This Inner Loop Header: Depth=2
	ds_read2_b32 v[3:4], v2 offset1:4
	ds_read2_b32 v[5:6], v2 offset0:8 offset1:12
	ds_read2_b32 v[7:8], v2 offset0:16 offset1:20
	;; [unrolled: 1-line block ×3, first 2 shown]
	v_add_nc_u32_e32 v2, 0x80, v2
	s_add_i32 s16, s16, 8
	s_cmp_eq_u32 s59, s16
	s_waitcnt lgkmcnt(3)
	v_add3_u32 v1, v3, v1, v4
	s_waitcnt lgkmcnt(2)
	v_add3_u32 v1, v5, v1, v6
	;; [unrolled: 2-line block ×4, first 2 shown]
	s_cbranch_scc0 .LBB13_68
; %bb.69:                               ;   in Loop: Header=BB13_15 Depth=1
	s_mov_b32 s16, s59
	s_andn2_b32 vcc_lo, exec_lo, s65
	s_cbranch_vccz .LBB13_91
	s_branch .LBB13_93
.LBB13_70:                              ;   in Loop: Header=BB13_15 Depth=1
	v_mov_b32_e32 v1, 0
	v_mov_b32_e32 v2, 0
	;; [unrolled: 1-line block ×4, first 2 shown]
	s_and_saveexec_b32 s86, s11
	s_cbranch_execz .LBB13_74
; %bb.71:                               ;   in Loop: Header=BB13_15 Depth=1
	v_mov_b32_e32 v5, v16
	s_mov_b32 s87, 0
	s_mov_b32 s88, 0
	;; [unrolled: 1-line block ×6, first 2 shown]
.LBB13_72:                              ;   Parent Loop BB13_15 Depth=1
                                        ; =>  This Inner Loop Header: Depth=2
	v_add_nc_u32_e32 v1, s88, v28
	v_add_nc_u32_e32 v2, s88, v13
	;; [unrolled: 1-line block ×5, first 2 shown]
	s_clause 0x3
	global_load_ubyte v1, v1, s[42:43]
	global_load_ubyte v2, v2, s[42:43]
	;; [unrolled: 1-line block ×4, first 2 shown]
	s_add_i32 s88, s88, s73
	v_cmp_le_u32_e32 vcc_lo, s70, v5
	s_waitcnt vmcnt(3)
	v_and_b32_e32 v6, v32, v1
	v_bfe_u32 v1, v1, s78, 2
	s_waitcnt vmcnt(2)
	v_and_b32_e32 v7, v32, v2
	v_bfe_u32 v2, v2, s78, 2
	;; [unrolled: 3-line block ×3, first 2 shown]
	v_cmp_eq_u32_e64 s6, v6, v14
	v_cmp_eq_u32_e64 s18, 0, v1
	s_waitcnt vmcnt(0)
	v_and_b32_e32 v35, v32, v4
	v_bfe_u32 v4, v4, s78, 2
	v_cmp_eq_u32_e64 s14, v7, v14
	v_cmp_eq_u32_e64 s19, 0, v2
	;; [unrolled: 1-line block ×4, first 2 shown]
	s_and_b32 s18, s6, s18
	v_cmp_eq_u32_e64 s17, v35, v14
	v_cmp_eq_u32_e64 s21, 0, v4
	;; [unrolled: 1-line block ×5, first 2 shown]
	v_cndmask_b32_e64 v1, 0, 1, s18
	s_and_b32 s18, s14, s19
	v_cmp_eq_u32_e64 s23, 1, v2
	v_cmp_eq_u32_e64 s27, 2, v2
	v_cmp_eq_u32_e64 s31, 3, v2
	v_cndmask_b32_e64 v2, 0, 1, s18
	s_and_b32 s18, s16, s20
	v_cmp_eq_u32_e64 s24, 1, v3
	v_cmp_eq_u32_e64 s28, 2, v3
	v_cmp_eq_u32_e64 s33, 3, v3
	;; [unrolled: 5-line block ×3, first 2 shown]
	v_cndmask_b32_e64 v4, 0, 1, s18
	s_and_b32 s18, s6, s22
	v_cndmask_b32_e64 v6, 0, 1, s18
	s_and_b32 s18, s14, s23
	;; [unrolled: 2-line block ×4, first 2 shown]
	v_cmp_ne_u32_e64 s19, 0, v7
	v_cndmask_b32_e64 v35, 0, 1, s18
	s_and_b32 s18, s6, s26
	s_and_b32 s6, s6, s30
	v_cndmask_b32_e64 v36, 0, 1, s18
	s_and_b32 s18, s14, s27
	v_cndmask_b32_e64 v40, 0, 1, s6
	;; [unrolled: 2-line block ×7, first 2 shown]
	v_cndmask_b32_e64 v43, 0, 1, s6
	v_cmp_ne_u32_e64 s6, 0, v1
	v_cmp_ne_u32_e64 s18, 0, v6
	;; [unrolled: 1-line block ×11, first 2 shown]
	s_bcnt1_i32_b32 s6, s6
	s_bcnt1_i32_b32 s18, s18
	;; [unrolled: 1-line block ×4, first 2 shown]
	v_cmp_ne_u32_e64 s17, 0, v4
	v_cmp_ne_u32_e64 s21, 0, v35
	;; [unrolled: 1-line block ×4, first 2 shown]
	s_bcnt1_i32_b32 s14, s14
	s_bcnt1_i32_b32 s19, s19
	s_bcnt1_i32_b32 s23, s23
	s_bcnt1_i32_b32 s27, s27
	s_add_i32 s6, s6, s92
	s_add_i32 s18, s18, s91
	s_add_i32 s22, s22, s90
	s_add_i32 s26, s26, s89
	s_bcnt1_i32_b32 s16, s16
	s_bcnt1_i32_b32 s20, s20
	s_bcnt1_i32_b32 s24, s24
	s_bcnt1_i32_b32 s28, s28
	s_add_i32 s6, s6, s14
	s_add_i32 s14, s18, s19
	s_add_i32 s18, s22, s23
	s_add_i32 s19, s26, s27
	;; [unrolled: 8-line block ×3, first 2 shown]
	s_add_i32 s92, s6, s17
	s_add_i32 s91, s14, s21
	;; [unrolled: 1-line block ×4, first 2 shown]
	v_mov_b32_e32 v1, s92
	v_mov_b32_e32 v2, s91
	;; [unrolled: 1-line block ×4, first 2 shown]
	s_or_b32 s87, vcc_lo, s87
	s_andn2_b32 exec_lo, exec_lo, s87
	s_cbranch_execnz .LBB13_72
; %bb.73:                               ;   in Loop: Header=BB13_15 Depth=1
	s_or_b32 exec_lo, exec_lo, s87
.LBB13_74:                              ;   in Loop: Header=BB13_15 Depth=1
	s_or_b32 exec_lo, exec_lo, s86
	s_and_saveexec_b32 s18, s12
	s_cbranch_execz .LBB13_80
; %bb.75:                               ;   in Loop: Header=BB13_15 Depth=1
	global_load_ubyte v8, v[11:12], off
	v_mov_b32_e32 v5, v29
	v_mov_b32_e32 v6, v24
	s_mov_b32 s19, 0
	s_branch .LBB13_77
.LBB13_76:                              ;   in Loop: Header=BB13_77 Depth=2
	s_or_b32 exec_lo, exec_lo, s14
	s_waitcnt vmcnt(0)
	v_and_b32_e32 v8, 0xff, v8
	s_and_b32 s14, exec_lo, vcc_lo
	v_add_nc_u32_e32 v5, s51, v5
	s_or_b32 s19, s14, s19
	v_and_b32_e32 v35, v32, v8
	v_bfe_u32 v8, v8, s78, 2
	v_cmp_eq_u32_e32 vcc_lo, v35, v14
	v_cmp_eq_u32_e64 s6, 0, v8
	v_cmp_eq_u32_e64 s14, 1, v8
	;; [unrolled: 1-line block ×4, first 2 shown]
	s_and_b32 s6, vcc_lo, s6
	v_cndmask_b32_e64 v8, 0, 1, s6
	s_and_b32 s6, vcc_lo, s14
	v_cndmask_b32_e64 v35, 0, 1, s6
	;; [unrolled: 2-line block ×3, first 2 shown]
	s_and_b32 s6, vcc_lo, s17
	v_cmp_ne_u32_e32 vcc_lo, 0, v8
	v_cndmask_b32_e64 v37, 0, 1, s6
	v_cmp_ne_u32_e64 s6, 0, v35
	v_cmp_ne_u32_e64 s14, 0, v36
	v_mov_b32_e32 v8, v7
	s_bcnt1_i32_b32 s17, vcc_lo
	v_cmp_ne_u32_e64 s16, 0, v37
	s_bcnt1_i32_b32 s6, s6
	s_bcnt1_i32_b32 s14, s14
	v_add_nc_u32_e32 v1, s17, v1
	v_add_nc_u32_e32 v2, s6, v2
	s_bcnt1_i32_b32 s16, s16
	v_add_nc_u32_e32 v3, s14, v3
	v_add_nc_u32_e32 v4, s16, v4
	s_andn2_b32 exec_lo, exec_lo, s19
	s_cbranch_execz .LBB13_79
.LBB13_77:                              ;   Parent Loop BB13_15 Depth=1
                                        ; =>  This Inner Loop Header: Depth=2
	v_add_nc_u32_e32 v6, s44, v6
	v_mov_b32_e32 v7, 0
	s_mov_b32 s14, exec_lo
	v_cmp_le_u32_e32 vcc_lo, s36, v6
	v_cmpx_gt_u32_e64 s36, v6
	s_cbranch_execz .LBB13_76
; %bb.78:                               ;   in Loop: Header=BB13_77 Depth=2
	global_load_ubyte v7, v5, s[42:43]
	s_branch .LBB13_76
.LBB13_79:                              ;   in Loop: Header=BB13_15 Depth=1
	s_or_b32 exec_lo, exec_lo, s19
.LBB13_80:                              ;   in Loop: Header=BB13_15 Depth=1
	s_or_b32 exec_lo, exec_lo, s18
	s_branch .LBB13_62
.LBB13_81:                              ;   in Loop: Header=BB13_15 Depth=1
	s_mul_hi_u32 s6, s85, s66
	v_mov_b32_e32 v1, 0
	s_mul_i32 s6, s6, s58
	v_mov_b32_e32 v2, 0
	s_sub_i32 s6, s85, s6
	v_mov_b32_e32 v3, 0
	s_sub_i32 s14, s6, s58
	s_cmp_ge_u32 s6, s58
	v_mov_b32_e32 v4, 0
	s_cselect_b32 s6, s14, s6
	s_mov_b32 s87, exec_lo
	s_sub_i32 s14, s6, s58
	s_cmp_ge_u32 s6, s58
	s_cselect_b32 s6, s14, s6
	s_sub_i32 s86, s85, s6
	v_cmpx_gt_u32_e64 s86, v16
	s_cbranch_execz .LBB13_85
; %bb.82:                               ;   in Loop: Header=BB13_15 Depth=1
	v_mov_b32_e32 v5, v16
	s_mov_b32 s88, 0
	s_mov_b32 s89, 0
	;; [unrolled: 1-line block ×5, first 2 shown]
.LBB13_83:                              ;   Parent Loop BB13_15 Depth=1
                                        ; =>  This Inner Loop Header: Depth=2
	ds_read_b32 v1, v5
	v_add_nc_u32_e32 v5, s58, v5
	v_cmp_le_u32_e32 vcc_lo, s86, v5
	s_waitcnt lgkmcnt(0)
	v_and_b32_e32 v2, 0xff, v1
	v_bfe_u32 v3, v1, 8, 8
	v_bfe_u32 v4, v1, 16, 8
	v_lshrrev_b32_e32 v1, 24, v1
	v_and_b32_e32 v6, v32, v2
	v_bfe_u32 v2, v2, s78, 2
	v_and_b32_e32 v7, v32, v3
	v_bfe_u32 v3, v3, s78, 2
	;; [unrolled: 2-line block ×3, first 2 shown]
	v_cmp_eq_u32_e64 s6, v6, v14
	v_cmp_eq_u32_e64 s18, 0, v2
	v_and_b32_e32 v35, v32, v1
	v_bfe_u32 v1, v1, s78, 2
	v_cmp_eq_u32_e64 s14, v7, v14
	v_cmp_eq_u32_e64 s19, 0, v3
	;; [unrolled: 1-line block ×4, first 2 shown]
	s_and_b32 s18, s6, s18
	v_cmp_eq_u32_e64 s17, v35, v14
	v_cmp_eq_u32_e64 s21, 0, v1
	;; [unrolled: 1-line block ×5, first 2 shown]
	v_cndmask_b32_e64 v1, 0, 1, s18
	s_and_b32 s18, s14, s19
	v_cmp_eq_u32_e64 s22, 1, v2
	v_cmp_eq_u32_e64 s26, 2, v2
	v_cmp_eq_u32_e64 s30, 3, v2
	v_cndmask_b32_e64 v2, 0, 1, s18
	s_and_b32 s18, s16, s20
	v_cmp_eq_u32_e64 s23, 1, v3
	v_cmp_eq_u32_e64 s27, 2, v3
	v_cmp_eq_u32_e64 s31, 3, v3
	;; [unrolled: 5-line block ×3, first 2 shown]
	v_cndmask_b32_e64 v4, 0, 1, s18
	s_and_b32 s18, s6, s22
	v_cndmask_b32_e64 v6, 0, 1, s18
	s_and_b32 s18, s14, s23
	;; [unrolled: 2-line block ×4, first 2 shown]
	v_cmp_ne_u32_e64 s19, 0, v7
	v_cndmask_b32_e64 v35, 0, 1, s18
	s_and_b32 s18, s6, s26
	s_and_b32 s6, s6, s30
	v_cndmask_b32_e64 v36, 0, 1, s18
	s_and_b32 s18, s14, s27
	v_cndmask_b32_e64 v40, 0, 1, s6
	;; [unrolled: 2-line block ×7, first 2 shown]
	v_cndmask_b32_e64 v43, 0, 1, s6
	v_cmp_ne_u32_e64 s6, 0, v1
	v_cmp_ne_u32_e64 s18, 0, v6
	;; [unrolled: 1-line block ×11, first 2 shown]
	s_bcnt1_i32_b32 s6, s6
	s_bcnt1_i32_b32 s18, s18
	;; [unrolled: 1-line block ×4, first 2 shown]
	v_cmp_ne_u32_e64 s17, 0, v4
	v_cmp_ne_u32_e64 s21, 0, v35
	;; [unrolled: 1-line block ×4, first 2 shown]
	s_bcnt1_i32_b32 s14, s14
	s_bcnt1_i32_b32 s19, s19
	s_bcnt1_i32_b32 s23, s23
	s_bcnt1_i32_b32 s27, s27
	s_add_i32 s6, s6, s92
	s_add_i32 s18, s18, s91
	s_add_i32 s22, s22, s90
	s_add_i32 s26, s26, s89
	s_bcnt1_i32_b32 s16, s16
	s_bcnt1_i32_b32 s20, s20
	s_bcnt1_i32_b32 s24, s24
	s_bcnt1_i32_b32 s28, s28
	s_add_i32 s6, s6, s14
	s_add_i32 s14, s18, s19
	s_add_i32 s18, s22, s23
	s_add_i32 s19, s26, s27
	;; [unrolled: 8-line block ×3, first 2 shown]
	s_add_i32 s92, s6, s17
	s_add_i32 s91, s14, s21
	;; [unrolled: 1-line block ×4, first 2 shown]
	v_mov_b32_e32 v1, s92
	v_mov_b32_e32 v2, s91
	;; [unrolled: 1-line block ×4, first 2 shown]
	s_or_b32 s88, vcc_lo, s88
	s_andn2_b32 exec_lo, exec_lo, s88
	s_cbranch_execnz .LBB13_83
; %bb.84:                               ;   in Loop: Header=BB13_15 Depth=1
	s_or_b32 exec_lo, exec_lo, s88
.LBB13_85:                              ;   in Loop: Header=BB13_15 Depth=1
	s_or_b32 exec_lo, exec_lo, s87
	v_add_nc_u32_e32 v5, s86, v0
	s_mov_b32 s19, exec_lo
	v_cmpx_gt_u32_e64 s85, v5
	s_cbranch_execz .LBB13_89
; %bb.86:                               ;   in Loop: Header=BB13_15 Depth=1
	s_mov_b32 s20, 0
	s_inst_prefetch 0x1
	.p2align	6
.LBB13_87:                              ;   Parent Loop BB13_15 Depth=1
                                        ; =>  This Inner Loop Header: Depth=2
	ds_read_u8 v6, v5
	v_add_nc_u32_e32 v5, s44, v5
	v_cmp_le_u32_e32 vcc_lo, s85, v5
	s_waitcnt lgkmcnt(0)
	v_and_b32_e32 v7, v32, v6
	v_bfe_u32 v6, v6, s78, 2
	v_cmp_eq_u32_e64 s6, v7, v14
	v_cmp_eq_u32_e64 s14, 0, v6
	;; [unrolled: 1-line block ×5, first 2 shown]
	s_and_b32 s14, s6, s14
	v_cndmask_b32_e64 v6, 0, 1, s14
	s_and_b32 s14, s6, s16
	v_cndmask_b32_e64 v7, 0, 1, s14
	s_and_b32 s14, s6, s17
	s_and_b32 s6, s6, s18
	v_cndmask_b32_e64 v8, 0, 1, s14
	v_cndmask_b32_e64 v35, 0, 1, s6
	v_cmp_ne_u32_e64 s6, 0, v6
	v_cmp_ne_u32_e64 s14, 0, v7
	;; [unrolled: 1-line block ×4, first 2 shown]
	s_bcnt1_i32_b32 s6, s6
	s_bcnt1_i32_b32 s14, s14
	v_add_nc_u32_e32 v1, s6, v1
	s_bcnt1_i32_b32 s16, s16
	s_bcnt1_i32_b32 s17, s17
	v_add_nc_u32_e32 v2, s14, v2
	v_add_nc_u32_e32 v3, s16, v3
	;; [unrolled: 1-line block ×3, first 2 shown]
	s_or_b32 s20, vcc_lo, s20
	s_andn2_b32 exec_lo, exec_lo, s20
	s_cbranch_execnz .LBB13_87
; %bb.88:                               ;   in Loop: Header=BB13_15 Depth=1
	s_inst_prefetch 0x2
	s_or_b32 exec_lo, exec_lo, s20
.LBB13_89:                              ;   in Loop: Header=BB13_15 Depth=1
	s_or_b32 exec_lo, exec_lo, s19
	s_lshl_b32 s6, s74, 7
	s_and_saveexec_b32 s14, s0
	s_cbranch_execnz .LBB13_63
	s_branch .LBB13_64
.LBB13_90:                              ;   in Loop: Header=BB13_15 Depth=1
	v_mov_b32_e32 v1, 0
	s_mov_b32 s16, 0
	s_andn2_b32 vcc_lo, exec_lo, s65
	s_cbranch_vccnz .LBB13_93
.LBB13_91:                              ;   in Loop: Header=BB13_15 Depth=1
	s_lshl_b32 s17, s74, 9
	s_lshl_b32 s16, s16, 4
	v_add3_u32 v2, s17, s16, v30
	s_mov_b32 s16, s63
.LBB13_92:                              ;   Parent Loop BB13_15 Depth=1
                                        ; =>  This Inner Loop Header: Depth=2
	ds_read_b32 v3, v2
	v_add_nc_u32_e32 v2, 16, v2
	s_add_i32 s16, s16, -1
	s_cmp_lg_u32 s16, 0
	s_waitcnt lgkmcnt(0)
	v_add_nc_u32_e32 v1, v3, v1
	s_cbranch_scc1 .LBB13_92
.LBB13_93:                              ;   in Loop: Header=BB13_15 Depth=1
	v_add_lshl_u32 v2, s6, v17, 2
	ds_write_b32 v2, v1 offset:3072
.LBB13_94:                              ;   in Loop: Header=BB13_15 Depth=1
	s_or_b32 exec_lo, exec_lo, s14
	s_lshl_b32 s6, s6, 2
	s_waitcnt lgkmcnt(0)
	v_mov_b32_e32 v1, s6
	s_barrier
	buffer_gl0_inv
	v_cmp_eq_u32_e64 s14, 1, v34
	s_lshl_b32 s18, 3, s78
	ds_read_b128 v[1:4], v1 offset:3072
	s_mov_b32 s27, -1
	s_not_b32 s19, s18
	s_mov_b32 s16, 0
	s_andn2_b32 vcc_lo, exec_lo, s56
	s_mov_b32 s24, 0
	s_mov_b32 s23, 0
                                        ; implicit-def: $sgpr25
                                        ; implicit-def: $sgpr26
                                        ; implicit-def: $vgpr5
	s_waitcnt lgkmcnt(0)
	v_readfirstlane_b32 s17, v1
	v_readfirstlane_b32 s20, v2
	v_readfirstlane_b32 s21, v3
	v_readfirstlane_b32 s22, v4
                                        ; implicit-def: $vgpr4
                                        ; implicit-def: $vgpr1
                                        ; implicit-def: $vgpr2
                                        ; implicit-def: $vgpr3
	s_cbranch_vccnz .LBB13_252
; %bb.95:                               ;   in Loop: Header=BB13_15 Depth=1
	s_cmp_eq_u32 s17, 1
	v_mov_b32_e32 v2, v14
	v_mov_b32_e32 v3, v32
	;; [unrolled: 1-line block ×3, first 2 shown]
	s_cselect_b32 s6, -1, 0
	s_mov_b32 s29, -1
	s_and_b32 s6, s6, s14
                                        ; implicit-def: $sgpr26
                                        ; implicit-def: $sgpr25
	s_and_saveexec_b32 s23, s6
	s_cbranch_execz .LBB13_121
; %bb.96:                               ;   in Loop: Header=BB13_15 Depth=1
	ds_read_b32 v1, v19 offset:4096
	s_waitcnt lgkmcnt(0)
	s_barrier
	buffer_gl0_inv
	v_readfirstlane_b32 s27, v1
	s_and_saveexec_b32 s24, s15
; %bb.97:                               ;   in Loop: Header=BB13_15 Depth=1
	ds_write_b8 v0, v19 offset:3072
; %bb.98:                               ;   in Loop: Header=BB13_15 Depth=1
	s_or_b32 exec_lo, exec_lo, s24
	v_and_b32_e32 v2, s19, v14
	v_or_b32_e32 v3, s18, v32
	s_mov_b32 s25, -1
	s_mov_b32 s26, 0
	s_cmp_eq_u32 s27, 0
	s_mov_b32 s24, 0
	s_mov_b32 s28, -1
	s_waitcnt lgkmcnt(0)
	s_barrier
	buffer_gl0_inv
                                        ; implicit-def: $vgpr5
	s_cbranch_scc1 .LBB13_109
; %bb.99:                               ;   in Loop: Header=BB13_15 Depth=1
	s_add_i32 s24, s27, s62
                                        ; implicit-def: $vgpr5
	s_mul_hi_u32 s28, s24, s69
	s_mul_i32 s28, s28, s44
	s_sub_i32 s28, s24, s28
	s_sub_i32 s29, s28, s44
	s_cmp_ge_u32 s28, s44
	s_cselect_b32 s28, s29, s28
	s_sub_i32 s29, s28, s44
	s_cmp_ge_u32 s28, s44
	s_cselect_b32 s28, s29, s28
	s_mov_b32 s29, exec_lo
	s_sub_i32 s30, s24, s28
	s_mov_b32 s28, 0
	s_mov_b32 s24, 0
	v_cmpx_gt_u32_e64 s30, v0
	s_cbranch_execz .LBB13_108
; %bb.100:                              ;   in Loop: Header=BB13_15 Depth=1
	v_mov_b32_e32 v1, v0
                                        ; implicit-def: $sgpr31
	s_inst_prefetch 0x1
	s_branch .LBB13_103
	.p2align	6
.LBB13_101:                             ;   in Loop: Header=BB13_103 Depth=2
	s_or_b32 exec_lo, exec_lo, s33
	s_waitcnt lgkmcnt(0)
	s_barrier
	buffer_gl0_inv
	ds_read_u16 v4, v19 offset:3072
	s_mov_b32 s34, -1
	s_waitcnt lgkmcnt(0)
	s_barrier
	buffer_gl0_inv
	v_cmp_ne_u32_sdwa s33, v4, v19 src0_sel:BYTE_0 src1_sel:DWORD
	s_and_b32 vcc_lo, exec_lo, s33
	s_mov_b32 s33, -1
	s_cbranch_vccz .LBB13_106
.LBB13_102:                             ;   in Loop: Header=BB13_103 Depth=2
	s_and_b32 s34, exec_lo, s34
	s_or_b32 s24, s34, s24
	s_andn2_b32 s31, s31, exec_lo
	s_and_b32 s33, s33, exec_lo
	s_or_b32 s31, s31, s33
	s_andn2_b32 exec_lo, exec_lo, s24
	s_cbranch_execz .LBB13_107
.LBB13_103:                             ;   Parent Loop BB13_15 Depth=1
                                        ; =>  This Inner Loop Header: Depth=2
	s_mov_b32 s33, exec_lo
	v_cmpx_gt_u32_e64 s27, v1
	s_cbranch_execz .LBB13_101
; %bb.104:                              ;   in Loop: Header=BB13_103 Depth=2
	ds_read_u8 v4, v1
	s_waitcnt lgkmcnt(0)
	v_and_b32_e32 v5, v4, v3
	v_cmp_eq_u32_sdwa s34, v5, v2 src0_sel:BYTE_0 src1_sel:DWORD
	s_and_b32 exec_lo, exec_lo, s34
	s_cbranch_execz .LBB13_101
; %bb.105:                              ;   in Loop: Header=BB13_103 Depth=2
	v_lshlrev_b16 v4, 8, v4
	v_or_b32_e32 v4, 1, v4
	ds_write_b16 v19, v4 offset:3072
	s_branch .LBB13_101
	.p2align	6
.LBB13_106:                             ;   in Loop: Header=BB13_103 Depth=2
	v_add_nc_u32_e32 v1, s44, v1
	s_mov_b32 s33, 0
	v_cmp_le_u32_e32 vcc_lo, s30, v1
	s_orn2_b32 s34, vcc_lo, exec_lo
	s_branch .LBB13_102
.LBB13_107:                             ;   in Loop: Header=BB13_15 Depth=1
	s_inst_prefetch 0x2
	s_or_b32 exec_lo, exec_lo, s24
	v_lshrrev_b32_sdwa v5, v31, v4 dst_sel:DWORD dst_unused:UNUSED_PAD src0_sel:DWORD src1_sel:WORD_0
	s_and_b32 s24, s31, exec_lo
.LBB13_108:                             ;   in Loop: Header=BB13_15 Depth=1
	s_or_b32 exec_lo, exec_lo, s29
.LBB13_109:                             ;   in Loop: Header=BB13_15 Depth=1
	s_and_b32 vcc_lo, exec_lo, s28
	s_cbranch_vccz .LBB13_120
; %bb.110:                              ;   in Loop: Header=BB13_15 Depth=1
                                        ; implicit-def: $vgpr5
	s_and_saveexec_b32 s25, s13
	s_cbranch_execz .LBB13_119
; %bb.111:                              ;   in Loop: Header=BB13_15 Depth=1
	v_mov_b32_e32 v1, v18
	v_mov_b32_e32 v4, v0
	s_mov_b32 s26, 0
                                        ; implicit-def: $sgpr27
	s_inst_prefetch 0x1
	s_branch .LBB13_114
	.p2align	6
.LBB13_112:                             ;   in Loop: Header=BB13_114 Depth=2
	s_or_b32 exec_lo, exec_lo, s28
	s_waitcnt lgkmcnt(0)
	s_barrier
	buffer_gl0_inv
	ds_read_u16 v5, v19 offset:3072
	s_mov_b32 s28, -1
	s_waitcnt lgkmcnt(0)
	s_barrier
	buffer_gl0_inv
	v_cmp_ne_u32_sdwa s29, v5, v19 src0_sel:BYTE_0 src1_sel:DWORD
	s_and_b32 vcc_lo, exec_lo, s29
	s_mov_b32 s29, -1
	s_cbranch_vccz .LBB13_117
.LBB13_113:                             ;   in Loop: Header=BB13_114 Depth=2
	s_and_b32 s28, exec_lo, s28
	s_or_b32 s26, s28, s26
	s_andn2_b32 s27, s27, exec_lo
	s_and_b32 s28, s29, exec_lo
	s_or_b32 s27, s27, s28
	s_andn2_b32 exec_lo, exec_lo, s26
	s_cbranch_execz .LBB13_118
.LBB13_114:                             ;   Parent Loop BB13_15 Depth=1
                                        ; =>  This Inner Loop Header: Depth=2
	s_mov_b32 s28, exec_lo
	v_cmpx_gt_u32_e64 s36, v4
	s_cbranch_execz .LBB13_112
; %bb.115:                              ;   in Loop: Header=BB13_114 Depth=2
	global_load_ubyte v5, v1, s[42:43]
	s_waitcnt vmcnt(0)
	v_and_b32_e32 v6, v5, v3
	v_cmp_eq_u32_sdwa s29, v6, v2 src0_sel:BYTE_0 src1_sel:DWORD
	s_and_b32 exec_lo, exec_lo, s29
	s_cbranch_execz .LBB13_112
; %bb.116:                              ;   in Loop: Header=BB13_114 Depth=2
	v_lshlrev_b16 v5, 8, v5
	v_or_b32_e32 v5, 1, v5
	ds_write_b16 v19, v5 offset:3072
	s_branch .LBB13_112
.LBB13_117:                             ;   in Loop: Header=BB13_114 Depth=2
	v_add_nc_u32_e32 v4, s44, v4
	v_add_nc_u32_e32 v1, s51, v1
	s_mov_b32 s29, 0
	v_cmp_le_u32_e32 vcc_lo, s71, v4
	s_orn2_b32 s28, vcc_lo, exec_lo
	s_branch .LBB13_113
.LBB13_118:                             ;   in Loop: Header=BB13_15 Depth=1
	s_inst_prefetch 0x2
	s_or_b32 exec_lo, exec_lo, s26
	v_lshrrev_b32_sdwa v5, v31, v5 dst_sel:DWORD dst_unused:UNUSED_PAD src0_sel:DWORD src1_sel:WORD_0
	s_andn2_b32 s24, s24, exec_lo
	s_and_b32 s26, s27, exec_lo
	s_or_b32 s24, s24, s26
.LBB13_119:                             ;   in Loop: Header=BB13_15 Depth=1
	s_or_b32 exec_lo, exec_lo, s25
	s_mov_b32 s25, 0
	s_mov_b32 s26, -1
.LBB13_120:                             ;   in Loop: Header=BB13_15 Depth=1
	s_orn2_b32 s29, s24, exec_lo
.LBB13_121:                             ;   in Loop: Header=BB13_15 Depth=1
	s_or_b32 exec_lo, exec_lo, s23
	s_mov_b32 s27, 0
	s_mov_b32 s24, 0
	;; [unrolled: 1-line block ×3, first 2 shown]
                                        ; implicit-def: $vgpr4
                                        ; implicit-def: $vgpr1
	s_and_saveexec_b32 s28, s29
	s_cbranch_execz .LBB13_251
; %bb.122:                              ;   in Loop: Header=BB13_15 Depth=1
	v_mov_b32_e32 v4, 1
	v_mov_b32_e32 v1, 1
	s_xor_b32 s23, s6, -1
	s_mov_b32 s30, 0
	s_and_saveexec_b32 s6, s23
	s_cbranch_execz .LBB13_131
; %bb.123:                              ;   in Loop: Header=BB13_15 Depth=1
	s_mov_b32 s23, exec_lo
	v_cmpx_ge_u32_e64 s17, v34
	s_xor_b32 s23, exec_lo, s23
	s_cbranch_execz .LBB13_128
; %bb.124:                              ;   in Loop: Header=BB13_15 Depth=1
	ds_read_b32 v1, v19 offset:4096
	v_and_b32_e32 v2, s19, v2
	v_or_b32_e32 v3, s18, v3
	s_waitcnt lgkmcnt(0)
	v_cmp_ne_u32_e32 vcc_lo, 0, v1
	s_cbranch_vccnz .LBB13_128
; %bb.125:                              ;   in Loop: Header=BB13_15 Depth=1
	s_and_saveexec_b32 s24, s3
; %bb.126:                              ;   in Loop: Header=BB13_15 Depth=1
	v_mov_b32_e32 v1, s17
	ds_write_b32 v19, v1 offset:4100
; %bb.127:                              ;   in Loop: Header=BB13_15 Depth=1
	s_or_b32 exec_lo, exec_lo, s24
	s_waitcnt lgkmcnt(0)
	s_barrier
	buffer_gl0_inv
.LBB13_128:                             ;   in Loop: Header=BB13_15 Depth=1
	s_or_saveexec_b32 s23, s23
	v_mov_b32_e32 v1, 8
	v_mov_b32_e32 v4, v34
	s_mov_b32 s24, 0
	s_xor_b32 exec_lo, exec_lo, s23
; %bb.129:                              ;   in Loop: Header=BB13_15 Depth=1
	v_subrev_nc_u32_e32 v4, s17, v34
	v_mov_b32_e32 v1, 0
	s_mov_b32 s24, exec_lo
; %bb.130:                              ;   in Loop: Header=BB13_15 Depth=1
	s_or_b32 exec_lo, exec_lo, s23
	s_and_b32 s30, s24, exec_lo
.LBB13_131:                             ;   in Loop: Header=BB13_15 Depth=1
	s_or_b32 exec_lo, exec_lo, s6
	s_mov_b32 s29, -1
                                        ; implicit-def: $sgpr23
                                        ; implicit-def: $sgpr24
	s_and_saveexec_b32 s6, s30
	s_xor_b32 s6, exec_lo, s6
	s_cbranch_execz .LBB13_248
; %bb.132:                              ;   in Loop: Header=BB13_15 Depth=1
	v_cmp_eq_u32_e32 vcc_lo, 1, v4
	s_cmp_eq_u32 s20, 1
	s_mov_b32 s31, -1
	s_cselect_b32 s23, -1, 0
                                        ; implicit-def: $sgpr24
	s_and_b32 s30, s23, vcc_lo
                                        ; implicit-def: $sgpr23
	s_and_saveexec_b32 s29, s30
	s_cbranch_execz .LBB13_158
; %bb.133:                              ;   in Loop: Header=BB13_15 Depth=1
	ds_read_b32 v5, v19 offset:4096
	s_waitcnt lgkmcnt(0)
	s_barrier
	buffer_gl0_inv
	v_readfirstlane_b32 s33, v5
	s_and_saveexec_b32 s23, s15
; %bb.134:                              ;   in Loop: Header=BB13_15 Depth=1
	ds_write_b8 v0, v19 offset:3072
; %bb.135:                              ;   in Loop: Header=BB13_15 Depth=1
	s_or_b32 exec_lo, exec_lo, s23
	s_lshl_b32 s23, 1, s78
	v_or_b32_e32 v3, s18, v3
	v_and_or_b32 v2, v2, s19, s23
	s_mov_b32 s23, -1
	s_mov_b32 s24, 0
	s_cmp_eq_u32 s33, 0
	s_mov_b32 s31, 0
	s_mov_b32 s34, -1
	s_waitcnt lgkmcnt(0)
	s_barrier
	buffer_gl0_inv
                                        ; implicit-def: $vgpr5
	s_cbranch_scc1 .LBB13_146
; %bb.136:                              ;   in Loop: Header=BB13_15 Depth=1
	s_add_i32 s31, s33, s62
                                        ; implicit-def: $vgpr5
	s_mul_hi_u32 s34, s31, s69
	s_mul_i32 s34, s34, s44
	s_sub_i32 s34, s31, s34
	s_sub_i32 s85, s34, s44
	s_cmp_ge_u32 s34, s44
	s_cselect_b32 s34, s85, s34
	s_sub_i32 s85, s34, s44
	s_cmp_ge_u32 s34, s44
	s_cselect_b32 s34, s85, s34
	s_mov_b32 s85, exec_lo
	s_sub_i32 s86, s31, s34
	s_mov_b32 s34, 0
	s_mov_b32 s31, 0
	v_cmpx_gt_u32_e64 s86, v0
	s_cbranch_execz .LBB13_145
; %bb.137:                              ;   in Loop: Header=BB13_15 Depth=1
	v_mov_b32_e32 v5, v0
                                        ; implicit-def: $sgpr87
	s_inst_prefetch 0x1
	s_branch .LBB13_140
	.p2align	6
.LBB13_138:                             ;   in Loop: Header=BB13_140 Depth=2
	s_or_b32 exec_lo, exec_lo, s88
	s_waitcnt lgkmcnt(0)
	s_barrier
	buffer_gl0_inv
	ds_read_u16 v6, v19 offset:3072
	s_mov_b32 s89, -1
	s_waitcnt lgkmcnt(0)
	s_barrier
	buffer_gl0_inv
	v_cmp_ne_u32_sdwa s88, v6, v19 src0_sel:BYTE_0 src1_sel:DWORD
	s_and_b32 vcc_lo, exec_lo, s88
	s_mov_b32 s88, -1
	s_cbranch_vccz .LBB13_143
.LBB13_139:                             ;   in Loop: Header=BB13_140 Depth=2
	s_and_b32 s89, exec_lo, s89
	s_or_b32 s31, s89, s31
	s_andn2_b32 s87, s87, exec_lo
	s_and_b32 s88, s88, exec_lo
	s_or_b32 s87, s87, s88
	s_andn2_b32 exec_lo, exec_lo, s31
	s_cbranch_execz .LBB13_144
.LBB13_140:                             ;   Parent Loop BB13_15 Depth=1
                                        ; =>  This Inner Loop Header: Depth=2
	s_mov_b32 s88, exec_lo
	v_cmpx_gt_u32_e64 s33, v5
	s_cbranch_execz .LBB13_138
; %bb.141:                              ;   in Loop: Header=BB13_140 Depth=2
	ds_read_u8 v6, v5
	s_waitcnt lgkmcnt(0)
	v_and_b32_e32 v7, v6, v3
	v_cmp_eq_u32_sdwa s89, v7, v2 src0_sel:BYTE_0 src1_sel:DWORD
	s_and_b32 exec_lo, exec_lo, s89
	s_cbranch_execz .LBB13_138
; %bb.142:                              ;   in Loop: Header=BB13_140 Depth=2
	v_lshlrev_b16 v6, 8, v6
	v_or_b32_e32 v6, 1, v6
	ds_write_b16 v19, v6 offset:3072
	s_branch .LBB13_138
	.p2align	6
.LBB13_143:                             ;   in Loop: Header=BB13_140 Depth=2
	v_add_nc_u32_e32 v5, s44, v5
	s_mov_b32 s88, 0
	v_cmp_le_u32_e32 vcc_lo, s86, v5
	s_orn2_b32 s89, vcc_lo, exec_lo
	s_branch .LBB13_139
.LBB13_144:                             ;   in Loop: Header=BB13_15 Depth=1
	s_inst_prefetch 0x2
	s_or_b32 exec_lo, exec_lo, s31
	v_lshrrev_b32_sdwa v5, v31, v6 dst_sel:DWORD dst_unused:UNUSED_PAD src0_sel:DWORD src1_sel:WORD_0
	s_and_b32 s31, s87, exec_lo
.LBB13_145:                             ;   in Loop: Header=BB13_15 Depth=1
	s_or_b32 exec_lo, exec_lo, s85
.LBB13_146:                             ;   in Loop: Header=BB13_15 Depth=1
	s_and_b32 vcc_lo, exec_lo, s34
	s_cbranch_vccz .LBB13_157
; %bb.147:                              ;   in Loop: Header=BB13_15 Depth=1
                                        ; implicit-def: $vgpr5
	s_and_saveexec_b32 s23, s13
	s_cbranch_execz .LBB13_156
; %bb.148:                              ;   in Loop: Header=BB13_15 Depth=1
	v_mov_b32_e32 v5, v18
	v_mov_b32_e32 v6, v0
	s_mov_b32 s24, 0
                                        ; implicit-def: $sgpr33
	s_inst_prefetch 0x1
	s_branch .LBB13_151
	.p2align	6
.LBB13_149:                             ;   in Loop: Header=BB13_151 Depth=2
	s_or_b32 exec_lo, exec_lo, s34
	s_waitcnt lgkmcnt(0)
	s_barrier
	buffer_gl0_inv
	ds_read_u16 v7, v19 offset:3072
	s_mov_b32 s34, -1
	s_waitcnt lgkmcnt(0)
	s_barrier
	buffer_gl0_inv
	v_cmp_eq_u32_sdwa s85, v7, v19 src0_sel:BYTE_0 src1_sel:DWORD
	s_and_b32 vcc_lo, exec_lo, s85
	s_mov_b32 s85, -1
	s_cbranch_vccnz .LBB13_154
.LBB13_150:                             ;   in Loop: Header=BB13_151 Depth=2
	s_and_b32 s34, exec_lo, s34
	s_or_b32 s24, s34, s24
	s_andn2_b32 s33, s33, exec_lo
	s_and_b32 s34, s85, exec_lo
	s_or_b32 s33, s33, s34
	s_andn2_b32 exec_lo, exec_lo, s24
	s_cbranch_execz .LBB13_155
.LBB13_151:                             ;   Parent Loop BB13_15 Depth=1
                                        ; =>  This Inner Loop Header: Depth=2
	s_mov_b32 s34, exec_lo
	v_cmpx_gt_u32_e64 s36, v6
	s_cbranch_execz .LBB13_149
; %bb.152:                              ;   in Loop: Header=BB13_151 Depth=2
	global_load_ubyte v7, v5, s[42:43]
	s_waitcnt vmcnt(0)
	v_and_b32_e32 v8, v7, v3
	v_cmp_eq_u32_sdwa s85, v8, v2 src0_sel:BYTE_0 src1_sel:DWORD
	s_and_b32 exec_lo, exec_lo, s85
	s_cbranch_execz .LBB13_149
; %bb.153:                              ;   in Loop: Header=BB13_151 Depth=2
	v_lshlrev_b16 v7, 8, v7
	v_or_b32_e32 v7, 1, v7
	ds_write_b16 v19, v7 offset:3072
	s_branch .LBB13_149
.LBB13_154:                             ;   in Loop: Header=BB13_151 Depth=2
	v_add_nc_u32_e32 v6, s44, v6
	v_add_nc_u32_e32 v5, s51, v5
	s_mov_b32 s85, 0
	v_cmp_le_u32_e32 vcc_lo, s71, v6
	s_orn2_b32 s34, vcc_lo, exec_lo
	s_branch .LBB13_150
.LBB13_155:                             ;   in Loop: Header=BB13_15 Depth=1
	s_inst_prefetch 0x2
	s_or_b32 exec_lo, exec_lo, s24
	v_lshrrev_b32_sdwa v5, v31, v7 dst_sel:DWORD dst_unused:UNUSED_PAD src0_sel:DWORD src1_sel:WORD_0
	s_andn2_b32 s24, s31, exec_lo
	s_and_b32 s31, s33, exec_lo
	s_or_b32 s31, s24, s31
.LBB13_156:                             ;   in Loop: Header=BB13_15 Depth=1
	s_or_b32 exec_lo, exec_lo, s23
	s_mov_b32 s23, 0
	s_mov_b32 s24, -1
.LBB13_157:                             ;   in Loop: Header=BB13_15 Depth=1
	s_orn2_b32 s31, s31, exec_lo
.LBB13_158:                             ;   in Loop: Header=BB13_15 Depth=1
	s_or_b32 exec_lo, exec_lo, s29
	s_mov_b32 s33, 0
	s_and_saveexec_b32 s29, s31
	s_cbranch_execz .LBB13_247
; %bb.159:                              ;   in Loop: Header=BB13_15 Depth=1
	v_mov_b32_e32 v6, 1
	v_mov_b32_e32 v1, 1
	s_xor_b32 s31, s30, -1
	s_mov_b32 s85, 0
	s_and_saveexec_b32 s30, s31
	s_cbranch_execz .LBB13_168
; %bb.160:                              ;   in Loop: Header=BB13_15 Depth=1
	s_mov_b32 s31, exec_lo
	v_cmpx_ge_u32_e64 s20, v4
	s_xor_b32 s31, exec_lo, s31
	s_cbranch_execz .LBB13_165
; %bb.161:                              ;   in Loop: Header=BB13_15 Depth=1
	ds_read_b32 v1, v19 offset:4096
	s_lshl_b32 s33, 1, s78
	v_or_b32_e32 v3, s18, v3
	v_and_or_b32 v2, v2, s19, s33
	s_waitcnt lgkmcnt(0)
	v_cmp_ne_u32_e32 vcc_lo, 0, v1
	s_cbranch_vccnz .LBB13_165
; %bb.162:                              ;   in Loop: Header=BB13_15 Depth=1
	s_and_saveexec_b32 s33, s3
; %bb.163:                              ;   in Loop: Header=BB13_15 Depth=1
	v_mov_b32_e32 v1, s20
	ds_write_b32 v19, v1 offset:4100
; %bb.164:                              ;   in Loop: Header=BB13_15 Depth=1
	s_or_b32 exec_lo, exec_lo, s33
	s_waitcnt lgkmcnt(0)
	s_barrier
	buffer_gl0_inv
.LBB13_165:                             ;   in Loop: Header=BB13_15 Depth=1
	s_or_saveexec_b32 s31, s31
	v_mov_b32_e32 v1, 8
	s_mov_b32 s33, 0
	s_xor_b32 exec_lo, exec_lo, s31
; %bb.166:                              ;   in Loop: Header=BB13_15 Depth=1
	v_subrev_nc_u32_e32 v4, s20, v4
	v_mov_b32_e32 v1, 0
	s_mov_b32 s33, exec_lo
; %bb.167:                              ;   in Loop: Header=BB13_15 Depth=1
	s_or_b32 exec_lo, exec_lo, s31
	v_mov_b32_e32 v6, v4
	s_and_b32 s85, s33, exec_lo
.LBB13_168:                             ;   in Loop: Header=BB13_15 Depth=1
	s_or_b32 exec_lo, exec_lo, s30
	s_mov_b32 s34, -1
                                        ; implicit-def: $sgpr31
                                        ; implicit-def: $sgpr33
	s_and_saveexec_b32 s30, s85
	s_cbranch_execz .LBB13_246
; %bb.169:                              ;   in Loop: Header=BB13_15 Depth=1
	v_cmp_eq_u32_e32 vcc_lo, 1, v6
	s_cmp_eq_u32 s21, 1
	s_mov_b32 s86, -1
	s_cselect_b32 s31, -1, 0
                                        ; implicit-def: $sgpr33
	s_and_b32 s85, s31, vcc_lo
                                        ; implicit-def: $sgpr31
	s_and_saveexec_b32 s34, s85
	s_cbranch_execz .LBB13_195
; %bb.170:                              ;   in Loop: Header=BB13_15 Depth=1
	ds_read_b32 v4, v19 offset:4096
	s_waitcnt lgkmcnt(0)
	s_barrier
	buffer_gl0_inv
	v_readfirstlane_b32 s87, v4
	s_and_saveexec_b32 s31, s15
; %bb.171:                              ;   in Loop: Header=BB13_15 Depth=1
	ds_write_b8 v0, v19 offset:3072
; %bb.172:                              ;   in Loop: Header=BB13_15 Depth=1
	s_or_b32 exec_lo, exec_lo, s31
	s_lshl_b32 s31, 2, s78
	v_or_b32_e32 v3, s18, v3
	v_and_or_b32 v2, v2, s19, s31
	s_mov_b32 s31, -1
	s_mov_b32 s33, 0
	s_cmp_eq_u32 s87, 0
	s_mov_b32 s86, 0
	s_mov_b32 s88, -1
	s_waitcnt lgkmcnt(0)
	s_barrier
	buffer_gl0_inv
                                        ; implicit-def: $vgpr5
	s_cbranch_scc1 .LBB13_183
; %bb.173:                              ;   in Loop: Header=BB13_15 Depth=1
	s_add_i32 s86, s87, s62
                                        ; implicit-def: $vgpr5
	s_mul_hi_u32 s88, s86, s69
	s_mul_i32 s88, s88, s44
	s_sub_i32 s88, s86, s88
	s_sub_i32 s89, s88, s44
	s_cmp_ge_u32 s88, s44
	s_cselect_b32 s88, s89, s88
	s_sub_i32 s89, s88, s44
	s_cmp_ge_u32 s88, s44
	s_cselect_b32 s88, s89, s88
	s_mov_b32 s89, exec_lo
	s_sub_i32 s90, s86, s88
	s_mov_b32 s88, 0
	s_mov_b32 s86, 0
	v_cmpx_gt_u32_e64 s90, v0
	s_cbranch_execz .LBB13_182
; %bb.174:                              ;   in Loop: Header=BB13_15 Depth=1
	v_mov_b32_e32 v4, v0
                                        ; implicit-def: $sgpr91
	s_inst_prefetch 0x1
	s_branch .LBB13_177
	.p2align	6
.LBB13_175:                             ;   in Loop: Header=BB13_177 Depth=2
	s_or_b32 exec_lo, exec_lo, s92
	s_waitcnt lgkmcnt(0)
	s_barrier
	buffer_gl0_inv
	ds_read_u16 v5, v19 offset:3072
	s_mov_b32 s93, -1
	s_waitcnt lgkmcnt(0)
	s_barrier
	buffer_gl0_inv
	v_cmp_ne_u32_sdwa s92, v5, v19 src0_sel:BYTE_0 src1_sel:DWORD
	s_and_b32 vcc_lo, exec_lo, s92
	s_mov_b32 s92, -1
	s_cbranch_vccz .LBB13_180
.LBB13_176:                             ;   in Loop: Header=BB13_177 Depth=2
	s_and_b32 s93, exec_lo, s93
	s_or_b32 s86, s93, s86
	s_andn2_b32 s91, s91, exec_lo
	s_and_b32 s92, s92, exec_lo
	s_or_b32 s91, s91, s92
	s_andn2_b32 exec_lo, exec_lo, s86
	s_cbranch_execz .LBB13_181
.LBB13_177:                             ;   Parent Loop BB13_15 Depth=1
                                        ; =>  This Inner Loop Header: Depth=2
	s_mov_b32 s92, exec_lo
	v_cmpx_gt_u32_e64 s87, v4
	s_cbranch_execz .LBB13_175
; %bb.178:                              ;   in Loop: Header=BB13_177 Depth=2
	ds_read_u8 v5, v4
	s_waitcnt lgkmcnt(0)
	v_and_b32_e32 v7, v5, v3
	v_cmp_eq_u32_sdwa s93, v7, v2 src0_sel:BYTE_0 src1_sel:DWORD
	s_and_b32 exec_lo, exec_lo, s93
	s_cbranch_execz .LBB13_175
; %bb.179:                              ;   in Loop: Header=BB13_177 Depth=2
	v_lshlrev_b16 v5, 8, v5
	v_or_b32_e32 v5, 1, v5
	ds_write_b16 v19, v5 offset:3072
	s_branch .LBB13_175
	.p2align	6
.LBB13_180:                             ;   in Loop: Header=BB13_177 Depth=2
	v_add_nc_u32_e32 v4, s44, v4
	s_mov_b32 s92, 0
	v_cmp_le_u32_e32 vcc_lo, s90, v4
	s_orn2_b32 s93, vcc_lo, exec_lo
	s_branch .LBB13_176
.LBB13_181:                             ;   in Loop: Header=BB13_15 Depth=1
	s_inst_prefetch 0x2
	s_or_b32 exec_lo, exec_lo, s86
	v_lshrrev_b32_sdwa v5, v31, v5 dst_sel:DWORD dst_unused:UNUSED_PAD src0_sel:DWORD src1_sel:WORD_0
	s_and_b32 s86, s91, exec_lo
.LBB13_182:                             ;   in Loop: Header=BB13_15 Depth=1
	s_or_b32 exec_lo, exec_lo, s89
.LBB13_183:                             ;   in Loop: Header=BB13_15 Depth=1
	s_and_b32 vcc_lo, exec_lo, s88
	s_cbranch_vccz .LBB13_194
; %bb.184:                              ;   in Loop: Header=BB13_15 Depth=1
                                        ; implicit-def: $vgpr5
	s_and_saveexec_b32 s31, s13
	s_cbranch_execz .LBB13_193
; %bb.185:                              ;   in Loop: Header=BB13_15 Depth=1
	v_mov_b32_e32 v4, v18
	v_mov_b32_e32 v5, v0
	s_mov_b32 s33, 0
                                        ; implicit-def: $sgpr87
	s_inst_prefetch 0x1
	s_branch .LBB13_188
	.p2align	6
.LBB13_186:                             ;   in Loop: Header=BB13_188 Depth=2
	s_or_b32 exec_lo, exec_lo, s88
	s_waitcnt lgkmcnt(0)
	s_barrier
	buffer_gl0_inv
	ds_read_u16 v7, v19 offset:3072
	s_mov_b32 s88, -1
	s_waitcnt lgkmcnt(0)
	s_barrier
	buffer_gl0_inv
	v_cmp_eq_u32_sdwa s89, v7, v19 src0_sel:BYTE_0 src1_sel:DWORD
	s_and_b32 vcc_lo, exec_lo, s89
	s_mov_b32 s89, -1
	s_cbranch_vccnz .LBB13_191
.LBB13_187:                             ;   in Loop: Header=BB13_188 Depth=2
	s_and_b32 s88, exec_lo, s88
	s_or_b32 s33, s88, s33
	s_andn2_b32 s87, s87, exec_lo
	s_and_b32 s88, s89, exec_lo
	s_or_b32 s87, s87, s88
	s_andn2_b32 exec_lo, exec_lo, s33
	s_cbranch_execz .LBB13_192
.LBB13_188:                             ;   Parent Loop BB13_15 Depth=1
                                        ; =>  This Inner Loop Header: Depth=2
	s_mov_b32 s88, exec_lo
	v_cmpx_gt_u32_e64 s36, v5
	s_cbranch_execz .LBB13_186
; %bb.189:                              ;   in Loop: Header=BB13_188 Depth=2
	global_load_ubyte v7, v4, s[42:43]
	s_waitcnt vmcnt(0)
	v_and_b32_e32 v8, v7, v3
	v_cmp_eq_u32_sdwa s89, v8, v2 src0_sel:BYTE_0 src1_sel:DWORD
	s_and_b32 exec_lo, exec_lo, s89
	s_cbranch_execz .LBB13_186
; %bb.190:                              ;   in Loop: Header=BB13_188 Depth=2
	v_lshlrev_b16 v7, 8, v7
	v_or_b32_e32 v7, 1, v7
	ds_write_b16 v19, v7 offset:3072
	s_branch .LBB13_186
.LBB13_191:                             ;   in Loop: Header=BB13_188 Depth=2
	v_add_nc_u32_e32 v5, s44, v5
	v_add_nc_u32_e32 v4, s51, v4
	s_mov_b32 s89, 0
	v_cmp_le_u32_e32 vcc_lo, s71, v5
	s_orn2_b32 s88, vcc_lo, exec_lo
	s_branch .LBB13_187
.LBB13_192:                             ;   in Loop: Header=BB13_15 Depth=1
	s_inst_prefetch 0x2
	s_or_b32 exec_lo, exec_lo, s33
	v_lshrrev_b32_sdwa v5, v31, v7 dst_sel:DWORD dst_unused:UNUSED_PAD src0_sel:DWORD src1_sel:WORD_0
	s_andn2_b32 s33, s86, exec_lo
	s_and_b32 s86, s87, exec_lo
	s_or_b32 s86, s33, s86
.LBB13_193:                             ;   in Loop: Header=BB13_15 Depth=1
	s_or_b32 exec_lo, exec_lo, s31
	s_mov_b32 s31, 0
	s_mov_b32 s33, -1
.LBB13_194:                             ;   in Loop: Header=BB13_15 Depth=1
	s_orn2_b32 s86, s86, exec_lo
.LBB13_195:                             ;   in Loop: Header=BB13_15 Depth=1
	s_or_b32 exec_lo, exec_lo, s34
	s_mov_b32 s87, 0
	s_and_saveexec_b32 s34, s86
	s_cbranch_execz .LBB13_245
; %bb.196:                              ;   in Loop: Header=BB13_15 Depth=1
	v_mov_b32_e32 v4, 1
	v_mov_b32_e32 v1, 1
	s_xor_b32 s86, s85, -1
	s_mov_b32 s89, 0
	s_and_saveexec_b32 s85, s86
	s_cbranch_execz .LBB13_205
; %bb.197:                              ;   in Loop: Header=BB13_15 Depth=1
	s_mov_b32 s86, exec_lo
	v_cmpx_ge_u32_e64 s21, v6
	s_xor_b32 s86, exec_lo, s86
	s_cbranch_execz .LBB13_202
; %bb.198:                              ;   in Loop: Header=BB13_15 Depth=1
	ds_read_b32 v1, v19 offset:4096
	s_lshl_b32 s87, 2, s78
	v_or_b32_e32 v3, s18, v3
	v_and_or_b32 v2, v2, s19, s87
	s_waitcnt lgkmcnt(0)
	v_cmp_ne_u32_e32 vcc_lo, 0, v1
	s_cbranch_vccnz .LBB13_202
; %bb.199:                              ;   in Loop: Header=BB13_15 Depth=1
	s_and_saveexec_b32 s87, s3
; %bb.200:                              ;   in Loop: Header=BB13_15 Depth=1
	v_mov_b32_e32 v1, s21
	ds_write_b32 v19, v1 offset:4100
; %bb.201:                              ;   in Loop: Header=BB13_15 Depth=1
	s_or_b32 exec_lo, exec_lo, s87
	s_waitcnt lgkmcnt(0)
	s_barrier
	buffer_gl0_inv
.LBB13_202:                             ;   in Loop: Header=BB13_15 Depth=1
	s_or_saveexec_b32 s86, s86
	v_mov_b32_e32 v1, 8
	s_mov_b32 s87, 0
	s_xor_b32 exec_lo, exec_lo, s86
; %bb.203:                              ;   in Loop: Header=BB13_15 Depth=1
	v_subrev_nc_u32_e32 v6, s21, v6
	v_mov_b32_e32 v1, 0
	s_mov_b32 s87, exec_lo
; %bb.204:                              ;   in Loop: Header=BB13_15 Depth=1
	s_or_b32 exec_lo, exec_lo, s86
	v_mov_b32_e32 v4, v6
	s_and_b32 s89, s87, exec_lo
.LBB13_205:                             ;   in Loop: Header=BB13_15 Depth=1
	s_or_b32 exec_lo, exec_lo, s85
	s_mov_b32 s88, -1
                                        ; implicit-def: $sgpr87
                                        ; implicit-def: $sgpr86
	s_and_saveexec_b32 s85, s89
	s_cbranch_execz .LBB13_244
; %bb.206:                              ;   in Loop: Header=BB13_15 Depth=1
	v_cmp_eq_u32_e32 vcc_lo, 1, v4
	s_cmp_eq_u32 s22, 1
	s_mov_b32 s90, -1
	s_cselect_b32 s86, -1, 0
                                        ; implicit-def: $sgpr87
	s_and_b32 s88, s86, vcc_lo
                                        ; implicit-def: $sgpr86
	s_and_saveexec_b32 s89, s88
	s_cbranch_execz .LBB13_232
; %bb.207:                              ;   in Loop: Header=BB13_15 Depth=1
	ds_read_b32 v5, v19 offset:4096
	s_waitcnt lgkmcnt(0)
	s_barrier
	buffer_gl0_inv
	v_readfirstlane_b32 s91, v5
	s_and_saveexec_b32 s86, s15
; %bb.208:                              ;   in Loop: Header=BB13_15 Depth=1
	ds_write_b8 v0, v19 offset:3072
; %bb.209:                              ;   in Loop: Header=BB13_15 Depth=1
	s_or_b32 exec_lo, exec_lo, s86
	v_or_b32_e32 v2, s18, v2
	v_or_b32_e32 v3, s18, v3
	s_mov_b32 s86, -1
	s_mov_b32 s87, 0
	s_cmp_eq_u32 s91, 0
	s_mov_b32 s90, 0
	s_mov_b32 s92, -1
	s_waitcnt lgkmcnt(0)
	s_barrier
	buffer_gl0_inv
                                        ; implicit-def: $vgpr5
	s_cbranch_scc1 .LBB13_220
; %bb.210:                              ;   in Loop: Header=BB13_15 Depth=1
	s_add_i32 s90, s91, s62
                                        ; implicit-def: $vgpr5
	s_mul_hi_u32 s92, s90, s69
	s_mul_i32 s92, s92, s44
	s_sub_i32 s92, s90, s92
	s_sub_i32 s93, s92, s44
	s_cmp_ge_u32 s92, s44
	s_cselect_b32 s92, s93, s92
	s_sub_i32 s93, s92, s44
	s_cmp_ge_u32 s92, s44
	s_cselect_b32 s92, s93, s92
	s_mov_b32 s93, exec_lo
	s_sub_i32 s94, s90, s92
	s_mov_b32 s92, 0
	s_mov_b32 s90, 0
	v_cmpx_gt_u32_e64 s94, v0
	s_cbranch_execz .LBB13_219
; %bb.211:                              ;   in Loop: Header=BB13_15 Depth=1
	v_mov_b32_e32 v5, v0
                                        ; implicit-def: $sgpr95
	s_inst_prefetch 0x1
	s_branch .LBB13_214
	.p2align	6
.LBB13_212:                             ;   in Loop: Header=BB13_214 Depth=2
	s_or_b32 exec_lo, exec_lo, s96
	s_waitcnt lgkmcnt(0)
	s_barrier
	buffer_gl0_inv
	ds_read_u16 v6, v19 offset:3072
	s_mov_b32 s97, -1
	s_waitcnt lgkmcnt(0)
	s_barrier
	buffer_gl0_inv
	v_cmp_ne_u32_sdwa s96, v6, v19 src0_sel:BYTE_0 src1_sel:DWORD
	s_and_b32 vcc_lo, exec_lo, s96
	s_mov_b32 s96, -1
	s_cbranch_vccz .LBB13_217
.LBB13_213:                             ;   in Loop: Header=BB13_214 Depth=2
	s_and_b32 s97, exec_lo, s97
	s_or_b32 s90, s97, s90
	s_andn2_b32 s95, s95, exec_lo
	s_and_b32 s96, s96, exec_lo
	s_or_b32 s95, s95, s96
	s_andn2_b32 exec_lo, exec_lo, s90
	s_cbranch_execz .LBB13_218
.LBB13_214:                             ;   Parent Loop BB13_15 Depth=1
                                        ; =>  This Inner Loop Header: Depth=2
	s_mov_b32 s96, exec_lo
	v_cmpx_gt_u32_e64 s91, v5
	s_cbranch_execz .LBB13_212
; %bb.215:                              ;   in Loop: Header=BB13_214 Depth=2
	ds_read_u8 v6, v5
	s_waitcnt lgkmcnt(0)
	v_and_b32_e32 v7, v6, v3
	v_cmp_eq_u32_sdwa s97, v7, v2 src0_sel:BYTE_0 src1_sel:DWORD
	s_and_b32 exec_lo, exec_lo, s97
	s_cbranch_execz .LBB13_212
; %bb.216:                              ;   in Loop: Header=BB13_214 Depth=2
	v_lshlrev_b16 v6, 8, v6
	v_or_b32_e32 v6, 1, v6
	ds_write_b16 v19, v6 offset:3072
	s_branch .LBB13_212
	.p2align	6
.LBB13_217:                             ;   in Loop: Header=BB13_214 Depth=2
	v_add_nc_u32_e32 v5, s44, v5
	s_mov_b32 s96, 0
	v_cmp_le_u32_e32 vcc_lo, s94, v5
	s_orn2_b32 s97, vcc_lo, exec_lo
	s_branch .LBB13_213
.LBB13_218:                             ;   in Loop: Header=BB13_15 Depth=1
	s_inst_prefetch 0x2
	s_or_b32 exec_lo, exec_lo, s90
	v_lshrrev_b32_sdwa v5, v31, v6 dst_sel:DWORD dst_unused:UNUSED_PAD src0_sel:DWORD src1_sel:WORD_0
	s_and_b32 s90, s95, exec_lo
.LBB13_219:                             ;   in Loop: Header=BB13_15 Depth=1
	s_or_b32 exec_lo, exec_lo, s93
.LBB13_220:                             ;   in Loop: Header=BB13_15 Depth=1
	s_and_b32 vcc_lo, exec_lo, s92
	s_cbranch_vccz .LBB13_231
; %bb.221:                              ;   in Loop: Header=BB13_15 Depth=1
                                        ; implicit-def: $vgpr5
	s_and_saveexec_b32 s86, s13
	s_cbranch_execz .LBB13_230
; %bb.222:                              ;   in Loop: Header=BB13_15 Depth=1
	v_mov_b32_e32 v5, v18
	v_mov_b32_e32 v6, v0
	s_mov_b32 s87, 0
                                        ; implicit-def: $sgpr91
	s_inst_prefetch 0x1
	s_branch .LBB13_225
	.p2align	6
.LBB13_223:                             ;   in Loop: Header=BB13_225 Depth=2
	s_or_b32 exec_lo, exec_lo, s92
	s_waitcnt lgkmcnt(0)
	s_barrier
	buffer_gl0_inv
	ds_read_u16 v7, v19 offset:3072
	s_mov_b32 s92, -1
	s_waitcnt lgkmcnt(0)
	s_barrier
	buffer_gl0_inv
	v_cmp_eq_u32_sdwa s93, v7, v19 src0_sel:BYTE_0 src1_sel:DWORD
	s_and_b32 vcc_lo, exec_lo, s93
	s_mov_b32 s93, -1
	s_cbranch_vccnz .LBB13_228
.LBB13_224:                             ;   in Loop: Header=BB13_225 Depth=2
	s_and_b32 s92, exec_lo, s92
	s_or_b32 s87, s92, s87
	s_andn2_b32 s91, s91, exec_lo
	s_and_b32 s92, s93, exec_lo
	s_or_b32 s91, s91, s92
	s_andn2_b32 exec_lo, exec_lo, s87
	s_cbranch_execz .LBB13_229
.LBB13_225:                             ;   Parent Loop BB13_15 Depth=1
                                        ; =>  This Inner Loop Header: Depth=2
	s_mov_b32 s92, exec_lo
	v_cmpx_gt_u32_e64 s36, v6
	s_cbranch_execz .LBB13_223
; %bb.226:                              ;   in Loop: Header=BB13_225 Depth=2
	global_load_ubyte v7, v5, s[42:43]
	s_waitcnt vmcnt(0)
	v_and_b32_e32 v8, v7, v3
	v_cmp_eq_u32_sdwa s93, v8, v2 src0_sel:BYTE_0 src1_sel:DWORD
	s_and_b32 exec_lo, exec_lo, s93
	s_cbranch_execz .LBB13_223
; %bb.227:                              ;   in Loop: Header=BB13_225 Depth=2
	v_lshlrev_b16 v7, 8, v7
	v_or_b32_e32 v7, 1, v7
	ds_write_b16 v19, v7 offset:3072
	s_branch .LBB13_223
.LBB13_228:                             ;   in Loop: Header=BB13_225 Depth=2
	v_add_nc_u32_e32 v6, s44, v6
	v_add_nc_u32_e32 v5, s51, v5
	s_mov_b32 s93, 0
	v_cmp_le_u32_e32 vcc_lo, s71, v6
	s_orn2_b32 s92, vcc_lo, exec_lo
	s_branch .LBB13_224
.LBB13_229:                             ;   in Loop: Header=BB13_15 Depth=1
	s_inst_prefetch 0x2
	s_or_b32 exec_lo, exec_lo, s87
	v_lshrrev_b32_sdwa v5, v31, v7 dst_sel:DWORD dst_unused:UNUSED_PAD src0_sel:DWORD src1_sel:WORD_0
	s_andn2_b32 s87, s90, exec_lo
	s_and_b32 s90, s91, exec_lo
	s_or_b32 s90, s87, s90
.LBB13_230:                             ;   in Loop: Header=BB13_15 Depth=1
	s_or_b32 exec_lo, exec_lo, s86
	s_mov_b32 s86, 0
	s_mov_b32 s87, -1
.LBB13_231:                             ;   in Loop: Header=BB13_15 Depth=1
	s_orn2_b32 s90, s90, exec_lo
.LBB13_232:                             ;   in Loop: Header=BB13_15 Depth=1
	s_or_b32 exec_lo, exec_lo, s89
	s_mov_b32 s91, 0
	s_and_saveexec_b32 s89, s90
	s_cbranch_execz .LBB13_243
; %bb.233:                              ;   in Loop: Header=BB13_15 Depth=1
	v_mov_b32_e32 v1, 1
	v_mov_b32_e32 v6, 1
	s_xor_b32 s90, s88, -1
	s_and_saveexec_b32 s88, s90
	s_cbranch_execz .LBB13_242
; %bb.234:                              ;   in Loop: Header=BB13_15 Depth=1
	s_mov_b32 s90, exec_lo
	v_cmpx_ge_u32_e64 s22, v4
	s_xor_b32 s90, exec_lo, s90
	s_cbranch_execz .LBB13_239
; %bb.235:                              ;   in Loop: Header=BB13_15 Depth=1
	ds_read_b32 v1, v19 offset:4096
	v_or_b32_e32 v2, s18, v2
	v_or_b32_e32 v3, s18, v3
	s_waitcnt lgkmcnt(0)
	v_cmp_ne_u32_e32 vcc_lo, 0, v1
	s_cbranch_vccnz .LBB13_239
; %bb.236:                              ;   in Loop: Header=BB13_15 Depth=1
	s_and_saveexec_b32 s91, s3
; %bb.237:                              ;   in Loop: Header=BB13_15 Depth=1
	v_mov_b32_e32 v1, s22
	ds_write_b32 v19, v1 offset:4100
; %bb.238:                              ;   in Loop: Header=BB13_15 Depth=1
	s_or_b32 exec_lo, exec_lo, s91
	s_waitcnt lgkmcnt(0)
	s_barrier
	buffer_gl0_inv
.LBB13_239:                             ;   in Loop: Header=BB13_15 Depth=1
	s_andn2_saveexec_b32 s90, s90
; %bb.240:                              ;   in Loop: Header=BB13_15 Depth=1
	v_subrev_nc_u32_e32 v4, s22, v4
; %bb.241:                              ;   in Loop: Header=BB13_15 Depth=1
	s_or_b32 exec_lo, exec_lo, s90
	v_mov_b32_e32 v1, 8
	v_mov_b32_e32 v6, v4
.LBB13_242:                             ;   in Loop: Header=BB13_15 Depth=1
	s_or_b32 exec_lo, exec_lo, s88
	v_mov_b32_e32 v4, v6
	s_mov_b32 s91, exec_lo
.LBB13_243:                             ;   in Loop: Header=BB13_15 Depth=1
	s_or_b32 exec_lo, exec_lo, s89
	s_orn2_b32 s88, s91, exec_lo
.LBB13_244:                             ;   in Loop: Header=BB13_15 Depth=1
	s_or_b32 exec_lo, exec_lo, s85
	v_mov_b32_e32 v6, v4
	s_andn2_b32 s33, s33, exec_lo
	s_and_b32 s85, s87, exec_lo
	s_andn2_b32 s31, s31, exec_lo
	s_and_b32 s86, s86, exec_lo
	s_or_b32 s33, s33, s85
	s_or_b32 s31, s31, s86
	s_and_b32 s87, s88, exec_lo
.LBB13_245:                             ;   in Loop: Header=BB13_15 Depth=1
	s_or_b32 exec_lo, exec_lo, s34
	s_orn2_b32 s34, s87, exec_lo
.LBB13_246:                             ;   in Loop: Header=BB13_15 Depth=1
	s_or_b32 exec_lo, exec_lo, s30
	v_mov_b32_e32 v4, v6
	s_andn2_b32 s24, s24, exec_lo
	s_and_b32 s30, s33, exec_lo
	s_andn2_b32 s23, s23, exec_lo
	s_and_b32 s31, s31, exec_lo
	s_or_b32 s24, s24, s30
	s_or_b32 s23, s23, s31
	s_and_b32 s33, s34, exec_lo
.LBB13_247:                             ;   in Loop: Header=BB13_15 Depth=1
	s_or_b32 exec_lo, exec_lo, s29
	s_orn2_b32 s29, s33, exec_lo
.LBB13_248:                             ;   in Loop: Header=BB13_15 Depth=1
	s_or_b32 exec_lo, exec_lo, s6
	s_mov_b32 s6, 0
	s_mov_b32 s30, 0
	s_and_saveexec_b32 s31, s29
	s_xor_b32 s29, exec_lo, s31
; %bb.249:                              ;   in Loop: Header=BB13_15 Depth=1
	v_cmp_ne_u32_e32 vcc_lo, 8, v1
	v_cmp_eq_u32_e64 s6, 8, v1
	s_and_b32 s30, vcc_lo, exec_lo
	s_and_b32 s6, s6, exec_lo
; %bb.250:                              ;   in Loop: Header=BB13_15 Depth=1
	s_or_b32 exec_lo, exec_lo, s29
	s_andn2_b32 s26, s26, exec_lo
	s_and_b32 s24, s24, exec_lo
	s_andn2_b32 s25, s25, exec_lo
	s_and_b32 s23, s23, exec_lo
	s_or_b32 s26, s26, s24
	s_or_b32 s25, s25, s23
	s_and_b32 s23, s30, exec_lo
	s_and_b32 s24, s6, exec_lo
.LBB13_251:                             ;   in Loop: Header=BB13_15 Depth=1
	s_or_b32 exec_lo, exec_lo, s28
.LBB13_252:                             ;   in Loop: Header=BB13_15 Depth=1
	s_and_b32 vcc_lo, exec_lo, s27
	s_cbranch_vccz .LBB13_265
; %bb.253:                              ;   in Loop: Header=BB13_15 Depth=1
	s_cmp_eq_u32 s22, 1
	s_mov_b32 s26, -1
	s_cselect_b32 s6, -1, 0
                                        ; implicit-def: $sgpr16
	s_and_b32 s6, s6, s14
                                        ; implicit-def: $sgpr14
	s_and_saveexec_b32 s25, s6
	s_cbranch_execz .LBB13_280
; %bb.254:                              ;   in Loop: Header=BB13_15 Depth=1
	ds_read_b32 v1, v19 offset:4096
	s_waitcnt lgkmcnt(0)
	s_barrier
	buffer_gl0_inv
	v_readfirstlane_b32 s27, v1
	s_and_saveexec_b32 s14, s15
; %bb.255:                              ;   in Loop: Header=BB13_15 Depth=1
	ds_write_b8 v0, v19 offset:3072
; %bb.256:                              ;   in Loop: Header=BB13_15 Depth=1
	s_or_b32 exec_lo, exec_lo, s14
	v_or_b32_e32 v14, s18, v14
	v_or_b32_e32 v32, s18, v32
	s_mov_b32 s16, -1
	s_mov_b32 s14, 0
	s_cmp_eq_u32 s27, 0
	s_mov_b32 s26, 0
	s_mov_b32 s28, -1
	s_waitcnt lgkmcnt(0)
	s_barrier
	buffer_gl0_inv
                                        ; implicit-def: $vgpr33
	s_cbranch_scc1 .LBB13_268
; %bb.257:                              ;   in Loop: Header=BB13_15 Depth=1
	s_add_i32 s26, s27, s62
                                        ; implicit-def: $vgpr33
	s_mul_hi_u32 s28, s26, s69
	s_mul_i32 s28, s28, s44
	s_sub_i32 s28, s26, s28
	s_sub_i32 s29, s28, s44
	s_cmp_ge_u32 s28, s44
	s_cselect_b32 s28, s29, s28
	s_sub_i32 s29, s28, s44
	s_cmp_ge_u32 s28, s44
	s_cselect_b32 s28, s29, s28
	s_mov_b32 s29, exec_lo
	s_sub_i32 s30, s26, s28
	s_mov_b32 s28, 0
	s_mov_b32 s26, 0
	v_cmpx_gt_u32_e64 s30, v0
	s_cbranch_execz .LBB13_267
; %bb.258:                              ;   in Loop: Header=BB13_15 Depth=1
	v_mov_b32_e32 v1, v0
                                        ; implicit-def: $sgpr31
	s_inst_prefetch 0x1
	s_branch .LBB13_261
	.p2align	6
.LBB13_259:                             ;   in Loop: Header=BB13_261 Depth=2
	s_or_b32 exec_lo, exec_lo, s33
	s_waitcnt lgkmcnt(0)
	s_barrier
	buffer_gl0_inv
	ds_read_u16 v2, v19 offset:3072
	s_mov_b32 s34, -1
	s_waitcnt lgkmcnt(0)
	s_barrier
	buffer_gl0_inv
	v_cmp_ne_u32_sdwa s33, v2, v19 src0_sel:BYTE_0 src1_sel:DWORD
	s_and_b32 vcc_lo, exec_lo, s33
	s_mov_b32 s33, -1
	s_cbranch_vccz .LBB13_264
.LBB13_260:                             ;   in Loop: Header=BB13_261 Depth=2
	s_and_b32 s34, exec_lo, s34
	s_or_b32 s26, s34, s26
	s_andn2_b32 s31, s31, exec_lo
	s_and_b32 s33, s33, exec_lo
	s_or_b32 s31, s31, s33
	s_andn2_b32 exec_lo, exec_lo, s26
	s_cbranch_execz .LBB13_266
.LBB13_261:                             ;   Parent Loop BB13_15 Depth=1
                                        ; =>  This Inner Loop Header: Depth=2
	s_mov_b32 s33, exec_lo
	v_cmpx_gt_u32_e64 s27, v1
	s_cbranch_execz .LBB13_259
; %bb.262:                              ;   in Loop: Header=BB13_261 Depth=2
	ds_read_u8 v2, v1
	s_waitcnt lgkmcnt(0)
	v_and_b32_e32 v3, v2, v32
	v_cmp_eq_u32_sdwa s34, v3, v14 src0_sel:BYTE_0 src1_sel:DWORD
	s_and_b32 exec_lo, exec_lo, s34
	s_cbranch_execz .LBB13_259
; %bb.263:                              ;   in Loop: Header=BB13_261 Depth=2
	v_lshlrev_b16 v2, 8, v2
	v_or_b32_e32 v2, 1, v2
	ds_write_b16 v19, v2 offset:3072
	s_branch .LBB13_259
	.p2align	6
.LBB13_264:                             ;   in Loop: Header=BB13_261 Depth=2
	v_add_nc_u32_e32 v1, s44, v1
	s_mov_b32 s33, 0
	v_cmp_le_u32_e32 vcc_lo, s30, v1
	s_orn2_b32 s34, vcc_lo, exec_lo
	s_branch .LBB13_260
.LBB13_265:                             ;   in Loop: Header=BB13_15 Depth=1
	v_mov_b32_e32 v14, v2
	v_mov_b32_e32 v32, v3
	;; [unrolled: 1-line block ×3, first 2 shown]
	s_mov_b32 s14, 0
	s_and_saveexec_b32 s6, s24
	s_cbranch_execnz .LBB13_411
	s_branch .LBB13_412
.LBB13_266:                             ;   in Loop: Header=BB13_15 Depth=1
	s_inst_prefetch 0x2
	s_or_b32 exec_lo, exec_lo, s26
	v_lshrrev_b32_sdwa v33, v31, v2 dst_sel:DWORD dst_unused:UNUSED_PAD src0_sel:DWORD src1_sel:WORD_0
	s_and_b32 s26, s31, exec_lo
.LBB13_267:                             ;   in Loop: Header=BB13_15 Depth=1
	s_or_b32 exec_lo, exec_lo, s29
.LBB13_268:                             ;   in Loop: Header=BB13_15 Depth=1
	s_and_b32 vcc_lo, exec_lo, s28
	s_cbranch_vccz .LBB13_279
; %bb.269:                              ;   in Loop: Header=BB13_15 Depth=1
                                        ; implicit-def: $vgpr33
	s_and_saveexec_b32 s14, s13
	s_cbranch_execz .LBB13_278
; %bb.270:                              ;   in Loop: Header=BB13_15 Depth=1
	v_mov_b32_e32 v1, v18
	v_mov_b32_e32 v2, v0
	s_mov_b32 s16, 0
                                        ; implicit-def: $sgpr27
	s_inst_prefetch 0x1
	s_branch .LBB13_273
	.p2align	6
.LBB13_271:                             ;   in Loop: Header=BB13_273 Depth=2
	s_or_b32 exec_lo, exec_lo, s28
	s_waitcnt lgkmcnt(0)
	s_barrier
	buffer_gl0_inv
	ds_read_u16 v3, v19 offset:3072
	s_mov_b32 s28, -1
	s_waitcnt lgkmcnt(0)
	s_barrier
	buffer_gl0_inv
	v_cmp_ne_u32_sdwa s29, v3, v19 src0_sel:BYTE_0 src1_sel:DWORD
	s_and_b32 vcc_lo, exec_lo, s29
	s_mov_b32 s29, -1
	s_cbranch_vccz .LBB13_276
.LBB13_272:                             ;   in Loop: Header=BB13_273 Depth=2
	s_and_b32 s28, exec_lo, s28
	s_or_b32 s16, s28, s16
	s_andn2_b32 s27, s27, exec_lo
	s_and_b32 s28, s29, exec_lo
	s_or_b32 s27, s27, s28
	s_andn2_b32 exec_lo, exec_lo, s16
	s_cbranch_execz .LBB13_277
.LBB13_273:                             ;   Parent Loop BB13_15 Depth=1
                                        ; =>  This Inner Loop Header: Depth=2
	s_mov_b32 s28, exec_lo
	v_cmpx_gt_u32_e64 s36, v2
	s_cbranch_execz .LBB13_271
; %bb.274:                              ;   in Loop: Header=BB13_273 Depth=2
	global_load_ubyte v3, v1, s[42:43]
	s_waitcnt vmcnt(0)
	v_and_b32_e32 v4, v3, v32
	v_cmp_eq_u32_sdwa s29, v4, v14 src0_sel:BYTE_0 src1_sel:DWORD
	s_and_b32 exec_lo, exec_lo, s29
	s_cbranch_execz .LBB13_271
; %bb.275:                              ;   in Loop: Header=BB13_273 Depth=2
	v_lshlrev_b16 v3, 8, v3
	v_or_b32_e32 v3, 1, v3
	ds_write_b16 v19, v3 offset:3072
	s_branch .LBB13_271
.LBB13_276:                             ;   in Loop: Header=BB13_273 Depth=2
	v_add_nc_u32_e32 v2, s44, v2
	v_add_nc_u32_e32 v1, s51, v1
	s_mov_b32 s29, 0
	v_cmp_le_u32_e32 vcc_lo, s71, v2
	s_orn2_b32 s28, vcc_lo, exec_lo
	s_branch .LBB13_272
.LBB13_277:                             ;   in Loop: Header=BB13_15 Depth=1
	s_inst_prefetch 0x2
	s_or_b32 exec_lo, exec_lo, s16
	v_lshrrev_b32_sdwa v33, v31, v3 dst_sel:DWORD dst_unused:UNUSED_PAD src0_sel:DWORD src1_sel:WORD_0
	s_andn2_b32 s16, s26, exec_lo
	s_and_b32 s26, s27, exec_lo
	s_or_b32 s26, s16, s26
.LBB13_278:                             ;   in Loop: Header=BB13_15 Depth=1
	s_or_b32 exec_lo, exec_lo, s14
	s_mov_b32 s16, 0
	s_mov_b32 s14, -1
.LBB13_279:                             ;   in Loop: Header=BB13_15 Depth=1
	s_orn2_b32 s26, s26, exec_lo
.LBB13_280:                             ;   in Loop: Header=BB13_15 Depth=1
	s_or_b32 exec_lo, exec_lo, s25
                                        ; implicit-def: $vgpr4
                                        ; implicit-def: $vgpr1
	s_and_saveexec_b32 s25, s26
	s_cbranch_execz .LBB13_410
; %bb.281:                              ;   in Loop: Header=BB13_15 Depth=1
	v_mov_b32_e32 v4, 1
	v_mov_b32_e32 v1, 1
	s_xor_b32 s26, s6, -1
	s_mov_b32 s28, 0
	s_and_saveexec_b32 s6, s26
	s_cbranch_execz .LBB13_290
; %bb.282:                              ;   in Loop: Header=BB13_15 Depth=1
	s_mov_b32 s26, exec_lo
	v_cmpx_ge_u32_e64 s22, v34
	s_xor_b32 s26, exec_lo, s26
	s_cbranch_execz .LBB13_287
; %bb.283:                              ;   in Loop: Header=BB13_15 Depth=1
	ds_read_b32 v1, v19 offset:4096
	v_or_b32_e32 v14, s18, v14
	v_or_b32_e32 v32, s18, v32
	s_waitcnt lgkmcnt(0)
	v_cmp_ne_u32_e32 vcc_lo, 0, v1
	s_cbranch_vccnz .LBB13_287
; %bb.284:                              ;   in Loop: Header=BB13_15 Depth=1
	s_and_saveexec_b32 s27, s3
; %bb.285:                              ;   in Loop: Header=BB13_15 Depth=1
	v_mov_b32_e32 v1, s22
	ds_write_b32 v19, v1 offset:4100
; %bb.286:                              ;   in Loop: Header=BB13_15 Depth=1
	s_or_b32 exec_lo, exec_lo, s27
	s_waitcnt lgkmcnt(0)
	s_barrier
	buffer_gl0_inv
.LBB13_287:                             ;   in Loop: Header=BB13_15 Depth=1
	s_or_saveexec_b32 s26, s26
	v_mov_b32_e32 v1, 5
	s_mov_b32 s27, 0
	s_xor_b32 exec_lo, exec_lo, s26
; %bb.288:                              ;   in Loop: Header=BB13_15 Depth=1
	v_subrev_nc_u32_e32 v34, s22, v34
	v_mov_b32_e32 v1, 0
	s_mov_b32 s27, exec_lo
; %bb.289:                              ;   in Loop: Header=BB13_15 Depth=1
	s_or_b32 exec_lo, exec_lo, s26
	v_mov_b32_e32 v4, v34
	s_and_b32 s28, s27, exec_lo
.LBB13_290:                             ;   in Loop: Header=BB13_15 Depth=1
	s_or_b32 exec_lo, exec_lo, s6
	s_mov_b32 s27, -1
                                        ; implicit-def: $sgpr22
                                        ; implicit-def: $sgpr26
	s_and_saveexec_b32 s6, s28
	s_xor_b32 s6, exec_lo, s6
	s_cbranch_execz .LBB13_407
; %bb.291:                              ;   in Loop: Header=BB13_15 Depth=1
	v_cmp_eq_u32_e32 vcc_lo, 1, v4
	s_cmp_eq_u32 s21, 1
	s_mov_b32 s29, -1
	s_cselect_b32 s22, -1, 0
                                        ; implicit-def: $sgpr26
	s_and_b32 s28, s22, vcc_lo
                                        ; implicit-def: $sgpr22
	s_and_saveexec_b32 s27, s28
	s_cbranch_execz .LBB13_317
; %bb.292:                              ;   in Loop: Header=BB13_15 Depth=1
	ds_read_b32 v2, v19 offset:4096
	s_waitcnt lgkmcnt(0)
	s_barrier
	buffer_gl0_inv
	v_readfirstlane_b32 s30, v2
	s_and_saveexec_b32 s22, s15
; %bb.293:                              ;   in Loop: Header=BB13_15 Depth=1
	ds_write_b8 v0, v19 offset:3072
; %bb.294:                              ;   in Loop: Header=BB13_15 Depth=1
	s_or_b32 exec_lo, exec_lo, s22
	s_lshl_b32 s22, 2, s78
	v_or_b32_e32 v32, s18, v32
	v_and_or_b32 v14, v14, s19, s22
	s_mov_b32 s22, -1
	s_mov_b32 s26, 0
	s_cmp_eq_u32 s30, 0
	s_mov_b32 s29, 0
	s_mov_b32 s31, -1
	s_waitcnt lgkmcnt(0)
	s_barrier
	buffer_gl0_inv
                                        ; implicit-def: $vgpr33
	s_cbranch_scc1 .LBB13_305
; %bb.295:                              ;   in Loop: Header=BB13_15 Depth=1
	s_add_i32 s29, s30, s62
                                        ; implicit-def: $vgpr33
	s_mul_hi_u32 s31, s29, s69
	s_mul_i32 s31, s31, s44
	s_sub_i32 s31, s29, s31
	s_sub_i32 s33, s31, s44
	s_cmp_ge_u32 s31, s44
	s_cselect_b32 s31, s33, s31
	s_sub_i32 s33, s31, s44
	s_cmp_ge_u32 s31, s44
	s_cselect_b32 s31, s33, s31
	s_mov_b32 s33, exec_lo
	s_sub_i32 s34, s29, s31
	s_mov_b32 s31, 0
	s_mov_b32 s29, 0
	v_cmpx_gt_u32_e64 s34, v0
	s_cbranch_execz .LBB13_304
; %bb.296:                              ;   in Loop: Header=BB13_15 Depth=1
	v_mov_b32_e32 v2, v0
                                        ; implicit-def: $sgpr85
	s_inst_prefetch 0x1
	s_branch .LBB13_299
	.p2align	6
.LBB13_297:                             ;   in Loop: Header=BB13_299 Depth=2
	s_or_b32 exec_lo, exec_lo, s86
	s_waitcnt lgkmcnt(0)
	s_barrier
	buffer_gl0_inv
	ds_read_u16 v3, v19 offset:3072
	s_mov_b32 s87, -1
	s_waitcnt lgkmcnt(0)
	s_barrier
	buffer_gl0_inv
	v_cmp_ne_u32_sdwa s86, v3, v19 src0_sel:BYTE_0 src1_sel:DWORD
	s_and_b32 vcc_lo, exec_lo, s86
	s_mov_b32 s86, -1
	s_cbranch_vccz .LBB13_302
.LBB13_298:                             ;   in Loop: Header=BB13_299 Depth=2
	s_and_b32 s87, exec_lo, s87
	s_or_b32 s29, s87, s29
	s_andn2_b32 s85, s85, exec_lo
	s_and_b32 s86, s86, exec_lo
	s_or_b32 s85, s85, s86
	s_andn2_b32 exec_lo, exec_lo, s29
	s_cbranch_execz .LBB13_303
.LBB13_299:                             ;   Parent Loop BB13_15 Depth=1
                                        ; =>  This Inner Loop Header: Depth=2
	s_mov_b32 s86, exec_lo
	v_cmpx_gt_u32_e64 s30, v2
	s_cbranch_execz .LBB13_297
; %bb.300:                              ;   in Loop: Header=BB13_299 Depth=2
	ds_read_u8 v3, v2
	s_waitcnt lgkmcnt(0)
	v_and_b32_e32 v5, v3, v32
	v_cmp_eq_u32_sdwa s87, v5, v14 src0_sel:BYTE_0 src1_sel:DWORD
	s_and_b32 exec_lo, exec_lo, s87
	s_cbranch_execz .LBB13_297
; %bb.301:                              ;   in Loop: Header=BB13_299 Depth=2
	v_lshlrev_b16 v3, 8, v3
	v_or_b32_e32 v3, 1, v3
	ds_write_b16 v19, v3 offset:3072
	s_branch .LBB13_297
	.p2align	6
.LBB13_302:                             ;   in Loop: Header=BB13_299 Depth=2
	v_add_nc_u32_e32 v2, s44, v2
	s_mov_b32 s86, 0
	v_cmp_le_u32_e32 vcc_lo, s34, v2
	s_orn2_b32 s87, vcc_lo, exec_lo
	s_branch .LBB13_298
.LBB13_303:                             ;   in Loop: Header=BB13_15 Depth=1
	s_inst_prefetch 0x2
	s_or_b32 exec_lo, exec_lo, s29
	v_lshrrev_b32_sdwa v33, v31, v3 dst_sel:DWORD dst_unused:UNUSED_PAD src0_sel:DWORD src1_sel:WORD_0
	s_and_b32 s29, s85, exec_lo
.LBB13_304:                             ;   in Loop: Header=BB13_15 Depth=1
	s_or_b32 exec_lo, exec_lo, s33
.LBB13_305:                             ;   in Loop: Header=BB13_15 Depth=1
	s_and_b32 vcc_lo, exec_lo, s31
	s_cbranch_vccz .LBB13_316
; %bb.306:                              ;   in Loop: Header=BB13_15 Depth=1
                                        ; implicit-def: $vgpr33
	s_and_saveexec_b32 s22, s13
	s_cbranch_execz .LBB13_315
; %bb.307:                              ;   in Loop: Header=BB13_15 Depth=1
	v_mov_b32_e32 v2, v18
	v_mov_b32_e32 v3, v0
	s_mov_b32 s26, 0
                                        ; implicit-def: $sgpr30
	s_inst_prefetch 0x1
	s_branch .LBB13_310
	.p2align	6
.LBB13_308:                             ;   in Loop: Header=BB13_310 Depth=2
	s_or_b32 exec_lo, exec_lo, s31
	s_waitcnt lgkmcnt(0)
	s_barrier
	buffer_gl0_inv
	ds_read_u16 v5, v19 offset:3072
	s_mov_b32 s31, -1
	s_waitcnt lgkmcnt(0)
	s_barrier
	buffer_gl0_inv
	v_cmp_eq_u32_sdwa s33, v5, v19 src0_sel:BYTE_0 src1_sel:DWORD
	s_and_b32 vcc_lo, exec_lo, s33
	s_mov_b32 s33, -1
	s_cbranch_vccnz .LBB13_313
.LBB13_309:                             ;   in Loop: Header=BB13_310 Depth=2
	s_and_b32 s31, exec_lo, s31
	s_or_b32 s26, s31, s26
	s_andn2_b32 s30, s30, exec_lo
	s_and_b32 s31, s33, exec_lo
	s_or_b32 s30, s30, s31
	s_andn2_b32 exec_lo, exec_lo, s26
	s_cbranch_execz .LBB13_314
.LBB13_310:                             ;   Parent Loop BB13_15 Depth=1
                                        ; =>  This Inner Loop Header: Depth=2
	s_mov_b32 s31, exec_lo
	v_cmpx_gt_u32_e64 s36, v3
	s_cbranch_execz .LBB13_308
; %bb.311:                              ;   in Loop: Header=BB13_310 Depth=2
	global_load_ubyte v5, v2, s[42:43]
	s_waitcnt vmcnt(0)
	v_and_b32_e32 v6, v5, v32
	v_cmp_eq_u32_sdwa s33, v6, v14 src0_sel:BYTE_0 src1_sel:DWORD
	s_and_b32 exec_lo, exec_lo, s33
	s_cbranch_execz .LBB13_308
; %bb.312:                              ;   in Loop: Header=BB13_310 Depth=2
	v_lshlrev_b16 v5, 8, v5
	v_or_b32_e32 v5, 1, v5
	ds_write_b16 v19, v5 offset:3072
	s_branch .LBB13_308
.LBB13_313:                             ;   in Loop: Header=BB13_310 Depth=2
	v_add_nc_u32_e32 v3, s44, v3
	v_add_nc_u32_e32 v2, s51, v2
	s_mov_b32 s33, 0
	v_cmp_le_u32_e32 vcc_lo, s71, v3
	s_orn2_b32 s31, vcc_lo, exec_lo
	s_branch .LBB13_309
.LBB13_314:                             ;   in Loop: Header=BB13_15 Depth=1
	s_inst_prefetch 0x2
	s_or_b32 exec_lo, exec_lo, s26
	v_lshrrev_b32_sdwa v33, v31, v5 dst_sel:DWORD dst_unused:UNUSED_PAD src0_sel:DWORD src1_sel:WORD_0
	s_andn2_b32 s26, s29, exec_lo
	s_and_b32 s29, s30, exec_lo
	s_or_b32 s29, s26, s29
.LBB13_315:                             ;   in Loop: Header=BB13_15 Depth=1
	s_or_b32 exec_lo, exec_lo, s22
	s_mov_b32 s22, 0
	s_mov_b32 s26, -1
.LBB13_316:                             ;   in Loop: Header=BB13_15 Depth=1
	s_orn2_b32 s29, s29, exec_lo
.LBB13_317:                             ;   in Loop: Header=BB13_15 Depth=1
	s_or_b32 exec_lo, exec_lo, s27
	s_mov_b32 s30, 0
	s_and_saveexec_b32 s27, s29
	s_cbranch_execz .LBB13_406
; %bb.318:                              ;   in Loop: Header=BB13_15 Depth=1
	v_mov_b32_e32 v2, 1
	v_mov_b32_e32 v1, 1
	s_xor_b32 s29, s28, -1
	s_mov_b32 s31, 0
	s_and_saveexec_b32 s28, s29
	s_cbranch_execz .LBB13_327
; %bb.319:                              ;   in Loop: Header=BB13_15 Depth=1
	s_mov_b32 s29, exec_lo
	v_cmpx_ge_u32_e64 s21, v4
	s_xor_b32 s29, exec_lo, s29
	s_cbranch_execz .LBB13_324
; %bb.320:                              ;   in Loop: Header=BB13_15 Depth=1
	ds_read_b32 v1, v19 offset:4096
	s_lshl_b32 s30, 2, s78
	v_or_b32_e32 v32, s18, v32
	v_and_or_b32 v14, v14, s19, s30
	s_waitcnt lgkmcnt(0)
	v_cmp_ne_u32_e32 vcc_lo, 0, v1
	s_cbranch_vccnz .LBB13_324
; %bb.321:                              ;   in Loop: Header=BB13_15 Depth=1
	s_and_saveexec_b32 s30, s3
; %bb.322:                              ;   in Loop: Header=BB13_15 Depth=1
	v_mov_b32_e32 v1, s21
	ds_write_b32 v19, v1 offset:4100
; %bb.323:                              ;   in Loop: Header=BB13_15 Depth=1
	s_or_b32 exec_lo, exec_lo, s30
	s_waitcnt lgkmcnt(0)
	s_barrier
	buffer_gl0_inv
.LBB13_324:                             ;   in Loop: Header=BB13_15 Depth=1
	s_or_saveexec_b32 s29, s29
	v_mov_b32_e32 v1, 5
	s_mov_b32 s30, 0
	s_xor_b32 exec_lo, exec_lo, s29
; %bb.325:                              ;   in Loop: Header=BB13_15 Depth=1
	v_subrev_nc_u32_e32 v4, s21, v4
	v_mov_b32_e32 v1, 0
	s_mov_b32 s30, exec_lo
; %bb.326:                              ;   in Loop: Header=BB13_15 Depth=1
	s_or_b32 exec_lo, exec_lo, s29
	v_mov_b32_e32 v2, v4
	s_and_b32 s31, s30, exec_lo
.LBB13_327:                             ;   in Loop: Header=BB13_15 Depth=1
	s_or_b32 exec_lo, exec_lo, s28
	s_mov_b32 s30, -1
                                        ; implicit-def: $sgpr28
                                        ; implicit-def: $sgpr29
	s_and_saveexec_b32 s21, s31
	s_cbranch_execz .LBB13_405
; %bb.328:                              ;   in Loop: Header=BB13_15 Depth=1
	v_cmp_eq_u32_e32 vcc_lo, 1, v2
	s_cmp_eq_u32 s20, 1
	s_mov_b32 s33, -1
	s_cselect_b32 s28, -1, 0
                                        ; implicit-def: $sgpr29
	s_and_b32 s31, s28, vcc_lo
                                        ; implicit-def: $sgpr28
	s_and_saveexec_b32 s30, s31
	s_cbranch_execz .LBB13_354
; %bb.329:                              ;   in Loop: Header=BB13_15 Depth=1
	ds_read_b32 v3, v19 offset:4096
	s_waitcnt lgkmcnt(0)
	s_barrier
	buffer_gl0_inv
	v_readfirstlane_b32 s34, v3
	s_and_saveexec_b32 s28, s15
; %bb.330:                              ;   in Loop: Header=BB13_15 Depth=1
	ds_write_b8 v0, v19 offset:3072
; %bb.331:                              ;   in Loop: Header=BB13_15 Depth=1
	s_or_b32 exec_lo, exec_lo, s28
	s_lshl_b32 s28, 1, s78
	v_or_b32_e32 v32, s18, v32
	v_and_or_b32 v14, v14, s19, s28
	s_mov_b32 s28, -1
	s_mov_b32 s29, 0
	s_cmp_eq_u32 s34, 0
	s_mov_b32 s33, 0
	s_mov_b32 s85, -1
	s_waitcnt lgkmcnt(0)
	s_barrier
	buffer_gl0_inv
                                        ; implicit-def: $vgpr33
	s_cbranch_scc1 .LBB13_342
; %bb.332:                              ;   in Loop: Header=BB13_15 Depth=1
	s_add_i32 s33, s34, s62
                                        ; implicit-def: $vgpr33
	s_mul_hi_u32 s85, s33, s69
	s_mul_i32 s85, s85, s44
	s_sub_i32 s85, s33, s85
	s_sub_i32 s86, s85, s44
	s_cmp_ge_u32 s85, s44
	s_cselect_b32 s85, s86, s85
	s_sub_i32 s86, s85, s44
	s_cmp_ge_u32 s85, s44
	s_cselect_b32 s85, s86, s85
	s_mov_b32 s86, exec_lo
	s_sub_i32 s87, s33, s85
	s_mov_b32 s85, 0
	s_mov_b32 s33, 0
	v_cmpx_gt_u32_e64 s87, v0
	s_cbranch_execz .LBB13_341
; %bb.333:                              ;   in Loop: Header=BB13_15 Depth=1
	v_mov_b32_e32 v3, v0
                                        ; implicit-def: $sgpr88
	s_inst_prefetch 0x1
	s_branch .LBB13_336
	.p2align	6
.LBB13_334:                             ;   in Loop: Header=BB13_336 Depth=2
	s_or_b32 exec_lo, exec_lo, s89
	s_waitcnt lgkmcnt(0)
	s_barrier
	buffer_gl0_inv
	ds_read_u16 v4, v19 offset:3072
	s_mov_b32 s90, -1
	s_waitcnt lgkmcnt(0)
	s_barrier
	buffer_gl0_inv
	v_cmp_ne_u32_sdwa s89, v4, v19 src0_sel:BYTE_0 src1_sel:DWORD
	s_and_b32 vcc_lo, exec_lo, s89
	s_mov_b32 s89, -1
	s_cbranch_vccz .LBB13_339
.LBB13_335:                             ;   in Loop: Header=BB13_336 Depth=2
	s_and_b32 s90, exec_lo, s90
	s_or_b32 s33, s90, s33
	s_andn2_b32 s88, s88, exec_lo
	s_and_b32 s89, s89, exec_lo
	s_or_b32 s88, s88, s89
	s_andn2_b32 exec_lo, exec_lo, s33
	s_cbranch_execz .LBB13_340
.LBB13_336:                             ;   Parent Loop BB13_15 Depth=1
                                        ; =>  This Inner Loop Header: Depth=2
	s_mov_b32 s89, exec_lo
	v_cmpx_gt_u32_e64 s34, v3
	s_cbranch_execz .LBB13_334
; %bb.337:                              ;   in Loop: Header=BB13_336 Depth=2
	ds_read_u8 v4, v3
	s_waitcnt lgkmcnt(0)
	v_and_b32_e32 v5, v4, v32
	v_cmp_eq_u32_sdwa s90, v5, v14 src0_sel:BYTE_0 src1_sel:DWORD
	s_and_b32 exec_lo, exec_lo, s90
	s_cbranch_execz .LBB13_334
; %bb.338:                              ;   in Loop: Header=BB13_336 Depth=2
	v_lshlrev_b16 v4, 8, v4
	v_or_b32_e32 v4, 1, v4
	ds_write_b16 v19, v4 offset:3072
	s_branch .LBB13_334
	.p2align	6
.LBB13_339:                             ;   in Loop: Header=BB13_336 Depth=2
	v_add_nc_u32_e32 v3, s44, v3
	s_mov_b32 s89, 0
	v_cmp_le_u32_e32 vcc_lo, s87, v3
	s_orn2_b32 s90, vcc_lo, exec_lo
	s_branch .LBB13_335
.LBB13_340:                             ;   in Loop: Header=BB13_15 Depth=1
	s_inst_prefetch 0x2
	s_or_b32 exec_lo, exec_lo, s33
	v_lshrrev_b32_sdwa v33, v31, v4 dst_sel:DWORD dst_unused:UNUSED_PAD src0_sel:DWORD src1_sel:WORD_0
	s_and_b32 s33, s88, exec_lo
.LBB13_341:                             ;   in Loop: Header=BB13_15 Depth=1
	s_or_b32 exec_lo, exec_lo, s86
.LBB13_342:                             ;   in Loop: Header=BB13_15 Depth=1
	s_and_b32 vcc_lo, exec_lo, s85
	s_cbranch_vccz .LBB13_353
; %bb.343:                              ;   in Loop: Header=BB13_15 Depth=1
                                        ; implicit-def: $vgpr33
	s_and_saveexec_b32 s28, s13
	s_cbranch_execz .LBB13_352
; %bb.344:                              ;   in Loop: Header=BB13_15 Depth=1
	v_mov_b32_e32 v3, v18
	v_mov_b32_e32 v4, v0
	s_mov_b32 s29, 0
                                        ; implicit-def: $sgpr34
	s_inst_prefetch 0x1
	s_branch .LBB13_347
	.p2align	6
.LBB13_345:                             ;   in Loop: Header=BB13_347 Depth=2
	s_or_b32 exec_lo, exec_lo, s85
	s_waitcnt lgkmcnt(0)
	s_barrier
	buffer_gl0_inv
	ds_read_u16 v5, v19 offset:3072
	s_mov_b32 s85, -1
	s_waitcnt lgkmcnt(0)
	s_barrier
	buffer_gl0_inv
	v_cmp_eq_u32_sdwa s86, v5, v19 src0_sel:BYTE_0 src1_sel:DWORD
	s_and_b32 vcc_lo, exec_lo, s86
	s_mov_b32 s86, -1
	s_cbranch_vccnz .LBB13_350
.LBB13_346:                             ;   in Loop: Header=BB13_347 Depth=2
	s_and_b32 s85, exec_lo, s85
	s_or_b32 s29, s85, s29
	s_andn2_b32 s34, s34, exec_lo
	s_and_b32 s85, s86, exec_lo
	s_or_b32 s34, s34, s85
	s_andn2_b32 exec_lo, exec_lo, s29
	s_cbranch_execz .LBB13_351
.LBB13_347:                             ;   Parent Loop BB13_15 Depth=1
                                        ; =>  This Inner Loop Header: Depth=2
	s_mov_b32 s85, exec_lo
	v_cmpx_gt_u32_e64 s36, v4
	s_cbranch_execz .LBB13_345
; %bb.348:                              ;   in Loop: Header=BB13_347 Depth=2
	global_load_ubyte v5, v3, s[42:43]
	s_waitcnt vmcnt(0)
	v_and_b32_e32 v6, v5, v32
	v_cmp_eq_u32_sdwa s86, v6, v14 src0_sel:BYTE_0 src1_sel:DWORD
	s_and_b32 exec_lo, exec_lo, s86
	s_cbranch_execz .LBB13_345
; %bb.349:                              ;   in Loop: Header=BB13_347 Depth=2
	v_lshlrev_b16 v5, 8, v5
	v_or_b32_e32 v5, 1, v5
	ds_write_b16 v19, v5 offset:3072
	s_branch .LBB13_345
.LBB13_350:                             ;   in Loop: Header=BB13_347 Depth=2
	v_add_nc_u32_e32 v4, s44, v4
	v_add_nc_u32_e32 v3, s51, v3
	s_mov_b32 s86, 0
	v_cmp_le_u32_e32 vcc_lo, s71, v4
	s_orn2_b32 s85, vcc_lo, exec_lo
	s_branch .LBB13_346
.LBB13_351:                             ;   in Loop: Header=BB13_15 Depth=1
	s_inst_prefetch 0x2
	s_or_b32 exec_lo, exec_lo, s29
	v_lshrrev_b32_sdwa v33, v31, v5 dst_sel:DWORD dst_unused:UNUSED_PAD src0_sel:DWORD src1_sel:WORD_0
	s_andn2_b32 s29, s33, exec_lo
	s_and_b32 s33, s34, exec_lo
	s_or_b32 s33, s29, s33
.LBB13_352:                             ;   in Loop: Header=BB13_15 Depth=1
	s_or_b32 exec_lo, exec_lo, s28
	s_mov_b32 s28, 0
	s_mov_b32 s29, -1
.LBB13_353:                             ;   in Loop: Header=BB13_15 Depth=1
	s_orn2_b32 s33, s33, exec_lo
.LBB13_354:                             ;   in Loop: Header=BB13_15 Depth=1
	s_or_b32 exec_lo, exec_lo, s30
	s_mov_b32 s34, 0
	s_and_saveexec_b32 s30, s33
	s_cbranch_execz .LBB13_404
; %bb.355:                              ;   in Loop: Header=BB13_15 Depth=1
	v_mov_b32_e32 v3, 1
	v_mov_b32_e32 v1, 1
	s_xor_b32 s33, s31, -1
	s_mov_b32 s85, 0
	s_and_saveexec_b32 s31, s33
	s_cbranch_execz .LBB13_364
; %bb.356:                              ;   in Loop: Header=BB13_15 Depth=1
	s_mov_b32 s33, exec_lo
	v_cmpx_ge_u32_e64 s20, v2
	s_xor_b32 s33, exec_lo, s33
	s_cbranch_execz .LBB13_361
; %bb.357:                              ;   in Loop: Header=BB13_15 Depth=1
	ds_read_b32 v1, v19 offset:4096
	s_lshl_b32 s34, 1, s78
	v_or_b32_e32 v32, s18, v32
	v_and_or_b32 v14, v14, s19, s34
	s_waitcnt lgkmcnt(0)
	v_cmp_ne_u32_e32 vcc_lo, 0, v1
	s_cbranch_vccnz .LBB13_361
; %bb.358:                              ;   in Loop: Header=BB13_15 Depth=1
	s_and_saveexec_b32 s34, s3
; %bb.359:                              ;   in Loop: Header=BB13_15 Depth=1
	v_mov_b32_e32 v1, s20
	ds_write_b32 v19, v1 offset:4100
; %bb.360:                              ;   in Loop: Header=BB13_15 Depth=1
	s_or_b32 exec_lo, exec_lo, s34
	s_waitcnt lgkmcnt(0)
	s_barrier
	buffer_gl0_inv
.LBB13_361:                             ;   in Loop: Header=BB13_15 Depth=1
	s_or_saveexec_b32 s33, s33
	v_mov_b32_e32 v1, 5
	s_mov_b32 s34, 0
	s_xor_b32 exec_lo, exec_lo, s33
; %bb.362:                              ;   in Loop: Header=BB13_15 Depth=1
	v_subrev_nc_u32_e32 v2, s20, v2
	v_mov_b32_e32 v1, 0
	s_mov_b32 s34, exec_lo
; %bb.363:                              ;   in Loop: Header=BB13_15 Depth=1
	s_or_b32 exec_lo, exec_lo, s33
	v_mov_b32_e32 v3, v2
	s_and_b32 s85, s34, exec_lo
.LBB13_364:                             ;   in Loop: Header=BB13_15 Depth=1
	s_or_b32 exec_lo, exec_lo, s31
	s_mov_b32 s34, -1
                                        ; implicit-def: $sgpr33
                                        ; implicit-def: $sgpr31
	s_and_saveexec_b32 s20, s85
	s_cbranch_execz .LBB13_403
; %bb.365:                              ;   in Loop: Header=BB13_15 Depth=1
	v_cmp_eq_u32_e32 vcc_lo, 1, v3
	s_cmp_eq_u32 s17, 1
	s_mov_b32 s86, -1
	s_cselect_b32 s31, -1, 0
                                        ; implicit-def: $sgpr33
	s_and_b32 s34, s31, vcc_lo
                                        ; implicit-def: $sgpr31
	s_and_saveexec_b32 s85, s34
	s_cbranch_execz .LBB13_391
; %bb.366:                              ;   in Loop: Header=BB13_15 Depth=1
	ds_read_b32 v2, v19 offset:4096
	s_waitcnt lgkmcnt(0)
	s_barrier
	buffer_gl0_inv
	v_readfirstlane_b32 s87, v2
	s_and_saveexec_b32 s31, s15
; %bb.367:                              ;   in Loop: Header=BB13_15 Depth=1
	ds_write_b8 v0, v19 offset:3072
; %bb.368:                              ;   in Loop: Header=BB13_15 Depth=1
	s_or_b32 exec_lo, exec_lo, s31
	v_and_b32_e32 v14, s19, v14
	v_or_b32_e32 v32, s18, v32
	s_mov_b32 s31, -1
	s_mov_b32 s33, 0
	s_cmp_eq_u32 s87, 0
	s_mov_b32 s86, 0
	s_mov_b32 s88, -1
	s_waitcnt lgkmcnt(0)
	s_barrier
	buffer_gl0_inv
                                        ; implicit-def: $vgpr33
	s_cbranch_scc1 .LBB13_379
; %bb.369:                              ;   in Loop: Header=BB13_15 Depth=1
	s_add_i32 s86, s87, s62
                                        ; implicit-def: $vgpr33
	s_mul_hi_u32 s88, s86, s69
	s_mul_i32 s88, s88, s44
	s_sub_i32 s88, s86, s88
	s_sub_i32 s89, s88, s44
	s_cmp_ge_u32 s88, s44
	s_cselect_b32 s88, s89, s88
	s_sub_i32 s89, s88, s44
	s_cmp_ge_u32 s88, s44
	s_cselect_b32 s88, s89, s88
	s_mov_b32 s89, exec_lo
	s_sub_i32 s90, s86, s88
	s_mov_b32 s88, 0
	s_mov_b32 s86, 0
	v_cmpx_gt_u32_e64 s90, v0
	s_cbranch_execz .LBB13_378
; %bb.370:                              ;   in Loop: Header=BB13_15 Depth=1
	v_mov_b32_e32 v2, v0
                                        ; implicit-def: $sgpr91
	s_inst_prefetch 0x1
	s_branch .LBB13_373
	.p2align	6
.LBB13_371:                             ;   in Loop: Header=BB13_373 Depth=2
	s_or_b32 exec_lo, exec_lo, s92
	s_waitcnt lgkmcnt(0)
	s_barrier
	buffer_gl0_inv
	ds_read_u16 v4, v19 offset:3072
	s_mov_b32 s93, -1
	s_waitcnt lgkmcnt(0)
	s_barrier
	buffer_gl0_inv
	v_cmp_ne_u32_sdwa s92, v4, v19 src0_sel:BYTE_0 src1_sel:DWORD
	s_and_b32 vcc_lo, exec_lo, s92
	s_mov_b32 s92, -1
	s_cbranch_vccz .LBB13_376
.LBB13_372:                             ;   in Loop: Header=BB13_373 Depth=2
	s_and_b32 s93, exec_lo, s93
	s_or_b32 s86, s93, s86
	s_andn2_b32 s91, s91, exec_lo
	s_and_b32 s92, s92, exec_lo
	s_or_b32 s91, s91, s92
	s_andn2_b32 exec_lo, exec_lo, s86
	s_cbranch_execz .LBB13_377
.LBB13_373:                             ;   Parent Loop BB13_15 Depth=1
                                        ; =>  This Inner Loop Header: Depth=2
	s_mov_b32 s92, exec_lo
	v_cmpx_gt_u32_e64 s87, v2
	s_cbranch_execz .LBB13_371
; %bb.374:                              ;   in Loop: Header=BB13_373 Depth=2
	ds_read_u8 v4, v2
	s_waitcnt lgkmcnt(0)
	v_and_b32_e32 v5, v4, v32
	v_cmp_eq_u32_sdwa s93, v5, v14 src0_sel:BYTE_0 src1_sel:DWORD
	s_and_b32 exec_lo, exec_lo, s93
	s_cbranch_execz .LBB13_371
; %bb.375:                              ;   in Loop: Header=BB13_373 Depth=2
	v_lshlrev_b16 v4, 8, v4
	v_or_b32_e32 v4, 1, v4
	ds_write_b16 v19, v4 offset:3072
	s_branch .LBB13_371
	.p2align	6
.LBB13_376:                             ;   in Loop: Header=BB13_373 Depth=2
	v_add_nc_u32_e32 v2, s44, v2
	s_mov_b32 s92, 0
	v_cmp_le_u32_e32 vcc_lo, s90, v2
	s_orn2_b32 s93, vcc_lo, exec_lo
	s_branch .LBB13_372
.LBB13_377:                             ;   in Loop: Header=BB13_15 Depth=1
	s_inst_prefetch 0x2
	s_or_b32 exec_lo, exec_lo, s86
	v_lshrrev_b32_sdwa v33, v31, v4 dst_sel:DWORD dst_unused:UNUSED_PAD src0_sel:DWORD src1_sel:WORD_0
	s_and_b32 s86, s91, exec_lo
.LBB13_378:                             ;   in Loop: Header=BB13_15 Depth=1
	s_or_b32 exec_lo, exec_lo, s89
.LBB13_379:                             ;   in Loop: Header=BB13_15 Depth=1
	s_and_b32 vcc_lo, exec_lo, s88
	s_cbranch_vccz .LBB13_390
; %bb.380:                              ;   in Loop: Header=BB13_15 Depth=1
                                        ; implicit-def: $vgpr33
	s_and_saveexec_b32 s31, s13
	s_cbranch_execz .LBB13_389
; %bb.381:                              ;   in Loop: Header=BB13_15 Depth=1
	v_mov_b32_e32 v2, v18
	v_mov_b32_e32 v4, v0
	s_mov_b32 s33, 0
                                        ; implicit-def: $sgpr87
	s_inst_prefetch 0x1
	s_branch .LBB13_384
	.p2align	6
.LBB13_382:                             ;   in Loop: Header=BB13_384 Depth=2
	s_or_b32 exec_lo, exec_lo, s88
	s_waitcnt lgkmcnt(0)
	s_barrier
	buffer_gl0_inv
	ds_read_u16 v5, v19 offset:3072
	s_mov_b32 s88, -1
	s_waitcnt lgkmcnt(0)
	s_barrier
	buffer_gl0_inv
	v_cmp_eq_u32_sdwa s89, v5, v19 src0_sel:BYTE_0 src1_sel:DWORD
	s_and_b32 vcc_lo, exec_lo, s89
	s_mov_b32 s89, -1
	s_cbranch_vccnz .LBB13_387
.LBB13_383:                             ;   in Loop: Header=BB13_384 Depth=2
	s_and_b32 s88, exec_lo, s88
	s_or_b32 s33, s88, s33
	s_andn2_b32 s87, s87, exec_lo
	s_and_b32 s88, s89, exec_lo
	s_or_b32 s87, s87, s88
	s_andn2_b32 exec_lo, exec_lo, s33
	s_cbranch_execz .LBB13_388
.LBB13_384:                             ;   Parent Loop BB13_15 Depth=1
                                        ; =>  This Inner Loop Header: Depth=2
	s_mov_b32 s88, exec_lo
	v_cmpx_gt_u32_e64 s36, v4
	s_cbranch_execz .LBB13_382
; %bb.385:                              ;   in Loop: Header=BB13_384 Depth=2
	global_load_ubyte v5, v2, s[42:43]
	s_waitcnt vmcnt(0)
	v_and_b32_e32 v6, v5, v32
	v_cmp_eq_u32_sdwa s89, v6, v14 src0_sel:BYTE_0 src1_sel:DWORD
	s_and_b32 exec_lo, exec_lo, s89
	s_cbranch_execz .LBB13_382
; %bb.386:                              ;   in Loop: Header=BB13_384 Depth=2
	v_lshlrev_b16 v5, 8, v5
	v_or_b32_e32 v5, 1, v5
	ds_write_b16 v19, v5 offset:3072
	s_branch .LBB13_382
.LBB13_387:                             ;   in Loop: Header=BB13_384 Depth=2
	v_add_nc_u32_e32 v4, s44, v4
	v_add_nc_u32_e32 v2, s51, v2
	s_mov_b32 s89, 0
	v_cmp_le_u32_e32 vcc_lo, s71, v4
	s_orn2_b32 s88, vcc_lo, exec_lo
	s_branch .LBB13_383
.LBB13_388:                             ;   in Loop: Header=BB13_15 Depth=1
	s_inst_prefetch 0x2
	s_or_b32 exec_lo, exec_lo, s33
	v_lshrrev_b32_sdwa v33, v31, v5 dst_sel:DWORD dst_unused:UNUSED_PAD src0_sel:DWORD src1_sel:WORD_0
	s_andn2_b32 s33, s86, exec_lo
	s_and_b32 s86, s87, exec_lo
	s_or_b32 s86, s33, s86
.LBB13_389:                             ;   in Loop: Header=BB13_15 Depth=1
	s_or_b32 exec_lo, exec_lo, s31
	s_mov_b32 s31, 0
	s_mov_b32 s33, -1
.LBB13_390:                             ;   in Loop: Header=BB13_15 Depth=1
	s_orn2_b32 s86, s86, exec_lo
.LBB13_391:                             ;   in Loop: Header=BB13_15 Depth=1
	s_or_b32 exec_lo, exec_lo, s85
	s_mov_b32 s87, 0
	s_and_saveexec_b32 s85, s86
	s_cbranch_execz .LBB13_402
; %bb.392:                              ;   in Loop: Header=BB13_15 Depth=1
	v_mov_b32_e32 v1, 1
	v_mov_b32_e32 v2, 1
	s_xor_b32 s86, s34, -1
	s_and_saveexec_b32 s34, s86
	s_cbranch_execz .LBB13_401
; %bb.393:                              ;   in Loop: Header=BB13_15 Depth=1
	s_mov_b32 s86, exec_lo
	v_cmpx_ge_u32_e64 s17, v3
	s_xor_b32 s86, exec_lo, s86
	s_cbranch_execz .LBB13_398
; %bb.394:                              ;   in Loop: Header=BB13_15 Depth=1
	ds_read_b32 v1, v19 offset:4096
	v_and_b32_e32 v14, s19, v14
	v_or_b32_e32 v32, s18, v32
	s_waitcnt lgkmcnt(0)
	v_cmp_ne_u32_e32 vcc_lo, 0, v1
	s_cbranch_vccnz .LBB13_398
; %bb.395:                              ;   in Loop: Header=BB13_15 Depth=1
	s_and_saveexec_b32 s18, s3
; %bb.396:                              ;   in Loop: Header=BB13_15 Depth=1
	v_mov_b32_e32 v1, s17
	ds_write_b32 v19, v1 offset:4100
; %bb.397:                              ;   in Loop: Header=BB13_15 Depth=1
	s_or_b32 exec_lo, exec_lo, s18
	s_waitcnt lgkmcnt(0)
	s_barrier
	buffer_gl0_inv
.LBB13_398:                             ;   in Loop: Header=BB13_15 Depth=1
	s_andn2_saveexec_b32 s18, s86
; %bb.399:                              ;   in Loop: Header=BB13_15 Depth=1
	v_subrev_nc_u32_e32 v3, s17, v3
; %bb.400:                              ;   in Loop: Header=BB13_15 Depth=1
	s_or_b32 exec_lo, exec_lo, s18
	v_mov_b32_e32 v1, 5
	v_mov_b32_e32 v2, v3
.LBB13_401:                             ;   in Loop: Header=BB13_15 Depth=1
	s_or_b32 exec_lo, exec_lo, s34
	v_mov_b32_e32 v3, v2
	s_mov_b32 s87, exec_lo
.LBB13_402:                             ;   in Loop: Header=BB13_15 Depth=1
	s_or_b32 exec_lo, exec_lo, s85
	s_orn2_b32 s34, s87, exec_lo
.LBB13_403:                             ;   in Loop: Header=BB13_15 Depth=1
	s_or_b32 exec_lo, exec_lo, s20
	v_mov_b32_e32 v2, v3
	s_andn2_b32 s17, s29, exec_lo
	s_and_b32 s18, s33, exec_lo
	s_andn2_b32 s19, s28, exec_lo
	s_and_b32 s20, s31, exec_lo
	s_or_b32 s29, s17, s18
	s_or_b32 s28, s19, s20
	s_and_b32 s34, s34, exec_lo
.LBB13_404:                             ;   in Loop: Header=BB13_15 Depth=1
	s_or_b32 exec_lo, exec_lo, s30
	s_orn2_b32 s30, s34, exec_lo
.LBB13_405:                             ;   in Loop: Header=BB13_15 Depth=1
	s_or_b32 exec_lo, exec_lo, s21
	v_mov_b32_e32 v4, v2
	s_andn2_b32 s17, s26, exec_lo
	s_and_b32 s18, s29, exec_lo
	s_andn2_b32 s19, s22, exec_lo
	s_and_b32 s20, s28, exec_lo
	s_or_b32 s26, s17, s18
	s_or_b32 s22, s19, s20
	s_and_b32 s30, s30, exec_lo
.LBB13_406:                             ;   in Loop: Header=BB13_15 Depth=1
	s_or_b32 exec_lo, exec_lo, s27
	s_orn2_b32 s27, s30, exec_lo
.LBB13_407:                             ;   in Loop: Header=BB13_15 Depth=1
	s_or_b32 exec_lo, exec_lo, s6
	s_mov_b32 s6, s24
	s_mov_b32 s17, s23
	s_and_saveexec_b32 s18, s27
; %bb.408:                              ;   in Loop: Header=BB13_15 Depth=1
	v_cmp_ne_u32_e32 vcc_lo, 5, v1
	v_cmp_eq_u32_e64 s6, 5, v1
	s_andn2_b32 s17, s23, exec_lo
	s_andn2_b32 s19, s24, exec_lo
	s_and_b32 s20, vcc_lo, exec_lo
	s_and_b32 s6, s6, exec_lo
	s_or_b32 s17, s17, s20
	s_or_b32 s6, s19, s6
; %bb.409:                              ;   in Loop: Header=BB13_15 Depth=1
	s_or_b32 exec_lo, exec_lo, s18
	s_andn2_b32 s14, s14, exec_lo
	s_and_b32 s18, s26, exec_lo
	s_andn2_b32 s16, s16, exec_lo
	s_and_b32 s19, s22, exec_lo
	s_or_b32 s14, s14, s18
	s_or_b32 s16, s16, s19
	s_andn2_b32 s18, s23, exec_lo
	s_and_b32 s17, s17, exec_lo
	s_andn2_b32 s19, s24, exec_lo
	s_and_b32 s6, s6, exec_lo
	s_or_b32 s23, s18, s17
	s_or_b32 s24, s19, s6
.LBB13_410:                             ;   in Loop: Header=BB13_15 Depth=1
	s_or_b32 exec_lo, exec_lo, s25
	s_mov_b32 s25, 0
	s_mov_b32 s26, 0
	s_and_saveexec_b32 s6, s24
.LBB13_411:                             ;   in Loop: Header=BB13_15 Depth=1
	v_mov_b32_e32 v1, 0
	s_or_b32 s23, s23, exec_lo
.LBB13_412:                             ;   in Loop: Header=BB13_15 Depth=1
	s_or_b32 exec_lo, exec_lo, s6
	s_andn2_b32 s6, s82, exec_lo
	s_and_b32 s14, s14, exec_lo
	s_andn2_b32 s18, s80, exec_lo
	s_and_b32 s16, s16, exec_lo
	v_mov_b32_e32 v34, v4
	s_or_b32 s82, s6, s14
	s_or_b32 s80, s18, s16
	s_andn2_b32 s6, s84, exec_lo
	s_and_b32 s14, s26, exec_lo
	s_andn2_b32 s16, s83, exec_lo
	s_and_b32 s18, s25, exec_lo
	s_mov_b32 s17, -1
	s_andn2_b32 s81, s81, exec_lo
	s_or_b32 s84, s6, s14
	s_or_b32 s83, s16, s18
	s_and_saveexec_b32 s6, s23
	s_xor_b32 s6, exec_lo, s6
	s_cbranch_execz .LBB13_14
; %bb.413:                              ;   in Loop: Header=BB13_15 Depth=1
	s_mov_b32 s14, -1
	s_mov_b32 s16, -1
	s_mov_b32 s17, exec_lo
	v_cmpx_eq_u32_e32 0, v1
	s_cbranch_execz .LBB13_13
; %bb.414:                              ;   in Loop: Header=BB13_15 Depth=1
	s_xor_b32 s74, s74, 1
	s_add_i32 s18, s78, -2
	s_cmp_eq_u32 s78, 0
	s_mov_b32 s78, s18
	s_cselect_b32 s14, -1, 0
	s_xor_b32 s16, exec_lo, -1
	s_orn2_b32 s14, s14, exec_lo
	s_branch .LBB13_13
.LBB13_415:
	s_or_b32 exec_lo, exec_lo, s55
	s_xor_b32 s7, s79, -1
	s_xor_b32 s12, s76, -1
	;; [unrolled: 1-line block ×5, first 2 shown]
	s_mov_b32 s9, 0
	s_and_saveexec_b32 s10, s8
	s_xor_b32 s8, exec_lo, s10
	s_cbranch_execnz .LBB13_420
; %bb.416:
	s_andn2_saveexec_b32 s0, s8
	s_cbranch_execnz .LBB13_439
.LBB13_417:
	s_or_b32 exec_lo, exec_lo, s0
	s_and_saveexec_b32 s0, s9
.LBB13_418:
	; divergent unreachable
.LBB13_419:
	s_endpgm
.LBB13_420:
	s_mov_b32 s10, 0
	s_and_saveexec_b32 s9, s11
	s_xor_b32 s9, exec_lo, s9
	s_cbranch_execz .LBB13_437
; %bb.421:
	s_mov_b32 s11, 0
	s_and_saveexec_b32 s10, s12
	s_xor_b32 s10, exec_lo, s10
	s_cbranch_execz .LBB13_435
; %bb.422:
	s_mov_b32 s12, 0
	s_and_saveexec_b32 s11, s7
	s_xor_b32 s11, exec_lo, s11
	s_cbranch_execz .LBB13_433
; %bb.423:
	s_and_saveexec_b32 s7, s6
	s_xor_b32 s6, exec_lo, s7
; %bb.424:
	v_mov_b32_e32 v33, v14
; %bb.425:
	s_or_b32 exec_lo, exec_lo, s6
	s_and_saveexec_b32 s6, s3
; %bb.426:
	v_mov_b32_e32 v1, 0
	ds_write_b32 v1, v1 offset:4108
; %bb.427:
	s_or_b32 exec_lo, exec_lo, s6
	v_mov_b32_e32 v3, 0
	s_waitcnt lgkmcnt(0)
	s_barrier
	buffer_gl0_inv
	s_and_saveexec_b32 s3, s1
	s_cbranch_execz .LBB13_429
; %bb.428:
	global_load_ubyte v3, v[9:10], off
.LBB13_429:
	s_or_b32 exec_lo, exec_lo, s3
	s_clause 0x1
	s_load_dword s12, s[4:5], 0x1c8
	s_load_dword s13, s[4:5], 0x2a8
	s_mul_i32 s3, s53, s52
	s_add_i32 s14, s36, 31
	s_mul_i32 s4, s54, s50
	s_add_i32 s3, s3, s35
	s_andn2_b32 s14, s14, 31
	s_add_i32 s4, s4, s45
	s_mov_b32 s5, 0
	s_add_u32 s6, s48, s3
	s_addc_u32 s7, s49, 0
	s_lshl_b64 s[16:17], s[4:5], 3
	v_cmp_gt_u32_e32 vcc_lo, s14, v0
	s_add_u32 s15, s46, s16
	s_addc_u32 s16, s47, s17
	s_mov_b32 s4, -1
	s_mov_b32 s3, 0
	s_and_saveexec_b32 s17, vcc_lo
	s_cbranch_execnz .LBB13_440
; %bb.430:
	s_or_b32 exec_lo, exec_lo, s17
	s_and_saveexec_b32 s2, s4
	s_cbranch_execnz .LBB13_455
.LBB13_431:
	s_or_b32 exec_lo, exec_lo, s2
	s_and_saveexec_b32 s0, s3
	s_xor_b32 s0, exec_lo, s0
	s_cbranch_execnz .LBB13_478
.LBB13_432:
	s_or_b32 exec_lo, exec_lo, s0
	s_waitcnt lgkmcnt(0)
	s_and_b32 s12, s5, exec_lo
.LBB13_433:
	s_andn2_saveexec_b32 s0, s11
	s_cbranch_execnz .LBB13_480
.LBB13_434:
	s_or_b32 exec_lo, exec_lo, s0
	s_and_b32 s11, s12, exec_lo
.LBB13_435:
	s_andn2_saveexec_b32 s0, s10
	s_cbranch_execnz .LBB13_479
.LBB13_436:
	s_or_b32 exec_lo, exec_lo, s0
	s_and_b32 s10, s11, exec_lo
.LBB13_437:
	s_andn2_saveexec_b32 s0, s9
	s_cbranch_execnz .LBB13_474
.LBB13_438:
	s_or_b32 exec_lo, exec_lo, s0
	s_and_b32 s9, s10, exec_lo
	s_andn2_saveexec_b32 s0, s8
	s_cbranch_execz .LBB13_417
.LBB13_439:
	s_or_b32 s9, s9, exec_lo
	s_trap 2
	s_or_b32 exec_lo, exec_lo, s0
	s_and_saveexec_b32 s0, s9
	s_cbranch_execnz .LBB13_418
	s_branch .LBB13_419
.LBB13_440:
	v_add_nc_u32_e32 v1, s44, v0
	v_mov_b32_e32 v2, 0
	s_mov_b32 s18, 0
                                        ; implicit-def: $sgpr19
                                        ; implicit-def: $vgpr7
	v_mul_lo_u32 v4, s40, v1
	v_mov_b32_e32 v1, v0
	s_branch .LBB13_442
.LBB13_441:                             ;   in Loop: Header=BB13_442 Depth=1
	s_or_b32 exec_lo, exec_lo, s21
	s_xor_b32 s3, s20, -1
	s_and_b32 s4, exec_lo, s4
	v_mov_b32_e32 v3, v6
	s_or_b32 s18, s4, s18
	v_mov_b32_e32 v1, v5
	s_andn2_b32 s4, s19, exec_lo
	s_and_b32 s3, s3, exec_lo
	s_or_b32 s19, s4, s3
	s_andn2_b32 exec_lo, exec_lo, s18
	s_cbranch_execz .LBB13_454
.LBB13_442:                             ; =>This Inner Loop Header: Depth=1
	v_add_nc_u32_e32 v5, s44, v1
	v_mov_b32_e32 v6, 0
	s_mov_b32 s4, exec_lo
	v_cmpx_gt_u32_e64 s36, v5
	s_cbranch_execz .LBB13_444
; %bb.443:                              ;   in Loop: Header=BB13_442 Depth=1
	global_load_ubyte v6, v4, s[42:43]
.LBB13_444:                             ;   in Loop: Header=BB13_442 Depth=1
	s_or_b32 exec_lo, exec_lo, s4
	s_waitcnt vmcnt(0)
	v_cmp_gt_u16_sdwa s3, v3, v33 src0_sel:BYTE_0 src1_sel:BYTE_0
	v_cndmask_b32_e64 v8, 0, 1, s3
	v_cmp_lt_u16_sdwa s3, v3, v33 src0_sel:BYTE_0 src1_sel:BYTE_0
	v_cndmask_b32_e64 v11, 0, 1, s3
	v_cmp_gt_u32_e64 s3, s36, v1
	v_cndmask_b32_e64 v8, v11, v8, s2
	v_and_b32_e32 v8, 1, v8
	v_cmp_eq_u32_e64 s4, 1, v8
	s_and_b32 s20, s3, s4
	v_cndmask_b32_e64 v8, 0, 1, s20
	v_cmp_ne_u32_e64 s3, 0, v8
	s_cmp_lg_u32 s3, 0
	s_cselect_b32 s4, -1, 0
	s_and_b32 s4, s0, s4
	s_and_saveexec_b32 s21, s4
	s_cbranch_execz .LBB13_448
; %bb.445:                              ;   in Loop: Header=BB13_442 Depth=1
	s_mov_b32 s24, exec_lo
	s_bcnt1_i32_b32 s22, s3
	s_waitcnt lgkmcnt(0)
	v_mbcnt_lo_u32_b32 v7, s24, 0
	s_mov_b32 s23, exec_lo
                                        ; implicit-def: $vgpr8
	v_cmpx_eq_u32_e32 0, v7
; %bb.446:                              ;   in Loop: Header=BB13_442 Depth=1
	s_bcnt1_i32_b32 s4, s24
	s_mul_i32 s4, s22, s4
	v_mov_b32_e32 v8, s4
	ds_add_rtn_u32 v8, v2, v8 offset:4108
; %bb.447:                              ;   in Loop: Header=BB13_442 Depth=1
	s_or_b32 exec_lo, exec_lo, s23
	s_waitcnt lgkmcnt(0)
	v_readfirstlane_b32 s4, v8
	v_mad_u32_u24 v7, s22, v7, s4
.LBB13_448:                             ;   in Loop: Header=BB13_442 Depth=1
	s_or_b32 exec_lo, exec_lo, s21
	s_waitcnt lgkmcnt(0)
	ds_bpermute_b32 v7, v2, v7
	s_mov_b32 s4, -1
	s_mov_b32 s22, -1
	s_and_saveexec_b32 s21, s20
	s_cbranch_execz .LBB13_452
; %bb.449:                              ;   in Loop: Header=BB13_442 Depth=1
	v_and_b32_e32 v8, s3, v15
	s_mov_b32 s20, 0
	s_mov_b32 s22, exec_lo
	s_waitcnt lgkmcnt(0)
	v_bcnt_u32_b32 v8, v8, v7
	v_cmpx_gt_u32_e64 s37, v8
; %bb.450:                              ;   in Loop: Header=BB13_442 Depth=1
	v_mul_lo_u32 v11, v8, s13
	v_mov_b32_e32 v12, v2
	v_mul_lo_u32 v8, v8, s12
	s_mov_b32 s20, exec_lo
	v_lshlrev_b64 v[11:12], 3, v[11:12]
	v_add_co_u32 v11, s3, s15, v11
	v_add_co_ci_u32_e64 v12, null, s16, v12, s3
	global_store_byte v8, v3, s[6:7]
	global_store_dwordx2 v[11:12], v[1:2], off
; %bb.451:                              ;   in Loop: Header=BB13_442 Depth=1
	s_or_b32 exec_lo, exec_lo, s22
	s_orn2_b32 s22, s20, exec_lo
.LBB13_452:                             ;   in Loop: Header=BB13_442 Depth=1
	s_or_b32 exec_lo, exec_lo, s21
	s_mov_b32 s20, -1
	s_and_saveexec_b32 s21, s22
	s_cbranch_execz .LBB13_441
; %bb.453:                              ;   in Loop: Header=BB13_442 Depth=1
	v_cmp_le_u32_e64 s3, s14, v5
	v_add_nc_u32_e32 v4, s51, v4
	s_xor_b32 s20, exec_lo, -1
	s_orn2_b32 s4, s3, exec_lo
	s_branch .LBB13_441
.LBB13_454:
	s_or_b32 exec_lo, exec_lo, s18
	s_mov_b32 s3, exec_lo
	s_orn2_b32 s4, s19, exec_lo
	s_or_b32 exec_lo, exec_lo, s17
	s_and_saveexec_b32 s2, s4
	s_cbranch_execz .LBB13_431
.LBB13_455:
	v_mov_b32_e32 v6, 0
	s_waitcnt vmcnt(0) lgkmcnt(0)
	s_waitcnt_vscnt null, 0x0
	s_barrier
	buffer_gl0_inv
	s_and_saveexec_b32 s4, s1
	s_cbranch_execz .LBB13_457
; %bb.456:
	global_load_ubyte v6, v[9:10], off
.LBB13_457:
	s_or_b32 exec_lo, exec_lo, s4
	s_mov_b32 s1, 0
	s_and_saveexec_b32 s4, vcc_lo
	s_cbranch_execz .LBB13_477
; %bb.458:
	v_add_nc_u32_e32 v1, s44, v0
	s_mov_b32 s5, 0
                                        ; implicit-def: $sgpr17
                                        ; implicit-def: $vgpr5
	v_mul_lo_u32 v2, s40, v1
	v_mov_b32_e32 v1, 0
	s_branch .LBB13_461
.LBB13_459:                             ;   in Loop: Header=BB13_461 Depth=1
	s_or_b32 exec_lo, exec_lo, s18
	s_orn2_b32 s20, s20, exec_lo
	s_orn2_b32 s19, s19, exec_lo
.LBB13_460:                             ;   in Loop: Header=BB13_461 Depth=1
	s_or_b32 exec_lo, exec_lo, s1
	s_xor_b32 s1, s20, -1
	s_and_b32 s18, exec_lo, s19
	v_mov_b32_e32 v0, v3
	s_or_b32 s5, s18, s5
	v_mov_b32_e32 v6, v4
	s_andn2_b32 s17, s17, exec_lo
	s_and_b32 s1, s1, exec_lo
	s_or_b32 s17, s17, s1
	s_andn2_b32 exec_lo, exec_lo, s5
	s_cbranch_execz .LBB13_475
.LBB13_461:                             ; =>This Inner Loop Header: Depth=1
	v_add_nc_u32_e32 v3, s44, v0
	v_mov_b32_e32 v4, 0
	s_mov_b32 s1, exec_lo
	v_cmpx_gt_u32_e64 s36, v3
	s_cbranch_execz .LBB13_463
; %bb.462:                              ;   in Loop: Header=BB13_461 Depth=1
	global_load_ubyte v4, v2, s[42:43]
.LBB13_463:                             ;   in Loop: Header=BB13_461 Depth=1
	s_or_b32 exec_lo, exec_lo, s1
	v_cmp_gt_u32_e32 vcc_lo, s36, v0
	s_waitcnt vmcnt(0)
	v_cmp_eq_u16_sdwa s1, v6, v33 src0_sel:BYTE_0 src1_sel:BYTE_0
	s_and_b32 s18, vcc_lo, s1
	v_cndmask_b32_e64 v6, 0, 1, s18
	v_cmp_ne_u32_e32 vcc_lo, 0, v6
	s_cmp_lg_u32 vcc_lo, 0
	s_cselect_b32 s1, -1, 0
	s_and_b32 s1, s0, s1
	s_and_saveexec_b32 s19, s1
	s_cbranch_execz .LBB13_467
; %bb.464:                              ;   in Loop: Header=BB13_461 Depth=1
	s_mov_b32 s22, exec_lo
	s_bcnt1_i32_b32 s20, vcc_lo
	v_mbcnt_lo_u32_b32 v5, s22, 0
	s_mov_b32 s21, exec_lo
                                        ; implicit-def: $vgpr6
	v_cmpx_eq_u32_e32 0, v5
; %bb.465:                              ;   in Loop: Header=BB13_461 Depth=1
	s_bcnt1_i32_b32 s1, s22
	s_mul_i32 s1, s20, s1
	v_mov_b32_e32 v6, s1
	ds_add_rtn_u32 v6, v1, v6 offset:4108
; %bb.466:                              ;   in Loop: Header=BB13_461 Depth=1
	s_or_b32 exec_lo, exec_lo, s21
	s_waitcnt lgkmcnt(0)
	v_readfirstlane_b32 s1, v6
	v_mad_u32_u24 v5, s20, v5, s1
.LBB13_467:                             ;   in Loop: Header=BB13_461 Depth=1
	s_or_b32 exec_lo, exec_lo, s19
	ds_bpermute_b32 v5, v1, v5
	s_cmp_eq_u32 vcc_lo, 0
	s_mov_b32 s19, -1
	s_cselect_b32 s20, -1, 0
	s_waitcnt lgkmcnt(0)
	v_cmp_gt_u32_e64 s1, s37, v5
	s_or_b32 s21, s20, s1
	s_mov_b32 s20, -1
	s_and_saveexec_b32 s1, s21
	s_cbranch_execz .LBB13_460
; %bb.468:                              ;   in Loop: Header=BB13_461 Depth=1
	v_and_b32_e32 v6, vcc_lo, v15
	v_sub_nc_u32_e32 v7, s37, v5
	s_mov_b32 s21, -1
	v_bcnt_u32_b32 v6, v6, 0
	v_bcnt_u32_b32 v6, 0, v6
	v_cmp_gt_u32_e32 vcc_lo, v7, v6
	s_and_b32 s22, s18, vcc_lo
	s_and_saveexec_b32 s18, s22
	s_cbranch_execz .LBB13_472
; %bb.469:                              ;   in Loop: Header=BB13_461 Depth=1
	v_add_nc_u32_e32 v6, v5, v6
	s_mov_b32 s21, 0
	s_mov_b32 s20, exec_lo
	v_cmpx_gt_u32_e64 s37, v6
; %bb.470:                              ;   in Loop: Header=BB13_461 Depth=1
	v_mul_lo_u32 v7, v6, s13
	v_mov_b32_e32 v8, v1
	v_mul_lo_u32 v9, v6, s12
	s_mov_b32 s21, exec_lo
	v_lshlrev_b64 v[7:8], 3, v[7:8]
	v_add_co_u32 v6, vcc_lo, s15, v7
	v_add_co_ci_u32_e64 v7, null, s16, v8, vcc_lo
	global_store_byte v9, v33, s[6:7]
	global_store_dwordx2 v[6:7], v[0:1], off
; %bb.471:                              ;   in Loop: Header=BB13_461 Depth=1
	s_or_b32 exec_lo, exec_lo, s20
	s_xor_b32 s20, exec_lo, -1
	s_orn2_b32 s21, s21, exec_lo
.LBB13_472:                             ;   in Loop: Header=BB13_461 Depth=1
	s_or_b32 exec_lo, exec_lo, s18
	s_and_saveexec_b32 s18, s21
	s_cbranch_execz .LBB13_459
; %bb.473:                              ;   in Loop: Header=BB13_461 Depth=1
	v_cmp_le_u32_e32 vcc_lo, s14, v3
	v_add_nc_u32_e32 v2, s51, v2
	s_or_b32 s20, s20, exec_lo
	s_orn2_b32 s19, vcc_lo, exec_lo
	s_branch .LBB13_459
.LBB13_474:
	s_or_b32 s10, s10, exec_lo
	s_trap 2
	s_branch .LBB13_438
.LBB13_475:
	s_or_b32 exec_lo, exec_lo, s5
	s_mov_b32 s0, 0
	s_and_saveexec_b32 s1, s17
	s_xor_b32 s1, exec_lo, s1
	s_cbranch_execnz .LBB13_481
.LBB13_476:
	s_or_b32 exec_lo, exec_lo, s1
	s_and_b32 s1, s0, exec_lo
.LBB13_477:
	s_or_b32 exec_lo, exec_lo, s4
	s_and_b32 s5, s1, exec_lo
	s_andn2_b32 s3, s3, exec_lo
	s_or_b32 exec_lo, exec_lo, s2
	s_and_saveexec_b32 s0, s3
	s_xor_b32 s0, exec_lo, s0
	s_cbranch_execz .LBB13_432
.LBB13_478:
	s_or_b32 s5, s5, exec_lo
	s_trap 2
	s_branch .LBB13_432
.LBB13_479:
	s_or_b32 s11, s11, exec_lo
	s_trap 2
	s_branch .LBB13_436
.LBB13_480:
	s_or_b32 s12, s12, exec_lo
	s_trap 2
	s_branch .LBB13_434
.LBB13_481:
	s_mov_b32 s0, exec_lo
	s_trap 2
	s_branch .LBB13_476
	.section	.rodata,"a",@progbits
	.p2align	6, 0x0
	.amdhsa_kernel _ZN2at6native6sbtopk10gatherTopKIhjLin1ELb0EEEvNS_4cuda6detail10TensorInfoIKT_T0_EES8_S8_bS8_S8_NS5_IS6_S8_EES8_NS5_IlS8_EES8_PS6_
		.amdhsa_group_segment_fixed_size 4112
		.amdhsa_private_segment_fixed_size 0
		.amdhsa_kernarg_size 952
		.amdhsa_user_sgpr_count 6
		.amdhsa_user_sgpr_private_segment_buffer 1
		.amdhsa_user_sgpr_dispatch_ptr 0
		.amdhsa_user_sgpr_queue_ptr 0
		.amdhsa_user_sgpr_kernarg_segment_ptr 1
		.amdhsa_user_sgpr_dispatch_id 0
		.amdhsa_user_sgpr_flat_scratch_init 0
		.amdhsa_user_sgpr_private_segment_size 0
		.amdhsa_wavefront_size32 1
		.amdhsa_uses_dynamic_stack 0
		.amdhsa_system_sgpr_private_segment_wavefront_offset 0
		.amdhsa_system_sgpr_workgroup_id_x 1
		.amdhsa_system_sgpr_workgroup_id_y 1
		.amdhsa_system_sgpr_workgroup_id_z 1
		.amdhsa_system_sgpr_workgroup_info 0
		.amdhsa_system_vgpr_workitem_id 0
		.amdhsa_next_free_vgpr 68
		.amdhsa_next_free_sgpr 98
		.amdhsa_reserve_vcc 1
		.amdhsa_reserve_flat_scratch 0
		.amdhsa_float_round_mode_32 0
		.amdhsa_float_round_mode_16_64 0
		.amdhsa_float_denorm_mode_32 3
		.amdhsa_float_denorm_mode_16_64 3
		.amdhsa_dx10_clamp 1
		.amdhsa_ieee_mode 1
		.amdhsa_fp16_overflow 0
		.amdhsa_workgroup_processor_mode 1
		.amdhsa_memory_ordered 1
		.amdhsa_forward_progress 1
		.amdhsa_shared_vgpr_count 0
		.amdhsa_exception_fp_ieee_invalid_op 0
		.amdhsa_exception_fp_denorm_src 0
		.amdhsa_exception_fp_ieee_div_zero 0
		.amdhsa_exception_fp_ieee_overflow 0
		.amdhsa_exception_fp_ieee_underflow 0
		.amdhsa_exception_fp_ieee_inexact 0
		.amdhsa_exception_int_div_zero 0
	.end_amdhsa_kernel
	.section	.text._ZN2at6native6sbtopk10gatherTopKIhjLin1ELb0EEEvNS_4cuda6detail10TensorInfoIKT_T0_EES8_S8_bS8_S8_NS5_IS6_S8_EES8_NS5_IlS8_EES8_PS6_,"axG",@progbits,_ZN2at6native6sbtopk10gatherTopKIhjLin1ELb0EEEvNS_4cuda6detail10TensorInfoIKT_T0_EES8_S8_bS8_S8_NS5_IS6_S8_EES8_NS5_IlS8_EES8_PS6_,comdat
.Lfunc_end13:
	.size	_ZN2at6native6sbtopk10gatherTopKIhjLin1ELb0EEEvNS_4cuda6detail10TensorInfoIKT_T0_EES8_S8_bS8_S8_NS5_IS6_S8_EES8_NS5_IlS8_EES8_PS6_, .Lfunc_end13-_ZN2at6native6sbtopk10gatherTopKIhjLin1ELb0EEEvNS_4cuda6detail10TensorInfoIKT_T0_EES8_S8_bS8_S8_NS5_IS6_S8_EES8_NS5_IlS8_EES8_PS6_
                                        ; -- End function
	.set _ZN2at6native6sbtopk10gatherTopKIhjLin1ELb0EEEvNS_4cuda6detail10TensorInfoIKT_T0_EES8_S8_bS8_S8_NS5_IS6_S8_EES8_NS5_IlS8_EES8_PS6_.num_vgpr, 68
	.set _ZN2at6native6sbtopk10gatherTopKIhjLin1ELb0EEEvNS_4cuda6detail10TensorInfoIKT_T0_EES8_S8_bS8_S8_NS5_IS6_S8_EES8_NS5_IlS8_EES8_PS6_.num_agpr, 0
	.set _ZN2at6native6sbtopk10gatherTopKIhjLin1ELb0EEEvNS_4cuda6detail10TensorInfoIKT_T0_EES8_S8_bS8_S8_NS5_IS6_S8_EES8_NS5_IlS8_EES8_PS6_.numbered_sgpr, 98
	.set _ZN2at6native6sbtopk10gatherTopKIhjLin1ELb0EEEvNS_4cuda6detail10TensorInfoIKT_T0_EES8_S8_bS8_S8_NS5_IS6_S8_EES8_NS5_IlS8_EES8_PS6_.num_named_barrier, 0
	.set _ZN2at6native6sbtopk10gatherTopKIhjLin1ELb0EEEvNS_4cuda6detail10TensorInfoIKT_T0_EES8_S8_bS8_S8_NS5_IS6_S8_EES8_NS5_IlS8_EES8_PS6_.private_seg_size, 0
	.set _ZN2at6native6sbtopk10gatherTopKIhjLin1ELb0EEEvNS_4cuda6detail10TensorInfoIKT_T0_EES8_S8_bS8_S8_NS5_IS6_S8_EES8_NS5_IlS8_EES8_PS6_.uses_vcc, 1
	.set _ZN2at6native6sbtopk10gatherTopKIhjLin1ELb0EEEvNS_4cuda6detail10TensorInfoIKT_T0_EES8_S8_bS8_S8_NS5_IS6_S8_EES8_NS5_IlS8_EES8_PS6_.uses_flat_scratch, 0
	.set _ZN2at6native6sbtopk10gatherTopKIhjLin1ELb0EEEvNS_4cuda6detail10TensorInfoIKT_T0_EES8_S8_bS8_S8_NS5_IS6_S8_EES8_NS5_IlS8_EES8_PS6_.has_dyn_sized_stack, 0
	.set _ZN2at6native6sbtopk10gatherTopKIhjLin1ELb0EEEvNS_4cuda6detail10TensorInfoIKT_T0_EES8_S8_bS8_S8_NS5_IS6_S8_EES8_NS5_IlS8_EES8_PS6_.has_recursion, 0
	.set _ZN2at6native6sbtopk10gatherTopKIhjLin1ELb0EEEvNS_4cuda6detail10TensorInfoIKT_T0_EES8_S8_bS8_S8_NS5_IS6_S8_EES8_NS5_IlS8_EES8_PS6_.has_indirect_call, 0
	.section	.AMDGPU.csdata,"",@progbits
; Kernel info:
; codeLenInByte = 16256
; TotalNumSgprs: 100
; NumVgprs: 68
; ScratchSize: 0
; MemoryBound: 0
; FloatMode: 240
; IeeeMode: 1
; LDSByteSize: 4112 bytes/workgroup (compile time only)
; SGPRBlocks: 0
; VGPRBlocks: 8
; NumSGPRsForWavesPerEU: 100
; NumVGPRsForWavesPerEU: 68
; Occupancy: 12
; WaveLimiterHint : 1
; COMPUTE_PGM_RSRC2:SCRATCH_EN: 0
; COMPUTE_PGM_RSRC2:USER_SGPR: 6
; COMPUTE_PGM_RSRC2:TRAP_HANDLER: 0
; COMPUTE_PGM_RSRC2:TGID_X_EN: 1
; COMPUTE_PGM_RSRC2:TGID_Y_EN: 1
; COMPUTE_PGM_RSRC2:TGID_Z_EN: 1
; COMPUTE_PGM_RSRC2:TIDIG_COMP_CNT: 0
	.section	.text._ZN2at6native6mbtopk23computeBlockDigitCountsIajjLi1EEEvNS_4cuda6detail10TensorInfoIKT_T0_EEjPjjS8_iijT1_PSB_Ps,"axG",@progbits,_ZN2at6native6mbtopk23computeBlockDigitCountsIajjLi1EEEvNS_4cuda6detail10TensorInfoIKT_T0_EEjPjjS8_iijT1_PSB_Ps,comdat
	.protected	_ZN2at6native6mbtopk23computeBlockDigitCountsIajjLi1EEEvNS_4cuda6detail10TensorInfoIKT_T0_EEjPjjS8_iijT1_PSB_Ps ; -- Begin function _ZN2at6native6mbtopk23computeBlockDigitCountsIajjLi1EEEvNS_4cuda6detail10TensorInfoIKT_T0_EEjPjjS8_iijT1_PSB_Ps
	.globl	_ZN2at6native6mbtopk23computeBlockDigitCountsIajjLi1EEEvNS_4cuda6detail10TensorInfoIKT_T0_EEjPjjS8_iijT1_PSB_Ps
	.p2align	8
	.type	_ZN2at6native6mbtopk23computeBlockDigitCountsIajjLi1EEEvNS_4cuda6detail10TensorInfoIKT_T0_EEjPjjS8_iijT1_PSB_Ps,@function
_ZN2at6native6mbtopk23computeBlockDigitCountsIajjLi1EEEvNS_4cuda6detail10TensorInfoIKT_T0_EEjPjjS8_iijT1_PSB_Ps: ; @_ZN2at6native6mbtopk23computeBlockDigitCountsIajjLi1EEEvNS_4cuda6detail10TensorInfoIKT_T0_EEjPjjS8_iijT1_PSB_Ps
; %bb.0:
	s_clause 0x2
	s_load_dwordx2 s[10:11], s[4:5], 0xf8
	s_load_dwordx4 s[12:15], s[4:5], 0xe8
	s_load_dwordx2 s[0:1], s[4:5], 0x110
	s_waitcnt lgkmcnt(0)
	v_cvt_f32_u32_e32 v1, s10
	s_sub_i32 s3, 0, s10
	s_mul_i32 s1, s1, s8
	s_add_i32 s1, s1, s7
	v_rcp_iflag_f32_e32 v1, v1
	s_mul_i32 s8, s1, s0
	s_mov_b32 s7, 0
	s_add_i32 s8, s8, s6
	v_mul_f32_e32 v1, 0x4f7ffffe, v1
	v_cvt_u32_f32_e32 v1, v1
	v_readfirstlane_b32 s2, v1
	s_mul_i32 s3, s3, s2
	s_mul_hi_u32 s0, s2, s3
	s_add_i32 s2, s2, s0
	s_mul_hi_u32 s0, s8, s2
	s_mul_i32 s1, s0, s10
	s_add_i32 s2, s0, 1
	s_sub_i32 s1, s8, s1
	s_sub_i32 s3, s1, s10
	s_cmp_ge_u32 s1, s10
	s_cselect_b32 s0, s2, s0
	s_cselect_b32 s1, s3, s1
	s_add_i32 s2, s0, 1
	s_cmp_ge_u32 s1, s10
	s_cselect_b32 s6, s2, s0
	s_cmp_ge_u32 s6, s12
	s_cbranch_scc1 .LBB14_27
; %bb.1:
	s_load_dwordx4 s[0:3], s[4:5], 0x100
	s_lshl_b64 s[16:17], s[6:7], 2
	v_cmp_gt_u32_e32 vcc_lo, 0x100, v0
	v_lshlrev_b32_e32 v1, 2, v0
	s_waitcnt lgkmcnt(0)
	s_add_u32 s0, s0, s16
	s_addc_u32 s1, s1, s17
	s_and_saveexec_b32 s7, vcc_lo
; %bb.2:
	v_mov_b32_e32 v2, 0
	ds_write_b32 v1, v2
; %bb.3:
	s_or_b32 exec_lo, exec_lo, s7
	s_load_dword s7, s[4:5], 0xd8
	s_mul_i32 s9, s6, s10
	s_waitcnt lgkmcnt(0)
	s_sub_i32 s12, s8, s9
	s_barrier
	s_mul_i32 s9, s15, s12
	s_add_i32 s12, s12, 1
	s_lshl_b32 s9, s9, 8
	buffer_gl0_inv
	s_sub_i32 s16, s7, s9
	s_add_u32 s16, s16, 0xff
	s_addc_u32 s17, 0, 0
	s_lshr_b64 s[16:17], s[16:17], 8
	s_cmp_lt_u32 s12, s10
	s_mov_b32 s12, 0
	s_cselect_b32 s10, s15, s16
	s_cmp_lt_i32 s10, 1
	s_cbranch_scc1 .LBB14_25
; %bb.4:
	s_clause 0x1
	s_load_dword s15, s[4:5], 0x6c
	s_load_dwordx2 s[4:5], s[4:5], 0x0
	s_load_dword s1, s[0:1], 0x0
	s_waitcnt lgkmcnt(0)
	s_mul_i32 s15, s15, s6
	s_add_u32 s4, s4, s15
	s_addc_u32 s5, s5, 0
	s_and_b32 s6, s14, 0xff
	s_cmp_lt_u32 s10, 4
	s_cbranch_scc1 .LBB14_19
; %bb.5:
	v_add_nc_u32_e32 v6, s9, v0
	v_mov_b32_e32 v7, 1
	s_and_b32 s12, s10, 0x7ffffffc
	s_lshl_b32 s14, s13, 10
	s_mov_b32 s15, 0
	v_add_nc_u32_e32 v2, 0x300, v6
	v_add_nc_u32_e32 v4, 0x200, v6
	;; [unrolled: 1-line block ×3, first 2 shown]
	v_mul_lo_u32 v6, s13, v6
	s_mov_b32 s16, 0
	v_mul_lo_u32 v3, s13, v2
	v_mul_lo_u32 v4, s13, v4
	v_mul_lo_u32 v5, s13, v5
	s_branch .LBB14_7
.LBB14_6:                               ;   in Loop: Header=BB14_7 Depth=1
	s_or_b32 exec_lo, exec_lo, s17
	v_add_nc_u32_e32 v2, 0x400, v2
	s_add_i32 s16, s16, 4
	s_add_i32 s15, s15, s14
	s_cmp_eq_u32 s12, s16
	s_cbranch_scc1 .LBB14_19
.LBB14_7:                               ; =>This Inner Loop Header: Depth=1
	v_add_nc_u32_e32 v8, 0xfffffd00, v2
	s_mov_b32 s17, exec_lo
	v_cmpx_gt_u32_e64 s7, v8
	s_cbranch_execz .LBB14_10
; %bb.8:                                ;   in Loop: Header=BB14_7 Depth=1
	v_add_nc_u32_e32 v8, s15, v6
	global_load_sbyte v8, v8, s[4:5]
	s_waitcnt vmcnt(0)
	v_add_nc_u32_e32 v8, 0x80, v8
	v_xor_b32_e32 v9, s1, v8
	v_and_b32_e32 v9, s11, v9
	v_cmp_eq_u32_e64 s0, 0, v9
	s_and_b32 exec_lo, exec_lo, s0
; %bb.9:                                ;   in Loop: Header=BB14_7 Depth=1
	v_lshrrev_b32_e32 v8, s6, v8
	v_lshlrev_b32_e32 v8, 2, v8
	ds_add_u32 v8, v7
.LBB14_10:                              ;   in Loop: Header=BB14_7 Depth=1
	s_or_b32 exec_lo, exec_lo, s17
	v_add_nc_u32_e32 v8, 0xfffffe00, v2
	s_mov_b32 s17, exec_lo
	v_cmpx_gt_u32_e64 s7, v8
	s_cbranch_execz .LBB14_13
; %bb.11:                               ;   in Loop: Header=BB14_7 Depth=1
	v_add_nc_u32_e32 v8, s15, v5
	global_load_sbyte v8, v8, s[4:5]
	s_waitcnt vmcnt(0)
	v_add_nc_u32_e32 v8, 0x80, v8
	v_xor_b32_e32 v9, s1, v8
	v_and_b32_e32 v9, s11, v9
	v_cmp_eq_u32_e64 s0, 0, v9
	s_and_b32 exec_lo, exec_lo, s0
; %bb.12:                               ;   in Loop: Header=BB14_7 Depth=1
	v_lshrrev_b32_e32 v8, s6, v8
	v_lshlrev_b32_e32 v8, 2, v8
	ds_add_u32 v8, v7
.LBB14_13:                              ;   in Loop: Header=BB14_7 Depth=1
	s_or_b32 exec_lo, exec_lo, s17
	v_add_nc_u32_e32 v8, 0xffffff00, v2
	s_mov_b32 s17, exec_lo
	v_cmpx_gt_u32_e64 s7, v8
	s_cbranch_execz .LBB14_16
; %bb.14:                               ;   in Loop: Header=BB14_7 Depth=1
	v_add_nc_u32_e32 v8, s15, v4
	global_load_sbyte v8, v8, s[4:5]
	s_waitcnt vmcnt(0)
	v_add_nc_u32_e32 v8, 0x80, v8
	v_xor_b32_e32 v9, s1, v8
	v_and_b32_e32 v9, s11, v9
	v_cmp_eq_u32_e64 s0, 0, v9
	s_and_b32 exec_lo, exec_lo, s0
; %bb.15:                               ;   in Loop: Header=BB14_7 Depth=1
	v_lshrrev_b32_e32 v8, s6, v8
	v_lshlrev_b32_e32 v8, 2, v8
	ds_add_u32 v8, v7
.LBB14_16:                              ;   in Loop: Header=BB14_7 Depth=1
	s_or_b32 exec_lo, exec_lo, s17
	s_mov_b32 s17, exec_lo
	v_cmpx_gt_u32_e64 s7, v2
	s_cbranch_execz .LBB14_6
; %bb.17:                               ;   in Loop: Header=BB14_7 Depth=1
	v_add_nc_u32_e32 v8, s15, v3
	global_load_sbyte v8, v8, s[4:5]
	s_waitcnt vmcnt(0)
	v_add_nc_u32_e32 v8, 0x80, v8
	v_xor_b32_e32 v9, s1, v8
	v_and_b32_e32 v9, s11, v9
	v_cmp_eq_u32_e64 s0, 0, v9
	s_and_b32 exec_lo, exec_lo, s0
	s_cbranch_execz .LBB14_6
; %bb.18:                               ;   in Loop: Header=BB14_7 Depth=1
	v_lshrrev_b32_e32 v8, s6, v8
	v_lshlrev_b32_e32 v8, 2, v8
	ds_add_u32 v8, v7
	s_branch .LBB14_6
.LBB14_19:
	s_and_b32 s10, s10, 3
	s_cmp_eq_u32 s10, 0
	s_cbranch_scc1 .LBB14_25
; %bb.20:
	s_lshl_b32 s0, s12, 8
	v_mov_b32_e32 v4, 1
	v_add3_u32 v2, s0, s9, v0
	s_lshl_b32 s9, s13, 8
	v_mul_lo_u32 v3, s13, v2
	s_inst_prefetch 0x1
	s_branch .LBB14_22
	.p2align	6
.LBB14_21:                              ;   in Loop: Header=BB14_22 Depth=1
	s_or_b32 exec_lo, exec_lo, s12
	v_add_nc_u32_e32 v3, s9, v3
	v_add_nc_u32_e32 v2, 0x100, v2
	s_add_i32 s10, s10, -1
	s_cmp_lg_u32 s10, 0
	s_cbranch_scc0 .LBB14_25
.LBB14_22:                              ; =>This Inner Loop Header: Depth=1
	s_mov_b32 s12, exec_lo
	v_cmpx_gt_u32_e64 s7, v2
	s_cbranch_execz .LBB14_21
; %bb.23:                               ;   in Loop: Header=BB14_22 Depth=1
	global_load_sbyte v5, v3, s[4:5]
	s_waitcnt vmcnt(0)
	v_add_nc_u32_e32 v5, 0x80, v5
	v_xor_b32_e32 v6, s1, v5
	v_and_b32_e32 v6, s11, v6
	v_cmp_eq_u32_e64 s0, 0, v6
	s_and_b32 exec_lo, exec_lo, s0
	s_cbranch_execz .LBB14_21
; %bb.24:                               ;   in Loop: Header=BB14_22 Depth=1
	v_lshrrev_b32_e32 v5, s6, v5
	v_lshlrev_b32_e32 v5, 2, v5
	ds_add_u32 v5, v4
	s_branch .LBB14_21
.LBB14_25:
	s_inst_prefetch 0x2
	s_waitcnt lgkmcnt(0)
	s_barrier
	buffer_gl0_inv
	s_and_saveexec_b32 s0, vcc_lo
	s_cbranch_execz .LBB14_27
; %bb.26:
	ds_read_b32 v2, v1
	v_lshl_or_b32 v0, s8, 8, v0
	v_mov_b32_e32 v1, 0
	v_lshlrev_b64 v[0:1], 1, v[0:1]
	v_add_co_u32 v0, vcc_lo, s2, v0
	v_add_co_ci_u32_e64 v1, null, s3, v1, vcc_lo
	s_waitcnt lgkmcnt(0)
	global_store_short v[0:1], v2, off
.LBB14_27:
	s_endpgm
	.section	.rodata,"a",@progbits
	.p2align	6, 0x0
	.amdhsa_kernel _ZN2at6native6mbtopk23computeBlockDigitCountsIajjLi1EEEvNS_4cuda6detail10TensorInfoIKT_T0_EEjPjjS8_iijT1_PSB_Ps
		.amdhsa_group_segment_fixed_size 1024
		.amdhsa_private_segment_fixed_size 0
		.amdhsa_kernarg_size 528
		.amdhsa_user_sgpr_count 6
		.amdhsa_user_sgpr_private_segment_buffer 1
		.amdhsa_user_sgpr_dispatch_ptr 0
		.amdhsa_user_sgpr_queue_ptr 0
		.amdhsa_user_sgpr_kernarg_segment_ptr 1
		.amdhsa_user_sgpr_dispatch_id 0
		.amdhsa_user_sgpr_flat_scratch_init 0
		.amdhsa_user_sgpr_private_segment_size 0
		.amdhsa_wavefront_size32 1
		.amdhsa_uses_dynamic_stack 0
		.amdhsa_system_sgpr_private_segment_wavefront_offset 0
		.amdhsa_system_sgpr_workgroup_id_x 1
		.amdhsa_system_sgpr_workgroup_id_y 1
		.amdhsa_system_sgpr_workgroup_id_z 1
		.amdhsa_system_sgpr_workgroup_info 0
		.amdhsa_system_vgpr_workitem_id 0
		.amdhsa_next_free_vgpr 10
		.amdhsa_next_free_sgpr 18
		.amdhsa_reserve_vcc 1
		.amdhsa_reserve_flat_scratch 0
		.amdhsa_float_round_mode_32 0
		.amdhsa_float_round_mode_16_64 0
		.amdhsa_float_denorm_mode_32 3
		.amdhsa_float_denorm_mode_16_64 3
		.amdhsa_dx10_clamp 1
		.amdhsa_ieee_mode 1
		.amdhsa_fp16_overflow 0
		.amdhsa_workgroup_processor_mode 1
		.amdhsa_memory_ordered 1
		.amdhsa_forward_progress 1
		.amdhsa_shared_vgpr_count 0
		.amdhsa_exception_fp_ieee_invalid_op 0
		.amdhsa_exception_fp_denorm_src 0
		.amdhsa_exception_fp_ieee_div_zero 0
		.amdhsa_exception_fp_ieee_overflow 0
		.amdhsa_exception_fp_ieee_underflow 0
		.amdhsa_exception_fp_ieee_inexact 0
		.amdhsa_exception_int_div_zero 0
	.end_amdhsa_kernel
	.section	.text._ZN2at6native6mbtopk23computeBlockDigitCountsIajjLi1EEEvNS_4cuda6detail10TensorInfoIKT_T0_EEjPjjS8_iijT1_PSB_Ps,"axG",@progbits,_ZN2at6native6mbtopk23computeBlockDigitCountsIajjLi1EEEvNS_4cuda6detail10TensorInfoIKT_T0_EEjPjjS8_iijT1_PSB_Ps,comdat
.Lfunc_end14:
	.size	_ZN2at6native6mbtopk23computeBlockDigitCountsIajjLi1EEEvNS_4cuda6detail10TensorInfoIKT_T0_EEjPjjS8_iijT1_PSB_Ps, .Lfunc_end14-_ZN2at6native6mbtopk23computeBlockDigitCountsIajjLi1EEEvNS_4cuda6detail10TensorInfoIKT_T0_EEjPjjS8_iijT1_PSB_Ps
                                        ; -- End function
	.set _ZN2at6native6mbtopk23computeBlockDigitCountsIajjLi1EEEvNS_4cuda6detail10TensorInfoIKT_T0_EEjPjjS8_iijT1_PSB_Ps.num_vgpr, 10
	.set _ZN2at6native6mbtopk23computeBlockDigitCountsIajjLi1EEEvNS_4cuda6detail10TensorInfoIKT_T0_EEjPjjS8_iijT1_PSB_Ps.num_agpr, 0
	.set _ZN2at6native6mbtopk23computeBlockDigitCountsIajjLi1EEEvNS_4cuda6detail10TensorInfoIKT_T0_EEjPjjS8_iijT1_PSB_Ps.numbered_sgpr, 18
	.set _ZN2at6native6mbtopk23computeBlockDigitCountsIajjLi1EEEvNS_4cuda6detail10TensorInfoIKT_T0_EEjPjjS8_iijT1_PSB_Ps.num_named_barrier, 0
	.set _ZN2at6native6mbtopk23computeBlockDigitCountsIajjLi1EEEvNS_4cuda6detail10TensorInfoIKT_T0_EEjPjjS8_iijT1_PSB_Ps.private_seg_size, 0
	.set _ZN2at6native6mbtopk23computeBlockDigitCountsIajjLi1EEEvNS_4cuda6detail10TensorInfoIKT_T0_EEjPjjS8_iijT1_PSB_Ps.uses_vcc, 1
	.set _ZN2at6native6mbtopk23computeBlockDigitCountsIajjLi1EEEvNS_4cuda6detail10TensorInfoIKT_T0_EEjPjjS8_iijT1_PSB_Ps.uses_flat_scratch, 0
	.set _ZN2at6native6mbtopk23computeBlockDigitCountsIajjLi1EEEvNS_4cuda6detail10TensorInfoIKT_T0_EEjPjjS8_iijT1_PSB_Ps.has_dyn_sized_stack, 0
	.set _ZN2at6native6mbtopk23computeBlockDigitCountsIajjLi1EEEvNS_4cuda6detail10TensorInfoIKT_T0_EEjPjjS8_iijT1_PSB_Ps.has_recursion, 0
	.set _ZN2at6native6mbtopk23computeBlockDigitCountsIajjLi1EEEvNS_4cuda6detail10TensorInfoIKT_T0_EEjPjjS8_iijT1_PSB_Ps.has_indirect_call, 0
	.section	.AMDGPU.csdata,"",@progbits
; Kernel info:
; codeLenInByte = 1092
; TotalNumSgprs: 20
; NumVgprs: 10
; ScratchSize: 0
; MemoryBound: 0
; FloatMode: 240
; IeeeMode: 1
; LDSByteSize: 1024 bytes/workgroup (compile time only)
; SGPRBlocks: 0
; VGPRBlocks: 1
; NumSGPRsForWavesPerEU: 20
; NumVGPRsForWavesPerEU: 10
; Occupancy: 16
; WaveLimiterHint : 1
; COMPUTE_PGM_RSRC2:SCRATCH_EN: 0
; COMPUTE_PGM_RSRC2:USER_SGPR: 6
; COMPUTE_PGM_RSRC2:TRAP_HANDLER: 0
; COMPUTE_PGM_RSRC2:TGID_X_EN: 1
; COMPUTE_PGM_RSRC2:TGID_Y_EN: 1
; COMPUTE_PGM_RSRC2:TGID_Z_EN: 1
; COMPUTE_PGM_RSRC2:TIDIG_COMP_CNT: 0
	.section	.text._ZN2at6native6mbtopk29computeBlockwiseWithinKCountsIjaEEvPT_PsPjjibS6_PT0_S6_S4_S6_j,"axG",@progbits,_ZN2at6native6mbtopk29computeBlockwiseWithinKCountsIjaEEvPT_PsPjjibS6_PT0_S6_S4_S6_j,comdat
	.protected	_ZN2at6native6mbtopk29computeBlockwiseWithinKCountsIjaEEvPT_PsPjjibS6_PT0_S6_S4_S6_j ; -- Begin function _ZN2at6native6mbtopk29computeBlockwiseWithinKCountsIjaEEvPT_PsPjjibS6_PT0_S6_S4_S6_j
	.globl	_ZN2at6native6mbtopk29computeBlockwiseWithinKCountsIjaEEvPT_PsPjjibS6_PT0_S6_S4_S6_j
	.p2align	8
	.type	_ZN2at6native6mbtopk29computeBlockwiseWithinKCountsIjaEEvPT_PsPjjibS6_PT0_S6_S4_S6_j,@function
_ZN2at6native6mbtopk29computeBlockwiseWithinKCountsIjaEEvPT_PsPjjibS6_PT0_S6_S4_S6_j: ; @_ZN2at6native6mbtopk29computeBlockwiseWithinKCountsIjaEEvPT_PsPjjibS6_PT0_S6_S4_S6_j
; %bb.0:
	s_clause 0x2
	s_load_dwordx4 s[16:19], s[4:5], 0x18
	s_load_dwordx2 s[0:1], s[4:5], 0x58
	s_load_dword s3, s[4:5], 0x50
	s_waitcnt lgkmcnt(0)
	v_cvt_f32_u32_e32 v1, s16
	s_mul_i32 s1, s1, s8
	s_add_i32 s1, s1, s7
	v_rcp_iflag_f32_e32 v1, v1
	s_mul_i32 s0, s1, s0
	s_add_i32 s2, s0, s6
	s_cmp_ge_u32 s2, s3
	v_mul_f32_e32 v1, 0x4f7ffffe, v1
	v_cvt_u32_f32_e32 v1, v1
	v_readfirstlane_b32 s0, v1
	s_cbranch_scc1 .LBB15_40
; %bb.1:
	s_sub_i32 s1, 0, s16
	v_cmp_gt_u32_e32 vcc_lo, 0x100, v0
	s_mul_i32 s1, s1, s0
	s_load_dwordx4 s[20:23], s[4:5], 0x0
	s_mul_hi_u32 s1, s0, s1
	s_add_i32 s3, s0, s1
	s_load_dwordx2 s[0:1], s[4:5], 0x10
	s_mul_hi_u32 s6, s2, s3
	s_mul_i32 s3, s6, s16
	s_add_i32 s8, s6, 1
	s_sub_i32 s7, s2, s3
	s_mov_b32 s3, 0
	s_sub_i32 s9, s7, s16
	s_cmp_ge_u32 s7, s16
	s_mov_b32 s25, s3
	s_cselect_b32 s6, s8, s6
	s_cselect_b32 s7, s9, s7
	s_add_i32 s8, s6, 1
	s_cmp_ge_u32 s7, s16
	s_cselect_b32 s24, s8, s6
	s_lshl_b64 s[6:7], s[24:25], 2
	s_waitcnt lgkmcnt(0)
	s_add_u32 s8, s0, s6
	s_addc_u32 s9, s1, s7
	s_and_saveexec_b32 s1, vcc_lo
	s_cbranch_execz .LBB15_8
; %bb.2:
	s_mul_i32 s0, s24, s16
	s_mov_b32 s11, s3
	s_lshl_b32 s10, s0, 8
	v_lshlrev_b32_e32 v1, 1, v0
	s_lshl_b64 s[10:11], s[10:11], 1
	v_mov_b32_e32 v3, 0
	s_add_u32 s0, s22, s10
	s_addc_u32 s10, s23, s11
	v_add_co_u32 v1, s0, s0, v1
	v_add_co_ci_u32_e64 v2, null, s10, 0, s0
	s_cmp_lt_u32 s16, 4
	s_cbranch_scc1 .LBB15_41
; %bb.3:
	v_mov_b32_e32 v3, 0
	s_mov_b32 s10, 0
	.p2align	6
.LBB15_4:                               ; =>This Inner Loop Header: Depth=1
	s_clause 0x3
	global_load_sshort v4, v[1:2], off
	global_load_sshort v5, v[1:2], off offset:512
	global_load_sshort v6, v[1:2], off offset:1024
	;; [unrolled: 1-line block ×3, first 2 shown]
	v_add_co_u32 v1, s0, 0x800, v1
	v_add_co_ci_u32_e64 v2, null, 0, v2, s0
	s_add_i32 s0, s10, 7
	s_add_i32 s10, s10, 4
	s_cmp_ge_u32 s0, s16
	s_waitcnt vmcnt(2)
	v_add3_u32 v3, v3, v4, v5
	s_waitcnt vmcnt(0)
	v_add3_u32 v3, v3, v6, v7
	s_cbranch_scc0 .LBB15_4
; %bb.5:
	s_cmp_ge_u32 s10, s16
	s_cbranch_scc1 .LBB15_7
.LBB15_6:                               ; =>This Inner Loop Header: Depth=1
	global_load_sshort v4, v[1:2], off
	v_add_co_u32 v1, s0, 0x200, v1
	v_add_co_ci_u32_e64 v2, null, 0, v2, s0
	s_add_i32 s10, s10, 1
	s_cmp_lt_u32 s10, s16
	s_waitcnt vmcnt(0)
	v_add_nc_u32_e32 v3, v3, v4
	s_cbranch_scc1 .LBB15_6
.LBB15_7:
	v_lshlrev_b32_e32 v1, 2, v0
	ds_write_b32 v1, v3 offset:1056
.LBB15_8:
	s_or_b32 exec_lo, exec_lo, s1
	s_load_dword s19, s[8:9], 0x0
	v_mov_b32_e32 v5, 0
	v_lshlrev_b32_e32 v1, 2, v0
	s_waitcnt lgkmcnt(0)
	s_barrier
	buffer_gl0_inv
	s_and_saveexec_b32 s0, vcc_lo
; %bb.9:
	ds_read_b32 v5, v1 offset:1056
; %bb.10:
	s_or_b32 exec_lo, exec_lo, s0
	v_lshrrev_b32_e32 v3, 5, v0
	v_cmp_gt_u32_e64 s0, 32, v0
	v_mbcnt_lo_u32_b32 v2, -1, 0
	v_lshl_add_u32 v4, v3, 2, v1
	s_waitcnt lgkmcnt(0)
	ds_write_b32 v4, v5
	s_waitcnt lgkmcnt(0)
	s_barrier
	buffer_gl0_inv
	s_and_saveexec_b32 s8, s0
	s_cbranch_execz .LBB15_12
; %bb.11:
	v_and_b32_e32 v6, 0xfc, v0
	v_lshl_add_u32 v14, v0, 5, v6
	ds_read2_b32 v[6:7], v14 offset1:1
	ds_read2_b32 v[8:9], v14 offset0:2 offset1:3
	ds_read2_b32 v[10:11], v14 offset0:4 offset1:5
	;; [unrolled: 1-line block ×3, first 2 shown]
	; wave barrier
	s_waitcnt lgkmcnt(3)
	v_add_nc_u32_e32 v7, v7, v6
	s_waitcnt lgkmcnt(2)
	v_add3_u32 v7, v7, v8, v9
	v_and_b32_e32 v8, 15, v2
	s_waitcnt lgkmcnt(1)
	v_add3_u32 v7, v7, v10, v11
	v_cmp_ne_u32_e64 s1, 0, v8
	v_bfe_i32 v10, v2, 4, 1
	s_waitcnt lgkmcnt(0)
	v_add3_u32 v7, v7, v12, v13
	v_mov_b32_dpp v9, v7 row_shr:1 row_mask:0xf bank_mask:0xf
	v_cndmask_b32_e64 v9, 0, v9, s1
	v_cmp_lt_u32_e64 s1, 1, v8
	v_add_nc_u32_e32 v7, v9, v7
	v_mov_b32_dpp v9, v7 row_shr:2 row_mask:0xf bank_mask:0xf
	v_cndmask_b32_e64 v9, 0, v9, s1
	v_cmp_lt_u32_e64 s1, 3, v8
	v_add_nc_u32_e32 v7, v7, v9
	;; [unrolled: 4-line block ×3, first 2 shown]
	v_mov_b32_dpp v9, v7 row_shr:8 row_mask:0xf bank_mask:0xf
	v_cndmask_b32_e64 v8, 0, v9, s1
	v_add_nc_u32_e32 v9, -1, v2
	v_add_nc_u32_e32 v7, v7, v8
	v_cmp_gt_i32_e64 s1, 0, v9
	ds_swizzle_b32 v8, v7 offset:swizzle(BROADCAST,32,15)
	v_cndmask_b32_e64 v9, v9, v2, s1
	v_cmp_eq_u32_e64 s1, 0, v0
	v_lshlrev_b32_e32 v9, 2, v9
	s_waitcnt lgkmcnt(0)
	v_and_b32_e32 v8, v10, v8
	v_add_nc_u32_e32 v7, v7, v8
	ds_bpermute_b32 v7, v9, v7
	s_waitcnt lgkmcnt(0)
	v_add_nc_u32_e32 v6, v7, v6
	v_cndmask_b32_e64 v11, v6, v5, s1
	ds_write_b32 v14, v11
	; wave barrier
	ds_read2_b32 v[5:6], v14 offset0:1 offset1:2
	ds_read2_b32 v[7:8], v14 offset0:3 offset1:4
	;; [unrolled: 1-line block ×3, first 2 shown]
	ds_read_b32 v12, v14 offset:28
	s_waitcnt lgkmcnt(3)
	v_add_nc_u32_e32 v5, v5, v11
	v_add_nc_u32_e32 v6, v6, v5
	s_waitcnt lgkmcnt(2)
	v_add_nc_u32_e32 v7, v7, v6
	v_add_nc_u32_e32 v8, v8, v7
	s_waitcnt lgkmcnt(1)
	v_add_nc_u32_e32 v9, v9, v8
	v_add_nc_u32_e32 v10, v10, v9
	s_waitcnt lgkmcnt(0)
	v_add_nc_u32_e32 v11, v12, v10
	ds_write2_b32 v14, v5, v6 offset0:1 offset1:2
	ds_write2_b32 v14, v7, v8 offset0:3 offset1:4
	;; [unrolled: 1-line block ×3, first 2 shown]
	ds_write_b32 v14, v11 offset:28
.LBB15_12:
	s_or_b32 exec_lo, exec_lo, s8
	s_waitcnt lgkmcnt(0)
	s_barrier
	buffer_gl0_inv
	ds_read_b32 v5, v4
	s_waitcnt lgkmcnt(0)
	s_barrier
	buffer_gl0_inv
	s_and_saveexec_b32 s1, vcc_lo
; %bb.13:
	ds_write_b32 v1, v5 offset:1056
; %bb.14:
	s_or_b32 exec_lo, exec_lo, s1
	s_clause 0x1
	s_load_dwordx8 s[8:15], s[4:5], 0x28
	s_load_dwordx2 s[4:5], s[4:5], 0x48
	s_waitcnt lgkmcnt(0)
	s_barrier
	buffer_gl0_inv
	s_and_saveexec_b32 s25, vcc_lo
	s_cbranch_execz .LBB15_23
; %bb.15:
	v_mov_b32_e32 v4, 0
	s_mov_b32 s1, exec_lo
	v_cmpx_ne_u32_e32 0, v0
; %bb.16:
	ds_read_b32 v4, v1 offset:1052
; %bb.17:
	s_or_b32 exec_lo, exec_lo, s1
	s_waitcnt lgkmcnt(0)
	v_cmp_gt_u32_e32 vcc_lo, s19, v4
	v_cmp_le_u32_e64 s1, s19, v5
	s_and_b32 s1, vcc_lo, s1
	s_and_b32 exec_lo, exec_lo, s1
	s_cbranch_execz .LBB15_23
; %bb.18:
	v_mov_b32_e32 v5, 0
	s_add_u32 s20, s20, s6
	s_addc_u32 s21, s21, s7
	s_lshl_b32 s1, 0xff, s17
	v_not_b32_e32 v7, s1
	global_load_dword v6, v5, s[20:21]
	s_mul_i32 s1, s24, s16
	s_cmp_lg_u32 s2, s1
	s_waitcnt vmcnt(0)
	v_and_b32_e32 v6, v6, v7
	v_lshl_or_b32 v6, v0, s17, v6
	ds_write_b32 v5, v6 offset:2112
	s_cbranch_scc1 .LBB15_23
; %bb.19:
	s_add_u32 s14, s14, s6
	s_addc_u32 s15, s15, s7
	s_cmp_lt_i32 s17, 1
	s_mov_b32 s1, -1
	global_store_dword v5, v6, s[14:15]
	s_cbranch_scc0 .LBB15_21
; %bb.20:
	v_xor_b32_e32 v5, 0x80, v6
	v_mov_b32_e32 v6, 0
	s_add_u32 s10, s10, s24
	s_addc_u32 s11, s11, 0
	s_mov_b32 s1, 0
	global_store_byte v6, v5, s[10:11]
.LBB15_21:
	s_andn2_b32 vcc_lo, exec_lo, s1
	s_cbranch_vccnz .LBB15_23
; %bb.22:
	v_sub_nc_u32_e32 v4, s19, v4
	v_mov_b32_e32 v5, 0
	s_add_u32 s6, s12, s6
	s_addc_u32 s7, s13, s7
	global_store_dword v5, v4, s[6:7]
.LBB15_23:
	s_or_b32 exec_lo, exec_lo, s25
	v_mov_b32_e32 v4, 0
	s_waitcnt lgkmcnt(0)
	s_waitcnt_vscnt null, 0x0
	s_barrier
	buffer_gl0_inv
	s_bitcmp0_b32 s18, 0
	ds_read_b32 v4, v4 offset:2112
	s_mov_b32 s1, 0
	s_waitcnt lgkmcnt(0)
	v_lshrrev_b32_e32 v4, s17, v4
	s_cbranch_scc0 .LBB15_25
; %bb.24:
	v_and_b32_e32 v5, 0xe0, v0
	v_cmp_lt_u32_sdwa s6, v0, v4 src0_sel:DWORD src1_sel:BYTE_0
	v_cmp_lt_u32_sdwa s7, v5, v4 src0_sel:DWORD src1_sel:BYTE_0
	s_andn2_b32 vcc_lo, exec_lo, s1
	s_cbranch_vccz .LBB15_26
	s_branch .LBB15_27
.LBB15_25:
                                        ; implicit-def: $sgpr6
                                        ; implicit-def: $sgpr7
.LBB15_26:
	v_or_b32_e32 v5, 31, v0
	v_cmp_gt_u32_sdwa s1, v0, v4 src0_sel:DWORD src1_sel:BYTE_0
	s_andn2_b32 s6, s6, exec_lo
	s_andn2_b32 s7, s7, exec_lo
	v_cmp_gt_u32_sdwa s10, v5, v4 src0_sel:DWORD src1_sel:BYTE_0
	s_and_b32 s1, s1, exec_lo
	s_or_b32 s6, s6, s1
	s_and_b32 s10, s10, exec_lo
	s_or_b32 s7, s7, s10
.LBB15_27:
	v_mov_b32_e32 v4, 0
	s_and_saveexec_b32 s1, s7
	s_cbranch_execz .LBB15_31
; %bb.28:
	v_mov_b32_e32 v4, 0
	s_and_saveexec_b32 s7, s6
	s_cbranch_execz .LBB15_30
; %bb.29:
	s_lshl_b32 s10, s2, 8
	s_mov_b32 s11, 0
	v_lshlrev_b32_e32 v4, 1, v0
	s_lshl_b64 s[10:11], s[10:11], 1
	s_add_u32 s10, s22, s10
	s_addc_u32 s11, s23, s11
	global_load_sshort v4, v4, s[10:11]
.LBB15_30:
	s_or_b32 exec_lo, exec_lo, s7
	v_lshl_or_b32 v5, v2, 2, 64
	v_cmp_gt_u32_e32 vcc_lo, 24, v2
	s_waitcnt vmcnt(0)
	ds_bpermute_b32 v5, v5, v4
	v_cndmask_b32_e64 v6, 0, 8, vcc_lo
	v_cmp_gt_u32_e32 vcc_lo, 28, v2
	v_add_lshl_u32 v6, v6, v2, 2
	s_waitcnt lgkmcnt(0)
	v_add_nc_u32_e32 v4, v5, v4
	ds_bpermute_b32 v5, v6, v4
	v_cndmask_b32_e64 v6, 0, 4, vcc_lo
	v_cmp_gt_u32_e32 vcc_lo, 30, v2
	v_add_lshl_u32 v6, v6, v2, 2
	s_waitcnt lgkmcnt(0)
	v_add_nc_u32_e32 v4, v5, v4
	ds_bpermute_b32 v5, v6, v4
	v_cndmask_b32_e64 v6, 0, 2, vcc_lo
	v_cmp_ne_u32_e32 vcc_lo, 31, v2
	v_add_lshl_u32 v6, v6, v2, 2
	s_waitcnt lgkmcnt(0)
	v_add_nc_u32_e32 v4, v5, v4
	ds_bpermute_b32 v5, v6, v4
	v_add_co_ci_u32_e64 v6, null, 0, v2, vcc_lo
	s_waitcnt lgkmcnt(0)
	v_add_nc_u32_e32 v4, v5, v4
	v_lshlrev_b32_e32 v5, 2, v6
	ds_bpermute_b32 v5, v5, v4
	s_waitcnt lgkmcnt(0)
	v_add_nc_u32_e32 v4, v5, v4
.LBB15_31:
	s_or_b32 exec_lo, exec_lo, s1
	v_and_b32_e32 v5, 31, v0
	s_mov_b32 s1, exec_lo
	v_cmpx_eq_u32_e32 0, v5
; %bb.32:
	v_lshlrev_b32_e32 v3, 2, v3
	ds_write_b32 v3, v4 offset:2080
; %bb.33:
	s_or_b32 exec_lo, exec_lo, s1
	s_waitcnt lgkmcnt(0)
	s_barrier
	buffer_gl0_inv
	s_and_saveexec_b32 s1, s0
	s_cbranch_execz .LBB15_40
; %bb.34:
	v_mov_b32_e32 v3, 0
	s_mov_b32 s0, exec_lo
	v_cmpx_gt_u32_e32 8, v0
; %bb.35:
	ds_read_b32 v3, v1 offset:2080
; %bb.36:
	s_or_b32 exec_lo, exec_lo, s0
	v_cmp_gt_u32_e32 vcc_lo, 28, v2
	s_mov_b32 s0, exec_lo
	v_cndmask_b32_e64 v1, 0, 4, vcc_lo
	v_cmp_gt_u32_e32 vcc_lo, 30, v2
	v_add_lshl_u32 v1, v1, v2, 2
	v_cndmask_b32_e64 v4, 0, 2, vcc_lo
	v_cmp_ne_u32_e32 vcc_lo, 31, v2
	s_waitcnt lgkmcnt(0)
	ds_bpermute_b32 v1, v1, v3
	v_add_lshl_u32 v4, v4, v2, 2
	v_add_co_ci_u32_e64 v2, null, 0, v2, vcc_lo
	v_lshlrev_b32_e32 v2, 2, v2
	s_waitcnt lgkmcnt(0)
	v_add_nc_u32_e32 v1, v1, v3
	ds_bpermute_b32 v3, v4, v1
	s_waitcnt lgkmcnt(0)
	v_add_nc_u32_e32 v1, v3, v1
	ds_bpermute_b32 v2, v2, v1
	v_cmpx_eq_u32_e32 0, v0
	s_cbranch_execz .LBB15_38
; %bb.37:
	s_lshl_b64 s[6:7], s[2:3], 2
	v_mov_b32_e32 v3, 0
	s_add_u32 s6, s8, s6
	s_addc_u32 s7, s9, s7
	global_load_dword v4, v3, s[6:7]
	s_waitcnt vmcnt(0) lgkmcnt(0)
	v_add3_u32 v1, v2, v1, v4
	global_store_dword v3, v1, s[6:7]
.LBB15_38:
	s_or_b32 exec_lo, exec_lo, s0
	v_or_b32_e32 v0, s17, v0
	v_cmp_eq_u32_e32 vcc_lo, 0, v0
	s_and_b32 exec_lo, exec_lo, vcc_lo
	s_cbranch_execz .LBB15_40
; %bb.39:
	v_mov_b32_e32 v0, 0
	s_waitcnt lgkmcnt(0)
	v_mov_b32_e32 v2, 1
	s_lshl_b32 s0, s2, 8
	s_mov_b32 s1, 0
	s_lshl_b64 s[0:1], s[0:1], 1
	ds_read_b32 v1, v0 offset:2112
	s_add_u32 s0, s22, s0
	s_addc_u32 s1, s23, s1
	s_waitcnt lgkmcnt(0)
	v_lshlrev_b32_sdwa v1, v2, v1 dst_sel:DWORD dst_unused:UNUSED_PAD src0_sel:DWORD src1_sel:BYTE_0
	global_load_sshort v1, v1, s[0:1]
	s_lshl_b64 s[0:1], s[2:3], 2
	s_add_u32 s0, s4, s0
	s_addc_u32 s1, s5, s1
	s_waitcnt vmcnt(0)
	global_store_dword v0, v1, s[0:1]
.LBB15_40:
	s_endpgm
.LBB15_41:
	s_mov_b32 s10, s3
	s_cmp_ge_u32 s10, s16
	s_cbranch_scc0 .LBB15_6
	s_branch .LBB15_7
	.section	.rodata,"a",@progbits
	.p2align	6, 0x0
	.amdhsa_kernel _ZN2at6native6mbtopk29computeBlockwiseWithinKCountsIjaEEvPT_PsPjjibS6_PT0_S6_S4_S6_j
		.amdhsa_group_segment_fixed_size 2116
		.amdhsa_private_segment_fixed_size 0
		.amdhsa_kernarg_size 344
		.amdhsa_user_sgpr_count 6
		.amdhsa_user_sgpr_private_segment_buffer 1
		.amdhsa_user_sgpr_dispatch_ptr 0
		.amdhsa_user_sgpr_queue_ptr 0
		.amdhsa_user_sgpr_kernarg_segment_ptr 1
		.amdhsa_user_sgpr_dispatch_id 0
		.amdhsa_user_sgpr_flat_scratch_init 0
		.amdhsa_user_sgpr_private_segment_size 0
		.amdhsa_wavefront_size32 1
		.amdhsa_uses_dynamic_stack 0
		.amdhsa_system_sgpr_private_segment_wavefront_offset 0
		.amdhsa_system_sgpr_workgroup_id_x 1
		.amdhsa_system_sgpr_workgroup_id_y 1
		.amdhsa_system_sgpr_workgroup_id_z 1
		.amdhsa_system_sgpr_workgroup_info 0
		.amdhsa_system_vgpr_workitem_id 0
		.amdhsa_next_free_vgpr 15
		.amdhsa_next_free_sgpr 26
		.amdhsa_reserve_vcc 1
		.amdhsa_reserve_flat_scratch 0
		.amdhsa_float_round_mode_32 0
		.amdhsa_float_round_mode_16_64 0
		.amdhsa_float_denorm_mode_32 3
		.amdhsa_float_denorm_mode_16_64 3
		.amdhsa_dx10_clamp 1
		.amdhsa_ieee_mode 1
		.amdhsa_fp16_overflow 0
		.amdhsa_workgroup_processor_mode 1
		.amdhsa_memory_ordered 1
		.amdhsa_forward_progress 1
		.amdhsa_shared_vgpr_count 0
		.amdhsa_exception_fp_ieee_invalid_op 0
		.amdhsa_exception_fp_denorm_src 0
		.amdhsa_exception_fp_ieee_div_zero 0
		.amdhsa_exception_fp_ieee_overflow 0
		.amdhsa_exception_fp_ieee_underflow 0
		.amdhsa_exception_fp_ieee_inexact 0
		.amdhsa_exception_int_div_zero 0
	.end_amdhsa_kernel
	.section	.text._ZN2at6native6mbtopk29computeBlockwiseWithinKCountsIjaEEvPT_PsPjjibS6_PT0_S6_S4_S6_j,"axG",@progbits,_ZN2at6native6mbtopk29computeBlockwiseWithinKCountsIjaEEvPT_PsPjjibS6_PT0_S6_S4_S6_j,comdat
.Lfunc_end15:
	.size	_ZN2at6native6mbtopk29computeBlockwiseWithinKCountsIjaEEvPT_PsPjjibS6_PT0_S6_S4_S6_j, .Lfunc_end15-_ZN2at6native6mbtopk29computeBlockwiseWithinKCountsIjaEEvPT_PsPjjibS6_PT0_S6_S4_S6_j
                                        ; -- End function
	.set _ZN2at6native6mbtopk29computeBlockwiseWithinKCountsIjaEEvPT_PsPjjibS6_PT0_S6_S4_S6_j.num_vgpr, 15
	.set _ZN2at6native6mbtopk29computeBlockwiseWithinKCountsIjaEEvPT_PsPjjibS6_PT0_S6_S4_S6_j.num_agpr, 0
	.set _ZN2at6native6mbtopk29computeBlockwiseWithinKCountsIjaEEvPT_PsPjjibS6_PT0_S6_S4_S6_j.numbered_sgpr, 26
	.set _ZN2at6native6mbtopk29computeBlockwiseWithinKCountsIjaEEvPT_PsPjjibS6_PT0_S6_S4_S6_j.num_named_barrier, 0
	.set _ZN2at6native6mbtopk29computeBlockwiseWithinKCountsIjaEEvPT_PsPjjibS6_PT0_S6_S4_S6_j.private_seg_size, 0
	.set _ZN2at6native6mbtopk29computeBlockwiseWithinKCountsIjaEEvPT_PsPjjibS6_PT0_S6_S4_S6_j.uses_vcc, 1
	.set _ZN2at6native6mbtopk29computeBlockwiseWithinKCountsIjaEEvPT_PsPjjibS6_PT0_S6_S4_S6_j.uses_flat_scratch, 0
	.set _ZN2at6native6mbtopk29computeBlockwiseWithinKCountsIjaEEvPT_PsPjjibS6_PT0_S6_S4_S6_j.has_dyn_sized_stack, 0
	.set _ZN2at6native6mbtopk29computeBlockwiseWithinKCountsIjaEEvPT_PsPjjibS6_PT0_S6_S4_S6_j.has_recursion, 0
	.set _ZN2at6native6mbtopk29computeBlockwiseWithinKCountsIjaEEvPT_PsPjjibS6_PT0_S6_S4_S6_j.has_indirect_call, 0
	.section	.AMDGPU.csdata,"",@progbits
; Kernel info:
; codeLenInByte = 2048
; TotalNumSgprs: 28
; NumVgprs: 15
; ScratchSize: 0
; MemoryBound: 0
; FloatMode: 240
; IeeeMode: 1
; LDSByteSize: 2116 bytes/workgroup (compile time only)
; SGPRBlocks: 0
; VGPRBlocks: 1
; NumSGPRsForWavesPerEU: 28
; NumVGPRsForWavesPerEU: 15
; Occupancy: 16
; WaveLimiterHint : 1
; COMPUTE_PGM_RSRC2:SCRATCH_EN: 0
; COMPUTE_PGM_RSRC2:USER_SGPR: 6
; COMPUTE_PGM_RSRC2:TRAP_HANDLER: 0
; COMPUTE_PGM_RSRC2:TGID_X_EN: 1
; COMPUTE_PGM_RSRC2:TGID_Y_EN: 1
; COMPUTE_PGM_RSRC2:TGID_Z_EN: 1
; COMPUTE_PGM_RSRC2:TIDIG_COMP_CNT: 0
	.section	.text._ZN2at6native6mbtopk10gatherTopKIajLi1EEEvNS_4cuda6detail10TensorInfoIKT_T0_EES8_S8_bjS8_NS5_IS6_S8_EES8_NS5_IlS8_EES8_jjPS6_PjSD_j,"axG",@progbits,_ZN2at6native6mbtopk10gatherTopKIajLi1EEEvNS_4cuda6detail10TensorInfoIKT_T0_EES8_S8_bjS8_NS5_IS6_S8_EES8_NS5_IlS8_EES8_jjPS6_PjSD_j,comdat
	.protected	_ZN2at6native6mbtopk10gatherTopKIajLi1EEEvNS_4cuda6detail10TensorInfoIKT_T0_EES8_S8_bjS8_NS5_IS6_S8_EES8_NS5_IlS8_EES8_jjPS6_PjSD_j ; -- Begin function _ZN2at6native6mbtopk10gatherTopKIajLi1EEEvNS_4cuda6detail10TensorInfoIKT_T0_EES8_S8_bjS8_NS5_IS6_S8_EES8_NS5_IlS8_EES8_jjPS6_PjSD_j
	.globl	_ZN2at6native6mbtopk10gatherTopKIajLi1EEEvNS_4cuda6detail10TensorInfoIKT_T0_EES8_S8_bjS8_NS5_IS6_S8_EES8_NS5_IlS8_EES8_jjPS6_PjSD_j
	.p2align	8
	.type	_ZN2at6native6mbtopk10gatherTopKIajLi1EEEvNS_4cuda6detail10TensorInfoIKT_T0_EES8_S8_bjS8_NS5_IS6_S8_EES8_NS5_IlS8_EES8_jjPS6_PjSD_j,@function
_ZN2at6native6mbtopk10gatherTopKIajLi1EEEvNS_4cuda6detail10TensorInfoIKT_T0_EES8_S8_bjS8_NS5_IS6_S8_EES8_NS5_IlS8_EES8_jjPS6_PjSD_j: ; @_ZN2at6native6mbtopk10gatherTopKIajLi1EEEvNS_4cuda6detail10TensorInfoIKT_T0_EES8_S8_bjS8_NS5_IS6_S8_EES8_NS5_IlS8_EES8_jjPS6_PjSD_j
; %bb.0:
	s_clause 0x1
	s_load_dwordx2 s[0:1], s[4:5], 0x2d8
	s_load_dword s2, s[4:5], 0x2d0
	s_waitcnt lgkmcnt(0)
	s_mul_i32 s1, s1, s8
	s_add_i32 s1, s1, s7
	s_mul_i32 s16, s1, s0
	s_add_i32 s16, s16, s6
	s_cmp_ge_u32 s16, s2
	s_cbranch_scc1 .LBB16_40
; %bb.1:
	s_load_dwordx8 s[8:15], s[4:5], 0x2a8
	s_waitcnt lgkmcnt(0)
	v_cvt_f32_u32_e32 v1, s10
	s_sub_i32 s1, 0, s10
	v_rcp_iflag_f32_e32 v1, v1
	v_mul_f32_e32 v1, 0x4f7ffffe, v1
	v_cvt_u32_f32_e32 v1, v1
	v_readfirstlane_b32 s0, v1
	s_mul_i32 s1, s1, s0
	s_mul_hi_u32 s1, s0, s1
	s_add_i32 s0, s0, s1
	s_mul_hi_u32 s0, s16, s0
	s_mul_i32 s1, s0, s10
	s_add_i32 s2, s0, 1
	s_sub_i32 s1, s16, s1
	s_sub_i32 s3, s1, s10
	s_cmp_ge_u32 s1, s10
	s_cselect_b32 s0, s2, s0
	s_cselect_b32 s1, s3, s1
	s_add_i32 s2, s0, 1
	s_cmp_ge_u32 s1, s10
	v_cmp_eq_u32_e64 s1, 0, v0
	s_cselect_b32 s28, s2, s0
	v_cmp_ne_u32_e64 s0, 0, v0
	v_mov_b32_e32 v1, s28
	global_load_ubyte v6, v1, s[12:13]
	s_clause 0x2
	s_load_dwordx2 s[2:3], s[4:5], 0x1d0
	s_load_dwordx2 s[6:7], s[4:5], 0xf0
	;; [unrolled: 1-line block ×3, first 2 shown]
	s_mul_i32 s12, s28, s10
	s_mov_b32 s13, 0
	s_sub_i32 s11, s16, s12
	s_and_saveexec_b32 s29, s1
	s_cbranch_execz .LBB16_17
; %bb.2:
	s_load_dwordx2 s[22:23], s[4:5], 0x2c8
	s_lshl_b64 s[24:25], s[12:13], 2
	s_mov_b32 s12, 0
	s_add_u32 s16, s14, s24
	s_addc_u32 s17, s15, s25
	s_mov_b32 s30, 0
	s_waitcnt lgkmcnt(0)
	s_add_u32 s18, s22, s24
	s_addc_u32 s19, s23, s25
	s_cmp_lt_u32 s10, 4
	s_cbranch_scc1 .LBB16_14
; %bb.3:
	s_mov_b32 s31, 0
.LBB16_4:                               ; =>This Inner Loop Header: Depth=1
	s_add_u32 s16, s14, s24
	s_addc_u32 s17, s15, s25
	s_add_u32 s26, s22, s24
	s_load_dwordx4 s[16:19], s[16:17], 0x0
	s_addc_u32 s27, s23, s25
	s_cmp_ge_u32 s31, s11
	s_cbranch_scc0 .LBB16_11
; %bb.5:                                ;   in Loop: Header=BB16_4 Depth=1
	s_add_i32 s33, s31, 1
	s_cmp_ge_u32 s33, s11
	s_cbranch_scc0 .LBB16_12
.LBB16_6:                               ;   in Loop: Header=BB16_4 Depth=1
	s_add_i32 s33, s33, 1
	s_cmp_ge_u32 s33, s11
	s_cbranch_scc0 .LBB16_13
.LBB16_7:                               ;   in Loop: Header=BB16_4 Depth=1
	s_add_i32 s33, s33, 1
	s_cmp_ge_u32 s33, s11
	s_cbranch_scc1 .LBB16_9
.LBB16_8:                               ;   in Loop: Header=BB16_4 Depth=1
	s_load_dword s26, s[26:27], 0xc
	s_waitcnt lgkmcnt(0)
	s_add_i32 s13, s13, s19
	s_add_i32 s12, s26, s12
.LBB16_9:                               ;   in Loop: Header=BB16_4 Depth=1
	s_waitcnt lgkmcnt(0)
	s_add_i32 s16, s16, s30
	s_add_i32 s16, s16, s17
	;; [unrolled: 1-line block ×4, first 2 shown]
	s_add_u32 s14, s14, 16
	s_addc_u32 s15, s15, 0
	s_add_u32 s22, s22, 16
	s_addc_u32 s23, s23, 0
	s_add_i32 s27, s33, 4
	s_add_u32 s18, s22, s24
	s_addc_u32 s19, s23, s25
	s_add_u32 s16, s14, s24
	s_addc_u32 s17, s15, s25
	s_add_i32 s26, s33, 1
	s_cmp_ge_u32 s27, s10
	s_cbranch_scc1 .LBB16_15
; %bb.10:                               ;   in Loop: Header=BB16_4 Depth=1
	s_mov_b32 s31, s26
	s_branch .LBB16_4
.LBB16_11:                              ;   in Loop: Header=BB16_4 Depth=1
	s_load_dword s33, s[26:27], 0x0
	s_waitcnt lgkmcnt(0)
	s_add_i32 s13, s16, s13
	s_add_i32 s12, s33, s12
	;; [unrolled: 1-line block ×3, first 2 shown]
	s_cmp_ge_u32 s33, s11
	s_cbranch_scc1 .LBB16_6
.LBB16_12:                              ;   in Loop: Header=BB16_4 Depth=1
	s_load_dword s34, s[26:27], 0x4
	s_waitcnt lgkmcnt(0)
	s_add_i32 s13, s13, s17
	s_add_i32 s12, s34, s12
	;; [unrolled: 1-line block ×3, first 2 shown]
	s_cmp_ge_u32 s33, s11
	s_cbranch_scc1 .LBB16_7
.LBB16_13:                              ;   in Loop: Header=BB16_4 Depth=1
	s_load_dword s34, s[26:27], 0x8
	s_waitcnt lgkmcnt(0)
	s_add_i32 s13, s13, s18
	s_add_i32 s12, s34, s12
	;; [unrolled: 1-line block ×3, first 2 shown]
	s_cmp_ge_u32 s33, s11
	s_cbranch_scc0 .LBB16_8
	s_branch .LBB16_9
.LBB16_14:
	s_mov_b32 s14, 0
	s_cmp_ge_u32 s14, s10
	s_cbranch_scc0 .LBB16_38
	s_branch .LBB16_16
.LBB16_15:
	s_add_i32 s14, s31, 4
	s_cmp_ge_u32 s14, s10
	s_cbranch_scc0 .LBB16_38
.LBB16_16:
	v_mov_b32_e32 v1, s12
	v_mov_b32_e32 v2, s30
	;; [unrolled: 1-line block ×4, first 2 shown]
	ds_write_b96 v4, v[1:3] offset:1056
.LBB16_17:
	s_or_b32 exec_lo, exec_lo, s29
	s_clause 0x3
	s_load_dword s17, s[4:5], 0x23c
	s_load_dword s18, s[4:5], 0x15c
	;; [unrolled: 1-line block ×3, first 2 shown]
	s_load_dwordx4 s[12:15], s[4:5], 0xd8
	s_waitcnt lgkmcnt(0)
	s_mul_i32 s15, s9, s11
	s_add_i32 s11, s11, 1
	s_lshl_b32 s16, s15, 8
	s_waitcnt vmcnt(0)
	s_barrier
	buffer_gl0_inv
	s_sub_i32 s15, s12, s16
	s_add_u32 s22, s15, 0xff
	s_addc_u32 s23, 0, 0
	s_lshr_b64 s[22:23], s[22:23], 8
	s_cmp_lt_u32 s11, s10
	s_mov_b32 s11, 0
	s_cselect_b32 s9, s9, s22
	s_cmp_eq_u32 s9, 0
	s_cbranch_scc1 .LBB16_40
; %bb.18:
	v_mov_b32_e32 v5, 0
	s_mul_i32 s10, s28, s17
	v_add_nc_u32_e32 v10, -1, v0
	v_lshrrev_b32_e32 v9, 3, v0
	s_mul_i32 s19, s28, s19
	ds_read_b96 v[1:3], v5 offset:1056
	s_clause 0x1
	s_load_dword s17, s[4:5], 0xe8
	s_load_dword s15, s[4:5], 0x1c8
	v_lshrrev_b32_e32 v12, 3, v10
	s_mul_i32 s18, s28, s18
	v_add_nc_u32_e32 v4, s16, v0
	s_add_u32 s4, s20, s19
	v_and_b32_e32 v9, 28, v9
	v_and_b32_e32 v12, 0x1ffffffc, v12
	s_addc_u32 s5, s21, 0
	s_add_u32 s6, s6, s18
	v_mov_b32_e32 v7, 0x80
	v_and_b32_e32 v11, 0xfc, v0
	s_addc_u32 s7, s7, 0
	s_lshl_b64 s[10:11], s[10:11], 3
	v_lshlrev_b32_e32 v13, 5, v0
	s_add_u32 s10, s2, s10
	v_lshl_add_u32 v9, v0, 2, v9
	v_cmp_gt_u32_e64 s2, 32, v0
	v_lshl_add_u32 v0, v10, 2, v12
	v_add_nc_u32_sdwa v8, sext(v6), v7 dst_sel:DWORD dst_unused:UNUSED_PAD src0_sel:BYTE_0 src1_sel:DWORD
	s_waitcnt lgkmcnt(0)
	v_add_nc_u32_e32 v1, v1, v2
	v_mbcnt_lo_u32_b32 v2, -1, 0
	v_mul_lo_u32 v10, s17, v4
	s_addc_u32 s11, s3, s11
	v_add_nc_u32_e32 v11, v11, v13
	s_bitcmp1_b32 s14, 0
	v_and_b32_e32 v12, 15, v2
	v_bfe_i32 v13, v2, 4, 1
	v_add_nc_u32_e32 v14, -1, v2
	s_cselect_b32 s3, -1, 0
	s_lshl_b32 s14, s17, 8
                                        ; implicit-def: $vgpr15
	s_branch .LBB16_21
.LBB16_19:                              ;   in Loop: Header=BB16_21 Depth=1
	s_or_b32 exec_lo, exec_lo, s16
	v_add_nc_u32_e32 v1, v18, v1
.LBB16_20:                              ;   in Loop: Header=BB16_21 Depth=1
	v_add_nc_u32_e32 v3, v17, v3
	v_add_nc_u32_e32 v10, s14, v10
	;; [unrolled: 1-line block ×3, first 2 shown]
	s_add_i32 s9, s9, -1
	s_cmp_lg_u32 s9, 0
	s_cbranch_scc0 .LBB16_40
.LBB16_21:                              ; =>This Inner Loop Header: Depth=1
	v_mov_b32_e32 v18, 0
	v_mov_b32_e32 v16, 0
	s_mov_b32 s16, exec_lo
	v_cmpx_gt_u32_e64 s12, v4
	s_cbranch_execz .LBB16_23
; %bb.22:                               ;   in Loop: Header=BB16_21 Depth=1
	global_load_ubyte v15, v10, s[4:5]
	s_waitcnt vmcnt(0)
	v_add_nc_u32_sdwa v16, sext(v15), v7 dst_sel:DWORD dst_unused:UNUSED_PAD src0_sel:BYTE_0 src1_sel:DWORD
	v_cmp_eq_u16_sdwa s17, v15, v6 src0_sel:DWORD src1_sel:BYTE_0
	v_cmp_gt_u32_e32 vcc_lo, v16, v8
	v_cndmask_b32_e64 v17, 0, 1, vcc_lo
	v_cmp_lt_u32_e32 vcc_lo, v16, v8
	v_cndmask_b32_e64 v16, 0, 1, vcc_lo
	v_cndmask_b32_e64 v16, v16, v17, s3
	v_and_b32_e32 v18, 1, v16
	v_cndmask_b32_e64 v16, 0, 1, s17
.LBB16_23:                              ;   in Loop: Header=BB16_21 Depth=1
	s_or_b32 exec_lo, exec_lo, s16
	ds_write_b32 v9, v18
	s_waitcnt lgkmcnt(0)
	s_barrier
	buffer_gl0_inv
	s_and_saveexec_b32 s16, s2
	s_cbranch_execz .LBB16_25
; %bb.24:                               ;   in Loop: Header=BB16_21 Depth=1
	ds_read2_b32 v[19:20], v11 offset1:1
	ds_read2_b32 v[21:22], v11 offset0:2 offset1:3
	ds_read2_b32 v[23:24], v11 offset0:4 offset1:5
	;; [unrolled: 1-line block ×3, first 2 shown]
	v_cmp_ne_u32_e32 vcc_lo, 0, v12
	; wave barrier
	s_waitcnt lgkmcnt(3)
	v_add_nc_u32_e32 v17, v20, v19
	s_waitcnt lgkmcnt(2)
	v_add3_u32 v17, v17, v21, v22
	s_waitcnt lgkmcnt(1)
	v_add3_u32 v17, v17, v23, v24
	;; [unrolled: 2-line block ×3, first 2 shown]
	v_mov_b32_dpp v20, v17 row_shr:1 row_mask:0xf bank_mask:0xf
	v_cndmask_b32_e32 v20, 0, v20, vcc_lo
	v_cmp_lt_u32_e32 vcc_lo, 1, v12
	v_add_nc_u32_e32 v17, v20, v17
	v_mov_b32_dpp v20, v17 row_shr:2 row_mask:0xf bank_mask:0xf
	v_cndmask_b32_e32 v20, 0, v20, vcc_lo
	v_cmp_lt_u32_e32 vcc_lo, 3, v12
	v_add_nc_u32_e32 v17, v17, v20
	;; [unrolled: 4-line block ×3, first 2 shown]
	v_mov_b32_dpp v20, v17 row_shr:8 row_mask:0xf bank_mask:0xf
	v_cndmask_b32_e32 v20, 0, v20, vcc_lo
	v_cmp_gt_i32_e32 vcc_lo, 0, v14
	v_add_nc_u32_e32 v17, v17, v20
	v_cndmask_b32_e32 v21, v14, v2, vcc_lo
	ds_swizzle_b32 v20, v17 offset:swizzle(BROADCAST,32,15)
	v_lshlrev_b32_e32 v21, 2, v21
	s_waitcnt lgkmcnt(0)
	v_and_b32_e32 v20, v13, v20
	v_add_nc_u32_e32 v17, v17, v20
	ds_bpermute_b32 v17, v21, v17
	s_waitcnt lgkmcnt(0)
	v_add_nc_u32_e32 v17, v17, v19
	v_cndmask_b32_e64 v17, v17, v18, s1
	ds_write_b32 v11, v17
	; wave barrier
	ds_read2_b32 v[19:20], v11 offset0:1 offset1:2
	ds_read2_b32 v[21:22], v11 offset0:3 offset1:4
	;; [unrolled: 1-line block ×3, first 2 shown]
	ds_read_b32 v25, v11 offset:28
	s_waitcnt lgkmcnt(3)
	v_add_nc_u32_e32 v17, v19, v17
	v_add_nc_u32_e32 v19, v20, v17
	s_waitcnt lgkmcnt(2)
	v_add_nc_u32_e32 v20, v21, v19
	v_add_nc_u32_e32 v21, v22, v20
	;; [unrolled: 3-line block ×3, first 2 shown]
	s_waitcnt lgkmcnt(0)
	v_add_nc_u32_e32 v24, v25, v23
	ds_write2_b32 v11, v17, v19 offset0:1 offset1:2
	ds_write2_b32 v11, v20, v21 offset0:3 offset1:4
	;; [unrolled: 1-line block ×3, first 2 shown]
	ds_write_b32 v11, v24 offset:28
.LBB16_25:                              ;   in Loop: Header=BB16_21 Depth=1
	s_or_b32 exec_lo, exec_lo, s16
	v_mov_b32_e32 v19, 0
	s_waitcnt lgkmcnt(0)
	s_barrier
	buffer_gl0_inv
	s_and_saveexec_b32 s16, s0
; %bb.26:                               ;   in Loop: Header=BB16_21 Depth=1
	ds_read_b32 v19, v0
; %bb.27:                               ;   in Loop: Header=BB16_21 Depth=1
	s_or_b32 exec_lo, exec_lo, s16
	ds_read_b32 v17, v5 offset:1048
	s_mov_b32 s16, exec_lo
	s_waitcnt lgkmcnt(0)
	s_barrier
	buffer_gl0_inv
	v_cmpx_ne_u32_e32 0, v18
	s_cbranch_execz .LBB16_29
; %bb.28:                               ;   in Loop: Header=BB16_21 Depth=1
	v_add_nc_u32_e32 v20, v19, v3
	v_mov_b32_e32 v19, v5
	v_mul_lo_u32 v18, v20, s8
	v_mul_lo_u32 v20, v20, s15
	v_lshlrev_b64 v[18:19], 3, v[18:19]
	v_add_co_u32 v18, vcc_lo, s10, v18
	v_add_co_ci_u32_e64 v19, null, s11, v19, vcc_lo
	global_store_byte v20, v15, s[6:7]
	global_store_dwordx2 v[18:19], v[4:5], off
.LBB16_29:                              ;   in Loop: Header=BB16_21 Depth=1
	s_or_b32 exec_lo, exec_lo, s16
	v_cmp_le_u32_e32 vcc_lo, s13, v1
	s_cbranch_vccnz .LBB16_20
; %bb.30:                               ;   in Loop: Header=BB16_21 Depth=1
	ds_write_b32 v9, v16
	s_waitcnt lgkmcnt(0)
	s_waitcnt_vscnt null, 0x0
	s_barrier
	buffer_gl0_inv
	s_and_saveexec_b32 s16, s2
	s_cbranch_execz .LBB16_32
; %bb.31:                               ;   in Loop: Header=BB16_21 Depth=1
	ds_read2_b32 v[18:19], v11 offset1:1
	ds_read2_b32 v[20:21], v11 offset0:2 offset1:3
	ds_read2_b32 v[22:23], v11 offset0:4 offset1:5
	;; [unrolled: 1-line block ×3, first 2 shown]
	v_cmp_ne_u32_e32 vcc_lo, 0, v12
	; wave barrier
	s_waitcnt lgkmcnt(3)
	v_add_nc_u32_e32 v19, v19, v18
	s_waitcnt lgkmcnt(2)
	v_add3_u32 v19, v19, v20, v21
	s_waitcnt lgkmcnt(1)
	v_add3_u32 v19, v19, v22, v23
	;; [unrolled: 2-line block ×3, first 2 shown]
	v_mov_b32_dpp v20, v19 row_shr:1 row_mask:0xf bank_mask:0xf
	v_cndmask_b32_e32 v20, 0, v20, vcc_lo
	v_cmp_lt_u32_e32 vcc_lo, 1, v12
	v_add_nc_u32_e32 v19, v20, v19
	v_mov_b32_dpp v20, v19 row_shr:2 row_mask:0xf bank_mask:0xf
	v_cndmask_b32_e32 v20, 0, v20, vcc_lo
	v_cmp_lt_u32_e32 vcc_lo, 3, v12
	v_add_nc_u32_e32 v19, v19, v20
	v_mov_b32_dpp v20, v19 row_shr:4 row_mask:0xf bank_mask:0xf
	v_cndmask_b32_e32 v20, 0, v20, vcc_lo
	v_cmp_lt_u32_e32 vcc_lo, 7, v12
	v_add_nc_u32_e32 v19, v19, v20
	v_mov_b32_dpp v20, v19 row_shr:8 row_mask:0xf bank_mask:0xf
	v_cndmask_b32_e32 v20, 0, v20, vcc_lo
	v_cmp_gt_i32_e32 vcc_lo, 0, v14
	v_add_nc_u32_e32 v19, v19, v20
	v_cndmask_b32_e32 v21, v14, v2, vcc_lo
	ds_swizzle_b32 v20, v19 offset:swizzle(BROADCAST,32,15)
	v_lshlrev_b32_e32 v21, 2, v21
	s_waitcnt lgkmcnt(0)
	v_and_b32_e32 v20, v13, v20
	v_add_nc_u32_e32 v19, v19, v20
	ds_bpermute_b32 v19, v21, v19
	s_waitcnt lgkmcnt(0)
	v_add_nc_u32_e32 v18, v19, v18
	v_cndmask_b32_e64 v24, v18, v16, s1
	ds_write_b32 v11, v24
	; wave barrier
	ds_read2_b32 v[18:19], v11 offset0:1 offset1:2
	ds_read2_b32 v[20:21], v11 offset0:3 offset1:4
	;; [unrolled: 1-line block ×3, first 2 shown]
	ds_read_b32 v25, v11 offset:28
	s_waitcnt lgkmcnt(3)
	v_add_nc_u32_e32 v18, v18, v24
	v_add_nc_u32_e32 v19, v19, v18
	s_waitcnt lgkmcnt(2)
	v_add_nc_u32_e32 v20, v20, v19
	v_add_nc_u32_e32 v21, v21, v20
	;; [unrolled: 3-line block ×3, first 2 shown]
	s_waitcnt lgkmcnt(0)
	v_add_nc_u32_e32 v24, v25, v23
	ds_write2_b32 v11, v18, v19 offset0:1 offset1:2
	ds_write2_b32 v11, v20, v21 offset0:3 offset1:4
	;; [unrolled: 1-line block ×3, first 2 shown]
	ds_write_b32 v11, v24 offset:28
.LBB16_32:                              ;   in Loop: Header=BB16_21 Depth=1
	s_or_b32 exec_lo, exec_lo, s16
	v_mov_b32_e32 v19, 0
	s_waitcnt lgkmcnt(0)
	s_barrier
	buffer_gl0_inv
	s_and_saveexec_b32 s16, s0
; %bb.33:                               ;   in Loop: Header=BB16_21 Depth=1
	ds_read_b32 v19, v0
; %bb.34:                               ;   in Loop: Header=BB16_21 Depth=1
	s_or_b32 exec_lo, exec_lo, s16
	ds_read_b32 v18, v5 offset:1048
	s_mov_b32 s16, exec_lo
	s_waitcnt lgkmcnt(0)
	s_barrier
	buffer_gl0_inv
	v_cmpx_ne_u32_e32 0, v16
	s_cbranch_execz .LBB16_19
; %bb.35:                               ;   in Loop: Header=BB16_21 Depth=1
	v_add_nc_u32_e32 v16, v19, v1
	v_cmp_gt_u32_e32 vcc_lo, s13, v16
	s_and_b32 exec_lo, exec_lo, vcc_lo
	s_cbranch_execz .LBB16_19
; %bb.36:                               ;   in Loop: Header=BB16_21 Depth=1
	v_mul_lo_u32 v19, v16, s8
	v_mov_b32_e32 v20, v5
	v_mul_lo_u32 v16, v16, s15
	v_lshlrev_b64 v[19:20], 3, v[19:20]
	v_add_co_u32 v19, vcc_lo, s10, v19
	v_add_co_ci_u32_e64 v20, null, s11, v20, vcc_lo
	global_store_byte v16, v15, s[6:7]
	global_store_dwordx2 v[19:20], v[4:5], off
	s_branch .LBB16_19
	.p2align	6
.LBB16_37:                              ;   in Loop: Header=BB16_38 Depth=1
	s_add_u32 s16, s16, 4
	s_addc_u32 s17, s17, 0
	s_waitcnt lgkmcnt(0)
	s_add_i32 s30, s15, s30
	s_add_u32 s18, s18, 4
	s_addc_u32 s19, s19, 0
	s_add_i32 s14, s14, 1
	s_cmp_lt_u32 s14, s10
	s_cbranch_scc0 .LBB16_16
.LBB16_38:                              ; =>This Inner Loop Header: Depth=1
	s_load_dword s15, s[16:17], 0x0
	s_cmp_ge_u32 s14, s11
	s_cbranch_scc1 .LBB16_37
; %bb.39:                               ;   in Loop: Header=BB16_38 Depth=1
	s_load_dword s22, s[18:19], 0x0
	s_waitcnt lgkmcnt(0)
	s_add_i32 s13, s15, s13
	s_add_i32 s12, s22, s12
	s_branch .LBB16_37
.LBB16_40:
	s_endpgm
	.section	.rodata,"a",@progbits
	.p2align	6, 0x0
	.amdhsa_kernel _ZN2at6native6mbtopk10gatherTopKIajLi1EEEvNS_4cuda6detail10TensorInfoIKT_T0_EES8_S8_bjS8_NS5_IS6_S8_EES8_NS5_IlS8_EES8_jjPS6_PjSD_j
		.amdhsa_group_segment_fixed_size 1068
		.amdhsa_private_segment_fixed_size 0
		.amdhsa_kernarg_size 984
		.amdhsa_user_sgpr_count 6
		.amdhsa_user_sgpr_private_segment_buffer 1
		.amdhsa_user_sgpr_dispatch_ptr 0
		.amdhsa_user_sgpr_queue_ptr 0
		.amdhsa_user_sgpr_kernarg_segment_ptr 1
		.amdhsa_user_sgpr_dispatch_id 0
		.amdhsa_user_sgpr_flat_scratch_init 0
		.amdhsa_user_sgpr_private_segment_size 0
		.amdhsa_wavefront_size32 1
		.amdhsa_uses_dynamic_stack 0
		.amdhsa_system_sgpr_private_segment_wavefront_offset 0
		.amdhsa_system_sgpr_workgroup_id_x 1
		.amdhsa_system_sgpr_workgroup_id_y 1
		.amdhsa_system_sgpr_workgroup_id_z 1
		.amdhsa_system_sgpr_workgroup_info 0
		.amdhsa_system_vgpr_workitem_id 0
		.amdhsa_next_free_vgpr 27
		.amdhsa_next_free_sgpr 35
		.amdhsa_reserve_vcc 1
		.amdhsa_reserve_flat_scratch 0
		.amdhsa_float_round_mode_32 0
		.amdhsa_float_round_mode_16_64 0
		.amdhsa_float_denorm_mode_32 3
		.amdhsa_float_denorm_mode_16_64 3
		.amdhsa_dx10_clamp 1
		.amdhsa_ieee_mode 1
		.amdhsa_fp16_overflow 0
		.amdhsa_workgroup_processor_mode 1
		.amdhsa_memory_ordered 1
		.amdhsa_forward_progress 1
		.amdhsa_shared_vgpr_count 0
		.amdhsa_exception_fp_ieee_invalid_op 0
		.amdhsa_exception_fp_denorm_src 0
		.amdhsa_exception_fp_ieee_div_zero 0
		.amdhsa_exception_fp_ieee_overflow 0
		.amdhsa_exception_fp_ieee_underflow 0
		.amdhsa_exception_fp_ieee_inexact 0
		.amdhsa_exception_int_div_zero 0
	.end_amdhsa_kernel
	.section	.text._ZN2at6native6mbtopk10gatherTopKIajLi1EEEvNS_4cuda6detail10TensorInfoIKT_T0_EES8_S8_bjS8_NS5_IS6_S8_EES8_NS5_IlS8_EES8_jjPS6_PjSD_j,"axG",@progbits,_ZN2at6native6mbtopk10gatherTopKIajLi1EEEvNS_4cuda6detail10TensorInfoIKT_T0_EES8_S8_bjS8_NS5_IS6_S8_EES8_NS5_IlS8_EES8_jjPS6_PjSD_j,comdat
.Lfunc_end16:
	.size	_ZN2at6native6mbtopk10gatherTopKIajLi1EEEvNS_4cuda6detail10TensorInfoIKT_T0_EES8_S8_bjS8_NS5_IS6_S8_EES8_NS5_IlS8_EES8_jjPS6_PjSD_j, .Lfunc_end16-_ZN2at6native6mbtopk10gatherTopKIajLi1EEEvNS_4cuda6detail10TensorInfoIKT_T0_EES8_S8_bjS8_NS5_IS6_S8_EES8_NS5_IlS8_EES8_jjPS6_PjSD_j
                                        ; -- End function
	.set _ZN2at6native6mbtopk10gatherTopKIajLi1EEEvNS_4cuda6detail10TensorInfoIKT_T0_EES8_S8_bjS8_NS5_IS6_S8_EES8_NS5_IlS8_EES8_jjPS6_PjSD_j.num_vgpr, 27
	.set _ZN2at6native6mbtopk10gatherTopKIajLi1EEEvNS_4cuda6detail10TensorInfoIKT_T0_EES8_S8_bjS8_NS5_IS6_S8_EES8_NS5_IlS8_EES8_jjPS6_PjSD_j.num_agpr, 0
	.set _ZN2at6native6mbtopk10gatherTopKIajLi1EEEvNS_4cuda6detail10TensorInfoIKT_T0_EES8_S8_bjS8_NS5_IS6_S8_EES8_NS5_IlS8_EES8_jjPS6_PjSD_j.numbered_sgpr, 35
	.set _ZN2at6native6mbtopk10gatherTopKIajLi1EEEvNS_4cuda6detail10TensorInfoIKT_T0_EES8_S8_bjS8_NS5_IS6_S8_EES8_NS5_IlS8_EES8_jjPS6_PjSD_j.num_named_barrier, 0
	.set _ZN2at6native6mbtopk10gatherTopKIajLi1EEEvNS_4cuda6detail10TensorInfoIKT_T0_EES8_S8_bjS8_NS5_IS6_S8_EES8_NS5_IlS8_EES8_jjPS6_PjSD_j.private_seg_size, 0
	.set _ZN2at6native6mbtopk10gatherTopKIajLi1EEEvNS_4cuda6detail10TensorInfoIKT_T0_EES8_S8_bjS8_NS5_IS6_S8_EES8_NS5_IlS8_EES8_jjPS6_PjSD_j.uses_vcc, 1
	.set _ZN2at6native6mbtopk10gatherTopKIajLi1EEEvNS_4cuda6detail10TensorInfoIKT_T0_EES8_S8_bjS8_NS5_IS6_S8_EES8_NS5_IlS8_EES8_jjPS6_PjSD_j.uses_flat_scratch, 0
	.set _ZN2at6native6mbtopk10gatherTopKIajLi1EEEvNS_4cuda6detail10TensorInfoIKT_T0_EES8_S8_bjS8_NS5_IS6_S8_EES8_NS5_IlS8_EES8_jjPS6_PjSD_j.has_dyn_sized_stack, 0
	.set _ZN2at6native6mbtopk10gatherTopKIajLi1EEEvNS_4cuda6detail10TensorInfoIKT_T0_EES8_S8_bjS8_NS5_IS6_S8_EES8_NS5_IlS8_EES8_jjPS6_PjSD_j.has_recursion, 0
	.set _ZN2at6native6mbtopk10gatherTopKIajLi1EEEvNS_4cuda6detail10TensorInfoIKT_T0_EES8_S8_bjS8_NS5_IS6_S8_EES8_NS5_IlS8_EES8_jjPS6_PjSD_j.has_indirect_call, 0
	.section	.AMDGPU.csdata,"",@progbits
; Kernel info:
; codeLenInByte = 2192
; TotalNumSgprs: 37
; NumVgprs: 27
; ScratchSize: 0
; MemoryBound: 0
; FloatMode: 240
; IeeeMode: 1
; LDSByteSize: 1068 bytes/workgroup (compile time only)
; SGPRBlocks: 0
; VGPRBlocks: 3
; NumSGPRsForWavesPerEU: 37
; NumVGPRsForWavesPerEU: 27
; Occupancy: 16
; WaveLimiterHint : 1
; COMPUTE_PGM_RSRC2:SCRATCH_EN: 0
; COMPUTE_PGM_RSRC2:USER_SGPR: 6
; COMPUTE_PGM_RSRC2:TRAP_HANDLER: 0
; COMPUTE_PGM_RSRC2:TGID_X_EN: 1
; COMPUTE_PGM_RSRC2:TGID_Y_EN: 1
; COMPUTE_PGM_RSRC2:TGID_Z_EN: 1
; COMPUTE_PGM_RSRC2:TIDIG_COMP_CNT: 0
	.section	.text._ZN2at6native6sbtopk10gatherTopKIajLi1ELb0EEEvNS_4cuda6detail10TensorInfoIKT_T0_EES8_S8_bS8_S8_NS5_IS6_S8_EES8_NS5_IlS8_EES8_PS6_,"axG",@progbits,_ZN2at6native6sbtopk10gatherTopKIajLi1ELb0EEEvNS_4cuda6detail10TensorInfoIKT_T0_EES8_S8_bS8_S8_NS5_IS6_S8_EES8_NS5_IlS8_EES8_PS6_,comdat
	.protected	_ZN2at6native6sbtopk10gatherTopKIajLi1ELb0EEEvNS_4cuda6detail10TensorInfoIKT_T0_EES8_S8_bS8_S8_NS5_IS6_S8_EES8_NS5_IlS8_EES8_PS6_ ; -- Begin function _ZN2at6native6sbtopk10gatherTopKIajLi1ELb0EEEvNS_4cuda6detail10TensorInfoIKT_T0_EES8_S8_bS8_S8_NS5_IS6_S8_EES8_NS5_IlS8_EES8_PS6_
	.globl	_ZN2at6native6sbtopk10gatherTopKIajLi1ELb0EEEvNS_4cuda6detail10TensorInfoIKT_T0_EES8_S8_bS8_S8_NS5_IS6_S8_EES8_NS5_IlS8_EES8_PS6_
	.p2align	8
	.type	_ZN2at6native6sbtopk10gatherTopKIajLi1ELb0EEEvNS_4cuda6detail10TensorInfoIKT_T0_EES8_S8_bS8_S8_NS5_IS6_S8_EES8_NS5_IlS8_EES8_PS6_,@function
_ZN2at6native6sbtopk10gatherTopKIajLi1ELb0EEEvNS_4cuda6detail10TensorInfoIKT_T0_EES8_S8_bS8_S8_NS5_IS6_S8_EES8_NS5_IlS8_EES8_PS6_: ; @_ZN2at6native6sbtopk10gatherTopKIajLi1ELb0EEEvNS_4cuda6detail10TensorInfoIKT_T0_EES8_S8_bS8_S8_NS5_IS6_S8_EES8_NS5_IlS8_EES8_PS6_
; %bb.0:
	s_clause 0x1
	s_load_dwordx2 s[12:13], s[4:5], 0x2b8
	s_load_dwordx4 s[36:39], s[4:5], 0xd8
	s_add_u32 s10, s4, 0x2b8
	s_addc_u32 s11, s5, 0
	s_waitcnt lgkmcnt(0)
	s_mul_i32 s0, s13, s8
	s_add_i32 s0, s0, s7
	s_mul_i32 s49, s0, s12
	s_add_i32 s49, s49, s6
	s_cmp_ge_u32 s49, s39
	s_cbranch_scc1 .LBB17_410
; %bb.1:
	s_clause 0x4
	s_load_dwordx2 s[44:45], s[4:5], 0x1d0
	s_load_dword s42, s[4:5], 0xe8
	s_load_dwordx2 s[46:47], s[4:5], 0xf0
	s_load_dword s2, s[4:5], 0x6c
	s_load_dwordx2 s[0:1], s[4:5], 0x0
	v_cmp_eq_u32_e64 s3, 0, v0
	s_mov_b32 s52, 0
	s_and_saveexec_b32 s7, s3
	s_cbranch_execz .LBB17_3
; %bb.2:
	v_mov_b32_e32 v1, 0
	v_mov_b32_e32 v2, s36
	;; [unrolled: 1-line block ×3, first 2 shown]
	ds_write_b96 v1, v[1:3] offset:4096
.LBB17_3:
	s_or_b32 exec_lo, exec_lo, s7
	s_waitcnt lgkmcnt(0)
	s_barrier
	buffer_gl0_inv
	s_load_dword s7, s[10:11], 0xc
	s_clause 0x1
	s_load_dword s50, s[4:5], 0x23c
	s_load_dword s51, s[4:5], 0x15c
	s_mul_i32 s2, s2, s49
	v_mbcnt_lo_u32_b32 v17, -1, 0
	s_add_u32 s40, s0, s2
	s_addc_u32 s41, s1, 0
	s_bitcmp1_b32 s38, 0
	v_cmp_gt_u32_e32 vcc_lo, 32, v0
	s_cselect_b32 s2, -1, 0
	v_lshlrev_b64 v[1:2], v17, -1
	v_cmp_gt_i32_e64 s0, 4, v17
	s_xor_b32 s53, s2, -1
	v_lshrrev_b32_e32 v3, 1, v0
	v_lshlrev_b32_e32 v16, 2, v0
	v_mul_lo_u32 v18, s42, v0
	s_and_b32 s54, vcc_lo, s0
	v_not_b32_e32 v15, v1
	s_mov_b32 s43, s42
	v_mov_b32_e32 v19, 0
	s_waitcnt lgkmcnt(0)
	s_and_b32 s35, s7, 0xffff
	s_bfe_u32 s7, s7, 0xb0005
	s_lshl_b32 s55, s35, 2
	s_bfe_u32 s0, s35, 0x80008
	v_cvt_f32_u32_e32 v2, s55
	s_lshl_b32 s56, s0, 3
	s_cmpk_gt_u32 s36, 0xc00
	v_cvt_f32_u32_e32 v5, s35
	s_cselect_b32 s57, -1, 0
	v_rcp_iflag_f32_e32 v1, v2
	s_cmp_gt_u32 s35, 31
	v_add_nc_u32_e32 v2, 2, v0
	s_cselect_b32 s58, -1, 0
	s_add_i32 s59, s35, -1
	v_rcp_iflag_f32_e32 v5, v5
	s_add_i32 s13, s59, s36
	s_cmp_lt_u32 s6, s12
	s_movk_i32 s6, 0x1f0
	s_cselect_b32 s8, 12, 18
	v_mul_f32_e32 v1, 0x4f7ffffe, v1
	s_add_u32 s38, s10, s8
	s_addc_u32 s39, s11, 0
	s_add_i32 s7, s7, -1
	s_bfe_u32 s60, s35, 0x30005
	v_cvt_u32_f32_e32 v1, v1
	s_and_b32 s7, s7, 0xffff
	v_and_or_b32 v20, v3, s6, 0xc00
	s_cmp_gt_u32 s7, 6
	v_mul_f32_e32 v3, 0x4f7ffffe, v5
	v_readfirstlane_b32 s7, v1
	s_cselect_b32 s61, -1, 0
	s_cmp_lg_u32 s60, 0
	v_max_u32_e32 v2, s36, v2
	s_cselect_b32 s62, -1, 0
	s_sub_i32 s8, 0, s55
	v_cvt_u32_f32_e32 v3, v3
	s_mul_i32 s8, s8, s7
	v_xad_u32 v2, v0, -1, v2
	s_mul_hi_u32 s6, s7, s8
	v_mad_u64_u32 v[13:14], null, s42, v16, s[42:43]
	s_add_i32 s63, s7, s6
	v_readfirstlane_b32 s9, v3
	s_mul_hi_u32 s6, s36, s63
	v_add_nc_u32_e32 v4, -4, v2
	s_mul_i32 s6, s6, s55
	v_and_b32_e32 v21, -4, v2
	s_sub_i32 s6, s36, s6
	v_cmp_lt_u32_e64 s7, 31, v2
	s_sub_i32 s8, s6, s55
	s_cmp_ge_u32 s6, s55
	v_lshrrev_b32_e32 v1, 2, v4
	s_cselect_b32 s6, s8, s6
	v_add_co_u32 v9, s1, s40, v18
	s_sub_i32 s8, s6, s55
	s_cmp_ge_u32 s6, s55
	v_add_nc_u32_e32 v1, 1, v1
	s_cselect_b32 s6, s8, s6
	s_sub_i32 s8, 0, s35
	s_sub_i32 s67, s36, s6
	s_mul_i32 s8, s8, s9
	v_add_nc_u32_e32 v24, s67, v0
	s_mul_hi_u32 s10, s9, s8
	v_and_b32_e32 v3, 3, v1
	s_add_i32 s66, s9, s10
	v_and_b32_e32 v23, 0x7ffffffc, v1
	s_mul_hi_u32 s10, s13, s66
	v_mul_lo_u32 v1, v24, s42
	s_mul_i32 s10, s10, s35
	v_cmp_ne_u32_e64 s9, 0, v3
	s_sub_i32 s11, s13, s10
	v_cmp_ne_u32_e64 s10, v2, v21
	s_sub_i32 s12, s11, s35
	s_cmp_ge_u32 s11, s35
	v_lshlrev_b32_e32 v25, 2, v3
	s_cselect_b32 s12, s12, s11
	v_or_b32_e32 v2, 2, v16
	s_sub_i32 s14, s12, s35
	s_cmp_ge_u32 s12, s35
	v_or_b32_e32 v3, 3, v16
	s_cselect_b32 s14, s14, s12
	v_mul_lo_u32 v26, s42, v2
	s_sub_i32 s68, s13, s14
	v_add_co_u32 v11, s13, s40, v1
	v_add3_u32 v1, s35, s36, v0
	v_mul_lo_u32 v27, s42, v3
	v_cmp_eq_u32_e64 s0, 0, v17
	v_add_co_ci_u32_e64 v10, null, s41, 0, s1
	v_subrev_nc_u32_e32 v1, s6, v1
	v_cmp_gt_u32_e64 s1, s36, v0
	v_cmp_gt_u32_e64 s15, 2, v0
	v_add_nc_u32_e32 v22, v0, v21
	v_cmp_lt_u32_e64 s8, 11, v4
	v_mul_lo_u32 v29, s42, v1
	v_cmp_gt_u32_e64 s11, s67, v16
	v_cmp_gt_u32_e64 s12, s36, v24
	v_add_co_ci_u32_e64 v12, null, s41, 0, s13
	v_cmp_gt_u32_e64 s13, s68, v0
	v_lshlrev_b32_e32 v28, 2, v18
	v_lshl_or_b32 v30, v17, 2, 0xc00
	v_mov_b32_e32 v35, s37
	v_mov_b32_e32 v31, 0x80
	;; [unrolled: 1-line block ×6, first 2 shown]
	s_mul_i32 s48, s42, s35
	s_mov_b32 s64, s42
	s_mov_b32 s65, s42
	;; [unrolled: 1-line block ×3, first 2 shown]
	s_lshl_b32 s70, s48, 2
	s_mov_b32 s71, 0
                                        ; implicit-def: $sgpr69
                                        ; implicit-def: $sgpr74
                                        ; implicit-def: $sgpr73
                                        ; implicit-def: $sgpr76
                                        ; implicit-def: $sgpr72
                                        ; implicit-def: $sgpr80
                                        ; implicit-def: $sgpr81
                                        ; implicit-def: $sgpr77
                                        ; implicit-def: $sgpr79
                                        ; implicit-def: $sgpr78
	s_branch .LBB17_6
.LBB17_4:                               ;   in Loop: Header=BB17_6 Depth=1
	s_or_b32 exec_lo, exec_lo, s17
	v_mov_b32_e32 v35, v4
	s_andn2_b32 s17, s78, exec_lo
	s_and_b32 s16, s16, exec_lo
	s_andn2_b32 s79, s79, exec_lo
	s_or_b32 s78, s17, s16
	s_andn2_b32 s77, s77, exec_lo
	s_andn2_b32 s81, s81, exec_lo
	;; [unrolled: 1-line block ×3, first 2 shown]
	s_orn2_b32 s17, s14, exec_lo
.LBB17_5:                               ;   in Loop: Header=BB17_6 Depth=1
	s_or_b32 exec_lo, exec_lo, s6
	s_and_b32 s6, exec_lo, s17
	s_or_b32 s52, s6, s52
	s_andn2_b32 s6, s72, exec_lo
	s_and_b32 s14, s78, exec_lo
	s_andn2_b32 s16, s76, exec_lo
	s_or_b32 s72, s6, s14
	s_and_b32 s6, s79, exec_lo
	s_andn2_b32 s14, s73, exec_lo
	s_and_b32 s17, s77, exec_lo
	s_or_b32 s76, s16, s6
	s_or_b32 s73, s14, s17
	s_andn2_b32 s6, s74, exec_lo
	s_and_b32 s14, s81, exec_lo
	s_andn2_b32 s16, s69, exec_lo
	s_and_b32 s17, s80, exec_lo
	s_or_b32 s74, s6, s14
	s_or_b32 s69, s16, s17
	s_andn2_b32 exec_lo, exec_lo, s52
	s_cbranch_execz .LBB17_406
.LBB17_6:                               ; =>This Loop Header: Depth=1
                                        ;     Child Loop BB17_11 Depth 2
                                        ;     Child Loop BB17_32 Depth 2
	;; [unrolled: 1-line block ×26, first 2 shown]
	ds_read_b64 v[1:2], v19 offset:4096
	s_waitcnt lgkmcnt(0)
	v_readfirstlane_b32 s82, v1
	s_cmp_lg_u32 s82, 0
	s_cbranch_scc1 .LBB17_51
; %bb.7:                                ;   in Loop: Header=BB17_6 Depth=1
	s_and_b32 vcc_lo, exec_lo, s57
	s_cbranch_vccz .LBB17_19
; %bb.8:                                ;   in Loop: Header=BB17_6 Depth=1
	v_cmp_gt_u32_e32 vcc_lo, 0xc01, v2
	s_mov_b32 s16, 0
	s_mov_b32 s6, 0
	s_cbranch_vccz .LBB17_20
; %bb.9:                                ;   in Loop: Header=BB17_6 Depth=1
	global_load_ushort v1, v19, s[38:39]
	global_load_ubyte v4, v[9:10], off
	v_mov_b32_e32 v5, v0
	s_mov_b32 s17, 0
	s_waitcnt vmcnt(1)
	v_add_nc_u32_e32 v2, v0, v1
	v_mul_lo_u32 v3, s42, v1
	v_mul_lo_u32 v2, s42, v2
	s_branch .LBB17_11
.LBB17_10:                              ;   in Loop: Header=BB17_11 Depth=2
	s_or_b32 exec_lo, exec_lo, s14
	v_add_nc_u32_e32 v2, v2, v3
	v_mov_b32_e32 v4, v6
	s_andn2_b32 exec_lo, exec_lo, s17
	s_cbranch_execz .LBB17_26
.LBB17_11:                              ;   Parent Loop BB17_6 Depth=1
                                        ; =>  This Inner Loop Header: Depth=2
	v_add_nc_u32_e32 v5, v5, v1
	s_waitcnt lgkmcnt(0)
	v_mov_b32_e32 v7, 0
	v_mov_b32_e32 v6, 0
	s_mov_b32 s14, exec_lo
	v_cmp_le_u32_e32 vcc_lo, s36, v5
	v_cmpx_gt_u32_e64 s36, v5
	s_cbranch_execz .LBB17_13
; %bb.12:                               ;   in Loop: Header=BB17_11 Depth=2
	global_load_ubyte v6, v2, s[40:41]
.LBB17_13:                              ;   in Loop: Header=BB17_11 Depth=2
	s_or_b32 exec_lo, exec_lo, s14
	s_waitcnt vmcnt(0)
	v_add_nc_u32_sdwa v8, sext(v4), v31 dst_sel:DWORD dst_unused:UNUSED_PAD src0_sel:BYTE_0 src1_sel:DWORD
	v_and_b32_e32 v8, v8, v33
	v_cmp_eq_u32_e64 s6, v8, v14
	s_cmp_lg_u32 s6, 0
	s_cselect_b32 s14, -1, 0
	s_and_b32 s14, s0, s14
	s_and_saveexec_b32 s18, s14
	s_cbranch_execz .LBB17_17
; %bb.14:                               ;   in Loop: Header=BB17_11 Depth=2
	s_mov_b32 s21, exec_lo
	s_bcnt1_i32_b32 s19, s6
	v_mbcnt_lo_u32_b32 v7, s21, 0
	s_mov_b32 s20, exec_lo
                                        ; implicit-def: $vgpr8
	v_cmpx_eq_u32_e32 0, v7
; %bb.15:                               ;   in Loop: Header=BB17_11 Depth=2
	s_bcnt1_i32_b32 s14, s21
	s_mul_i32 s14, s19, s14
	v_mov_b32_e32 v8, s14
	ds_add_rtn_u32 v8, v19, v8 offset:4104
; %bb.16:                               ;   in Loop: Header=BB17_11 Depth=2
	s_or_b32 exec_lo, exec_lo, s20
	s_waitcnt lgkmcnt(0)
	v_readfirstlane_b32 s14, v8
	v_mad_u32_u24 v7, s19, v7, s14
.LBB17_17:                              ;   in Loop: Header=BB17_11 Depth=2
	s_or_b32 exec_lo, exec_lo, s18
	ds_bpermute_b32 v7, v19, v7
	s_and_b32 s14, exec_lo, vcc_lo
	s_or_b32 s17, s14, s17
	s_and_saveexec_b32 s14, s6
	s_cbranch_execz .LBB17_10
; %bb.18:                               ;   in Loop: Header=BB17_11 Depth=2
	v_and_b32_e32 v8, s6, v15
	s_waitcnt lgkmcnt(0)
	v_bcnt_u32_b32 v7, v8, v7
	ds_write_b8 v7, v4
	s_branch .LBB17_10
.LBB17_19:                              ;   in Loop: Header=BB17_6 Depth=1
	s_mov_b32 s16, -1
	s_mov_b32 s6, 0
.LBB17_20:                              ;   in Loop: Header=BB17_6 Depth=1
	s_and_b32 vcc_lo, exec_lo, s16
	s_cbranch_vccz .LBB17_49
.LBB17_21:                              ;   in Loop: Header=BB17_6 Depth=1
	s_and_saveexec_b32 s14, s1
	s_cbranch_execz .LBB17_46
; %bb.22:                               ;   in Loop: Header=BB17_6 Depth=1
	global_load_ushort v2, v19, s[38:39]
	global_load_ubyte v36, v[9:10], off
	s_mov_b32 s16, exec_lo
	s_waitcnt vmcnt(1)
	v_add_nc_u32_e32 v1, v0, v2
	v_readfirstlane_b32 s17, v2
	v_mov_b32_e32 v2, v0
	v_cmpx_gt_u32_e64 s36, v1
	s_cbranch_execz .LBB17_45
; %bb.23:                               ;   in Loop: Header=BB17_6 Depth=1
	s_mov_b32 s6, 0
	s_mul_i32 s18, s42, s17
                                        ; implicit-def: $vgpr2
                                        ; implicit-def: $vgpr5
                                        ; implicit-def: $vgpr3
                                        ; implicit-def: $vgpr4
	s_and_saveexec_b32 s19, s7
	s_xor_b32 s19, exec_lo, s19
	s_cbranch_execnz .LBB17_29
; %bb.24:                               ;   in Loop: Header=BB17_6 Depth=1
	s_andn2_saveexec_b32 s19, s19
	s_cbranch_execnz .LBB17_40
.LBB17_25:                              ;   in Loop: Header=BB17_6 Depth=1
	s_or_b32 exec_lo, exec_lo, s19
	s_and_saveexec_b32 s18, s6
	s_cbranch_execnz .LBB17_41
	s_branch .LBB17_44
.LBB17_26:                              ;   in Loop: Header=BB17_6 Depth=1
	s_or_b32 exec_lo, exec_lo, s17
	s_waitcnt lgkmcnt(0)
	s_barrier
	buffer_gl0_inv
	s_and_saveexec_b32 s6, s3
	s_cbranch_execz .LBB17_28
; %bb.27:                               ;   in Loop: Header=BB17_6 Depth=1
	ds_read_b32 v1, v19 offset:4104
	s_waitcnt lgkmcnt(0)
	ds_write_b32 v19, v1 offset:4096
.LBB17_28:                              ;   in Loop: Header=BB17_6 Depth=1
	s_or_b32 exec_lo, exec_lo, s6
	s_waitcnt lgkmcnt(0)
	s_mov_b32 s6, -1
	s_barrier
	s_and_b32 vcc_lo, exec_lo, s16
	s_cbranch_vccnz .LBB17_21
	s_branch .LBB17_49
.LBB17_29:                              ;   in Loop: Header=BB17_6 Depth=1
	v_cvt_f32_u32_e32 v2, s17
	v_add_nc_u32_e32 v3, s17, v1
	s_sub_i32 s6, 0, s17
	s_not_b32 s20, s18
	v_rcp_iflag_f32_e32 v2, v2
	v_max_u32_e32 v3, s36, v3
	v_sub_nc_u32_e32 v3, v3, v0
	v_mul_f32_e32 v2, 0x4f7ffffe, v2
	v_cvt_u32_f32_e32 v2, v2
	v_mul_lo_u32 v4, s6, v2
	s_lshl_b32 s6, s17, 1
	v_cmp_ne_u32_e32 vcc_lo, s6, v3
	v_cndmask_b32_e64 v5, 0, 1, vcc_lo
	v_mul_hi_u32 v4, v2, v4
	v_or_b32_e32 v5, s6, v5
	v_add_nc_u32_e32 v2, v2, v4
	v_sub_nc_u32_e32 v3, v3, v5
	v_mul_hi_u32 v2, v3, v2
	v_mul_lo_u32 v4, v2, s17
	v_sub_nc_u32_e32 v3, v3, v4
	v_add_nc_u32_e32 v4, 1, v2
	v_subrev_nc_u32_e32 v5, s17, v3
	v_cmp_le_u32_e64 s6, s17, v3
	v_cndmask_b32_e64 v2, v2, v4, s6
	v_cndmask_b32_e64 v3, v3, v5, s6
	v_add_nc_u32_e32 v4, 1, v2
	v_cmp_le_u32_e64 s6, s17, v3
	v_mul_lo_u32 v3, s42, v1
	v_cndmask_b32_e64 v2, v2, v4, s6
	s_abs_i32 s6, s18
	v_add_co_ci_u32_e64 v2, null, 0, v2, vcc_lo
	v_mul_hi_u32 v4, s6, v2
	v_mul_lo_u32 v2, s6, v2
	s_ashr_i32 s6, s20, 31
	s_cmp_eq_u32 s17, 1
	v_xor_b32_e32 v3, s6, v3
	s_cselect_b32 s20, -1, 0
	v_cmp_eq_u32_e32 vcc_lo, 0, v4
	v_cmp_le_u32_e64 s6, v2, v3
	v_mov_b32_e32 v3, v0
                                        ; implicit-def: $vgpr2
	s_and_b32 s20, vcc_lo, s20
	s_and_b32 s21, s20, s6
	s_mov_b32 s20, -1
	s_and_saveexec_b32 s6, s21
	s_cbranch_execz .LBB17_39
; %bb.30:                               ;   in Loop: Header=BB17_6 Depth=1
	v_add_nc_u32_e32 v4, 3, v1
	v_add_nc_u32_e32 v3, 2, v1
	;; [unrolled: 1-line block ×3, first 2 shown]
	s_waitcnt vmcnt(0)
	v_lshlrev_b32_e32 v37, 24, v36
	v_mov_b32_e32 v39, 0
	v_mov_b32_e32 v8, v4
	;; [unrolled: 1-line block ×5, first 2 shown]
                                        ; implicit-def: $vgpr36
	s_and_saveexec_b32 s20, s8
	s_cbranch_execz .LBB17_34
; %bb.31:                               ;   in Loop: Header=BB17_6 Depth=1
	v_mov_b32_e32 v8, v4
	v_mov_b32_e32 v38, v23
	;; [unrolled: 1-line block ×5, first 2 shown]
	s_mov_b32 s21, 0
	s_mov_b32 s22, 0
.LBB17_32:                              ;   Parent Loop BB17_6 Depth=1
                                        ; =>  This Inner Loop Header: Depth=2
	v_mul_lo_u32 v2, v5, s42
	v_mul_lo_u32 v39, v6, s43
	v_add_nc_u32_e32 v3, 4, v5
	v_mul_lo_u32 v36, v7, s64
	v_add_nc_u32_e32 v40, 4, v6
	;; [unrolled: 2-line block ×3, first 2 shown]
	v_mul_lo_u32 v54, v3, s42
	v_add_co_u32 v2, s23, s40, v2
	v_add_nc_u32_e32 v42, 4, v8
	v_add_nc_u32_e32 v43, 8, v5
	v_mul_lo_u32 v53, v40, s43
	v_add_co_ci_u32_e64 v3, null, s41, 0, s23
	v_add_co_u32 v39, s23, s40, v39
	v_add_nc_u32_e32 v44, 8, v6
	v_add_nc_u32_e32 v45, 8, v7
	v_mul_lo_u32 v52, v41, s64
	v_add_co_ci_u32_e64 v40, null, s41, 0, s23
	v_add_co_u32 v41, s23, s40, v36
	v_add_nc_u32_e32 v46, 8, v8
	v_add_nc_u32_e32 v47, 12, v5
	v_mul_lo_u32 v51, v42, s65
	v_mul_lo_u32 v56, v43, s42
	v_add_co_ci_u32_e64 v42, null, s41, 0, s23
	v_add_co_u32 v43, s23, s40, v4
	v_add_nc_u32_e32 v48, 12, v6
	v_add_nc_u32_e32 v49, 12, v7
	v_mul_lo_u32 v57, v45, s64
	v_mul_lo_u32 v55, v44, s43
	v_add_co_ci_u32_e64 v44, null, s41, 0, s23
	v_add_co_u32 v45, s23, s40, v54
	v_add_nc_u32_e32 v50, 12, v8
	v_mul_lo_u32 v59, v46, s65
	v_mul_lo_u32 v61, v47, s42
	v_add_co_ci_u32_e64 v46, null, s41, 0, s23
	v_add_co_u32 v47, s23, s40, v53
	v_mul_lo_u32 v65, v49, s64
	v_mul_lo_u32 v63, v48, s43
	v_add_co_ci_u32_e64 v48, null, s41, 0, s23
	v_add_co_u32 v49, s23, s40, v52
	v_mul_lo_u32 v67, v50, s65
	v_add_co_ci_u32_e64 v50, null, s41, 0, s23
	v_add_co_u32 v51, s23, s40, v51
	v_add_co_ci_u32_e64 v52, null, s41, 0, s23
	v_add_co_u32 v53, s23, s40, v56
	;; [unrolled: 2-line block ×9, first 2 shown]
	v_add_co_ci_u32_e64 v68, null, s41, 0, s23
	s_clause 0xf
	global_load_ubyte v4, v[41:42], off
	global_load_ubyte v41, v[43:44], off
	;; [unrolled: 1-line block ×16, first 2 shown]
	v_add_nc_u32_e32 v38, -4, v38
	v_add_nc_u32_e32 v52, s22, v0
	s_add_i32 s22, s22, 16
	v_add_nc_u32_e32 v8, 16, v8
	v_add_nc_u32_e32 v7, 16, v7
	v_cmp_eq_u32_e32 vcc_lo, 0, v38
	v_add_nc_u32_e32 v6, 16, v6
	v_add_nc_u32_e32 v5, 16, v5
	v_mov_b32_e32 v39, s22
	s_or_b32 s21, vcc_lo, s21
	s_waitcnt vmcnt(9)
	v_perm_b32 v4, v40, v4, 0xc0c0004
	s_waitcnt vmcnt(8)
	v_perm_b32 v2, v37, v2, 0xc0c0007
	v_perm_b32 v37, v41, v42, 0xc0c0004
	;; [unrolled: 1-line block ×3, first 2 shown]
	s_waitcnt vmcnt(7)
	v_perm_b32 v3, v44, v3, 0xc0c0004
	s_waitcnt vmcnt(4)
	v_perm_b32 v42, v48, v46, 0xc0c0004
	v_lshl_or_b32 v40, v4, 16, v2
	s_waitcnt vmcnt(2)
	v_perm_b32 v45, v49, v50, 0xc0c0004
	s_waitcnt vmcnt(1)
	v_perm_b32 v44, v51, v49, 0xc0c0004
	v_perm_b32 v43, v47, v51, 0xc0c0004
	s_waitcnt vmcnt(0)
	v_perm_b32 v46, v50, v36, 0xc0c0004
	v_lshl_or_b32 v41, v41, 16, v37
	v_lshl_or_b32 v42, v42, 16, v3
	;; [unrolled: 1-line block ×4, first 2 shown]
	ds_write_b128 v52, v[40:43]
	s_andn2_b32 exec_lo, exec_lo, s21
	s_cbranch_execnz .LBB17_32
; %bb.33:                               ;   in Loop: Header=BB17_6 Depth=1
	s_or_b32 exec_lo, exec_lo, s21
.LBB17_34:                              ;   in Loop: Header=BB17_6 Depth=1
	s_or_b32 exec_lo, exec_lo, s20
	s_and_saveexec_b32 s20, s9
	s_cbranch_execz .LBB17_38
; %bb.35:                               ;   in Loop: Header=BB17_6 Depth=1
	v_add_nc_u32_e32 v2, v0, v39
	v_mov_b32_e32 v3, v25
	s_mov_b32 s21, 0
.LBB17_36:                              ;   Parent Loop BB17_6 Depth=1
                                        ; =>  This Inner Loop Header: Depth=2
	v_mul_lo_u32 v4, v5, s42
	v_mul_lo_u32 v36, v6, s43
	;; [unrolled: 1-line block ×4, first 2 shown]
	v_add_nc_u32_e32 v3, -4, v3
	v_add_nc_u32_e32 v8, 4, v8
	v_add_nc_u32_e32 v7, 4, v7
	;; [unrolled: 1-line block ×3, first 2 shown]
	v_add_co_u32 v38, s22, s40, v4
	v_add_co_ci_u32_e64 v39, null, s41, 0, s22
	v_add_co_u32 v40, s22, s40, v36
	v_add_co_ci_u32_e64 v41, null, s41, 0, s22
	;; [unrolled: 2-line block ×4, first 2 shown]
	s_clause 0x3
	global_load_ubyte v4, v[40:41], off
	global_load_ubyte v40, v[42:43], off
	;; [unrolled: 1-line block ×4, first 2 shown]
	v_cmp_eq_u32_e32 vcc_lo, 0, v3
	v_add_nc_u32_e32 v5, 4, v5
	s_or_b32 s21, vcc_lo, s21
	s_waitcnt vmcnt(2)
	v_perm_b32 v39, v4, v40, 0xc0c0004
	s_waitcnt vmcnt(1)
	v_perm_b32 v37, v37, v38, 0xc0c0007
	v_perm_b32 v4, v38, v4, 0xc0c0004
	s_waitcnt vmcnt(0)
	v_perm_b32 v38, v40, v36, 0xc0c0004
	v_lshl_or_b32 v37, v39, 16, v37
	v_lshl_or_b32 v4, v38, 16, v4
	ds_write_b32 v2, v37
	v_add_nc_u32_e32 v2, 4, v2
	v_mov_b32_e32 v37, v4
	s_andn2_b32 exec_lo, exec_lo, s21
	s_cbranch_execnz .LBB17_36
; %bb.37:                               ;   in Loop: Header=BB17_6 Depth=1
	s_or_b32 exec_lo, exec_lo, s21
.LBB17_38:                              ;   in Loop: Header=BB17_6 Depth=1
	s_or_b32 exec_lo, exec_lo, s20
	v_add_nc_u32_e32 v1, v1, v21
	v_mov_b32_e32 v3, v22
	s_orn2_b32 s20, s10, exec_lo
	v_add_nc_u32_e32 v2, -1, v1
.LBB17_39:                              ;   in Loop: Header=BB17_6 Depth=1
	s_or_b32 exec_lo, exec_lo, s6
	v_mov_b32_e32 v4, s18
	s_waitcnt vmcnt(0)
	v_mov_b32_e32 v5, v36
	s_and_b32 s6, s20, exec_lo
	s_andn2_saveexec_b32 s19, s19
	s_cbranch_execz .LBB17_25
.LBB17_40:                              ;   in Loop: Header=BB17_6 Depth=1
	v_mov_b32_e32 v4, s18
	s_waitcnt vmcnt(0)
	v_mov_b32_e32 v5, v36
	v_mov_b32_e32 v3, v0
	s_or_b32 s6, s6, exec_lo
	s_or_b32 exec_lo, exec_lo, s19
	s_and_saveexec_b32 s18, s6
	s_cbranch_execz .LBB17_44
.LBB17_41:                              ;   in Loop: Header=BB17_6 Depth=1
	v_mul_lo_u32 v2, s42, v1
	s_mov_b32 s19, 0
	s_sub_i32 s6, 0, s17
.LBB17_42:                              ;   Parent Loop BB17_6 Depth=1
                                        ; =>  This Inner Loop Header: Depth=2
	global_load_ubyte v36, v2, s[40:41]
	v_mov_b32_e32 v6, v1
	ds_write_b8 v3, v5
	v_add_nc_u32_e32 v2, v2, v4
	v_add_nc_u32_e32 v1, s17, v6
	v_mov_b32_e32 v3, v6
	v_cmp_le_u32_e32 vcc_lo, s36, v1
	s_or_b32 s19, vcc_lo, s19
	s_waitcnt vmcnt(0)
	v_mov_b32_e32 v5, v36
	s_andn2_b32 exec_lo, exec_lo, s19
	s_cbranch_execnz .LBB17_42
; %bb.43:                               ;   in Loop: Header=BB17_6 Depth=1
	s_or_b32 exec_lo, exec_lo, s19
	v_add_nc_u32_e32 v2, s6, v1
.LBB17_44:                              ;   in Loop: Header=BB17_6 Depth=1
	s_or_b32 exec_lo, exec_lo, s18
.LBB17_45:                              ;   in Loop: Header=BB17_6 Depth=1
	s_or_b32 exec_lo, exec_lo, s16
	s_waitcnt vmcnt(0)
	ds_write_b8 v2, v36
.LBB17_46:                              ;   in Loop: Header=BB17_6 Depth=1
	s_or_b32 exec_lo, exec_lo, s14
	s_waitcnt lgkmcnt(0)
	s_barrier
	buffer_gl0_inv
	s_and_saveexec_b32 s6, s3
; %bb.47:                               ;   in Loop: Header=BB17_6 Depth=1
	v_mov_b32_e32 v1, s36
	ds_write_b32 v19, v1 offset:4096
; %bb.48:                               ;   in Loop: Header=BB17_6 Depth=1
	s_or_b32 exec_lo, exec_lo, s6
	s_mov_b32 s6, -1
	s_waitcnt lgkmcnt(0)
	s_barrier
.LBB17_49:                              ;   in Loop: Header=BB17_6 Depth=1
	s_and_b32 vcc_lo, exec_lo, s6
	s_mov_b32 s82, 0
	s_cbranch_vccz .LBB17_51
; %bb.50:                               ;   in Loop: Header=BB17_6 Depth=1
	buffer_gl0_inv
	ds_read_b32 v1, v19 offset:4096
	s_waitcnt lgkmcnt(0)
	v_readfirstlane_b32 s82, v1
.LBB17_51:                              ;   in Loop: Header=BB17_6 Depth=1
	s_cmp_lt_i32 s82, 1
	s_mov_b32 s6, -1
                                        ; implicit-def: $vgpr4
	s_cbranch_scc1 .LBB17_61
; %bb.52:                               ;   in Loop: Header=BB17_6 Depth=1
	s_and_b32 vcc_lo, exec_lo, s6
	s_cbranch_vccnz .LBB17_72
.LBB17_53:                              ;   in Loop: Header=BB17_6 Depth=1
	s_lshl_b32 s6, s71, 7
	s_and_saveexec_b32 s14, s0
.LBB17_54:                              ;   in Loop: Header=BB17_6 Depth=1
	v_lshl_add_u32 v5, s6, 2, v20
	ds_write_b128 v5, v[1:4]
.LBB17_55:                              ;   in Loop: Header=BB17_6 Depth=1
	s_or_b32 exec_lo, exec_lo, s14
	s_waitcnt lgkmcnt(0)
	s_barrier
	buffer_gl0_inv
	s_and_saveexec_b32 s14, s54
	s_cbranch_execz .LBB17_85
; %bb.56:                               ;   in Loop: Header=BB17_6 Depth=1
	v_mov_b32_e32 v1, 0
	s_andn2_b32 vcc_lo, exec_lo, s58
	s_cbranch_vccnz .LBB17_84
; %bb.57:                               ;   in Loop: Header=BB17_6 Depth=1
	s_andn2_b32 vcc_lo, exec_lo, s61
	s_cbranch_vccnz .LBB17_81
; %bb.58:                               ;   in Loop: Header=BB17_6 Depth=1
	v_lshl_add_u32 v2, s71, 9, v30
	v_mov_b32_e32 v1, 0
	s_mov_b32 s16, 0
	.p2align	6
.LBB17_59:                              ;   Parent Loop BB17_6 Depth=1
                                        ; =>  This Inner Loop Header: Depth=2
	ds_read2_b32 v[3:4], v2 offset1:4
	ds_read2_b32 v[5:6], v2 offset0:8 offset1:12
	ds_read2_b32 v[7:8], v2 offset0:16 offset1:20
	;; [unrolled: 1-line block ×3, first 2 shown]
	v_add_nc_u32_e32 v2, 0x80, v2
	s_add_i32 s16, s16, 8
	s_cmp_eq_u32 s56, s16
	s_waitcnt lgkmcnt(3)
	v_add3_u32 v1, v3, v1, v4
	s_waitcnt lgkmcnt(2)
	v_add3_u32 v1, v5, v1, v6
	;; [unrolled: 2-line block ×4, first 2 shown]
	s_cbranch_scc0 .LBB17_59
; %bb.60:                               ;   in Loop: Header=BB17_6 Depth=1
	s_mov_b32 s16, s56
	s_andn2_b32 vcc_lo, exec_lo, s62
	s_cbranch_vccz .LBB17_82
	s_branch .LBB17_84
.LBB17_61:                              ;   in Loop: Header=BB17_6 Depth=1
	v_mov_b32_e32 v1, 0
	v_mov_b32_e32 v2, 0
	;; [unrolled: 1-line block ×4, first 2 shown]
	s_and_saveexec_b32 s83, s11
	s_cbranch_execz .LBB17_65
; %bb.62:                               ;   in Loop: Header=BB17_6 Depth=1
	v_mov_b32_e32 v5, v16
	s_mov_b32 s84, 0
	s_mov_b32 s85, 0
	;; [unrolled: 1-line block ×6, first 2 shown]
.LBB17_63:                              ;   Parent Loop BB17_6 Depth=1
                                        ; =>  This Inner Loop Header: Depth=2
	v_add_nc_u32_e32 v1, s85, v28
	v_add_nc_u32_e32 v2, s85, v13
	;; [unrolled: 1-line block ×5, first 2 shown]
	s_clause 0x3
	global_load_sbyte v1, v1, s[40:41]
	global_load_sbyte v2, v2, s[40:41]
	;; [unrolled: 1-line block ×4, first 2 shown]
	s_add_i32 s85, s85, s70
	v_cmp_le_u32_e32 vcc_lo, s67, v5
	s_waitcnt vmcnt(3)
	v_add_nc_u32_e32 v1, 0x80, v1
	s_waitcnt vmcnt(2)
	v_add_nc_u32_e32 v2, 0x80, v2
	;; [unrolled: 2-line block ×4, first 2 shown]
	v_and_b32_e32 v6, v1, v33
	v_bfe_u32 v1, v1, s75, 2
	v_and_b32_e32 v7, v2, v33
	v_bfe_u32 v2, v2, s75, 2
	;; [unrolled: 2-line block ×3, first 2 shown]
	v_cmp_eq_u32_e64 s6, v6, v14
	v_cmp_eq_u32_e64 s18, 0, v1
	v_and_b32_e32 v36, v4, v33
	v_bfe_u32 v4, v4, s75, 2
	v_cmp_eq_u32_e64 s14, v7, v14
	v_cmp_eq_u32_e64 s19, 0, v2
	;; [unrolled: 1-line block ×4, first 2 shown]
	s_and_b32 s18, s6, s18
	v_cmp_eq_u32_e64 s17, v36, v14
	v_cmp_eq_u32_e64 s21, 0, v4
	;; [unrolled: 1-line block ×5, first 2 shown]
	v_cndmask_b32_e64 v1, 0, 1, s18
	s_and_b32 s18, s14, s19
	v_cmp_eq_u32_e64 s23, 1, v2
	v_cmp_eq_u32_e64 s27, 2, v2
	v_cmp_eq_u32_e64 s31, 3, v2
	v_cndmask_b32_e64 v2, 0, 1, s18
	s_and_b32 s18, s16, s20
	v_cmp_eq_u32_e64 s24, 1, v3
	v_cmp_eq_u32_e64 s28, 2, v3
	v_cmp_eq_u32_e64 s33, 3, v3
	;; [unrolled: 5-line block ×3, first 2 shown]
	v_cndmask_b32_e64 v4, 0, 1, s18
	s_and_b32 s18, s6, s22
	v_cndmask_b32_e64 v6, 0, 1, s18
	s_and_b32 s18, s14, s23
	;; [unrolled: 2-line block ×4, first 2 shown]
	v_cmp_ne_u32_e64 s19, 0, v7
	v_cndmask_b32_e64 v36, 0, 1, s18
	s_and_b32 s18, s6, s26
	s_and_b32 s6, s6, s30
	v_cndmask_b32_e64 v37, 0, 1, s18
	s_and_b32 s18, s14, s27
	v_cndmask_b32_e64 v41, 0, 1, s6
	;; [unrolled: 2-line block ×7, first 2 shown]
	v_cndmask_b32_e64 v44, 0, 1, s6
	v_cmp_ne_u32_e64 s6, 0, v1
	v_cmp_ne_u32_e64 s18, 0, v6
	;; [unrolled: 1-line block ×11, first 2 shown]
	s_bcnt1_i32_b32 s6, s6
	s_bcnt1_i32_b32 s18, s18
	s_bcnt1_i32_b32 s22, s22
	s_bcnt1_i32_b32 s26, s26
	v_cmp_ne_u32_e64 s17, 0, v4
	v_cmp_ne_u32_e64 s21, 0, v36
	v_cmp_ne_u32_e64 s25, 0, v40
	v_cmp_ne_u32_e64 s29, 0, v44
	s_bcnt1_i32_b32 s14, s14
	s_bcnt1_i32_b32 s19, s19
	s_bcnt1_i32_b32 s23, s23
	s_bcnt1_i32_b32 s27, s27
	s_add_i32 s6, s6, s89
	s_add_i32 s18, s18, s88
	s_add_i32 s22, s22, s87
	s_add_i32 s26, s26, s86
	s_bcnt1_i32_b32 s16, s16
	s_bcnt1_i32_b32 s20, s20
	s_bcnt1_i32_b32 s24, s24
	s_bcnt1_i32_b32 s28, s28
	s_add_i32 s6, s6, s14
	s_add_i32 s14, s18, s19
	s_add_i32 s18, s22, s23
	s_add_i32 s19, s26, s27
	;; [unrolled: 8-line block ×3, first 2 shown]
	s_add_i32 s89, s6, s17
	s_add_i32 s88, s14, s21
	;; [unrolled: 1-line block ×4, first 2 shown]
	v_mov_b32_e32 v1, s89
	v_mov_b32_e32 v2, s88
	;; [unrolled: 1-line block ×4, first 2 shown]
	s_or_b32 s84, vcc_lo, s84
	s_andn2_b32 exec_lo, exec_lo, s84
	s_cbranch_execnz .LBB17_63
; %bb.64:                               ;   in Loop: Header=BB17_6 Depth=1
	s_or_b32 exec_lo, exec_lo, s84
.LBB17_65:                              ;   in Loop: Header=BB17_6 Depth=1
	s_or_b32 exec_lo, exec_lo, s83
	s_and_saveexec_b32 s18, s12
	s_cbranch_execz .LBB17_71
; %bb.66:                               ;   in Loop: Header=BB17_6 Depth=1
	global_load_ubyte v8, v[11:12], off
	v_mov_b32_e32 v5, v29
	v_mov_b32_e32 v6, v24
	s_mov_b32 s19, 0
	s_branch .LBB17_68
.LBB17_67:                              ;   in Loop: Header=BB17_68 Depth=2
	s_or_b32 exec_lo, exec_lo, s14
	s_waitcnt vmcnt(0)
	v_add_nc_u32_sdwa v8, sext(v8), v31 dst_sel:DWORD dst_unused:UNUSED_PAD src0_sel:BYTE_0 src1_sel:DWORD
	s_and_b32 s14, exec_lo, vcc_lo
	v_add_nc_u32_e32 v5, s48, v5
	s_or_b32 s19, s14, s19
	v_and_b32_e32 v36, v8, v33
	v_bfe_u32 v8, v8, s75, 2
	v_cmp_eq_u32_e32 vcc_lo, v36, v14
	v_cmp_eq_u32_e64 s6, 0, v8
	v_cmp_eq_u32_e64 s14, 1, v8
	;; [unrolled: 1-line block ×4, first 2 shown]
	s_and_b32 s6, vcc_lo, s6
	v_cndmask_b32_e64 v8, 0, 1, s6
	s_and_b32 s6, vcc_lo, s14
	v_cndmask_b32_e64 v36, 0, 1, s6
	;; [unrolled: 2-line block ×3, first 2 shown]
	s_and_b32 s6, vcc_lo, s17
	v_cmp_ne_u32_e32 vcc_lo, 0, v8
	v_cndmask_b32_e64 v38, 0, 1, s6
	v_cmp_ne_u32_e64 s6, 0, v36
	v_cmp_ne_u32_e64 s14, 0, v37
	v_mov_b32_e32 v8, v7
	s_bcnt1_i32_b32 s17, vcc_lo
	v_cmp_ne_u32_e64 s16, 0, v38
	s_bcnt1_i32_b32 s6, s6
	s_bcnt1_i32_b32 s14, s14
	v_add_nc_u32_e32 v1, s17, v1
	v_add_nc_u32_e32 v2, s6, v2
	s_bcnt1_i32_b32 s16, s16
	v_add_nc_u32_e32 v3, s14, v3
	v_add_nc_u32_e32 v4, s16, v4
	s_andn2_b32 exec_lo, exec_lo, s19
	s_cbranch_execz .LBB17_70
.LBB17_68:                              ;   Parent Loop BB17_6 Depth=1
                                        ; =>  This Inner Loop Header: Depth=2
	v_add_nc_u32_e32 v6, s35, v6
	v_mov_b32_e32 v7, 0
	s_mov_b32 s14, exec_lo
	v_cmp_le_u32_e32 vcc_lo, s36, v6
	v_cmpx_gt_u32_e64 s36, v6
	s_cbranch_execz .LBB17_67
; %bb.69:                               ;   in Loop: Header=BB17_68 Depth=2
	global_load_ubyte v7, v5, s[40:41]
	s_branch .LBB17_67
.LBB17_70:                              ;   in Loop: Header=BB17_6 Depth=1
	s_or_b32 exec_lo, exec_lo, s19
.LBB17_71:                              ;   in Loop: Header=BB17_6 Depth=1
	s_or_b32 exec_lo, exec_lo, s18
	s_branch .LBB17_53
.LBB17_72:                              ;   in Loop: Header=BB17_6 Depth=1
	s_mul_hi_u32 s6, s82, s63
	v_mov_b32_e32 v1, 0
	s_mul_i32 s6, s6, s55
	v_mov_b32_e32 v2, 0
	s_sub_i32 s6, s82, s6
	v_mov_b32_e32 v3, 0
	s_sub_i32 s14, s6, s55
	s_cmp_ge_u32 s6, s55
	v_mov_b32_e32 v4, 0
	s_cselect_b32 s6, s14, s6
	s_mov_b32 s84, exec_lo
	s_sub_i32 s14, s6, s55
	s_cmp_ge_u32 s6, s55
	s_cselect_b32 s6, s14, s6
	s_sub_i32 s83, s82, s6
	v_cmpx_gt_u32_e64 s83, v16
	s_cbranch_execz .LBB17_76
; %bb.73:                               ;   in Loop: Header=BB17_6 Depth=1
	v_mov_b32_e32 v5, v16
	s_mov_b32 s85, 0
	s_mov_b32 s86, 0
	;; [unrolled: 1-line block ×5, first 2 shown]
.LBB17_74:                              ;   Parent Loop BB17_6 Depth=1
                                        ; =>  This Inner Loop Header: Depth=2
	ds_read_b32 v1, v5
	v_add_nc_u32_e32 v5, s55, v5
	v_cmp_le_u32_e32 vcc_lo, s83, v5
	s_waitcnt lgkmcnt(0)
	v_add_nc_u32_sdwa v2, sext(v1), v31 dst_sel:DWORD dst_unused:UNUSED_PAD src0_sel:BYTE_0 src1_sel:DWORD
	v_add_nc_u32_sdwa v3, sext(v1), v31 dst_sel:DWORD dst_unused:UNUSED_PAD src0_sel:BYTE_1 src1_sel:DWORD
	v_add_nc_u32_sdwa v4, sext(v1), v31 dst_sel:DWORD dst_unused:UNUSED_PAD src0_sel:BYTE_2 src1_sel:DWORD
	v_add_nc_u32_sdwa v1, sext(v1), v31 dst_sel:DWORD dst_unused:UNUSED_PAD src0_sel:BYTE_3 src1_sel:DWORD
	v_and_b32_e32 v6, v2, v33
	v_bfe_u32 v2, v2, s75, 2
	v_and_b32_e32 v7, v3, v33
	v_bfe_u32 v3, v3, s75, 2
	;; [unrolled: 2-line block ×3, first 2 shown]
	v_cmp_eq_u32_e64 s6, v6, v14
	v_cmp_eq_u32_e64 s18, 0, v2
	v_and_b32_e32 v36, v1, v33
	v_bfe_u32 v1, v1, s75, 2
	v_cmp_eq_u32_e64 s14, v7, v14
	v_cmp_eq_u32_e64 s19, 0, v3
	;; [unrolled: 1-line block ×4, first 2 shown]
	s_and_b32 s18, s6, s18
	v_cmp_eq_u32_e64 s17, v36, v14
	v_cmp_eq_u32_e64 s21, 0, v1
	;; [unrolled: 1-line block ×5, first 2 shown]
	v_cndmask_b32_e64 v1, 0, 1, s18
	s_and_b32 s18, s14, s19
	v_cmp_eq_u32_e64 s22, 1, v2
	v_cmp_eq_u32_e64 s26, 2, v2
	v_cmp_eq_u32_e64 s30, 3, v2
	v_cndmask_b32_e64 v2, 0, 1, s18
	s_and_b32 s18, s16, s20
	v_cmp_eq_u32_e64 s23, 1, v3
	v_cmp_eq_u32_e64 s27, 2, v3
	v_cmp_eq_u32_e64 s31, 3, v3
	;; [unrolled: 5-line block ×3, first 2 shown]
	v_cndmask_b32_e64 v4, 0, 1, s18
	s_and_b32 s18, s6, s22
	v_cndmask_b32_e64 v6, 0, 1, s18
	s_and_b32 s18, s14, s23
	;; [unrolled: 2-line block ×4, first 2 shown]
	v_cmp_ne_u32_e64 s19, 0, v7
	v_cndmask_b32_e64 v36, 0, 1, s18
	s_and_b32 s18, s6, s26
	s_and_b32 s6, s6, s30
	v_cndmask_b32_e64 v37, 0, 1, s18
	s_and_b32 s18, s14, s27
	v_cndmask_b32_e64 v41, 0, 1, s6
	;; [unrolled: 2-line block ×7, first 2 shown]
	v_cndmask_b32_e64 v44, 0, 1, s6
	v_cmp_ne_u32_e64 s6, 0, v1
	v_cmp_ne_u32_e64 s18, 0, v6
	;; [unrolled: 1-line block ×11, first 2 shown]
	s_bcnt1_i32_b32 s6, s6
	s_bcnt1_i32_b32 s18, s18
	;; [unrolled: 1-line block ×4, first 2 shown]
	v_cmp_ne_u32_e64 s17, 0, v4
	v_cmp_ne_u32_e64 s21, 0, v36
	;; [unrolled: 1-line block ×4, first 2 shown]
	s_bcnt1_i32_b32 s14, s14
	s_bcnt1_i32_b32 s19, s19
	s_bcnt1_i32_b32 s23, s23
	s_bcnt1_i32_b32 s27, s27
	s_add_i32 s6, s6, s89
	s_add_i32 s18, s18, s88
	s_add_i32 s22, s22, s87
	s_add_i32 s26, s26, s86
	s_bcnt1_i32_b32 s16, s16
	s_bcnt1_i32_b32 s20, s20
	s_bcnt1_i32_b32 s24, s24
	s_bcnt1_i32_b32 s28, s28
	s_add_i32 s6, s6, s14
	s_add_i32 s14, s18, s19
	s_add_i32 s18, s22, s23
	s_add_i32 s19, s26, s27
	;; [unrolled: 8-line block ×3, first 2 shown]
	s_add_i32 s89, s6, s17
	s_add_i32 s88, s14, s21
	;; [unrolled: 1-line block ×4, first 2 shown]
	v_mov_b32_e32 v1, s89
	v_mov_b32_e32 v2, s88
	;; [unrolled: 1-line block ×4, first 2 shown]
	s_or_b32 s85, vcc_lo, s85
	s_andn2_b32 exec_lo, exec_lo, s85
	s_cbranch_execnz .LBB17_74
; %bb.75:                               ;   in Loop: Header=BB17_6 Depth=1
	s_or_b32 exec_lo, exec_lo, s85
.LBB17_76:                              ;   in Loop: Header=BB17_6 Depth=1
	s_or_b32 exec_lo, exec_lo, s84
	v_add_nc_u32_e32 v5, s83, v0
	s_mov_b32 s19, exec_lo
	v_cmpx_gt_u32_e64 s82, v5
	s_cbranch_execz .LBB17_80
; %bb.77:                               ;   in Loop: Header=BB17_6 Depth=1
	s_mov_b32 s20, 0
.LBB17_78:                              ;   Parent Loop BB17_6 Depth=1
                                        ; =>  This Inner Loop Header: Depth=2
	ds_read_i8 v6, v5
	v_add_nc_u32_e32 v5, s35, v5
	v_cmp_le_u32_e32 vcc_lo, s82, v5
	s_waitcnt lgkmcnt(0)
	v_add_nc_u32_e32 v6, 0x80, v6
	v_and_b32_e32 v7, v6, v33
	v_bfe_u32 v6, v6, s75, 2
	v_cmp_eq_u32_e64 s6, v7, v14
	v_cmp_eq_u32_e64 s14, 0, v6
	;; [unrolled: 1-line block ×5, first 2 shown]
	s_and_b32 s14, s6, s14
	v_cndmask_b32_e64 v6, 0, 1, s14
	s_and_b32 s14, s6, s16
	v_cndmask_b32_e64 v7, 0, 1, s14
	s_and_b32 s14, s6, s17
	s_and_b32 s6, s6, s18
	v_cndmask_b32_e64 v8, 0, 1, s14
	v_cndmask_b32_e64 v36, 0, 1, s6
	v_cmp_ne_u32_e64 s6, 0, v6
	v_cmp_ne_u32_e64 s14, 0, v7
	v_cmp_ne_u32_e64 s16, 0, v8
	v_cmp_ne_u32_e64 s17, 0, v36
	s_bcnt1_i32_b32 s6, s6
	s_bcnt1_i32_b32 s14, s14
	v_add_nc_u32_e32 v1, s6, v1
	s_bcnt1_i32_b32 s16, s16
	s_bcnt1_i32_b32 s17, s17
	v_add_nc_u32_e32 v2, s14, v2
	v_add_nc_u32_e32 v3, s16, v3
	v_add_nc_u32_e32 v4, s17, v4
	s_or_b32 s20, vcc_lo, s20
	s_andn2_b32 exec_lo, exec_lo, s20
	s_cbranch_execnz .LBB17_78
; %bb.79:                               ;   in Loop: Header=BB17_6 Depth=1
	s_or_b32 exec_lo, exec_lo, s20
.LBB17_80:                              ;   in Loop: Header=BB17_6 Depth=1
	s_or_b32 exec_lo, exec_lo, s19
	s_lshl_b32 s6, s71, 7
	s_and_saveexec_b32 s14, s0
	s_cbranch_execnz .LBB17_54
	s_branch .LBB17_55
.LBB17_81:                              ;   in Loop: Header=BB17_6 Depth=1
	v_mov_b32_e32 v1, 0
	s_mov_b32 s16, 0
	s_andn2_b32 vcc_lo, exec_lo, s62
	s_cbranch_vccnz .LBB17_84
.LBB17_82:                              ;   in Loop: Header=BB17_6 Depth=1
	s_lshl_b32 s17, s71, 9
	s_lshl_b32 s16, s16, 4
	v_add3_u32 v2, s17, s16, v30
	s_mov_b32 s16, s60
.LBB17_83:                              ;   Parent Loop BB17_6 Depth=1
                                        ; =>  This Inner Loop Header: Depth=2
	ds_read_b32 v3, v2
	v_add_nc_u32_e32 v2, 16, v2
	s_add_i32 s16, s16, -1
	s_cmp_lg_u32 s16, 0
	s_waitcnt lgkmcnt(0)
	v_add_nc_u32_e32 v1, v3, v1
	s_cbranch_scc1 .LBB17_83
.LBB17_84:                              ;   in Loop: Header=BB17_6 Depth=1
	v_add_lshl_u32 v2, s6, v17, 2
	ds_write_b32 v2, v1 offset:3072
.LBB17_85:                              ;   in Loop: Header=BB17_6 Depth=1
	s_or_b32 exec_lo, exec_lo, s14
	s_lshl_b32 s6, s6, 2
	s_waitcnt lgkmcnt(0)
	v_mov_b32_e32 v1, s6
	s_barrier
	buffer_gl0_inv
	v_cmp_eq_u32_e64 s14, 1, v35
	s_lshl_b32 s18, 3, s75
	ds_read_b128 v[1:4], v1 offset:3072
	s_mov_b32 s27, -1
	s_not_b32 s19, s18
	s_mov_b32 s16, 0
	s_andn2_b32 vcc_lo, exec_lo, s53
	s_mov_b32 s24, 0
	s_mov_b32 s23, 0
                                        ; implicit-def: $sgpr25
                                        ; implicit-def: $sgpr26
                                        ; implicit-def: $vgpr5
	s_waitcnt lgkmcnt(0)
	v_readfirstlane_b32 s17, v1
	v_readfirstlane_b32 s20, v2
	v_readfirstlane_b32 s21, v3
	v_readfirstlane_b32 s22, v4
                                        ; implicit-def: $vgpr4
                                        ; implicit-def: $vgpr1
                                        ; implicit-def: $vgpr2
                                        ; implicit-def: $vgpr3
	s_cbranch_vccnz .LBB17_243
; %bb.86:                               ;   in Loop: Header=BB17_6 Depth=1
	s_cmp_eq_u32 s17, 1
	v_mov_b32_e32 v2, v14
	v_mov_b32_e32 v3, v33
	;; [unrolled: 1-line block ×3, first 2 shown]
	s_cselect_b32 s6, -1, 0
	s_mov_b32 s29, -1
	s_and_b32 s6, s6, s14
                                        ; implicit-def: $sgpr26
                                        ; implicit-def: $sgpr25
	s_and_saveexec_b32 s23, s6
	s_cbranch_execz .LBB17_112
; %bb.87:                               ;   in Loop: Header=BB17_6 Depth=1
	ds_read_b32 v1, v19 offset:4096
	s_waitcnt lgkmcnt(0)
	s_barrier
	buffer_gl0_inv
	v_readfirstlane_b32 s27, v1
	s_and_saveexec_b32 s24, s15
; %bb.88:                               ;   in Loop: Header=BB17_6 Depth=1
	ds_write_b8 v0, v19 offset:3072
; %bb.89:                               ;   in Loop: Header=BB17_6 Depth=1
	s_or_b32 exec_lo, exec_lo, s24
	v_and_b32_e32 v2, s19, v14
	v_or_b32_e32 v3, s18, v33
	s_mov_b32 s25, -1
	s_mov_b32 s26, 0
	s_cmp_eq_u32 s27, 0
	s_mov_b32 s24, 0
	s_mov_b32 s28, -1
	s_waitcnt lgkmcnt(0)
	s_barrier
	buffer_gl0_inv
                                        ; implicit-def: $vgpr5
	s_cbranch_scc1 .LBB17_100
; %bb.90:                               ;   in Loop: Header=BB17_6 Depth=1
	s_add_i32 s24, s27, s59
                                        ; implicit-def: $vgpr5
	s_mul_hi_u32 s28, s24, s66
	s_mul_i32 s28, s28, s35
	s_sub_i32 s28, s24, s28
	s_sub_i32 s29, s28, s35
	s_cmp_ge_u32 s28, s35
	s_cselect_b32 s28, s29, s28
	s_sub_i32 s29, s28, s35
	s_cmp_ge_u32 s28, s35
	s_cselect_b32 s28, s29, s28
	s_mov_b32 s29, exec_lo
	s_sub_i32 s30, s24, s28
	s_mov_b32 s28, 0
	s_mov_b32 s24, 0
	v_cmpx_gt_u32_e64 s30, v0
	s_cbranch_execz .LBB17_99
; %bb.91:                               ;   in Loop: Header=BB17_6 Depth=1
	v_mov_b32_e32 v1, v0
                                        ; implicit-def: $sgpr31
	s_inst_prefetch 0x1
	s_branch .LBB17_94
	.p2align	6
.LBB17_92:                              ;   in Loop: Header=BB17_94 Depth=2
	s_or_b32 exec_lo, exec_lo, s33
	s_waitcnt lgkmcnt(0)
	s_barrier
	buffer_gl0_inv
	ds_read_u16 v4, v19 offset:3072
	s_mov_b32 s34, -1
	s_waitcnt lgkmcnt(0)
	s_barrier
	buffer_gl0_inv
	v_cmp_ne_u32_sdwa s33, v4, v19 src0_sel:BYTE_0 src1_sel:DWORD
	s_and_b32 vcc_lo, exec_lo, s33
	s_mov_b32 s33, -1
	s_cbranch_vccz .LBB17_97
.LBB17_93:                              ;   in Loop: Header=BB17_94 Depth=2
	s_and_b32 s34, exec_lo, s34
	s_or_b32 s24, s34, s24
	s_andn2_b32 s31, s31, exec_lo
	s_and_b32 s33, s33, exec_lo
	s_or_b32 s31, s31, s33
	s_andn2_b32 exec_lo, exec_lo, s24
	s_cbranch_execz .LBB17_98
.LBB17_94:                              ;   Parent Loop BB17_6 Depth=1
                                        ; =>  This Inner Loop Header: Depth=2
	s_mov_b32 s33, exec_lo
	v_cmpx_gt_u32_e64 s27, v1
	s_cbranch_execz .LBB17_92
; %bb.95:                               ;   in Loop: Header=BB17_94 Depth=2
	ds_read_u8 v4, v1
	s_waitcnt lgkmcnt(0)
	v_add_nc_u32_sdwa v5, sext(v4), v31 dst_sel:DWORD dst_unused:UNUSED_PAD src0_sel:BYTE_0 src1_sel:DWORD
	v_and_b32_e32 v5, v5, v3
	v_cmp_eq_u32_e32 vcc_lo, v5, v2
	s_and_b32 exec_lo, exec_lo, vcc_lo
	s_cbranch_execz .LBB17_92
; %bb.96:                               ;   in Loop: Header=BB17_94 Depth=2
	v_lshlrev_b16 v4, 8, v4
	v_or_b32_e32 v4, 1, v4
	ds_write_b16 v19, v4 offset:3072
	s_branch .LBB17_92
.LBB17_97:                              ;   in Loop: Header=BB17_94 Depth=2
	v_add_nc_u32_e32 v1, s35, v1
	s_mov_b32 s33, 0
	v_cmp_le_u32_e32 vcc_lo, s30, v1
	s_orn2_b32 s34, vcc_lo, exec_lo
	s_branch .LBB17_93
.LBB17_98:                              ;   in Loop: Header=BB17_6 Depth=1
	s_inst_prefetch 0x2
	s_or_b32 exec_lo, exec_lo, s24
	v_lshrrev_b32_sdwa v5, v32, v4 dst_sel:DWORD dst_unused:UNUSED_PAD src0_sel:DWORD src1_sel:WORD_0
	s_and_b32 s24, s31, exec_lo
.LBB17_99:                              ;   in Loop: Header=BB17_6 Depth=1
	s_or_b32 exec_lo, exec_lo, s29
.LBB17_100:                             ;   in Loop: Header=BB17_6 Depth=1
	s_and_b32 vcc_lo, exec_lo, s28
	s_cbranch_vccz .LBB17_111
; %bb.101:                              ;   in Loop: Header=BB17_6 Depth=1
                                        ; implicit-def: $vgpr5
	s_and_saveexec_b32 s25, s13
	s_cbranch_execz .LBB17_110
; %bb.102:                              ;   in Loop: Header=BB17_6 Depth=1
	v_mov_b32_e32 v1, v18
	v_mov_b32_e32 v4, v0
	s_mov_b32 s26, 0
                                        ; implicit-def: $sgpr27
	s_inst_prefetch 0x1
	s_branch .LBB17_105
	.p2align	6
.LBB17_103:                             ;   in Loop: Header=BB17_105 Depth=2
	s_or_b32 exec_lo, exec_lo, s28
	s_waitcnt lgkmcnt(0)
	s_barrier
	buffer_gl0_inv
	ds_read_u16 v5, v19 offset:3072
	s_mov_b32 s28, -1
	s_waitcnt lgkmcnt(0)
	s_barrier
	buffer_gl0_inv
	v_cmp_ne_u32_sdwa s29, v5, v19 src0_sel:BYTE_0 src1_sel:DWORD
	s_and_b32 vcc_lo, exec_lo, s29
	s_mov_b32 s29, -1
	s_cbranch_vccz .LBB17_108
.LBB17_104:                             ;   in Loop: Header=BB17_105 Depth=2
	s_and_b32 s28, exec_lo, s28
	s_or_b32 s26, s28, s26
	s_andn2_b32 s27, s27, exec_lo
	s_and_b32 s28, s29, exec_lo
	s_or_b32 s27, s27, s28
	s_andn2_b32 exec_lo, exec_lo, s26
	s_cbranch_execz .LBB17_109
.LBB17_105:                             ;   Parent Loop BB17_6 Depth=1
                                        ; =>  This Inner Loop Header: Depth=2
	s_mov_b32 s28, exec_lo
	v_cmpx_gt_u32_e64 s36, v4
	s_cbranch_execz .LBB17_103
; %bb.106:                              ;   in Loop: Header=BB17_105 Depth=2
	global_load_ubyte v5, v1, s[40:41]
	s_waitcnt vmcnt(0)
	v_add_nc_u32_sdwa v6, sext(v5), v31 dst_sel:DWORD dst_unused:UNUSED_PAD src0_sel:BYTE_0 src1_sel:DWORD
	v_and_b32_e32 v6, v6, v3
	v_cmp_eq_u32_e32 vcc_lo, v6, v2
	s_and_b32 exec_lo, exec_lo, vcc_lo
	s_cbranch_execz .LBB17_103
; %bb.107:                              ;   in Loop: Header=BB17_105 Depth=2
	v_lshlrev_b16 v5, 8, v5
	v_or_b32_e32 v5, 1, v5
	ds_write_b16 v19, v5 offset:3072
	s_branch .LBB17_103
.LBB17_108:                             ;   in Loop: Header=BB17_105 Depth=2
	v_add_nc_u32_e32 v4, s35, v4
	v_add_nc_u32_e32 v1, s48, v1
	s_mov_b32 s29, 0
	v_cmp_le_u32_e32 vcc_lo, s68, v4
	s_orn2_b32 s28, vcc_lo, exec_lo
	s_branch .LBB17_104
.LBB17_109:                             ;   in Loop: Header=BB17_6 Depth=1
	s_inst_prefetch 0x2
	s_or_b32 exec_lo, exec_lo, s26
	v_lshrrev_b32_sdwa v5, v32, v5 dst_sel:DWORD dst_unused:UNUSED_PAD src0_sel:DWORD src1_sel:WORD_0
	s_andn2_b32 s24, s24, exec_lo
	s_and_b32 s26, s27, exec_lo
	s_or_b32 s24, s24, s26
.LBB17_110:                             ;   in Loop: Header=BB17_6 Depth=1
	s_or_b32 exec_lo, exec_lo, s25
	s_mov_b32 s25, 0
	s_mov_b32 s26, -1
.LBB17_111:                             ;   in Loop: Header=BB17_6 Depth=1
	s_orn2_b32 s29, s24, exec_lo
.LBB17_112:                             ;   in Loop: Header=BB17_6 Depth=1
	s_or_b32 exec_lo, exec_lo, s23
	s_mov_b32 s27, 0
	s_mov_b32 s24, 0
	;; [unrolled: 1-line block ×3, first 2 shown]
                                        ; implicit-def: $vgpr4
                                        ; implicit-def: $vgpr1
	s_and_saveexec_b32 s28, s29
	s_cbranch_execz .LBB17_242
; %bb.113:                              ;   in Loop: Header=BB17_6 Depth=1
	v_mov_b32_e32 v4, 1
	v_mov_b32_e32 v1, 1
	s_xor_b32 s23, s6, -1
	s_mov_b32 s30, 0
	s_and_saveexec_b32 s6, s23
	s_cbranch_execz .LBB17_122
; %bb.114:                              ;   in Loop: Header=BB17_6 Depth=1
	s_mov_b32 s23, exec_lo
	v_cmpx_ge_u32_e64 s17, v35
	s_xor_b32 s23, exec_lo, s23
	s_cbranch_execz .LBB17_119
; %bb.115:                              ;   in Loop: Header=BB17_6 Depth=1
	ds_read_b32 v1, v19 offset:4096
	v_and_b32_e32 v2, s19, v2
	v_or_b32_e32 v3, s18, v3
	s_waitcnt lgkmcnt(0)
	v_cmp_ne_u32_e32 vcc_lo, 0, v1
	s_cbranch_vccnz .LBB17_119
; %bb.116:                              ;   in Loop: Header=BB17_6 Depth=1
	s_and_saveexec_b32 s24, s3
; %bb.117:                              ;   in Loop: Header=BB17_6 Depth=1
	v_mov_b32_e32 v1, s17
	ds_write_b32 v19, v1 offset:4100
; %bb.118:                              ;   in Loop: Header=BB17_6 Depth=1
	s_or_b32 exec_lo, exec_lo, s24
	s_waitcnt lgkmcnt(0)
	s_barrier
	buffer_gl0_inv
.LBB17_119:                             ;   in Loop: Header=BB17_6 Depth=1
	s_or_saveexec_b32 s23, s23
	v_mov_b32_e32 v1, 8
	v_mov_b32_e32 v4, v35
	s_mov_b32 s24, 0
	s_xor_b32 exec_lo, exec_lo, s23
; %bb.120:                              ;   in Loop: Header=BB17_6 Depth=1
	v_subrev_nc_u32_e32 v4, s17, v35
	v_mov_b32_e32 v1, 0
	s_mov_b32 s24, exec_lo
; %bb.121:                              ;   in Loop: Header=BB17_6 Depth=1
	s_or_b32 exec_lo, exec_lo, s23
	s_and_b32 s30, s24, exec_lo
.LBB17_122:                             ;   in Loop: Header=BB17_6 Depth=1
	s_or_b32 exec_lo, exec_lo, s6
	s_mov_b32 s29, -1
                                        ; implicit-def: $sgpr23
                                        ; implicit-def: $sgpr24
	s_and_saveexec_b32 s6, s30
	s_xor_b32 s6, exec_lo, s6
	s_cbranch_execz .LBB17_239
; %bb.123:                              ;   in Loop: Header=BB17_6 Depth=1
	v_cmp_eq_u32_e32 vcc_lo, 1, v4
	s_cmp_eq_u32 s20, 1
	s_mov_b32 s31, -1
	s_cselect_b32 s23, -1, 0
                                        ; implicit-def: $sgpr24
	s_and_b32 s30, s23, vcc_lo
                                        ; implicit-def: $sgpr23
	s_and_saveexec_b32 s29, s30
	s_cbranch_execz .LBB17_149
; %bb.124:                              ;   in Loop: Header=BB17_6 Depth=1
	ds_read_b32 v5, v19 offset:4096
	s_waitcnt lgkmcnt(0)
	s_barrier
	buffer_gl0_inv
	v_readfirstlane_b32 s33, v5
	s_and_saveexec_b32 s23, s15
; %bb.125:                              ;   in Loop: Header=BB17_6 Depth=1
	ds_write_b8 v0, v19 offset:3072
; %bb.126:                              ;   in Loop: Header=BB17_6 Depth=1
	s_or_b32 exec_lo, exec_lo, s23
	s_lshl_b32 s23, 1, s75
	v_or_b32_e32 v3, s18, v3
	v_and_or_b32 v2, v2, s19, s23
	s_mov_b32 s23, -1
	s_mov_b32 s24, 0
	s_cmp_eq_u32 s33, 0
	s_mov_b32 s31, 0
	s_mov_b32 s34, -1
	s_waitcnt lgkmcnt(0)
	s_barrier
	buffer_gl0_inv
                                        ; implicit-def: $vgpr5
	s_cbranch_scc1 .LBB17_137
; %bb.127:                              ;   in Loop: Header=BB17_6 Depth=1
	s_add_i32 s31, s33, s59
                                        ; implicit-def: $vgpr5
	s_mul_hi_u32 s34, s31, s66
	s_mul_i32 s34, s34, s35
	s_sub_i32 s34, s31, s34
	s_sub_i32 s82, s34, s35
	s_cmp_ge_u32 s34, s35
	s_cselect_b32 s34, s82, s34
	s_sub_i32 s82, s34, s35
	s_cmp_ge_u32 s34, s35
	s_cselect_b32 s34, s82, s34
	s_mov_b32 s82, exec_lo
	s_sub_i32 s83, s31, s34
	s_mov_b32 s34, 0
	s_mov_b32 s31, 0
	v_cmpx_gt_u32_e64 s83, v0
	s_cbranch_execz .LBB17_136
; %bb.128:                              ;   in Loop: Header=BB17_6 Depth=1
	v_mov_b32_e32 v5, v0
                                        ; implicit-def: $sgpr84
	s_inst_prefetch 0x1
	s_branch .LBB17_131
	.p2align	6
.LBB17_129:                             ;   in Loop: Header=BB17_131 Depth=2
	s_or_b32 exec_lo, exec_lo, s85
	s_waitcnt lgkmcnt(0)
	s_barrier
	buffer_gl0_inv
	ds_read_u16 v6, v19 offset:3072
	s_mov_b32 s86, -1
	s_waitcnt lgkmcnt(0)
	s_barrier
	buffer_gl0_inv
	v_cmp_ne_u32_sdwa s85, v6, v19 src0_sel:BYTE_0 src1_sel:DWORD
	s_and_b32 vcc_lo, exec_lo, s85
	s_mov_b32 s85, -1
	s_cbranch_vccz .LBB17_134
.LBB17_130:                             ;   in Loop: Header=BB17_131 Depth=2
	s_and_b32 s86, exec_lo, s86
	s_or_b32 s31, s86, s31
	s_andn2_b32 s84, s84, exec_lo
	s_and_b32 s85, s85, exec_lo
	s_or_b32 s84, s84, s85
	s_andn2_b32 exec_lo, exec_lo, s31
	s_cbranch_execz .LBB17_135
.LBB17_131:                             ;   Parent Loop BB17_6 Depth=1
                                        ; =>  This Inner Loop Header: Depth=2
	s_mov_b32 s85, exec_lo
	v_cmpx_gt_u32_e64 s33, v5
	s_cbranch_execz .LBB17_129
; %bb.132:                              ;   in Loop: Header=BB17_131 Depth=2
	ds_read_u8 v6, v5
	s_waitcnt lgkmcnt(0)
	v_add_nc_u32_sdwa v7, sext(v6), v31 dst_sel:DWORD dst_unused:UNUSED_PAD src0_sel:BYTE_0 src1_sel:DWORD
	v_and_b32_e32 v7, v7, v3
	v_cmp_eq_u32_e32 vcc_lo, v7, v2
	s_and_b32 exec_lo, exec_lo, vcc_lo
	s_cbranch_execz .LBB17_129
; %bb.133:                              ;   in Loop: Header=BB17_131 Depth=2
	v_lshlrev_b16 v6, 8, v6
	v_or_b32_e32 v6, 1, v6
	ds_write_b16 v19, v6 offset:3072
	s_branch .LBB17_129
.LBB17_134:                             ;   in Loop: Header=BB17_131 Depth=2
	v_add_nc_u32_e32 v5, s35, v5
	s_mov_b32 s85, 0
	v_cmp_le_u32_e32 vcc_lo, s83, v5
	s_orn2_b32 s86, vcc_lo, exec_lo
	s_branch .LBB17_130
.LBB17_135:                             ;   in Loop: Header=BB17_6 Depth=1
	s_inst_prefetch 0x2
	s_or_b32 exec_lo, exec_lo, s31
	v_lshrrev_b32_sdwa v5, v32, v6 dst_sel:DWORD dst_unused:UNUSED_PAD src0_sel:DWORD src1_sel:WORD_0
	s_and_b32 s31, s84, exec_lo
.LBB17_136:                             ;   in Loop: Header=BB17_6 Depth=1
	s_or_b32 exec_lo, exec_lo, s82
.LBB17_137:                             ;   in Loop: Header=BB17_6 Depth=1
	s_and_b32 vcc_lo, exec_lo, s34
	s_cbranch_vccz .LBB17_148
; %bb.138:                              ;   in Loop: Header=BB17_6 Depth=1
                                        ; implicit-def: $vgpr5
	s_and_saveexec_b32 s23, s13
	s_cbranch_execz .LBB17_147
; %bb.139:                              ;   in Loop: Header=BB17_6 Depth=1
	v_mov_b32_e32 v5, v18
	v_mov_b32_e32 v6, v0
	s_mov_b32 s24, 0
                                        ; implicit-def: $sgpr33
	s_inst_prefetch 0x1
	s_branch .LBB17_142
	.p2align	6
.LBB17_140:                             ;   in Loop: Header=BB17_142 Depth=2
	s_or_b32 exec_lo, exec_lo, s34
	s_waitcnt lgkmcnt(0)
	s_barrier
	buffer_gl0_inv
	ds_read_u16 v7, v19 offset:3072
	s_mov_b32 s34, -1
	s_waitcnt lgkmcnt(0)
	s_barrier
	buffer_gl0_inv
	v_cmp_eq_u32_sdwa s82, v7, v19 src0_sel:BYTE_0 src1_sel:DWORD
	s_and_b32 vcc_lo, exec_lo, s82
	s_mov_b32 s82, -1
	s_cbranch_vccnz .LBB17_145
.LBB17_141:                             ;   in Loop: Header=BB17_142 Depth=2
	s_and_b32 s34, exec_lo, s34
	s_or_b32 s24, s34, s24
	s_andn2_b32 s33, s33, exec_lo
	s_and_b32 s34, s82, exec_lo
	s_or_b32 s33, s33, s34
	s_andn2_b32 exec_lo, exec_lo, s24
	s_cbranch_execz .LBB17_146
.LBB17_142:                             ;   Parent Loop BB17_6 Depth=1
                                        ; =>  This Inner Loop Header: Depth=2
	s_mov_b32 s34, exec_lo
	v_cmpx_gt_u32_e64 s36, v6
	s_cbranch_execz .LBB17_140
; %bb.143:                              ;   in Loop: Header=BB17_142 Depth=2
	global_load_ubyte v7, v5, s[40:41]
	s_waitcnt vmcnt(0)
	v_add_nc_u32_sdwa v8, sext(v7), v31 dst_sel:DWORD dst_unused:UNUSED_PAD src0_sel:BYTE_0 src1_sel:DWORD
	v_and_b32_e32 v8, v8, v3
	v_cmp_eq_u32_e32 vcc_lo, v8, v2
	s_and_b32 exec_lo, exec_lo, vcc_lo
	s_cbranch_execz .LBB17_140
; %bb.144:                              ;   in Loop: Header=BB17_142 Depth=2
	v_lshlrev_b16 v7, 8, v7
	v_or_b32_e32 v7, 1, v7
	ds_write_b16 v19, v7 offset:3072
	s_branch .LBB17_140
.LBB17_145:                             ;   in Loop: Header=BB17_142 Depth=2
	v_add_nc_u32_e32 v6, s35, v6
	v_add_nc_u32_e32 v5, s48, v5
	s_mov_b32 s82, 0
	v_cmp_le_u32_e32 vcc_lo, s68, v6
	s_orn2_b32 s34, vcc_lo, exec_lo
	s_branch .LBB17_141
.LBB17_146:                             ;   in Loop: Header=BB17_6 Depth=1
	s_inst_prefetch 0x2
	s_or_b32 exec_lo, exec_lo, s24
	v_lshrrev_b32_sdwa v5, v32, v7 dst_sel:DWORD dst_unused:UNUSED_PAD src0_sel:DWORD src1_sel:WORD_0
	s_andn2_b32 s24, s31, exec_lo
	s_and_b32 s31, s33, exec_lo
	s_or_b32 s31, s24, s31
.LBB17_147:                             ;   in Loop: Header=BB17_6 Depth=1
	s_or_b32 exec_lo, exec_lo, s23
	s_mov_b32 s23, 0
	s_mov_b32 s24, -1
.LBB17_148:                             ;   in Loop: Header=BB17_6 Depth=1
	s_orn2_b32 s31, s31, exec_lo
.LBB17_149:                             ;   in Loop: Header=BB17_6 Depth=1
	s_or_b32 exec_lo, exec_lo, s29
	s_mov_b32 s33, 0
	s_and_saveexec_b32 s29, s31
	s_cbranch_execz .LBB17_238
; %bb.150:                              ;   in Loop: Header=BB17_6 Depth=1
	v_mov_b32_e32 v6, 1
	v_mov_b32_e32 v1, 1
	s_xor_b32 s31, s30, -1
	s_mov_b32 s82, 0
	s_and_saveexec_b32 s30, s31
	s_cbranch_execz .LBB17_159
; %bb.151:                              ;   in Loop: Header=BB17_6 Depth=1
	s_mov_b32 s31, exec_lo
	v_cmpx_ge_u32_e64 s20, v4
	s_xor_b32 s31, exec_lo, s31
	s_cbranch_execz .LBB17_156
; %bb.152:                              ;   in Loop: Header=BB17_6 Depth=1
	ds_read_b32 v1, v19 offset:4096
	s_lshl_b32 s33, 1, s75
	v_or_b32_e32 v3, s18, v3
	v_and_or_b32 v2, v2, s19, s33
	s_waitcnt lgkmcnt(0)
	v_cmp_ne_u32_e32 vcc_lo, 0, v1
	s_cbranch_vccnz .LBB17_156
; %bb.153:                              ;   in Loop: Header=BB17_6 Depth=1
	s_and_saveexec_b32 s33, s3
; %bb.154:                              ;   in Loop: Header=BB17_6 Depth=1
	v_mov_b32_e32 v1, s20
	ds_write_b32 v19, v1 offset:4100
; %bb.155:                              ;   in Loop: Header=BB17_6 Depth=1
	s_or_b32 exec_lo, exec_lo, s33
	s_waitcnt lgkmcnt(0)
	s_barrier
	buffer_gl0_inv
.LBB17_156:                             ;   in Loop: Header=BB17_6 Depth=1
	s_or_saveexec_b32 s31, s31
	v_mov_b32_e32 v1, 8
	s_mov_b32 s33, 0
	s_xor_b32 exec_lo, exec_lo, s31
; %bb.157:                              ;   in Loop: Header=BB17_6 Depth=1
	v_subrev_nc_u32_e32 v4, s20, v4
	v_mov_b32_e32 v1, 0
	s_mov_b32 s33, exec_lo
; %bb.158:                              ;   in Loop: Header=BB17_6 Depth=1
	s_or_b32 exec_lo, exec_lo, s31
	v_mov_b32_e32 v6, v4
	s_and_b32 s82, s33, exec_lo
.LBB17_159:                             ;   in Loop: Header=BB17_6 Depth=1
	s_or_b32 exec_lo, exec_lo, s30
	s_mov_b32 s34, -1
                                        ; implicit-def: $sgpr31
                                        ; implicit-def: $sgpr33
	s_and_saveexec_b32 s30, s82
	s_cbranch_execz .LBB17_237
; %bb.160:                              ;   in Loop: Header=BB17_6 Depth=1
	v_cmp_eq_u32_e32 vcc_lo, 1, v6
	s_cmp_eq_u32 s21, 1
	s_mov_b32 s83, -1
	s_cselect_b32 s31, -1, 0
                                        ; implicit-def: $sgpr33
	s_and_b32 s82, s31, vcc_lo
                                        ; implicit-def: $sgpr31
	s_and_saveexec_b32 s34, s82
	s_cbranch_execz .LBB17_186
; %bb.161:                              ;   in Loop: Header=BB17_6 Depth=1
	ds_read_b32 v4, v19 offset:4096
	s_waitcnt lgkmcnt(0)
	s_barrier
	buffer_gl0_inv
	v_readfirstlane_b32 s84, v4
	s_and_saveexec_b32 s31, s15
; %bb.162:                              ;   in Loop: Header=BB17_6 Depth=1
	ds_write_b8 v0, v19 offset:3072
; %bb.163:                              ;   in Loop: Header=BB17_6 Depth=1
	s_or_b32 exec_lo, exec_lo, s31
	s_lshl_b32 s31, 2, s75
	v_or_b32_e32 v3, s18, v3
	v_and_or_b32 v2, v2, s19, s31
	s_mov_b32 s31, -1
	s_mov_b32 s33, 0
	s_cmp_eq_u32 s84, 0
	s_mov_b32 s83, 0
	s_mov_b32 s85, -1
	s_waitcnt lgkmcnt(0)
	s_barrier
	buffer_gl0_inv
                                        ; implicit-def: $vgpr5
	s_cbranch_scc1 .LBB17_174
; %bb.164:                              ;   in Loop: Header=BB17_6 Depth=1
	s_add_i32 s83, s84, s59
                                        ; implicit-def: $vgpr5
	s_mul_hi_u32 s85, s83, s66
	s_mul_i32 s85, s85, s35
	s_sub_i32 s85, s83, s85
	s_sub_i32 s86, s85, s35
	s_cmp_ge_u32 s85, s35
	s_cselect_b32 s85, s86, s85
	s_sub_i32 s86, s85, s35
	s_cmp_ge_u32 s85, s35
	s_cselect_b32 s85, s86, s85
	s_mov_b32 s86, exec_lo
	s_sub_i32 s87, s83, s85
	s_mov_b32 s85, 0
	s_mov_b32 s83, 0
	v_cmpx_gt_u32_e64 s87, v0
	s_cbranch_execz .LBB17_173
; %bb.165:                              ;   in Loop: Header=BB17_6 Depth=1
	v_mov_b32_e32 v4, v0
                                        ; implicit-def: $sgpr88
	s_inst_prefetch 0x1
	s_branch .LBB17_168
	.p2align	6
.LBB17_166:                             ;   in Loop: Header=BB17_168 Depth=2
	s_or_b32 exec_lo, exec_lo, s89
	s_waitcnt lgkmcnt(0)
	s_barrier
	buffer_gl0_inv
	ds_read_u16 v5, v19 offset:3072
	s_mov_b32 s90, -1
	s_waitcnt lgkmcnt(0)
	s_barrier
	buffer_gl0_inv
	v_cmp_ne_u32_sdwa s89, v5, v19 src0_sel:BYTE_0 src1_sel:DWORD
	s_and_b32 vcc_lo, exec_lo, s89
	s_mov_b32 s89, -1
	s_cbranch_vccz .LBB17_171
.LBB17_167:                             ;   in Loop: Header=BB17_168 Depth=2
	s_and_b32 s90, exec_lo, s90
	s_or_b32 s83, s90, s83
	s_andn2_b32 s88, s88, exec_lo
	s_and_b32 s89, s89, exec_lo
	s_or_b32 s88, s88, s89
	s_andn2_b32 exec_lo, exec_lo, s83
	s_cbranch_execz .LBB17_172
.LBB17_168:                             ;   Parent Loop BB17_6 Depth=1
                                        ; =>  This Inner Loop Header: Depth=2
	s_mov_b32 s89, exec_lo
	v_cmpx_gt_u32_e64 s84, v4
	s_cbranch_execz .LBB17_166
; %bb.169:                              ;   in Loop: Header=BB17_168 Depth=2
	ds_read_u8 v5, v4
	s_waitcnt lgkmcnt(0)
	v_add_nc_u32_sdwa v7, sext(v5), v31 dst_sel:DWORD dst_unused:UNUSED_PAD src0_sel:BYTE_0 src1_sel:DWORD
	v_and_b32_e32 v7, v7, v3
	v_cmp_eq_u32_e32 vcc_lo, v7, v2
	s_and_b32 exec_lo, exec_lo, vcc_lo
	s_cbranch_execz .LBB17_166
; %bb.170:                              ;   in Loop: Header=BB17_168 Depth=2
	v_lshlrev_b16 v5, 8, v5
	v_or_b32_e32 v5, 1, v5
	ds_write_b16 v19, v5 offset:3072
	s_branch .LBB17_166
.LBB17_171:                             ;   in Loop: Header=BB17_168 Depth=2
	v_add_nc_u32_e32 v4, s35, v4
	s_mov_b32 s89, 0
	v_cmp_le_u32_e32 vcc_lo, s87, v4
	s_orn2_b32 s90, vcc_lo, exec_lo
	s_branch .LBB17_167
.LBB17_172:                             ;   in Loop: Header=BB17_6 Depth=1
	s_inst_prefetch 0x2
	s_or_b32 exec_lo, exec_lo, s83
	v_lshrrev_b32_sdwa v5, v32, v5 dst_sel:DWORD dst_unused:UNUSED_PAD src0_sel:DWORD src1_sel:WORD_0
	s_and_b32 s83, s88, exec_lo
.LBB17_173:                             ;   in Loop: Header=BB17_6 Depth=1
	s_or_b32 exec_lo, exec_lo, s86
.LBB17_174:                             ;   in Loop: Header=BB17_6 Depth=1
	s_and_b32 vcc_lo, exec_lo, s85
	s_cbranch_vccz .LBB17_185
; %bb.175:                              ;   in Loop: Header=BB17_6 Depth=1
                                        ; implicit-def: $vgpr5
	s_and_saveexec_b32 s31, s13
	s_cbranch_execz .LBB17_184
; %bb.176:                              ;   in Loop: Header=BB17_6 Depth=1
	v_mov_b32_e32 v4, v18
	v_mov_b32_e32 v5, v0
	s_mov_b32 s33, 0
                                        ; implicit-def: $sgpr84
	s_inst_prefetch 0x1
	s_branch .LBB17_179
	.p2align	6
.LBB17_177:                             ;   in Loop: Header=BB17_179 Depth=2
	s_or_b32 exec_lo, exec_lo, s85
	s_waitcnt lgkmcnt(0)
	s_barrier
	buffer_gl0_inv
	ds_read_u16 v7, v19 offset:3072
	s_mov_b32 s85, -1
	s_waitcnt lgkmcnt(0)
	s_barrier
	buffer_gl0_inv
	v_cmp_eq_u32_sdwa s86, v7, v19 src0_sel:BYTE_0 src1_sel:DWORD
	s_and_b32 vcc_lo, exec_lo, s86
	s_mov_b32 s86, -1
	s_cbranch_vccnz .LBB17_182
.LBB17_178:                             ;   in Loop: Header=BB17_179 Depth=2
	s_and_b32 s85, exec_lo, s85
	s_or_b32 s33, s85, s33
	s_andn2_b32 s84, s84, exec_lo
	s_and_b32 s85, s86, exec_lo
	s_or_b32 s84, s84, s85
	s_andn2_b32 exec_lo, exec_lo, s33
	s_cbranch_execz .LBB17_183
.LBB17_179:                             ;   Parent Loop BB17_6 Depth=1
                                        ; =>  This Inner Loop Header: Depth=2
	s_mov_b32 s85, exec_lo
	v_cmpx_gt_u32_e64 s36, v5
	s_cbranch_execz .LBB17_177
; %bb.180:                              ;   in Loop: Header=BB17_179 Depth=2
	global_load_ubyte v7, v4, s[40:41]
	s_waitcnt vmcnt(0)
	v_add_nc_u32_sdwa v8, sext(v7), v31 dst_sel:DWORD dst_unused:UNUSED_PAD src0_sel:BYTE_0 src1_sel:DWORD
	v_and_b32_e32 v8, v8, v3
	v_cmp_eq_u32_e32 vcc_lo, v8, v2
	s_and_b32 exec_lo, exec_lo, vcc_lo
	s_cbranch_execz .LBB17_177
; %bb.181:                              ;   in Loop: Header=BB17_179 Depth=2
	v_lshlrev_b16 v7, 8, v7
	v_or_b32_e32 v7, 1, v7
	ds_write_b16 v19, v7 offset:3072
	s_branch .LBB17_177
.LBB17_182:                             ;   in Loop: Header=BB17_179 Depth=2
	v_add_nc_u32_e32 v5, s35, v5
	v_add_nc_u32_e32 v4, s48, v4
	s_mov_b32 s86, 0
	v_cmp_le_u32_e32 vcc_lo, s68, v5
	s_orn2_b32 s85, vcc_lo, exec_lo
	s_branch .LBB17_178
.LBB17_183:                             ;   in Loop: Header=BB17_6 Depth=1
	s_inst_prefetch 0x2
	s_or_b32 exec_lo, exec_lo, s33
	v_lshrrev_b32_sdwa v5, v32, v7 dst_sel:DWORD dst_unused:UNUSED_PAD src0_sel:DWORD src1_sel:WORD_0
	s_andn2_b32 s33, s83, exec_lo
	s_and_b32 s83, s84, exec_lo
	s_or_b32 s83, s33, s83
.LBB17_184:                             ;   in Loop: Header=BB17_6 Depth=1
	s_or_b32 exec_lo, exec_lo, s31
	s_mov_b32 s31, 0
	s_mov_b32 s33, -1
.LBB17_185:                             ;   in Loop: Header=BB17_6 Depth=1
	s_orn2_b32 s83, s83, exec_lo
.LBB17_186:                             ;   in Loop: Header=BB17_6 Depth=1
	s_or_b32 exec_lo, exec_lo, s34
	s_mov_b32 s84, 0
	s_and_saveexec_b32 s34, s83
	s_cbranch_execz .LBB17_236
; %bb.187:                              ;   in Loop: Header=BB17_6 Depth=1
	v_mov_b32_e32 v4, 1
	v_mov_b32_e32 v1, 1
	s_xor_b32 s83, s82, -1
	s_mov_b32 s86, 0
	s_and_saveexec_b32 s82, s83
	s_cbranch_execz .LBB17_196
; %bb.188:                              ;   in Loop: Header=BB17_6 Depth=1
	s_mov_b32 s83, exec_lo
	v_cmpx_ge_u32_e64 s21, v6
	s_xor_b32 s83, exec_lo, s83
	s_cbranch_execz .LBB17_193
; %bb.189:                              ;   in Loop: Header=BB17_6 Depth=1
	ds_read_b32 v1, v19 offset:4096
	s_lshl_b32 s84, 2, s75
	v_or_b32_e32 v3, s18, v3
	v_and_or_b32 v2, v2, s19, s84
	s_waitcnt lgkmcnt(0)
	v_cmp_ne_u32_e32 vcc_lo, 0, v1
	s_cbranch_vccnz .LBB17_193
; %bb.190:                              ;   in Loop: Header=BB17_6 Depth=1
	s_and_saveexec_b32 s84, s3
; %bb.191:                              ;   in Loop: Header=BB17_6 Depth=1
	v_mov_b32_e32 v1, s21
	ds_write_b32 v19, v1 offset:4100
; %bb.192:                              ;   in Loop: Header=BB17_6 Depth=1
	s_or_b32 exec_lo, exec_lo, s84
	s_waitcnt lgkmcnt(0)
	s_barrier
	buffer_gl0_inv
.LBB17_193:                             ;   in Loop: Header=BB17_6 Depth=1
	s_or_saveexec_b32 s83, s83
	v_mov_b32_e32 v1, 8
	s_mov_b32 s84, 0
	s_xor_b32 exec_lo, exec_lo, s83
; %bb.194:                              ;   in Loop: Header=BB17_6 Depth=1
	v_subrev_nc_u32_e32 v6, s21, v6
	v_mov_b32_e32 v1, 0
	s_mov_b32 s84, exec_lo
; %bb.195:                              ;   in Loop: Header=BB17_6 Depth=1
	s_or_b32 exec_lo, exec_lo, s83
	v_mov_b32_e32 v4, v6
	s_and_b32 s86, s84, exec_lo
.LBB17_196:                             ;   in Loop: Header=BB17_6 Depth=1
	s_or_b32 exec_lo, exec_lo, s82
	s_mov_b32 s85, -1
                                        ; implicit-def: $sgpr84
                                        ; implicit-def: $sgpr83
	s_and_saveexec_b32 s82, s86
	s_cbranch_execz .LBB17_235
; %bb.197:                              ;   in Loop: Header=BB17_6 Depth=1
	v_cmp_eq_u32_e32 vcc_lo, 1, v4
	s_cmp_eq_u32 s22, 1
	s_mov_b32 s87, -1
	s_cselect_b32 s83, -1, 0
                                        ; implicit-def: $sgpr84
	s_and_b32 s85, s83, vcc_lo
                                        ; implicit-def: $sgpr83
	s_and_saveexec_b32 s86, s85
	s_cbranch_execz .LBB17_223
; %bb.198:                              ;   in Loop: Header=BB17_6 Depth=1
	ds_read_b32 v5, v19 offset:4096
	s_waitcnt lgkmcnt(0)
	s_barrier
	buffer_gl0_inv
	v_readfirstlane_b32 s88, v5
	s_and_saveexec_b32 s83, s15
; %bb.199:                              ;   in Loop: Header=BB17_6 Depth=1
	ds_write_b8 v0, v19 offset:3072
; %bb.200:                              ;   in Loop: Header=BB17_6 Depth=1
	s_or_b32 exec_lo, exec_lo, s83
	v_or_b32_e32 v2, s18, v2
	v_or_b32_e32 v3, s18, v3
	s_mov_b32 s83, -1
	s_mov_b32 s84, 0
	s_cmp_eq_u32 s88, 0
	s_mov_b32 s87, 0
	s_mov_b32 s89, -1
	s_waitcnt lgkmcnt(0)
	s_barrier
	buffer_gl0_inv
                                        ; implicit-def: $vgpr5
	s_cbranch_scc1 .LBB17_211
; %bb.201:                              ;   in Loop: Header=BB17_6 Depth=1
	s_add_i32 s87, s88, s59
                                        ; implicit-def: $vgpr5
	s_mul_hi_u32 s89, s87, s66
	s_mul_i32 s89, s89, s35
	s_sub_i32 s89, s87, s89
	s_sub_i32 s90, s89, s35
	s_cmp_ge_u32 s89, s35
	s_cselect_b32 s89, s90, s89
	s_sub_i32 s90, s89, s35
	s_cmp_ge_u32 s89, s35
	s_cselect_b32 s89, s90, s89
	s_mov_b32 s90, exec_lo
	s_sub_i32 s91, s87, s89
	s_mov_b32 s89, 0
	s_mov_b32 s87, 0
	v_cmpx_gt_u32_e64 s91, v0
	s_cbranch_execz .LBB17_210
; %bb.202:                              ;   in Loop: Header=BB17_6 Depth=1
	v_mov_b32_e32 v5, v0
                                        ; implicit-def: $sgpr92
	s_inst_prefetch 0x1
	s_branch .LBB17_205
	.p2align	6
.LBB17_203:                             ;   in Loop: Header=BB17_205 Depth=2
	s_or_b32 exec_lo, exec_lo, s93
	s_waitcnt lgkmcnt(0)
	s_barrier
	buffer_gl0_inv
	ds_read_u16 v6, v19 offset:3072
	s_mov_b32 s94, -1
	s_waitcnt lgkmcnt(0)
	s_barrier
	buffer_gl0_inv
	v_cmp_ne_u32_sdwa s93, v6, v19 src0_sel:BYTE_0 src1_sel:DWORD
	s_and_b32 vcc_lo, exec_lo, s93
	s_mov_b32 s93, -1
	s_cbranch_vccz .LBB17_208
.LBB17_204:                             ;   in Loop: Header=BB17_205 Depth=2
	s_and_b32 s94, exec_lo, s94
	s_or_b32 s87, s94, s87
	s_andn2_b32 s92, s92, exec_lo
	s_and_b32 s93, s93, exec_lo
	s_or_b32 s92, s92, s93
	s_andn2_b32 exec_lo, exec_lo, s87
	s_cbranch_execz .LBB17_209
.LBB17_205:                             ;   Parent Loop BB17_6 Depth=1
                                        ; =>  This Inner Loop Header: Depth=2
	s_mov_b32 s93, exec_lo
	v_cmpx_gt_u32_e64 s88, v5
	s_cbranch_execz .LBB17_203
; %bb.206:                              ;   in Loop: Header=BB17_205 Depth=2
	ds_read_u8 v6, v5
	s_waitcnt lgkmcnt(0)
	v_add_nc_u32_sdwa v7, sext(v6), v31 dst_sel:DWORD dst_unused:UNUSED_PAD src0_sel:BYTE_0 src1_sel:DWORD
	v_and_b32_e32 v7, v7, v3
	v_cmp_eq_u32_e32 vcc_lo, v7, v2
	s_and_b32 exec_lo, exec_lo, vcc_lo
	s_cbranch_execz .LBB17_203
; %bb.207:                              ;   in Loop: Header=BB17_205 Depth=2
	v_lshlrev_b16 v6, 8, v6
	v_or_b32_e32 v6, 1, v6
	ds_write_b16 v19, v6 offset:3072
	s_branch .LBB17_203
.LBB17_208:                             ;   in Loop: Header=BB17_205 Depth=2
	v_add_nc_u32_e32 v5, s35, v5
	s_mov_b32 s93, 0
	v_cmp_le_u32_e32 vcc_lo, s91, v5
	s_orn2_b32 s94, vcc_lo, exec_lo
	s_branch .LBB17_204
.LBB17_209:                             ;   in Loop: Header=BB17_6 Depth=1
	s_inst_prefetch 0x2
	s_or_b32 exec_lo, exec_lo, s87
	v_lshrrev_b32_sdwa v5, v32, v6 dst_sel:DWORD dst_unused:UNUSED_PAD src0_sel:DWORD src1_sel:WORD_0
	s_and_b32 s87, s92, exec_lo
.LBB17_210:                             ;   in Loop: Header=BB17_6 Depth=1
	s_or_b32 exec_lo, exec_lo, s90
.LBB17_211:                             ;   in Loop: Header=BB17_6 Depth=1
	s_and_b32 vcc_lo, exec_lo, s89
	s_cbranch_vccz .LBB17_222
; %bb.212:                              ;   in Loop: Header=BB17_6 Depth=1
                                        ; implicit-def: $vgpr5
	s_and_saveexec_b32 s83, s13
	s_cbranch_execz .LBB17_221
; %bb.213:                              ;   in Loop: Header=BB17_6 Depth=1
	v_mov_b32_e32 v5, v18
	v_mov_b32_e32 v6, v0
	s_mov_b32 s84, 0
                                        ; implicit-def: $sgpr88
	s_inst_prefetch 0x1
	s_branch .LBB17_216
	.p2align	6
.LBB17_214:                             ;   in Loop: Header=BB17_216 Depth=2
	s_or_b32 exec_lo, exec_lo, s89
	s_waitcnt lgkmcnt(0)
	s_barrier
	buffer_gl0_inv
	ds_read_u16 v7, v19 offset:3072
	s_mov_b32 s89, -1
	s_waitcnt lgkmcnt(0)
	s_barrier
	buffer_gl0_inv
	v_cmp_eq_u32_sdwa s90, v7, v19 src0_sel:BYTE_0 src1_sel:DWORD
	s_and_b32 vcc_lo, exec_lo, s90
	s_mov_b32 s90, -1
	s_cbranch_vccnz .LBB17_219
.LBB17_215:                             ;   in Loop: Header=BB17_216 Depth=2
	s_and_b32 s89, exec_lo, s89
	s_or_b32 s84, s89, s84
	s_andn2_b32 s88, s88, exec_lo
	s_and_b32 s89, s90, exec_lo
	s_or_b32 s88, s88, s89
	s_andn2_b32 exec_lo, exec_lo, s84
	s_cbranch_execz .LBB17_220
.LBB17_216:                             ;   Parent Loop BB17_6 Depth=1
                                        ; =>  This Inner Loop Header: Depth=2
	s_mov_b32 s89, exec_lo
	v_cmpx_gt_u32_e64 s36, v6
	s_cbranch_execz .LBB17_214
; %bb.217:                              ;   in Loop: Header=BB17_216 Depth=2
	global_load_ubyte v7, v5, s[40:41]
	s_waitcnt vmcnt(0)
	v_add_nc_u32_sdwa v8, sext(v7), v31 dst_sel:DWORD dst_unused:UNUSED_PAD src0_sel:BYTE_0 src1_sel:DWORD
	v_and_b32_e32 v8, v8, v3
	v_cmp_eq_u32_e32 vcc_lo, v8, v2
	s_and_b32 exec_lo, exec_lo, vcc_lo
	s_cbranch_execz .LBB17_214
; %bb.218:                              ;   in Loop: Header=BB17_216 Depth=2
	v_lshlrev_b16 v7, 8, v7
	v_or_b32_e32 v7, 1, v7
	ds_write_b16 v19, v7 offset:3072
	s_branch .LBB17_214
.LBB17_219:                             ;   in Loop: Header=BB17_216 Depth=2
	v_add_nc_u32_e32 v6, s35, v6
	v_add_nc_u32_e32 v5, s48, v5
	s_mov_b32 s90, 0
	v_cmp_le_u32_e32 vcc_lo, s68, v6
	s_orn2_b32 s89, vcc_lo, exec_lo
	s_branch .LBB17_215
.LBB17_220:                             ;   in Loop: Header=BB17_6 Depth=1
	s_inst_prefetch 0x2
	s_or_b32 exec_lo, exec_lo, s84
	v_lshrrev_b32_sdwa v5, v32, v7 dst_sel:DWORD dst_unused:UNUSED_PAD src0_sel:DWORD src1_sel:WORD_0
	s_andn2_b32 s84, s87, exec_lo
	s_and_b32 s87, s88, exec_lo
	s_or_b32 s87, s84, s87
.LBB17_221:                             ;   in Loop: Header=BB17_6 Depth=1
	s_or_b32 exec_lo, exec_lo, s83
	s_mov_b32 s83, 0
	s_mov_b32 s84, -1
.LBB17_222:                             ;   in Loop: Header=BB17_6 Depth=1
	s_orn2_b32 s87, s87, exec_lo
.LBB17_223:                             ;   in Loop: Header=BB17_6 Depth=1
	s_or_b32 exec_lo, exec_lo, s86
	s_mov_b32 s88, 0
	s_and_saveexec_b32 s86, s87
	s_cbranch_execz .LBB17_234
; %bb.224:                              ;   in Loop: Header=BB17_6 Depth=1
	v_mov_b32_e32 v1, 1
	v_mov_b32_e32 v6, 1
	s_xor_b32 s87, s85, -1
	s_and_saveexec_b32 s85, s87
	s_cbranch_execz .LBB17_233
; %bb.225:                              ;   in Loop: Header=BB17_6 Depth=1
	s_mov_b32 s87, exec_lo
	v_cmpx_ge_u32_e64 s22, v4
	s_xor_b32 s87, exec_lo, s87
	s_cbranch_execz .LBB17_230
; %bb.226:                              ;   in Loop: Header=BB17_6 Depth=1
	ds_read_b32 v1, v19 offset:4096
	v_or_b32_e32 v2, s18, v2
	v_or_b32_e32 v3, s18, v3
	s_waitcnt lgkmcnt(0)
	v_cmp_ne_u32_e32 vcc_lo, 0, v1
	s_cbranch_vccnz .LBB17_230
; %bb.227:                              ;   in Loop: Header=BB17_6 Depth=1
	s_and_saveexec_b32 s88, s3
; %bb.228:                              ;   in Loop: Header=BB17_6 Depth=1
	v_mov_b32_e32 v1, s22
	ds_write_b32 v19, v1 offset:4100
; %bb.229:                              ;   in Loop: Header=BB17_6 Depth=1
	s_or_b32 exec_lo, exec_lo, s88
	s_waitcnt lgkmcnt(0)
	s_barrier
	buffer_gl0_inv
.LBB17_230:                             ;   in Loop: Header=BB17_6 Depth=1
	s_andn2_saveexec_b32 s87, s87
; %bb.231:                              ;   in Loop: Header=BB17_6 Depth=1
	v_subrev_nc_u32_e32 v4, s22, v4
; %bb.232:                              ;   in Loop: Header=BB17_6 Depth=1
	s_or_b32 exec_lo, exec_lo, s87
	v_mov_b32_e32 v1, 8
	v_mov_b32_e32 v6, v4
.LBB17_233:                             ;   in Loop: Header=BB17_6 Depth=1
	s_or_b32 exec_lo, exec_lo, s85
	v_mov_b32_e32 v4, v6
	s_mov_b32 s88, exec_lo
.LBB17_234:                             ;   in Loop: Header=BB17_6 Depth=1
	s_or_b32 exec_lo, exec_lo, s86
	s_orn2_b32 s85, s88, exec_lo
.LBB17_235:                             ;   in Loop: Header=BB17_6 Depth=1
	s_or_b32 exec_lo, exec_lo, s82
	v_mov_b32_e32 v6, v4
	s_andn2_b32 s33, s33, exec_lo
	s_and_b32 s82, s84, exec_lo
	s_andn2_b32 s31, s31, exec_lo
	s_and_b32 s83, s83, exec_lo
	s_or_b32 s33, s33, s82
	s_or_b32 s31, s31, s83
	s_and_b32 s84, s85, exec_lo
.LBB17_236:                             ;   in Loop: Header=BB17_6 Depth=1
	s_or_b32 exec_lo, exec_lo, s34
	s_orn2_b32 s34, s84, exec_lo
.LBB17_237:                             ;   in Loop: Header=BB17_6 Depth=1
	s_or_b32 exec_lo, exec_lo, s30
	v_mov_b32_e32 v4, v6
	s_andn2_b32 s24, s24, exec_lo
	s_and_b32 s30, s33, exec_lo
	s_andn2_b32 s23, s23, exec_lo
	s_and_b32 s31, s31, exec_lo
	s_or_b32 s24, s24, s30
	s_or_b32 s23, s23, s31
	s_and_b32 s33, s34, exec_lo
.LBB17_238:                             ;   in Loop: Header=BB17_6 Depth=1
	s_or_b32 exec_lo, exec_lo, s29
	s_orn2_b32 s29, s33, exec_lo
.LBB17_239:                             ;   in Loop: Header=BB17_6 Depth=1
	s_or_b32 exec_lo, exec_lo, s6
	s_mov_b32 s6, 0
	s_mov_b32 s30, 0
	s_and_saveexec_b32 s31, s29
	s_xor_b32 s29, exec_lo, s31
; %bb.240:                              ;   in Loop: Header=BB17_6 Depth=1
	v_cmp_ne_u32_e32 vcc_lo, 8, v1
	v_cmp_eq_u32_e64 s6, 8, v1
	s_and_b32 s30, vcc_lo, exec_lo
	s_and_b32 s6, s6, exec_lo
; %bb.241:                              ;   in Loop: Header=BB17_6 Depth=1
	s_or_b32 exec_lo, exec_lo, s29
	s_andn2_b32 s26, s26, exec_lo
	s_and_b32 s24, s24, exec_lo
	s_andn2_b32 s25, s25, exec_lo
	s_and_b32 s23, s23, exec_lo
	s_or_b32 s26, s26, s24
	s_or_b32 s25, s25, s23
	s_and_b32 s23, s30, exec_lo
	s_and_b32 s24, s6, exec_lo
.LBB17_242:                             ;   in Loop: Header=BB17_6 Depth=1
	s_or_b32 exec_lo, exec_lo, s28
.LBB17_243:                             ;   in Loop: Header=BB17_6 Depth=1
	s_and_b32 vcc_lo, exec_lo, s27
	s_cbranch_vccz .LBB17_256
; %bb.244:                              ;   in Loop: Header=BB17_6 Depth=1
	s_cmp_eq_u32 s22, 1
	s_mov_b32 s26, -1
	s_cselect_b32 s6, -1, 0
                                        ; implicit-def: $sgpr16
	s_and_b32 s6, s6, s14
                                        ; implicit-def: $sgpr14
	s_and_saveexec_b32 s25, s6
	s_cbranch_execz .LBB17_271
; %bb.245:                              ;   in Loop: Header=BB17_6 Depth=1
	ds_read_b32 v1, v19 offset:4096
	s_waitcnt lgkmcnt(0)
	s_barrier
	buffer_gl0_inv
	v_readfirstlane_b32 s27, v1
	s_and_saveexec_b32 s14, s15
; %bb.246:                              ;   in Loop: Header=BB17_6 Depth=1
	ds_write_b8 v0, v19 offset:3072
; %bb.247:                              ;   in Loop: Header=BB17_6 Depth=1
	s_or_b32 exec_lo, exec_lo, s14
	v_or_b32_e32 v14, s18, v14
	v_or_b32_e32 v33, s18, v33
	s_mov_b32 s16, -1
	s_mov_b32 s14, 0
	s_cmp_eq_u32 s27, 0
	s_mov_b32 s26, 0
	s_mov_b32 s28, -1
	s_waitcnt lgkmcnt(0)
	s_barrier
	buffer_gl0_inv
                                        ; implicit-def: $vgpr34
	s_cbranch_scc1 .LBB17_259
; %bb.248:                              ;   in Loop: Header=BB17_6 Depth=1
	s_add_i32 s26, s27, s59
                                        ; implicit-def: $vgpr34
	s_mul_hi_u32 s28, s26, s66
	s_mul_i32 s28, s28, s35
	s_sub_i32 s28, s26, s28
	s_sub_i32 s29, s28, s35
	s_cmp_ge_u32 s28, s35
	s_cselect_b32 s28, s29, s28
	s_sub_i32 s29, s28, s35
	s_cmp_ge_u32 s28, s35
	s_cselect_b32 s28, s29, s28
	s_mov_b32 s29, exec_lo
	s_sub_i32 s30, s26, s28
	s_mov_b32 s28, 0
	s_mov_b32 s26, 0
	v_cmpx_gt_u32_e64 s30, v0
	s_cbranch_execz .LBB17_258
; %bb.249:                              ;   in Loop: Header=BB17_6 Depth=1
	v_mov_b32_e32 v1, v0
                                        ; implicit-def: $sgpr31
	s_inst_prefetch 0x1
	s_branch .LBB17_252
	.p2align	6
.LBB17_250:                             ;   in Loop: Header=BB17_252 Depth=2
	s_or_b32 exec_lo, exec_lo, s33
	s_waitcnt lgkmcnt(0)
	s_barrier
	buffer_gl0_inv
	ds_read_u16 v2, v19 offset:3072
	s_mov_b32 s34, -1
	s_waitcnt lgkmcnt(0)
	s_barrier
	buffer_gl0_inv
	v_cmp_ne_u32_sdwa s33, v2, v19 src0_sel:BYTE_0 src1_sel:DWORD
	s_and_b32 vcc_lo, exec_lo, s33
	s_mov_b32 s33, -1
	s_cbranch_vccz .LBB17_255
.LBB17_251:                             ;   in Loop: Header=BB17_252 Depth=2
	s_and_b32 s34, exec_lo, s34
	s_or_b32 s26, s34, s26
	s_andn2_b32 s31, s31, exec_lo
	s_and_b32 s33, s33, exec_lo
	s_or_b32 s31, s31, s33
	s_andn2_b32 exec_lo, exec_lo, s26
	s_cbranch_execz .LBB17_257
.LBB17_252:                             ;   Parent Loop BB17_6 Depth=1
                                        ; =>  This Inner Loop Header: Depth=2
	s_mov_b32 s33, exec_lo
	v_cmpx_gt_u32_e64 s27, v1
	s_cbranch_execz .LBB17_250
; %bb.253:                              ;   in Loop: Header=BB17_252 Depth=2
	ds_read_u8 v2, v1
	s_waitcnt lgkmcnt(0)
	v_add_nc_u32_sdwa v3, sext(v2), v31 dst_sel:DWORD dst_unused:UNUSED_PAD src0_sel:BYTE_0 src1_sel:DWORD
	v_and_b32_e32 v3, v3, v33
	v_cmp_eq_u32_e32 vcc_lo, v3, v14
	s_and_b32 exec_lo, exec_lo, vcc_lo
	s_cbranch_execz .LBB17_250
; %bb.254:                              ;   in Loop: Header=BB17_252 Depth=2
	v_lshlrev_b16 v2, 8, v2
	v_or_b32_e32 v2, 1, v2
	ds_write_b16 v19, v2 offset:3072
	s_branch .LBB17_250
.LBB17_255:                             ;   in Loop: Header=BB17_252 Depth=2
	v_add_nc_u32_e32 v1, s35, v1
	s_mov_b32 s33, 0
	v_cmp_le_u32_e32 vcc_lo, s30, v1
	s_orn2_b32 s34, vcc_lo, exec_lo
	s_branch .LBB17_251
.LBB17_256:                             ;   in Loop: Header=BB17_6 Depth=1
	v_mov_b32_e32 v14, v2
	v_mov_b32_e32 v33, v3
	v_mov_b32_e32 v34, v5
	s_mov_b32 s14, 0
	s_and_saveexec_b32 s6, s24
	s_cbranch_execnz .LBB17_402
	s_branch .LBB17_403
.LBB17_257:                             ;   in Loop: Header=BB17_6 Depth=1
	s_inst_prefetch 0x2
	s_or_b32 exec_lo, exec_lo, s26
	v_lshrrev_b32_sdwa v34, v32, v2 dst_sel:DWORD dst_unused:UNUSED_PAD src0_sel:DWORD src1_sel:WORD_0
	s_and_b32 s26, s31, exec_lo
.LBB17_258:                             ;   in Loop: Header=BB17_6 Depth=1
	s_or_b32 exec_lo, exec_lo, s29
.LBB17_259:                             ;   in Loop: Header=BB17_6 Depth=1
	s_and_b32 vcc_lo, exec_lo, s28
	s_cbranch_vccz .LBB17_270
; %bb.260:                              ;   in Loop: Header=BB17_6 Depth=1
                                        ; implicit-def: $vgpr34
	s_and_saveexec_b32 s14, s13
	s_cbranch_execz .LBB17_269
; %bb.261:                              ;   in Loop: Header=BB17_6 Depth=1
	v_mov_b32_e32 v1, v18
	v_mov_b32_e32 v2, v0
	s_mov_b32 s16, 0
                                        ; implicit-def: $sgpr27
	s_inst_prefetch 0x1
	s_branch .LBB17_264
	.p2align	6
.LBB17_262:                             ;   in Loop: Header=BB17_264 Depth=2
	s_or_b32 exec_lo, exec_lo, s28
	s_waitcnt lgkmcnt(0)
	s_barrier
	buffer_gl0_inv
	ds_read_u16 v3, v19 offset:3072
	s_mov_b32 s28, -1
	s_waitcnt lgkmcnt(0)
	s_barrier
	buffer_gl0_inv
	v_cmp_ne_u32_sdwa s29, v3, v19 src0_sel:BYTE_0 src1_sel:DWORD
	s_and_b32 vcc_lo, exec_lo, s29
	s_mov_b32 s29, -1
	s_cbranch_vccz .LBB17_267
.LBB17_263:                             ;   in Loop: Header=BB17_264 Depth=2
	s_and_b32 s28, exec_lo, s28
	s_or_b32 s16, s28, s16
	s_andn2_b32 s27, s27, exec_lo
	s_and_b32 s28, s29, exec_lo
	s_or_b32 s27, s27, s28
	s_andn2_b32 exec_lo, exec_lo, s16
	s_cbranch_execz .LBB17_268
.LBB17_264:                             ;   Parent Loop BB17_6 Depth=1
                                        ; =>  This Inner Loop Header: Depth=2
	s_mov_b32 s28, exec_lo
	v_cmpx_gt_u32_e64 s36, v2
	s_cbranch_execz .LBB17_262
; %bb.265:                              ;   in Loop: Header=BB17_264 Depth=2
	global_load_ubyte v3, v1, s[40:41]
	s_waitcnt vmcnt(0)
	v_add_nc_u32_sdwa v4, sext(v3), v31 dst_sel:DWORD dst_unused:UNUSED_PAD src0_sel:BYTE_0 src1_sel:DWORD
	v_and_b32_e32 v4, v4, v33
	v_cmp_eq_u32_e32 vcc_lo, v4, v14
	s_and_b32 exec_lo, exec_lo, vcc_lo
	s_cbranch_execz .LBB17_262
; %bb.266:                              ;   in Loop: Header=BB17_264 Depth=2
	v_lshlrev_b16 v3, 8, v3
	v_or_b32_e32 v3, 1, v3
	ds_write_b16 v19, v3 offset:3072
	s_branch .LBB17_262
.LBB17_267:                             ;   in Loop: Header=BB17_264 Depth=2
	v_add_nc_u32_e32 v2, s35, v2
	v_add_nc_u32_e32 v1, s48, v1
	s_mov_b32 s29, 0
	v_cmp_le_u32_e32 vcc_lo, s68, v2
	s_orn2_b32 s28, vcc_lo, exec_lo
	s_branch .LBB17_263
.LBB17_268:                             ;   in Loop: Header=BB17_6 Depth=1
	s_inst_prefetch 0x2
	s_or_b32 exec_lo, exec_lo, s16
	v_lshrrev_b32_sdwa v34, v32, v3 dst_sel:DWORD dst_unused:UNUSED_PAD src0_sel:DWORD src1_sel:WORD_0
	s_andn2_b32 s16, s26, exec_lo
	s_and_b32 s26, s27, exec_lo
	s_or_b32 s26, s16, s26
.LBB17_269:                             ;   in Loop: Header=BB17_6 Depth=1
	s_or_b32 exec_lo, exec_lo, s14
	s_mov_b32 s16, 0
	s_mov_b32 s14, -1
.LBB17_270:                             ;   in Loop: Header=BB17_6 Depth=1
	s_orn2_b32 s26, s26, exec_lo
.LBB17_271:                             ;   in Loop: Header=BB17_6 Depth=1
	s_or_b32 exec_lo, exec_lo, s25
                                        ; implicit-def: $vgpr4
                                        ; implicit-def: $vgpr1
	s_and_saveexec_b32 s25, s26
	s_cbranch_execz .LBB17_401
; %bb.272:                              ;   in Loop: Header=BB17_6 Depth=1
	v_mov_b32_e32 v4, 1
	v_mov_b32_e32 v1, 1
	s_xor_b32 s26, s6, -1
	s_mov_b32 s28, 0
	s_and_saveexec_b32 s6, s26
	s_cbranch_execz .LBB17_281
; %bb.273:                              ;   in Loop: Header=BB17_6 Depth=1
	s_mov_b32 s26, exec_lo
	v_cmpx_ge_u32_e64 s22, v35
	s_xor_b32 s26, exec_lo, s26
	s_cbranch_execz .LBB17_278
; %bb.274:                              ;   in Loop: Header=BB17_6 Depth=1
	ds_read_b32 v1, v19 offset:4096
	v_or_b32_e32 v14, s18, v14
	v_or_b32_e32 v33, s18, v33
	s_waitcnt lgkmcnt(0)
	v_cmp_ne_u32_e32 vcc_lo, 0, v1
	s_cbranch_vccnz .LBB17_278
; %bb.275:                              ;   in Loop: Header=BB17_6 Depth=1
	s_and_saveexec_b32 s27, s3
; %bb.276:                              ;   in Loop: Header=BB17_6 Depth=1
	v_mov_b32_e32 v1, s22
	ds_write_b32 v19, v1 offset:4100
; %bb.277:                              ;   in Loop: Header=BB17_6 Depth=1
	s_or_b32 exec_lo, exec_lo, s27
	s_waitcnt lgkmcnt(0)
	s_barrier
	buffer_gl0_inv
.LBB17_278:                             ;   in Loop: Header=BB17_6 Depth=1
	s_or_saveexec_b32 s26, s26
	v_mov_b32_e32 v1, 5
	s_mov_b32 s27, 0
	s_xor_b32 exec_lo, exec_lo, s26
; %bb.279:                              ;   in Loop: Header=BB17_6 Depth=1
	v_subrev_nc_u32_e32 v35, s22, v35
	v_mov_b32_e32 v1, 0
	s_mov_b32 s27, exec_lo
; %bb.280:                              ;   in Loop: Header=BB17_6 Depth=1
	s_or_b32 exec_lo, exec_lo, s26
	v_mov_b32_e32 v4, v35
	s_and_b32 s28, s27, exec_lo
.LBB17_281:                             ;   in Loop: Header=BB17_6 Depth=1
	s_or_b32 exec_lo, exec_lo, s6
	s_mov_b32 s27, -1
                                        ; implicit-def: $sgpr22
                                        ; implicit-def: $sgpr26
	s_and_saveexec_b32 s6, s28
	s_xor_b32 s6, exec_lo, s6
	s_cbranch_execz .LBB17_398
; %bb.282:                              ;   in Loop: Header=BB17_6 Depth=1
	v_cmp_eq_u32_e32 vcc_lo, 1, v4
	s_cmp_eq_u32 s21, 1
	s_mov_b32 s29, -1
	s_cselect_b32 s22, -1, 0
                                        ; implicit-def: $sgpr26
	s_and_b32 s28, s22, vcc_lo
                                        ; implicit-def: $sgpr22
	s_and_saveexec_b32 s27, s28
	s_cbranch_execz .LBB17_308
; %bb.283:                              ;   in Loop: Header=BB17_6 Depth=1
	ds_read_b32 v2, v19 offset:4096
	s_waitcnt lgkmcnt(0)
	s_barrier
	buffer_gl0_inv
	v_readfirstlane_b32 s30, v2
	s_and_saveexec_b32 s22, s15
; %bb.284:                              ;   in Loop: Header=BB17_6 Depth=1
	ds_write_b8 v0, v19 offset:3072
; %bb.285:                              ;   in Loop: Header=BB17_6 Depth=1
	s_or_b32 exec_lo, exec_lo, s22
	s_lshl_b32 s22, 2, s75
	v_or_b32_e32 v33, s18, v33
	v_and_or_b32 v14, v14, s19, s22
	s_mov_b32 s22, -1
	s_mov_b32 s26, 0
	s_cmp_eq_u32 s30, 0
	s_mov_b32 s29, 0
	s_mov_b32 s31, -1
	s_waitcnt lgkmcnt(0)
	s_barrier
	buffer_gl0_inv
                                        ; implicit-def: $vgpr34
	s_cbranch_scc1 .LBB17_296
; %bb.286:                              ;   in Loop: Header=BB17_6 Depth=1
	s_add_i32 s29, s30, s59
                                        ; implicit-def: $vgpr34
	s_mul_hi_u32 s31, s29, s66
	s_mul_i32 s31, s31, s35
	s_sub_i32 s31, s29, s31
	s_sub_i32 s33, s31, s35
	s_cmp_ge_u32 s31, s35
	s_cselect_b32 s31, s33, s31
	s_sub_i32 s33, s31, s35
	s_cmp_ge_u32 s31, s35
	s_cselect_b32 s31, s33, s31
	s_mov_b32 s33, exec_lo
	s_sub_i32 s34, s29, s31
	s_mov_b32 s31, 0
	s_mov_b32 s29, 0
	v_cmpx_gt_u32_e64 s34, v0
	s_cbranch_execz .LBB17_295
; %bb.287:                              ;   in Loop: Header=BB17_6 Depth=1
	v_mov_b32_e32 v2, v0
                                        ; implicit-def: $sgpr82
	s_inst_prefetch 0x1
	s_branch .LBB17_290
	.p2align	6
.LBB17_288:                             ;   in Loop: Header=BB17_290 Depth=2
	s_or_b32 exec_lo, exec_lo, s83
	s_waitcnt lgkmcnt(0)
	s_barrier
	buffer_gl0_inv
	ds_read_u16 v3, v19 offset:3072
	s_mov_b32 s84, -1
	s_waitcnt lgkmcnt(0)
	s_barrier
	buffer_gl0_inv
	v_cmp_ne_u32_sdwa s83, v3, v19 src0_sel:BYTE_0 src1_sel:DWORD
	s_and_b32 vcc_lo, exec_lo, s83
	s_mov_b32 s83, -1
	s_cbranch_vccz .LBB17_293
.LBB17_289:                             ;   in Loop: Header=BB17_290 Depth=2
	s_and_b32 s84, exec_lo, s84
	s_or_b32 s29, s84, s29
	s_andn2_b32 s82, s82, exec_lo
	s_and_b32 s83, s83, exec_lo
	s_or_b32 s82, s82, s83
	s_andn2_b32 exec_lo, exec_lo, s29
	s_cbranch_execz .LBB17_294
.LBB17_290:                             ;   Parent Loop BB17_6 Depth=1
                                        ; =>  This Inner Loop Header: Depth=2
	s_mov_b32 s83, exec_lo
	v_cmpx_gt_u32_e64 s30, v2
	s_cbranch_execz .LBB17_288
; %bb.291:                              ;   in Loop: Header=BB17_290 Depth=2
	ds_read_u8 v3, v2
	s_waitcnt lgkmcnt(0)
	v_add_nc_u32_sdwa v5, sext(v3), v31 dst_sel:DWORD dst_unused:UNUSED_PAD src0_sel:BYTE_0 src1_sel:DWORD
	v_and_b32_e32 v5, v5, v33
	v_cmp_eq_u32_e32 vcc_lo, v5, v14
	s_and_b32 exec_lo, exec_lo, vcc_lo
	s_cbranch_execz .LBB17_288
; %bb.292:                              ;   in Loop: Header=BB17_290 Depth=2
	v_lshlrev_b16 v3, 8, v3
	v_or_b32_e32 v3, 1, v3
	ds_write_b16 v19, v3 offset:3072
	s_branch .LBB17_288
.LBB17_293:                             ;   in Loop: Header=BB17_290 Depth=2
	v_add_nc_u32_e32 v2, s35, v2
	s_mov_b32 s83, 0
	v_cmp_le_u32_e32 vcc_lo, s34, v2
	s_orn2_b32 s84, vcc_lo, exec_lo
	s_branch .LBB17_289
.LBB17_294:                             ;   in Loop: Header=BB17_6 Depth=1
	s_inst_prefetch 0x2
	s_or_b32 exec_lo, exec_lo, s29
	v_lshrrev_b32_sdwa v34, v32, v3 dst_sel:DWORD dst_unused:UNUSED_PAD src0_sel:DWORD src1_sel:WORD_0
	s_and_b32 s29, s82, exec_lo
.LBB17_295:                             ;   in Loop: Header=BB17_6 Depth=1
	s_or_b32 exec_lo, exec_lo, s33
.LBB17_296:                             ;   in Loop: Header=BB17_6 Depth=1
	s_and_b32 vcc_lo, exec_lo, s31
	s_cbranch_vccz .LBB17_307
; %bb.297:                              ;   in Loop: Header=BB17_6 Depth=1
                                        ; implicit-def: $vgpr34
	s_and_saveexec_b32 s22, s13
	s_cbranch_execz .LBB17_306
; %bb.298:                              ;   in Loop: Header=BB17_6 Depth=1
	v_mov_b32_e32 v2, v18
	v_mov_b32_e32 v3, v0
	s_mov_b32 s26, 0
                                        ; implicit-def: $sgpr30
	s_inst_prefetch 0x1
	s_branch .LBB17_301
	.p2align	6
.LBB17_299:                             ;   in Loop: Header=BB17_301 Depth=2
	s_or_b32 exec_lo, exec_lo, s31
	s_waitcnt lgkmcnt(0)
	s_barrier
	buffer_gl0_inv
	ds_read_u16 v5, v19 offset:3072
	s_mov_b32 s31, -1
	s_waitcnt lgkmcnt(0)
	s_barrier
	buffer_gl0_inv
	v_cmp_eq_u32_sdwa s33, v5, v19 src0_sel:BYTE_0 src1_sel:DWORD
	s_and_b32 vcc_lo, exec_lo, s33
	s_mov_b32 s33, -1
	s_cbranch_vccnz .LBB17_304
.LBB17_300:                             ;   in Loop: Header=BB17_301 Depth=2
	s_and_b32 s31, exec_lo, s31
	s_or_b32 s26, s31, s26
	s_andn2_b32 s30, s30, exec_lo
	s_and_b32 s31, s33, exec_lo
	s_or_b32 s30, s30, s31
	s_andn2_b32 exec_lo, exec_lo, s26
	s_cbranch_execz .LBB17_305
.LBB17_301:                             ;   Parent Loop BB17_6 Depth=1
                                        ; =>  This Inner Loop Header: Depth=2
	s_mov_b32 s31, exec_lo
	v_cmpx_gt_u32_e64 s36, v3
	s_cbranch_execz .LBB17_299
; %bb.302:                              ;   in Loop: Header=BB17_301 Depth=2
	global_load_ubyte v5, v2, s[40:41]
	s_waitcnt vmcnt(0)
	v_add_nc_u32_sdwa v6, sext(v5), v31 dst_sel:DWORD dst_unused:UNUSED_PAD src0_sel:BYTE_0 src1_sel:DWORD
	v_and_b32_e32 v6, v6, v33
	v_cmp_eq_u32_e32 vcc_lo, v6, v14
	s_and_b32 exec_lo, exec_lo, vcc_lo
	s_cbranch_execz .LBB17_299
; %bb.303:                              ;   in Loop: Header=BB17_301 Depth=2
	v_lshlrev_b16 v5, 8, v5
	v_or_b32_e32 v5, 1, v5
	ds_write_b16 v19, v5 offset:3072
	s_branch .LBB17_299
.LBB17_304:                             ;   in Loop: Header=BB17_301 Depth=2
	v_add_nc_u32_e32 v3, s35, v3
	v_add_nc_u32_e32 v2, s48, v2
	s_mov_b32 s33, 0
	v_cmp_le_u32_e32 vcc_lo, s68, v3
	s_orn2_b32 s31, vcc_lo, exec_lo
	s_branch .LBB17_300
.LBB17_305:                             ;   in Loop: Header=BB17_6 Depth=1
	s_inst_prefetch 0x2
	s_or_b32 exec_lo, exec_lo, s26
	v_lshrrev_b32_sdwa v34, v32, v5 dst_sel:DWORD dst_unused:UNUSED_PAD src0_sel:DWORD src1_sel:WORD_0
	s_andn2_b32 s26, s29, exec_lo
	s_and_b32 s29, s30, exec_lo
	s_or_b32 s29, s26, s29
.LBB17_306:                             ;   in Loop: Header=BB17_6 Depth=1
	s_or_b32 exec_lo, exec_lo, s22
	s_mov_b32 s22, 0
	s_mov_b32 s26, -1
.LBB17_307:                             ;   in Loop: Header=BB17_6 Depth=1
	s_orn2_b32 s29, s29, exec_lo
.LBB17_308:                             ;   in Loop: Header=BB17_6 Depth=1
	s_or_b32 exec_lo, exec_lo, s27
	s_mov_b32 s30, 0
	s_and_saveexec_b32 s27, s29
	s_cbranch_execz .LBB17_397
; %bb.309:                              ;   in Loop: Header=BB17_6 Depth=1
	v_mov_b32_e32 v2, 1
	v_mov_b32_e32 v1, 1
	s_xor_b32 s29, s28, -1
	s_mov_b32 s31, 0
	s_and_saveexec_b32 s28, s29
	s_cbranch_execz .LBB17_318
; %bb.310:                              ;   in Loop: Header=BB17_6 Depth=1
	s_mov_b32 s29, exec_lo
	v_cmpx_ge_u32_e64 s21, v4
	s_xor_b32 s29, exec_lo, s29
	s_cbranch_execz .LBB17_315
; %bb.311:                              ;   in Loop: Header=BB17_6 Depth=1
	ds_read_b32 v1, v19 offset:4096
	s_lshl_b32 s30, 2, s75
	v_or_b32_e32 v33, s18, v33
	v_and_or_b32 v14, v14, s19, s30
	s_waitcnt lgkmcnt(0)
	v_cmp_ne_u32_e32 vcc_lo, 0, v1
	s_cbranch_vccnz .LBB17_315
; %bb.312:                              ;   in Loop: Header=BB17_6 Depth=1
	s_and_saveexec_b32 s30, s3
; %bb.313:                              ;   in Loop: Header=BB17_6 Depth=1
	v_mov_b32_e32 v1, s21
	ds_write_b32 v19, v1 offset:4100
; %bb.314:                              ;   in Loop: Header=BB17_6 Depth=1
	s_or_b32 exec_lo, exec_lo, s30
	s_waitcnt lgkmcnt(0)
	s_barrier
	buffer_gl0_inv
.LBB17_315:                             ;   in Loop: Header=BB17_6 Depth=1
	s_or_saveexec_b32 s29, s29
	v_mov_b32_e32 v1, 5
	s_mov_b32 s30, 0
	s_xor_b32 exec_lo, exec_lo, s29
; %bb.316:                              ;   in Loop: Header=BB17_6 Depth=1
	v_subrev_nc_u32_e32 v4, s21, v4
	v_mov_b32_e32 v1, 0
	s_mov_b32 s30, exec_lo
; %bb.317:                              ;   in Loop: Header=BB17_6 Depth=1
	s_or_b32 exec_lo, exec_lo, s29
	v_mov_b32_e32 v2, v4
	s_and_b32 s31, s30, exec_lo
.LBB17_318:                             ;   in Loop: Header=BB17_6 Depth=1
	s_or_b32 exec_lo, exec_lo, s28
	s_mov_b32 s30, -1
                                        ; implicit-def: $sgpr28
                                        ; implicit-def: $sgpr29
	s_and_saveexec_b32 s21, s31
	s_cbranch_execz .LBB17_396
; %bb.319:                              ;   in Loop: Header=BB17_6 Depth=1
	v_cmp_eq_u32_e32 vcc_lo, 1, v2
	s_cmp_eq_u32 s20, 1
	s_mov_b32 s33, -1
	s_cselect_b32 s28, -1, 0
                                        ; implicit-def: $sgpr29
	s_and_b32 s31, s28, vcc_lo
                                        ; implicit-def: $sgpr28
	s_and_saveexec_b32 s30, s31
	s_cbranch_execz .LBB17_345
; %bb.320:                              ;   in Loop: Header=BB17_6 Depth=1
	ds_read_b32 v3, v19 offset:4096
	s_waitcnt lgkmcnt(0)
	s_barrier
	buffer_gl0_inv
	v_readfirstlane_b32 s34, v3
	s_and_saveexec_b32 s28, s15
; %bb.321:                              ;   in Loop: Header=BB17_6 Depth=1
	ds_write_b8 v0, v19 offset:3072
; %bb.322:                              ;   in Loop: Header=BB17_6 Depth=1
	s_or_b32 exec_lo, exec_lo, s28
	s_lshl_b32 s28, 1, s75
	v_or_b32_e32 v33, s18, v33
	v_and_or_b32 v14, v14, s19, s28
	s_mov_b32 s28, -1
	s_mov_b32 s29, 0
	s_cmp_eq_u32 s34, 0
	s_mov_b32 s33, 0
	s_mov_b32 s82, -1
	s_waitcnt lgkmcnt(0)
	s_barrier
	buffer_gl0_inv
                                        ; implicit-def: $vgpr34
	s_cbranch_scc1 .LBB17_333
; %bb.323:                              ;   in Loop: Header=BB17_6 Depth=1
	s_add_i32 s33, s34, s59
                                        ; implicit-def: $vgpr34
	s_mul_hi_u32 s82, s33, s66
	s_mul_i32 s82, s82, s35
	s_sub_i32 s82, s33, s82
	s_sub_i32 s83, s82, s35
	s_cmp_ge_u32 s82, s35
	s_cselect_b32 s82, s83, s82
	s_sub_i32 s83, s82, s35
	s_cmp_ge_u32 s82, s35
	s_cselect_b32 s82, s83, s82
	s_mov_b32 s83, exec_lo
	s_sub_i32 s84, s33, s82
	s_mov_b32 s82, 0
	s_mov_b32 s33, 0
	v_cmpx_gt_u32_e64 s84, v0
	s_cbranch_execz .LBB17_332
; %bb.324:                              ;   in Loop: Header=BB17_6 Depth=1
	v_mov_b32_e32 v3, v0
                                        ; implicit-def: $sgpr85
	s_inst_prefetch 0x1
	s_branch .LBB17_327
	.p2align	6
.LBB17_325:                             ;   in Loop: Header=BB17_327 Depth=2
	s_or_b32 exec_lo, exec_lo, s86
	s_waitcnt lgkmcnt(0)
	s_barrier
	buffer_gl0_inv
	ds_read_u16 v4, v19 offset:3072
	s_mov_b32 s87, -1
	s_waitcnt lgkmcnt(0)
	s_barrier
	buffer_gl0_inv
	v_cmp_ne_u32_sdwa s86, v4, v19 src0_sel:BYTE_0 src1_sel:DWORD
	s_and_b32 vcc_lo, exec_lo, s86
	s_mov_b32 s86, -1
	s_cbranch_vccz .LBB17_330
.LBB17_326:                             ;   in Loop: Header=BB17_327 Depth=2
	s_and_b32 s87, exec_lo, s87
	s_or_b32 s33, s87, s33
	s_andn2_b32 s85, s85, exec_lo
	s_and_b32 s86, s86, exec_lo
	s_or_b32 s85, s85, s86
	s_andn2_b32 exec_lo, exec_lo, s33
	s_cbranch_execz .LBB17_331
.LBB17_327:                             ;   Parent Loop BB17_6 Depth=1
                                        ; =>  This Inner Loop Header: Depth=2
	s_mov_b32 s86, exec_lo
	v_cmpx_gt_u32_e64 s34, v3
	s_cbranch_execz .LBB17_325
; %bb.328:                              ;   in Loop: Header=BB17_327 Depth=2
	ds_read_u8 v4, v3
	s_waitcnt lgkmcnt(0)
	v_add_nc_u32_sdwa v5, sext(v4), v31 dst_sel:DWORD dst_unused:UNUSED_PAD src0_sel:BYTE_0 src1_sel:DWORD
	v_and_b32_e32 v5, v5, v33
	v_cmp_eq_u32_e32 vcc_lo, v5, v14
	s_and_b32 exec_lo, exec_lo, vcc_lo
	s_cbranch_execz .LBB17_325
; %bb.329:                              ;   in Loop: Header=BB17_327 Depth=2
	v_lshlrev_b16 v4, 8, v4
	v_or_b32_e32 v4, 1, v4
	ds_write_b16 v19, v4 offset:3072
	s_branch .LBB17_325
.LBB17_330:                             ;   in Loop: Header=BB17_327 Depth=2
	v_add_nc_u32_e32 v3, s35, v3
	s_mov_b32 s86, 0
	v_cmp_le_u32_e32 vcc_lo, s84, v3
	s_orn2_b32 s87, vcc_lo, exec_lo
	s_branch .LBB17_326
.LBB17_331:                             ;   in Loop: Header=BB17_6 Depth=1
	s_inst_prefetch 0x2
	s_or_b32 exec_lo, exec_lo, s33
	v_lshrrev_b32_sdwa v34, v32, v4 dst_sel:DWORD dst_unused:UNUSED_PAD src0_sel:DWORD src1_sel:WORD_0
	s_and_b32 s33, s85, exec_lo
.LBB17_332:                             ;   in Loop: Header=BB17_6 Depth=1
	s_or_b32 exec_lo, exec_lo, s83
.LBB17_333:                             ;   in Loop: Header=BB17_6 Depth=1
	s_and_b32 vcc_lo, exec_lo, s82
	s_cbranch_vccz .LBB17_344
; %bb.334:                              ;   in Loop: Header=BB17_6 Depth=1
                                        ; implicit-def: $vgpr34
	s_and_saveexec_b32 s28, s13
	s_cbranch_execz .LBB17_343
; %bb.335:                              ;   in Loop: Header=BB17_6 Depth=1
	v_mov_b32_e32 v3, v18
	v_mov_b32_e32 v4, v0
	s_mov_b32 s29, 0
                                        ; implicit-def: $sgpr34
	s_inst_prefetch 0x1
	s_branch .LBB17_338
	.p2align	6
.LBB17_336:                             ;   in Loop: Header=BB17_338 Depth=2
	s_or_b32 exec_lo, exec_lo, s82
	s_waitcnt lgkmcnt(0)
	s_barrier
	buffer_gl0_inv
	ds_read_u16 v5, v19 offset:3072
	s_mov_b32 s82, -1
	s_waitcnt lgkmcnt(0)
	s_barrier
	buffer_gl0_inv
	v_cmp_eq_u32_sdwa s83, v5, v19 src0_sel:BYTE_0 src1_sel:DWORD
	s_and_b32 vcc_lo, exec_lo, s83
	s_mov_b32 s83, -1
	s_cbranch_vccnz .LBB17_341
.LBB17_337:                             ;   in Loop: Header=BB17_338 Depth=2
	s_and_b32 s82, exec_lo, s82
	s_or_b32 s29, s82, s29
	s_andn2_b32 s34, s34, exec_lo
	s_and_b32 s82, s83, exec_lo
	s_or_b32 s34, s34, s82
	s_andn2_b32 exec_lo, exec_lo, s29
	s_cbranch_execz .LBB17_342
.LBB17_338:                             ;   Parent Loop BB17_6 Depth=1
                                        ; =>  This Inner Loop Header: Depth=2
	s_mov_b32 s82, exec_lo
	v_cmpx_gt_u32_e64 s36, v4
	s_cbranch_execz .LBB17_336
; %bb.339:                              ;   in Loop: Header=BB17_338 Depth=2
	global_load_ubyte v5, v3, s[40:41]
	s_waitcnt vmcnt(0)
	v_add_nc_u32_sdwa v6, sext(v5), v31 dst_sel:DWORD dst_unused:UNUSED_PAD src0_sel:BYTE_0 src1_sel:DWORD
	v_and_b32_e32 v6, v6, v33
	v_cmp_eq_u32_e32 vcc_lo, v6, v14
	s_and_b32 exec_lo, exec_lo, vcc_lo
	s_cbranch_execz .LBB17_336
; %bb.340:                              ;   in Loop: Header=BB17_338 Depth=2
	v_lshlrev_b16 v5, 8, v5
	v_or_b32_e32 v5, 1, v5
	ds_write_b16 v19, v5 offset:3072
	s_branch .LBB17_336
.LBB17_341:                             ;   in Loop: Header=BB17_338 Depth=2
	v_add_nc_u32_e32 v4, s35, v4
	v_add_nc_u32_e32 v3, s48, v3
	s_mov_b32 s83, 0
	v_cmp_le_u32_e32 vcc_lo, s68, v4
	s_orn2_b32 s82, vcc_lo, exec_lo
	s_branch .LBB17_337
.LBB17_342:                             ;   in Loop: Header=BB17_6 Depth=1
	s_inst_prefetch 0x2
	s_or_b32 exec_lo, exec_lo, s29
	v_lshrrev_b32_sdwa v34, v32, v5 dst_sel:DWORD dst_unused:UNUSED_PAD src0_sel:DWORD src1_sel:WORD_0
	s_andn2_b32 s29, s33, exec_lo
	s_and_b32 s33, s34, exec_lo
	s_or_b32 s33, s29, s33
.LBB17_343:                             ;   in Loop: Header=BB17_6 Depth=1
	s_or_b32 exec_lo, exec_lo, s28
	s_mov_b32 s28, 0
	s_mov_b32 s29, -1
.LBB17_344:                             ;   in Loop: Header=BB17_6 Depth=1
	s_orn2_b32 s33, s33, exec_lo
.LBB17_345:                             ;   in Loop: Header=BB17_6 Depth=1
	s_or_b32 exec_lo, exec_lo, s30
	s_mov_b32 s34, 0
	s_and_saveexec_b32 s30, s33
	s_cbranch_execz .LBB17_395
; %bb.346:                              ;   in Loop: Header=BB17_6 Depth=1
	v_mov_b32_e32 v3, 1
	v_mov_b32_e32 v1, 1
	s_xor_b32 s33, s31, -1
	s_mov_b32 s82, 0
	s_and_saveexec_b32 s31, s33
	s_cbranch_execz .LBB17_355
; %bb.347:                              ;   in Loop: Header=BB17_6 Depth=1
	s_mov_b32 s33, exec_lo
	v_cmpx_ge_u32_e64 s20, v2
	s_xor_b32 s33, exec_lo, s33
	s_cbranch_execz .LBB17_352
; %bb.348:                              ;   in Loop: Header=BB17_6 Depth=1
	ds_read_b32 v1, v19 offset:4096
	s_lshl_b32 s34, 1, s75
	v_or_b32_e32 v33, s18, v33
	v_and_or_b32 v14, v14, s19, s34
	s_waitcnt lgkmcnt(0)
	v_cmp_ne_u32_e32 vcc_lo, 0, v1
	s_cbranch_vccnz .LBB17_352
; %bb.349:                              ;   in Loop: Header=BB17_6 Depth=1
	s_and_saveexec_b32 s34, s3
; %bb.350:                              ;   in Loop: Header=BB17_6 Depth=1
	v_mov_b32_e32 v1, s20
	ds_write_b32 v19, v1 offset:4100
; %bb.351:                              ;   in Loop: Header=BB17_6 Depth=1
	s_or_b32 exec_lo, exec_lo, s34
	s_waitcnt lgkmcnt(0)
	s_barrier
	buffer_gl0_inv
.LBB17_352:                             ;   in Loop: Header=BB17_6 Depth=1
	s_or_saveexec_b32 s33, s33
	v_mov_b32_e32 v1, 5
	s_mov_b32 s34, 0
	s_xor_b32 exec_lo, exec_lo, s33
; %bb.353:                              ;   in Loop: Header=BB17_6 Depth=1
	v_subrev_nc_u32_e32 v2, s20, v2
	v_mov_b32_e32 v1, 0
	s_mov_b32 s34, exec_lo
; %bb.354:                              ;   in Loop: Header=BB17_6 Depth=1
	s_or_b32 exec_lo, exec_lo, s33
	v_mov_b32_e32 v3, v2
	s_and_b32 s82, s34, exec_lo
.LBB17_355:                             ;   in Loop: Header=BB17_6 Depth=1
	s_or_b32 exec_lo, exec_lo, s31
	s_mov_b32 s34, -1
                                        ; implicit-def: $sgpr33
                                        ; implicit-def: $sgpr31
	s_and_saveexec_b32 s20, s82
	s_cbranch_execz .LBB17_394
; %bb.356:                              ;   in Loop: Header=BB17_6 Depth=1
	v_cmp_eq_u32_e32 vcc_lo, 1, v3
	s_cmp_eq_u32 s17, 1
	s_mov_b32 s83, -1
	s_cselect_b32 s31, -1, 0
                                        ; implicit-def: $sgpr33
	s_and_b32 s34, s31, vcc_lo
                                        ; implicit-def: $sgpr31
	s_and_saveexec_b32 s82, s34
	s_cbranch_execz .LBB17_382
; %bb.357:                              ;   in Loop: Header=BB17_6 Depth=1
	ds_read_b32 v2, v19 offset:4096
	s_waitcnt lgkmcnt(0)
	s_barrier
	buffer_gl0_inv
	v_readfirstlane_b32 s84, v2
	s_and_saveexec_b32 s31, s15
; %bb.358:                              ;   in Loop: Header=BB17_6 Depth=1
	ds_write_b8 v0, v19 offset:3072
; %bb.359:                              ;   in Loop: Header=BB17_6 Depth=1
	s_or_b32 exec_lo, exec_lo, s31
	v_and_b32_e32 v14, s19, v14
	v_or_b32_e32 v33, s18, v33
	s_mov_b32 s31, -1
	s_mov_b32 s33, 0
	s_cmp_eq_u32 s84, 0
	s_mov_b32 s83, 0
	s_mov_b32 s85, -1
	s_waitcnt lgkmcnt(0)
	s_barrier
	buffer_gl0_inv
                                        ; implicit-def: $vgpr34
	s_cbranch_scc1 .LBB17_370
; %bb.360:                              ;   in Loop: Header=BB17_6 Depth=1
	s_add_i32 s83, s84, s59
                                        ; implicit-def: $vgpr34
	s_mul_hi_u32 s85, s83, s66
	s_mul_i32 s85, s85, s35
	s_sub_i32 s85, s83, s85
	s_sub_i32 s86, s85, s35
	s_cmp_ge_u32 s85, s35
	s_cselect_b32 s85, s86, s85
	s_sub_i32 s86, s85, s35
	s_cmp_ge_u32 s85, s35
	s_cselect_b32 s85, s86, s85
	s_mov_b32 s86, exec_lo
	s_sub_i32 s87, s83, s85
	s_mov_b32 s85, 0
	s_mov_b32 s83, 0
	v_cmpx_gt_u32_e64 s87, v0
	s_cbranch_execz .LBB17_369
; %bb.361:                              ;   in Loop: Header=BB17_6 Depth=1
	v_mov_b32_e32 v2, v0
                                        ; implicit-def: $sgpr88
	s_inst_prefetch 0x1
	s_branch .LBB17_364
	.p2align	6
.LBB17_362:                             ;   in Loop: Header=BB17_364 Depth=2
	s_or_b32 exec_lo, exec_lo, s89
	s_waitcnt lgkmcnt(0)
	s_barrier
	buffer_gl0_inv
	ds_read_u16 v4, v19 offset:3072
	s_mov_b32 s90, -1
	s_waitcnt lgkmcnt(0)
	s_barrier
	buffer_gl0_inv
	v_cmp_ne_u32_sdwa s89, v4, v19 src0_sel:BYTE_0 src1_sel:DWORD
	s_and_b32 vcc_lo, exec_lo, s89
	s_mov_b32 s89, -1
	s_cbranch_vccz .LBB17_367
.LBB17_363:                             ;   in Loop: Header=BB17_364 Depth=2
	s_and_b32 s90, exec_lo, s90
	s_or_b32 s83, s90, s83
	s_andn2_b32 s88, s88, exec_lo
	s_and_b32 s89, s89, exec_lo
	s_or_b32 s88, s88, s89
	s_andn2_b32 exec_lo, exec_lo, s83
	s_cbranch_execz .LBB17_368
.LBB17_364:                             ;   Parent Loop BB17_6 Depth=1
                                        ; =>  This Inner Loop Header: Depth=2
	s_mov_b32 s89, exec_lo
	v_cmpx_gt_u32_e64 s84, v2
	s_cbranch_execz .LBB17_362
; %bb.365:                              ;   in Loop: Header=BB17_364 Depth=2
	ds_read_u8 v4, v2
	s_waitcnt lgkmcnt(0)
	v_add_nc_u32_sdwa v5, sext(v4), v31 dst_sel:DWORD dst_unused:UNUSED_PAD src0_sel:BYTE_0 src1_sel:DWORD
	v_and_b32_e32 v5, v5, v33
	v_cmp_eq_u32_e32 vcc_lo, v5, v14
	s_and_b32 exec_lo, exec_lo, vcc_lo
	s_cbranch_execz .LBB17_362
; %bb.366:                              ;   in Loop: Header=BB17_364 Depth=2
	v_lshlrev_b16 v4, 8, v4
	v_or_b32_e32 v4, 1, v4
	ds_write_b16 v19, v4 offset:3072
	s_branch .LBB17_362
.LBB17_367:                             ;   in Loop: Header=BB17_364 Depth=2
	v_add_nc_u32_e32 v2, s35, v2
	s_mov_b32 s89, 0
	v_cmp_le_u32_e32 vcc_lo, s87, v2
	s_orn2_b32 s90, vcc_lo, exec_lo
	s_branch .LBB17_363
.LBB17_368:                             ;   in Loop: Header=BB17_6 Depth=1
	s_inst_prefetch 0x2
	s_or_b32 exec_lo, exec_lo, s83
	v_lshrrev_b32_sdwa v34, v32, v4 dst_sel:DWORD dst_unused:UNUSED_PAD src0_sel:DWORD src1_sel:WORD_0
	s_and_b32 s83, s88, exec_lo
.LBB17_369:                             ;   in Loop: Header=BB17_6 Depth=1
	s_or_b32 exec_lo, exec_lo, s86
.LBB17_370:                             ;   in Loop: Header=BB17_6 Depth=1
	s_and_b32 vcc_lo, exec_lo, s85
	s_cbranch_vccz .LBB17_381
; %bb.371:                              ;   in Loop: Header=BB17_6 Depth=1
                                        ; implicit-def: $vgpr34
	s_and_saveexec_b32 s31, s13
	s_cbranch_execz .LBB17_380
; %bb.372:                              ;   in Loop: Header=BB17_6 Depth=1
	v_mov_b32_e32 v2, v18
	v_mov_b32_e32 v4, v0
	s_mov_b32 s33, 0
                                        ; implicit-def: $sgpr84
	s_inst_prefetch 0x1
	s_branch .LBB17_375
	.p2align	6
.LBB17_373:                             ;   in Loop: Header=BB17_375 Depth=2
	s_or_b32 exec_lo, exec_lo, s85
	s_waitcnt lgkmcnt(0)
	s_barrier
	buffer_gl0_inv
	ds_read_u16 v5, v19 offset:3072
	s_mov_b32 s85, -1
	s_waitcnt lgkmcnt(0)
	s_barrier
	buffer_gl0_inv
	v_cmp_eq_u32_sdwa s86, v5, v19 src0_sel:BYTE_0 src1_sel:DWORD
	s_and_b32 vcc_lo, exec_lo, s86
	s_mov_b32 s86, -1
	s_cbranch_vccnz .LBB17_378
.LBB17_374:                             ;   in Loop: Header=BB17_375 Depth=2
	s_and_b32 s85, exec_lo, s85
	s_or_b32 s33, s85, s33
	s_andn2_b32 s84, s84, exec_lo
	s_and_b32 s85, s86, exec_lo
	s_or_b32 s84, s84, s85
	s_andn2_b32 exec_lo, exec_lo, s33
	s_cbranch_execz .LBB17_379
.LBB17_375:                             ;   Parent Loop BB17_6 Depth=1
                                        ; =>  This Inner Loop Header: Depth=2
	s_mov_b32 s85, exec_lo
	v_cmpx_gt_u32_e64 s36, v4
	s_cbranch_execz .LBB17_373
; %bb.376:                              ;   in Loop: Header=BB17_375 Depth=2
	global_load_ubyte v5, v2, s[40:41]
	s_waitcnt vmcnt(0)
	v_add_nc_u32_sdwa v6, sext(v5), v31 dst_sel:DWORD dst_unused:UNUSED_PAD src0_sel:BYTE_0 src1_sel:DWORD
	v_and_b32_e32 v6, v6, v33
	v_cmp_eq_u32_e32 vcc_lo, v6, v14
	s_and_b32 exec_lo, exec_lo, vcc_lo
	s_cbranch_execz .LBB17_373
; %bb.377:                              ;   in Loop: Header=BB17_375 Depth=2
	v_lshlrev_b16 v5, 8, v5
	v_or_b32_e32 v5, 1, v5
	ds_write_b16 v19, v5 offset:3072
	s_branch .LBB17_373
.LBB17_378:                             ;   in Loop: Header=BB17_375 Depth=2
	v_add_nc_u32_e32 v4, s35, v4
	v_add_nc_u32_e32 v2, s48, v2
	s_mov_b32 s86, 0
	v_cmp_le_u32_e32 vcc_lo, s68, v4
	s_orn2_b32 s85, vcc_lo, exec_lo
	s_branch .LBB17_374
.LBB17_379:                             ;   in Loop: Header=BB17_6 Depth=1
	s_inst_prefetch 0x2
	s_or_b32 exec_lo, exec_lo, s33
	v_lshrrev_b32_sdwa v34, v32, v5 dst_sel:DWORD dst_unused:UNUSED_PAD src0_sel:DWORD src1_sel:WORD_0
	s_andn2_b32 s33, s83, exec_lo
	s_and_b32 s83, s84, exec_lo
	s_or_b32 s83, s33, s83
.LBB17_380:                             ;   in Loop: Header=BB17_6 Depth=1
	s_or_b32 exec_lo, exec_lo, s31
	s_mov_b32 s31, 0
	s_mov_b32 s33, -1
.LBB17_381:                             ;   in Loop: Header=BB17_6 Depth=1
	s_orn2_b32 s83, s83, exec_lo
.LBB17_382:                             ;   in Loop: Header=BB17_6 Depth=1
	s_or_b32 exec_lo, exec_lo, s82
	s_mov_b32 s84, 0
	s_and_saveexec_b32 s82, s83
	s_cbranch_execz .LBB17_393
; %bb.383:                              ;   in Loop: Header=BB17_6 Depth=1
	v_mov_b32_e32 v1, 1
	v_mov_b32_e32 v2, 1
	s_xor_b32 s83, s34, -1
	s_and_saveexec_b32 s34, s83
	s_cbranch_execz .LBB17_392
; %bb.384:                              ;   in Loop: Header=BB17_6 Depth=1
	s_mov_b32 s83, exec_lo
	v_cmpx_ge_u32_e64 s17, v3
	s_xor_b32 s83, exec_lo, s83
	s_cbranch_execz .LBB17_389
; %bb.385:                              ;   in Loop: Header=BB17_6 Depth=1
	ds_read_b32 v1, v19 offset:4096
	v_and_b32_e32 v14, s19, v14
	v_or_b32_e32 v33, s18, v33
	s_waitcnt lgkmcnt(0)
	v_cmp_ne_u32_e32 vcc_lo, 0, v1
	s_cbranch_vccnz .LBB17_389
; %bb.386:                              ;   in Loop: Header=BB17_6 Depth=1
	s_and_saveexec_b32 s18, s3
; %bb.387:                              ;   in Loop: Header=BB17_6 Depth=1
	v_mov_b32_e32 v1, s17
	ds_write_b32 v19, v1 offset:4100
; %bb.388:                              ;   in Loop: Header=BB17_6 Depth=1
	s_or_b32 exec_lo, exec_lo, s18
	s_waitcnt lgkmcnt(0)
	s_barrier
	buffer_gl0_inv
.LBB17_389:                             ;   in Loop: Header=BB17_6 Depth=1
	s_andn2_saveexec_b32 s18, s83
; %bb.390:                              ;   in Loop: Header=BB17_6 Depth=1
	v_subrev_nc_u32_e32 v3, s17, v3
; %bb.391:                              ;   in Loop: Header=BB17_6 Depth=1
	s_or_b32 exec_lo, exec_lo, s18
	v_mov_b32_e32 v1, 5
	v_mov_b32_e32 v2, v3
.LBB17_392:                             ;   in Loop: Header=BB17_6 Depth=1
	s_or_b32 exec_lo, exec_lo, s34
	v_mov_b32_e32 v3, v2
	s_mov_b32 s84, exec_lo
.LBB17_393:                             ;   in Loop: Header=BB17_6 Depth=1
	s_or_b32 exec_lo, exec_lo, s82
	s_orn2_b32 s34, s84, exec_lo
.LBB17_394:                             ;   in Loop: Header=BB17_6 Depth=1
	s_or_b32 exec_lo, exec_lo, s20
	v_mov_b32_e32 v2, v3
	s_andn2_b32 s17, s29, exec_lo
	s_and_b32 s18, s33, exec_lo
	s_andn2_b32 s19, s28, exec_lo
	s_and_b32 s20, s31, exec_lo
	s_or_b32 s29, s17, s18
	s_or_b32 s28, s19, s20
	s_and_b32 s34, s34, exec_lo
.LBB17_395:                             ;   in Loop: Header=BB17_6 Depth=1
	s_or_b32 exec_lo, exec_lo, s30
	s_orn2_b32 s30, s34, exec_lo
.LBB17_396:                             ;   in Loop: Header=BB17_6 Depth=1
	s_or_b32 exec_lo, exec_lo, s21
	v_mov_b32_e32 v4, v2
	s_andn2_b32 s17, s26, exec_lo
	s_and_b32 s18, s29, exec_lo
	s_andn2_b32 s19, s22, exec_lo
	s_and_b32 s20, s28, exec_lo
	s_or_b32 s26, s17, s18
	s_or_b32 s22, s19, s20
	s_and_b32 s30, s30, exec_lo
.LBB17_397:                             ;   in Loop: Header=BB17_6 Depth=1
	s_or_b32 exec_lo, exec_lo, s27
	s_orn2_b32 s27, s30, exec_lo
.LBB17_398:                             ;   in Loop: Header=BB17_6 Depth=1
	s_or_b32 exec_lo, exec_lo, s6
	s_mov_b32 s6, s24
	s_mov_b32 s17, s23
	s_and_saveexec_b32 s18, s27
; %bb.399:                              ;   in Loop: Header=BB17_6 Depth=1
	v_cmp_ne_u32_e32 vcc_lo, 5, v1
	v_cmp_eq_u32_e64 s6, 5, v1
	s_andn2_b32 s17, s23, exec_lo
	s_andn2_b32 s19, s24, exec_lo
	s_and_b32 s20, vcc_lo, exec_lo
	s_and_b32 s6, s6, exec_lo
	s_or_b32 s17, s17, s20
	s_or_b32 s6, s19, s6
; %bb.400:                              ;   in Loop: Header=BB17_6 Depth=1
	s_or_b32 exec_lo, exec_lo, s18
	s_andn2_b32 s14, s14, exec_lo
	s_and_b32 s18, s26, exec_lo
	s_andn2_b32 s16, s16, exec_lo
	s_and_b32 s19, s22, exec_lo
	s_or_b32 s14, s14, s18
	s_or_b32 s16, s16, s19
	s_andn2_b32 s18, s23, exec_lo
	s_and_b32 s17, s17, exec_lo
	s_andn2_b32 s19, s24, exec_lo
	s_and_b32 s6, s6, exec_lo
	s_or_b32 s23, s18, s17
	s_or_b32 s24, s19, s6
.LBB17_401:                             ;   in Loop: Header=BB17_6 Depth=1
	s_or_b32 exec_lo, exec_lo, s25
	s_mov_b32 s25, 0
	s_mov_b32 s26, 0
	s_and_saveexec_b32 s6, s24
.LBB17_402:                             ;   in Loop: Header=BB17_6 Depth=1
	v_mov_b32_e32 v1, 0
	s_or_b32 s23, s23, exec_lo
.LBB17_403:                             ;   in Loop: Header=BB17_6 Depth=1
	s_or_b32 exec_lo, exec_lo, s6
	s_andn2_b32 s6, s79, exec_lo
	s_and_b32 s14, s14, exec_lo
	s_andn2_b32 s18, s77, exec_lo
	s_and_b32 s16, s16, exec_lo
	v_mov_b32_e32 v35, v4
	s_or_b32 s79, s6, s14
	s_or_b32 s77, s18, s16
	s_andn2_b32 s6, s81, exec_lo
	s_and_b32 s14, s26, exec_lo
	s_andn2_b32 s16, s80, exec_lo
	s_and_b32 s18, s25, exec_lo
	s_mov_b32 s17, -1
	s_andn2_b32 s78, s78, exec_lo
	s_or_b32 s81, s6, s14
	s_or_b32 s80, s16, s18
	s_and_saveexec_b32 s6, s23
	s_xor_b32 s6, exec_lo, s6
	s_cbranch_execz .LBB17_5
; %bb.404:                              ;   in Loop: Header=BB17_6 Depth=1
	s_mov_b32 s14, -1
	s_mov_b32 s16, -1
	s_mov_b32 s17, exec_lo
	v_cmpx_eq_u32_e32 0, v1
	s_cbranch_execz .LBB17_4
; %bb.405:                              ;   in Loop: Header=BB17_6 Depth=1
	s_xor_b32 s71, s71, 1
	s_add_i32 s18, s75, -2
	s_cmp_eq_u32 s75, 0
	s_mov_b32 s75, s18
	s_cselect_b32 s14, -1, 0
	s_xor_b32 s16, exec_lo, -1
	s_orn2_b32 s14, s14, exec_lo
	s_branch .LBB17_4
.LBB17_406:
	s_or_b32 exec_lo, exec_lo, s52
	s_xor_b32 s7, s76, -1
	s_xor_b32 s12, s73, -1
	s_xor_b32 s11, s74, -1
	s_xor_b32 s8, s69, -1
	s_xor_b32 s6, s72, -1
	s_mov_b32 s9, 0
	s_and_saveexec_b32 s10, s8
	s_xor_b32 s8, exec_lo, s10
	s_cbranch_execnz .LBB17_411
; %bb.407:
	s_andn2_saveexec_b32 s0, s8
	s_cbranch_execnz .LBB17_430
.LBB17_408:
	s_or_b32 exec_lo, exec_lo, s0
	s_and_saveexec_b32 s0, s9
.LBB17_409:
	; divergent unreachable
.LBB17_410:
	s_endpgm
.LBB17_411:
	s_mov_b32 s10, 0
	s_and_saveexec_b32 s9, s11
	s_xor_b32 s9, exec_lo, s9
	s_cbranch_execz .LBB17_428
; %bb.412:
	s_mov_b32 s11, 0
	s_and_saveexec_b32 s10, s12
	s_xor_b32 s10, exec_lo, s10
	s_cbranch_execz .LBB17_426
; %bb.413:
	;; [unrolled: 5-line block ×3, first 2 shown]
	s_and_saveexec_b32 s7, s6
	s_xor_b32 s6, exec_lo, s7
; %bb.415:
	v_xor_b32_e32 v34, 0xffffff80, v14
; %bb.416:
	s_or_b32 exec_lo, exec_lo, s6
	s_and_saveexec_b32 s6, s3
; %bb.417:
	v_mov_b32_e32 v1, 0
	ds_write_b32 v1, v1 offset:4108
; %bb.418:
	s_or_b32 exec_lo, exec_lo, s6
	v_mov_b32_e32 v3, 0
	s_waitcnt lgkmcnt(0)
	s_barrier
	buffer_gl0_inv
	s_and_saveexec_b32 s3, s1
	s_cbranch_execz .LBB17_420
; %bb.419:
	global_load_ubyte v3, v[9:10], off
.LBB17_420:
	s_or_b32 exec_lo, exec_lo, s3
	s_clause 0x1
	s_load_dword s12, s[4:5], 0x1c8
	s_load_dword s13, s[4:5], 0x2a8
	s_add_i32 s14, s36, 31
	s_mul_i32 s51, s51, s49
	s_andn2_b32 s14, s14, 31
	s_mul_i32 s4, s50, s49
	s_mov_b32 s5, 0
	s_add_u32 s6, s46, s51
	s_addc_u32 s7, s47, 0
	s_lshl_b64 s[16:17], s[4:5], 3
	v_cmp_gt_u32_e32 vcc_lo, s14, v0
	s_add_u32 s15, s44, s16
	s_addc_u32 s16, s45, s17
	s_mov_b32 s4, -1
	s_mov_b32 s3, 0
	s_and_saveexec_b32 s17, vcc_lo
	s_cbranch_execnz .LBB17_431
; %bb.421:
	s_or_b32 exec_lo, exec_lo, s17
	s_and_saveexec_b32 s2, s4
	s_cbranch_execnz .LBB17_446
.LBB17_422:
	s_or_b32 exec_lo, exec_lo, s2
	s_and_saveexec_b32 s0, s3
	s_xor_b32 s0, exec_lo, s0
	s_cbranch_execnz .LBB17_469
.LBB17_423:
	s_or_b32 exec_lo, exec_lo, s0
	s_waitcnt lgkmcnt(0)
	s_and_b32 s12, s5, exec_lo
.LBB17_424:
	s_andn2_saveexec_b32 s0, s11
	s_cbranch_execnz .LBB17_471
.LBB17_425:
	s_or_b32 exec_lo, exec_lo, s0
	s_and_b32 s11, s12, exec_lo
.LBB17_426:
	s_andn2_saveexec_b32 s0, s10
	s_cbranch_execnz .LBB17_470
.LBB17_427:
	s_or_b32 exec_lo, exec_lo, s0
	s_and_b32 s10, s11, exec_lo
.LBB17_428:
	s_andn2_saveexec_b32 s0, s9
	s_cbranch_execnz .LBB17_465
.LBB17_429:
	s_or_b32 exec_lo, exec_lo, s0
	s_and_b32 s9, s10, exec_lo
	s_andn2_saveexec_b32 s0, s8
	s_cbranch_execz .LBB17_408
.LBB17_430:
	s_or_b32 s9, s9, exec_lo
	s_trap 2
	s_or_b32 exec_lo, exec_lo, s0
	s_and_saveexec_b32 s0, s9
	s_cbranch_execnz .LBB17_409
	s_branch .LBB17_410
.LBB17_431:
	v_add_nc_u32_e32 v1, s35, v0
	v_mov_b32_e32 v4, 0x80
	v_mov_b32_e32 v2, 0
	s_mov_b32 s18, 0
                                        ; implicit-def: $sgpr19
                                        ; implicit-def: $vgpr11
	v_mul_lo_u32 v5, s42, v1
	v_add_nc_u32_sdwa v6, sext(v34), v4 dst_sel:DWORD dst_unused:UNUSED_PAD src0_sel:BYTE_0 src1_sel:DWORD
	v_mov_b32_e32 v1, v0
	s_branch .LBB17_433
.LBB17_432:                             ;   in Loop: Header=BB17_433 Depth=1
	s_or_b32 exec_lo, exec_lo, s21
	s_xor_b32 s3, s20, -1
	s_and_b32 s4, exec_lo, s4
	v_mov_b32_e32 v3, v8
	s_or_b32 s18, s4, s18
	v_mov_b32_e32 v1, v7
	s_andn2_b32 s4, s19, exec_lo
	s_and_b32 s3, s3, exec_lo
	s_or_b32 s19, s4, s3
	s_andn2_b32 exec_lo, exec_lo, s18
	s_cbranch_execz .LBB17_445
.LBB17_433:                             ; =>This Inner Loop Header: Depth=1
	v_add_nc_u32_e32 v7, s35, v1
	v_mov_b32_e32 v8, 0
	s_mov_b32 s4, exec_lo
	v_cmpx_gt_u32_e64 s36, v7
	s_cbranch_execz .LBB17_435
; %bb.434:                              ;   in Loop: Header=BB17_433 Depth=1
	global_load_ubyte v8, v5, s[40:41]
.LBB17_435:                             ;   in Loop: Header=BB17_433 Depth=1
	s_or_b32 exec_lo, exec_lo, s4
	s_waitcnt vmcnt(0)
	v_add_nc_u32_sdwa v12, sext(v3), v4 dst_sel:DWORD dst_unused:UNUSED_PAD src0_sel:BYTE_0 src1_sel:DWORD
	v_cmp_gt_u32_e64 s3, v12, v6
	v_cndmask_b32_e64 v13, 0, 1, s3
	v_cmp_lt_u32_e64 s3, v12, v6
	v_cndmask_b32_e64 v12, 0, 1, s3
	v_cmp_gt_u32_e64 s3, s36, v1
	v_cndmask_b32_e64 v12, v12, v13, s2
	v_and_b32_e32 v12, 1, v12
	v_cmp_eq_u32_e64 s4, 1, v12
	s_and_b32 s20, s3, s4
	v_cndmask_b32_e64 v12, 0, 1, s20
	v_cmp_ne_u32_e64 s3, 0, v12
	s_cmp_lg_u32 s3, 0
	s_cselect_b32 s4, -1, 0
	s_and_b32 s4, s0, s4
	s_and_saveexec_b32 s21, s4
	s_cbranch_execz .LBB17_439
; %bb.436:                              ;   in Loop: Header=BB17_433 Depth=1
	s_mov_b32 s24, exec_lo
	s_bcnt1_i32_b32 s22, s3
	s_waitcnt lgkmcnt(0)
	v_mbcnt_lo_u32_b32 v11, s24, 0
	s_mov_b32 s23, exec_lo
                                        ; implicit-def: $vgpr12
	v_cmpx_eq_u32_e32 0, v11
; %bb.437:                              ;   in Loop: Header=BB17_433 Depth=1
	s_bcnt1_i32_b32 s4, s24
	s_mul_i32 s4, s22, s4
	v_mov_b32_e32 v12, s4
	ds_add_rtn_u32 v12, v2, v12 offset:4108
; %bb.438:                              ;   in Loop: Header=BB17_433 Depth=1
	s_or_b32 exec_lo, exec_lo, s23
	s_waitcnt lgkmcnt(0)
	v_readfirstlane_b32 s4, v12
	v_mad_u32_u24 v11, s22, v11, s4
.LBB17_439:                             ;   in Loop: Header=BB17_433 Depth=1
	s_or_b32 exec_lo, exec_lo, s21
	s_waitcnt lgkmcnt(0)
	ds_bpermute_b32 v11, v2, v11
	s_mov_b32 s4, -1
	s_mov_b32 s22, -1
	s_and_saveexec_b32 s21, s20
	s_cbranch_execz .LBB17_443
; %bb.440:                              ;   in Loop: Header=BB17_433 Depth=1
	v_and_b32_e32 v12, s3, v15
	s_mov_b32 s20, 0
	s_mov_b32 s22, exec_lo
	s_waitcnt lgkmcnt(0)
	v_bcnt_u32_b32 v12, v12, v11
	v_cmpx_gt_u32_e64 s37, v12
; %bb.441:                              ;   in Loop: Header=BB17_433 Depth=1
	v_mul_lo_u32 v13, v12, s13
	v_mov_b32_e32 v14, v2
	v_mul_lo_u32 v16, v12, s12
	s_mov_b32 s20, exec_lo
	v_lshlrev_b64 v[13:14], 3, v[13:14]
	v_add_co_u32 v12, s3, s15, v13
	v_add_co_ci_u32_e64 v13, null, s16, v14, s3
	global_store_byte v16, v3, s[6:7]
	global_store_dwordx2 v[12:13], v[1:2], off
; %bb.442:                              ;   in Loop: Header=BB17_433 Depth=1
	s_or_b32 exec_lo, exec_lo, s22
	s_orn2_b32 s22, s20, exec_lo
.LBB17_443:                             ;   in Loop: Header=BB17_433 Depth=1
	s_or_b32 exec_lo, exec_lo, s21
	s_mov_b32 s20, -1
	s_and_saveexec_b32 s21, s22
	s_cbranch_execz .LBB17_432
; %bb.444:                              ;   in Loop: Header=BB17_433 Depth=1
	v_cmp_le_u32_e64 s3, s14, v7
	v_add_nc_u32_e32 v5, s48, v5
	s_xor_b32 s20, exec_lo, -1
	s_orn2_b32 s4, s3, exec_lo
	s_branch .LBB17_432
.LBB17_445:
	s_or_b32 exec_lo, exec_lo, s18
	s_mov_b32 s3, exec_lo
	s_orn2_b32 s4, s19, exec_lo
	s_or_b32 exec_lo, exec_lo, s17
	s_and_saveexec_b32 s2, s4
	s_cbranch_execz .LBB17_422
.LBB17_446:
	v_mov_b32_e32 v6, 0
	s_waitcnt vmcnt(0) lgkmcnt(0)
	s_waitcnt_vscnt null, 0x0
	s_barrier
	buffer_gl0_inv
	s_and_saveexec_b32 s4, s1
	s_cbranch_execz .LBB17_448
; %bb.447:
	global_load_ubyte v6, v[9:10], off
.LBB17_448:
	s_or_b32 exec_lo, exec_lo, s4
	s_mov_b32 s1, 0
	s_and_saveexec_b32 s4, vcc_lo
	s_cbranch_execz .LBB17_468
; %bb.449:
	v_add_nc_u32_e32 v1, s35, v0
	s_mov_b32 s5, 0
                                        ; implicit-def: $sgpr17
                                        ; implicit-def: $vgpr5
	v_mul_lo_u32 v2, s42, v1
	v_mov_b32_e32 v1, 0
	s_branch .LBB17_452
.LBB17_450:                             ;   in Loop: Header=BB17_452 Depth=1
	s_or_b32 exec_lo, exec_lo, s18
	s_orn2_b32 s20, s20, exec_lo
	s_orn2_b32 s19, s19, exec_lo
.LBB17_451:                             ;   in Loop: Header=BB17_452 Depth=1
	s_or_b32 exec_lo, exec_lo, s1
	s_xor_b32 s1, s20, -1
	s_and_b32 s18, exec_lo, s19
	v_mov_b32_e32 v0, v3
	s_or_b32 s5, s18, s5
	v_mov_b32_e32 v6, v4
	s_andn2_b32 s17, s17, exec_lo
	s_and_b32 s1, s1, exec_lo
	s_or_b32 s17, s17, s1
	s_andn2_b32 exec_lo, exec_lo, s5
	s_cbranch_execz .LBB17_466
.LBB17_452:                             ; =>This Inner Loop Header: Depth=1
	v_add_nc_u32_e32 v3, s35, v0
	v_mov_b32_e32 v4, 0
	s_mov_b32 s1, exec_lo
	v_cmpx_gt_u32_e64 s36, v3
	s_cbranch_execz .LBB17_454
; %bb.453:                              ;   in Loop: Header=BB17_452 Depth=1
	global_load_ubyte v4, v2, s[40:41]
.LBB17_454:                             ;   in Loop: Header=BB17_452 Depth=1
	s_or_b32 exec_lo, exec_lo, s1
	v_cmp_gt_u32_e32 vcc_lo, s36, v0
	s_waitcnt vmcnt(0)
	v_cmp_eq_u16_sdwa s1, v6, v34 src0_sel:BYTE_0 src1_sel:BYTE_0
	s_and_b32 s18, vcc_lo, s1
	v_cndmask_b32_e64 v6, 0, 1, s18
	v_cmp_ne_u32_e32 vcc_lo, 0, v6
	s_cmp_lg_u32 vcc_lo, 0
	s_cselect_b32 s1, -1, 0
	s_and_b32 s1, s0, s1
	s_and_saveexec_b32 s19, s1
	s_cbranch_execz .LBB17_458
; %bb.455:                              ;   in Loop: Header=BB17_452 Depth=1
	s_mov_b32 s22, exec_lo
	s_bcnt1_i32_b32 s20, vcc_lo
	v_mbcnt_lo_u32_b32 v5, s22, 0
	s_mov_b32 s21, exec_lo
                                        ; implicit-def: $vgpr6
	v_cmpx_eq_u32_e32 0, v5
; %bb.456:                              ;   in Loop: Header=BB17_452 Depth=1
	s_bcnt1_i32_b32 s1, s22
	s_mul_i32 s1, s20, s1
	v_mov_b32_e32 v6, s1
	ds_add_rtn_u32 v6, v1, v6 offset:4108
; %bb.457:                              ;   in Loop: Header=BB17_452 Depth=1
	s_or_b32 exec_lo, exec_lo, s21
	s_waitcnt lgkmcnt(0)
	v_readfirstlane_b32 s1, v6
	v_mad_u32_u24 v5, s20, v5, s1
.LBB17_458:                             ;   in Loop: Header=BB17_452 Depth=1
	s_or_b32 exec_lo, exec_lo, s19
	ds_bpermute_b32 v5, v1, v5
	s_cmp_eq_u32 vcc_lo, 0
	s_mov_b32 s19, -1
	s_cselect_b32 s20, -1, 0
	s_waitcnt lgkmcnt(0)
	v_cmp_gt_u32_e64 s1, s37, v5
	s_or_b32 s21, s20, s1
	s_mov_b32 s20, -1
	s_and_saveexec_b32 s1, s21
	s_cbranch_execz .LBB17_451
; %bb.459:                              ;   in Loop: Header=BB17_452 Depth=1
	v_and_b32_e32 v6, vcc_lo, v15
	v_sub_nc_u32_e32 v7, s37, v5
	s_mov_b32 s21, -1
	v_bcnt_u32_b32 v6, v6, 0
	v_bcnt_u32_b32 v6, 0, v6
	v_cmp_gt_u32_e32 vcc_lo, v7, v6
	s_and_b32 s22, s18, vcc_lo
	s_and_saveexec_b32 s18, s22
	s_cbranch_execz .LBB17_463
; %bb.460:                              ;   in Loop: Header=BB17_452 Depth=1
	v_add_nc_u32_e32 v6, v5, v6
	s_mov_b32 s21, 0
	s_mov_b32 s20, exec_lo
	v_cmpx_gt_u32_e64 s37, v6
; %bb.461:                              ;   in Loop: Header=BB17_452 Depth=1
	v_mul_lo_u32 v7, v6, s13
	v_mov_b32_e32 v8, v1
	v_mul_lo_u32 v9, v6, s12
	s_mov_b32 s21, exec_lo
	v_lshlrev_b64 v[7:8], 3, v[7:8]
	v_add_co_u32 v6, vcc_lo, s15, v7
	v_add_co_ci_u32_e64 v7, null, s16, v8, vcc_lo
	global_store_byte v9, v34, s[6:7]
	global_store_dwordx2 v[6:7], v[0:1], off
; %bb.462:                              ;   in Loop: Header=BB17_452 Depth=1
	s_or_b32 exec_lo, exec_lo, s20
	s_xor_b32 s20, exec_lo, -1
	s_orn2_b32 s21, s21, exec_lo
.LBB17_463:                             ;   in Loop: Header=BB17_452 Depth=1
	s_or_b32 exec_lo, exec_lo, s18
	s_and_saveexec_b32 s18, s21
	s_cbranch_execz .LBB17_450
; %bb.464:                              ;   in Loop: Header=BB17_452 Depth=1
	v_cmp_le_u32_e32 vcc_lo, s14, v3
	v_add_nc_u32_e32 v2, s48, v2
	s_or_b32 s20, s20, exec_lo
	s_orn2_b32 s19, vcc_lo, exec_lo
	s_branch .LBB17_450
.LBB17_465:
	s_or_b32 s10, s10, exec_lo
	s_trap 2
	s_branch .LBB17_429
.LBB17_466:
	s_or_b32 exec_lo, exec_lo, s5
	s_mov_b32 s0, 0
	s_and_saveexec_b32 s1, s17
	s_xor_b32 s1, exec_lo, s1
	s_cbranch_execnz .LBB17_472
.LBB17_467:
	s_or_b32 exec_lo, exec_lo, s1
	s_and_b32 s1, s0, exec_lo
.LBB17_468:
	s_or_b32 exec_lo, exec_lo, s4
	s_and_b32 s5, s1, exec_lo
	s_andn2_b32 s3, s3, exec_lo
	s_or_b32 exec_lo, exec_lo, s2
	s_and_saveexec_b32 s0, s3
	s_xor_b32 s0, exec_lo, s0
	s_cbranch_execz .LBB17_423
.LBB17_469:
	s_or_b32 s5, s5, exec_lo
	s_trap 2
	s_branch .LBB17_423
.LBB17_470:
	s_or_b32 s11, s11, exec_lo
	s_trap 2
	s_branch .LBB17_427
.LBB17_471:
	s_or_b32 s12, s12, exec_lo
	s_trap 2
	s_branch .LBB17_425
.LBB17_472:
	s_mov_b32 s0, exec_lo
	s_trap 2
	s_branch .LBB17_467
	.section	.rodata,"a",@progbits
	.p2align	6, 0x0
	.amdhsa_kernel _ZN2at6native6sbtopk10gatherTopKIajLi1ELb0EEEvNS_4cuda6detail10TensorInfoIKT_T0_EES8_S8_bS8_S8_NS5_IS6_S8_EES8_NS5_IlS8_EES8_PS6_
		.amdhsa_group_segment_fixed_size 4112
		.amdhsa_private_segment_fixed_size 0
		.amdhsa_kernarg_size 952
		.amdhsa_user_sgpr_count 6
		.amdhsa_user_sgpr_private_segment_buffer 1
		.amdhsa_user_sgpr_dispatch_ptr 0
		.amdhsa_user_sgpr_queue_ptr 0
		.amdhsa_user_sgpr_kernarg_segment_ptr 1
		.amdhsa_user_sgpr_dispatch_id 0
		.amdhsa_user_sgpr_flat_scratch_init 0
		.amdhsa_user_sgpr_private_segment_size 0
		.amdhsa_wavefront_size32 1
		.amdhsa_uses_dynamic_stack 0
		.amdhsa_system_sgpr_private_segment_wavefront_offset 0
		.amdhsa_system_sgpr_workgroup_id_x 1
		.amdhsa_system_sgpr_workgroup_id_y 1
		.amdhsa_system_sgpr_workgroup_id_z 1
		.amdhsa_system_sgpr_workgroup_info 0
		.amdhsa_system_vgpr_workitem_id 0
		.amdhsa_next_free_vgpr 69
		.amdhsa_next_free_sgpr 95
		.amdhsa_reserve_vcc 1
		.amdhsa_reserve_flat_scratch 0
		.amdhsa_float_round_mode_32 0
		.amdhsa_float_round_mode_16_64 0
		.amdhsa_float_denorm_mode_32 3
		.amdhsa_float_denorm_mode_16_64 3
		.amdhsa_dx10_clamp 1
		.amdhsa_ieee_mode 1
		.amdhsa_fp16_overflow 0
		.amdhsa_workgroup_processor_mode 1
		.amdhsa_memory_ordered 1
		.amdhsa_forward_progress 1
		.amdhsa_shared_vgpr_count 0
		.amdhsa_exception_fp_ieee_invalid_op 0
		.amdhsa_exception_fp_denorm_src 0
		.amdhsa_exception_fp_ieee_div_zero 0
		.amdhsa_exception_fp_ieee_overflow 0
		.amdhsa_exception_fp_ieee_underflow 0
		.amdhsa_exception_fp_ieee_inexact 0
		.amdhsa_exception_int_div_zero 0
	.end_amdhsa_kernel
	.section	.text._ZN2at6native6sbtopk10gatherTopKIajLi1ELb0EEEvNS_4cuda6detail10TensorInfoIKT_T0_EES8_S8_bS8_S8_NS5_IS6_S8_EES8_NS5_IlS8_EES8_PS6_,"axG",@progbits,_ZN2at6native6sbtopk10gatherTopKIajLi1ELb0EEEvNS_4cuda6detail10TensorInfoIKT_T0_EES8_S8_bS8_S8_NS5_IS6_S8_EES8_NS5_IlS8_EES8_PS6_,comdat
.Lfunc_end17:
	.size	_ZN2at6native6sbtopk10gatherTopKIajLi1ELb0EEEvNS_4cuda6detail10TensorInfoIKT_T0_EES8_S8_bS8_S8_NS5_IS6_S8_EES8_NS5_IlS8_EES8_PS6_, .Lfunc_end17-_ZN2at6native6sbtopk10gatherTopKIajLi1ELb0EEEvNS_4cuda6detail10TensorInfoIKT_T0_EES8_S8_bS8_S8_NS5_IS6_S8_EES8_NS5_IlS8_EES8_PS6_
                                        ; -- End function
	.set _ZN2at6native6sbtopk10gatherTopKIajLi1ELb0EEEvNS_4cuda6detail10TensorInfoIKT_T0_EES8_S8_bS8_S8_NS5_IS6_S8_EES8_NS5_IlS8_EES8_PS6_.num_vgpr, 69
	.set _ZN2at6native6sbtopk10gatherTopKIajLi1ELb0EEEvNS_4cuda6detail10TensorInfoIKT_T0_EES8_S8_bS8_S8_NS5_IS6_S8_EES8_NS5_IlS8_EES8_PS6_.num_agpr, 0
	.set _ZN2at6native6sbtopk10gatherTopKIajLi1ELb0EEEvNS_4cuda6detail10TensorInfoIKT_T0_EES8_S8_bS8_S8_NS5_IS6_S8_EES8_NS5_IlS8_EES8_PS6_.numbered_sgpr, 95
	.set _ZN2at6native6sbtopk10gatherTopKIajLi1ELb0EEEvNS_4cuda6detail10TensorInfoIKT_T0_EES8_S8_bS8_S8_NS5_IS6_S8_EES8_NS5_IlS8_EES8_PS6_.num_named_barrier, 0
	.set _ZN2at6native6sbtopk10gatherTopKIajLi1ELb0EEEvNS_4cuda6detail10TensorInfoIKT_T0_EES8_S8_bS8_S8_NS5_IS6_S8_EES8_NS5_IlS8_EES8_PS6_.private_seg_size, 0
	.set _ZN2at6native6sbtopk10gatherTopKIajLi1ELb0EEEvNS_4cuda6detail10TensorInfoIKT_T0_EES8_S8_bS8_S8_NS5_IS6_S8_EES8_NS5_IlS8_EES8_PS6_.uses_vcc, 1
	.set _ZN2at6native6sbtopk10gatherTopKIajLi1ELb0EEEvNS_4cuda6detail10TensorInfoIKT_T0_EES8_S8_bS8_S8_NS5_IS6_S8_EES8_NS5_IlS8_EES8_PS6_.uses_flat_scratch, 0
	.set _ZN2at6native6sbtopk10gatherTopKIajLi1ELb0EEEvNS_4cuda6detail10TensorInfoIKT_T0_EES8_S8_bS8_S8_NS5_IS6_S8_EES8_NS5_IlS8_EES8_PS6_.has_dyn_sized_stack, 0
	.set _ZN2at6native6sbtopk10gatherTopKIajLi1ELb0EEEvNS_4cuda6detail10TensorInfoIKT_T0_EES8_S8_bS8_S8_NS5_IS6_S8_EES8_NS5_IlS8_EES8_PS6_.has_recursion, 0
	.set _ZN2at6native6sbtopk10gatherTopKIajLi1ELb0EEEvNS_4cuda6detail10TensorInfoIKT_T0_EES8_S8_bS8_S8_NS5_IS6_S8_EES8_NS5_IlS8_EES8_PS6_.has_indirect_call, 0
	.section	.AMDGPU.csdata,"",@progbits
; Kernel info:
; codeLenInByte = 15128
; TotalNumSgprs: 97
; NumVgprs: 69
; ScratchSize: 0
; MemoryBound: 0
; FloatMode: 240
; IeeeMode: 1
; LDSByteSize: 4112 bytes/workgroup (compile time only)
; SGPRBlocks: 0
; VGPRBlocks: 8
; NumSGPRsForWavesPerEU: 97
; NumVGPRsForWavesPerEU: 69
; Occupancy: 12
; WaveLimiterHint : 1
; COMPUTE_PGM_RSRC2:SCRATCH_EN: 0
; COMPUTE_PGM_RSRC2:USER_SGPR: 6
; COMPUTE_PGM_RSRC2:TRAP_HANDLER: 0
; COMPUTE_PGM_RSRC2:TGID_X_EN: 1
; COMPUTE_PGM_RSRC2:TGID_Y_EN: 1
; COMPUTE_PGM_RSRC2:TGID_Z_EN: 1
; COMPUTE_PGM_RSRC2:TIDIG_COMP_CNT: 0
	.section	.text._ZN2at6native6mbtopk23computeBlockDigitCountsIajjLi2EEEvNS_4cuda6detail10TensorInfoIKT_T0_EEjPjjS8_iijT1_PSB_Ps,"axG",@progbits,_ZN2at6native6mbtopk23computeBlockDigitCountsIajjLi2EEEvNS_4cuda6detail10TensorInfoIKT_T0_EEjPjjS8_iijT1_PSB_Ps,comdat
	.protected	_ZN2at6native6mbtopk23computeBlockDigitCountsIajjLi2EEEvNS_4cuda6detail10TensorInfoIKT_T0_EEjPjjS8_iijT1_PSB_Ps ; -- Begin function _ZN2at6native6mbtopk23computeBlockDigitCountsIajjLi2EEEvNS_4cuda6detail10TensorInfoIKT_T0_EEjPjjS8_iijT1_PSB_Ps
	.globl	_ZN2at6native6mbtopk23computeBlockDigitCountsIajjLi2EEEvNS_4cuda6detail10TensorInfoIKT_T0_EEjPjjS8_iijT1_PSB_Ps
	.p2align	8
	.type	_ZN2at6native6mbtopk23computeBlockDigitCountsIajjLi2EEEvNS_4cuda6detail10TensorInfoIKT_T0_EEjPjjS8_iijT1_PSB_Ps,@function
_ZN2at6native6mbtopk23computeBlockDigitCountsIajjLi2EEEvNS_4cuda6detail10TensorInfoIKT_T0_EEjPjjS8_iijT1_PSB_Ps: ; @_ZN2at6native6mbtopk23computeBlockDigitCountsIajjLi2EEEvNS_4cuda6detail10TensorInfoIKT_T0_EEjPjjS8_iijT1_PSB_Ps
; %bb.0:
	s_clause 0x2
	s_load_dwordx2 s[10:11], s[4:5], 0xf8
	s_load_dwordx4 s[12:15], s[4:5], 0xe8
	s_load_dwordx2 s[0:1], s[4:5], 0x110
	s_waitcnt lgkmcnt(0)
	v_cvt_f32_u32_e32 v1, s10
	s_sub_i32 s3, 0, s10
	s_mul_i32 s1, s1, s8
	s_add_i32 s1, s1, s7
	v_rcp_iflag_f32_e32 v1, v1
	s_mul_i32 s8, s1, s0
	s_mov_b32 s7, 0
	s_add_i32 s8, s8, s6
	v_mul_f32_e32 v1, 0x4f7ffffe, v1
	v_cvt_u32_f32_e32 v1, v1
	v_readfirstlane_b32 s2, v1
	s_mul_i32 s3, s3, s2
	s_mul_hi_u32 s0, s2, s3
	s_add_i32 s2, s2, s0
	s_mul_hi_u32 s0, s8, s2
	s_mul_i32 s1, s0, s10
	s_add_i32 s2, s0, 1
	s_sub_i32 s1, s8, s1
	s_sub_i32 s3, s1, s10
	s_cmp_ge_u32 s1, s10
	s_cselect_b32 s0, s2, s0
	s_cselect_b32 s1, s3, s1
	s_add_i32 s2, s0, 1
	s_cmp_ge_u32 s1, s10
	s_cselect_b32 s6, s2, s0
	s_cmp_ge_u32 s6, s12
	s_cbranch_scc1 .LBB18_27
; %bb.1:
	s_clause 0x1
	s_load_dword s16, s[4:5], 0xc
	s_load_dwordx4 s[0:3], s[4:5], 0x100
	s_lshl_b64 s[18:19], s[6:7], 2
	v_cmp_gt_u32_e32 vcc_lo, 0x100, v0
	s_waitcnt lgkmcnt(0)
	v_cvt_f32_u32_e32 v1, s16
	s_add_u32 s0, s0, s18
	s_addc_u32 s1, s1, s19
	v_rcp_iflag_f32_e32 v1, v1
	v_mul_f32_e32 v1, 0x4f7ffffe, v1
	v_cvt_u32_f32_e32 v1, v1
	v_readfirstlane_b32 s17, v1
	v_lshlrev_b32_e32 v1, 2, v0
	s_and_saveexec_b32 s7, vcc_lo
; %bb.2:
	v_mov_b32_e32 v2, 0
	ds_write_b32 v1, v2
; %bb.3:
	s_or_b32 exec_lo, exec_lo, s7
	s_load_dword s7, s[4:5], 0xd8
	s_mul_i32 s9, s6, s10
	s_waitcnt lgkmcnt(0)
	s_sub_i32 s12, s8, s9
	s_barrier
	s_mul_i32 s9, s15, s12
	s_add_i32 s12, s12, 1
	s_lshl_b32 s9, s9, 8
	buffer_gl0_inv
	s_sub_i32 s18, s7, s9
	s_add_u32 s18, s18, 0xff
	s_addc_u32 s19, 0, 0
	s_lshr_b64 s[18:19], s[18:19], 8
	s_cmp_lt_u32 s12, s10
	s_mov_b32 s12, 0
	s_cselect_b32 s10, s15, s18
	s_cmp_lt_i32 s10, 1
	s_cbranch_scc1 .LBB18_25
; %bb.4:
	s_sub_i32 s15, 0, s16
	s_load_dwordx2 s[18:19], s[4:5], 0x6c
	s_mul_i32 s15, s15, s17
	s_load_dwordx2 s[4:5], s[4:5], 0x0
	s_mul_hi_u32 s15, s17, s15
	s_load_dword s1, s[0:1], 0x0
	s_add_i32 s17, s17, s15
	s_mul_hi_u32 s15, s6, s17
	s_mul_i32 s17, s15, s16
	s_add_i32 s20, s15, 1
	s_sub_i32 s17, s6, s17
	s_sub_i32 s21, s17, s16
	s_cmp_ge_u32 s17, s16
	s_cselect_b32 s0, s20, s15
	s_cselect_b32 s15, s21, s17
	s_add_i32 s17, s0, 1
	s_cmp_ge_u32 s15, s16
	s_cselect_b32 s0, s17, s0
	s_mul_i32 s15, s0, s16
	s_waitcnt lgkmcnt(0)
	s_mul_i32 s0, s0, s18
	s_sub_i32 s6, s6, s15
	s_mul_i32 s6, s6, s19
	s_add_i32 s0, s0, s6
	s_add_u32 s4, s4, s0
	s_addc_u32 s5, s5, 0
	s_and_b32 s6, s14, 0xff
	s_cmp_lt_u32 s10, 4
	s_cbranch_scc1 .LBB18_19
; %bb.5:
	v_add_nc_u32_e32 v6, s9, v0
	v_mov_b32_e32 v7, 1
	s_and_b32 s12, s10, 0x7ffffffc
	s_lshl_b32 s14, s13, 10
	s_mov_b32 s15, 0
	v_add_nc_u32_e32 v2, 0x300, v6
	v_add_nc_u32_e32 v4, 0x200, v6
	;; [unrolled: 1-line block ×3, first 2 shown]
	v_mul_lo_u32 v6, s13, v6
	s_mov_b32 s16, 0
	v_mul_lo_u32 v3, s13, v2
	v_mul_lo_u32 v4, s13, v4
	v_mul_lo_u32 v5, s13, v5
	s_branch .LBB18_7
.LBB18_6:                               ;   in Loop: Header=BB18_7 Depth=1
	s_or_b32 exec_lo, exec_lo, s17
	v_add_nc_u32_e32 v2, 0x400, v2
	s_add_i32 s16, s16, 4
	s_add_i32 s15, s15, s14
	s_cmp_eq_u32 s12, s16
	s_cbranch_scc1 .LBB18_19
.LBB18_7:                               ; =>This Inner Loop Header: Depth=1
	v_add_nc_u32_e32 v8, 0xfffffd00, v2
	s_mov_b32 s17, exec_lo
	v_cmpx_gt_u32_e64 s7, v8
	s_cbranch_execz .LBB18_10
; %bb.8:                                ;   in Loop: Header=BB18_7 Depth=1
	v_add_nc_u32_e32 v8, s15, v6
	global_load_sbyte v8, v8, s[4:5]
	s_waitcnt vmcnt(0)
	v_add_nc_u32_e32 v8, 0x80, v8
	v_xor_b32_e32 v9, s1, v8
	v_and_b32_e32 v9, s11, v9
	v_cmp_eq_u32_e64 s0, 0, v9
	s_and_b32 exec_lo, exec_lo, s0
; %bb.9:                                ;   in Loop: Header=BB18_7 Depth=1
	v_lshrrev_b32_e32 v8, s6, v8
	v_lshlrev_b32_e32 v8, 2, v8
	ds_add_u32 v8, v7
.LBB18_10:                              ;   in Loop: Header=BB18_7 Depth=1
	s_or_b32 exec_lo, exec_lo, s17
	v_add_nc_u32_e32 v8, 0xfffffe00, v2
	s_mov_b32 s17, exec_lo
	v_cmpx_gt_u32_e64 s7, v8
	s_cbranch_execz .LBB18_13
; %bb.11:                               ;   in Loop: Header=BB18_7 Depth=1
	v_add_nc_u32_e32 v8, s15, v5
	global_load_sbyte v8, v8, s[4:5]
	s_waitcnt vmcnt(0)
	v_add_nc_u32_e32 v8, 0x80, v8
	v_xor_b32_e32 v9, s1, v8
	v_and_b32_e32 v9, s11, v9
	v_cmp_eq_u32_e64 s0, 0, v9
	s_and_b32 exec_lo, exec_lo, s0
; %bb.12:                               ;   in Loop: Header=BB18_7 Depth=1
	v_lshrrev_b32_e32 v8, s6, v8
	v_lshlrev_b32_e32 v8, 2, v8
	ds_add_u32 v8, v7
.LBB18_13:                              ;   in Loop: Header=BB18_7 Depth=1
	s_or_b32 exec_lo, exec_lo, s17
	v_add_nc_u32_e32 v8, 0xffffff00, v2
	s_mov_b32 s17, exec_lo
	v_cmpx_gt_u32_e64 s7, v8
	s_cbranch_execz .LBB18_16
; %bb.14:                               ;   in Loop: Header=BB18_7 Depth=1
	v_add_nc_u32_e32 v8, s15, v4
	global_load_sbyte v8, v8, s[4:5]
	s_waitcnt vmcnt(0)
	v_add_nc_u32_e32 v8, 0x80, v8
	v_xor_b32_e32 v9, s1, v8
	v_and_b32_e32 v9, s11, v9
	v_cmp_eq_u32_e64 s0, 0, v9
	s_and_b32 exec_lo, exec_lo, s0
; %bb.15:                               ;   in Loop: Header=BB18_7 Depth=1
	v_lshrrev_b32_e32 v8, s6, v8
	v_lshlrev_b32_e32 v8, 2, v8
	ds_add_u32 v8, v7
.LBB18_16:                              ;   in Loop: Header=BB18_7 Depth=1
	s_or_b32 exec_lo, exec_lo, s17
	s_mov_b32 s17, exec_lo
	v_cmpx_gt_u32_e64 s7, v2
	s_cbranch_execz .LBB18_6
; %bb.17:                               ;   in Loop: Header=BB18_7 Depth=1
	v_add_nc_u32_e32 v8, s15, v3
	global_load_sbyte v8, v8, s[4:5]
	s_waitcnt vmcnt(0)
	v_add_nc_u32_e32 v8, 0x80, v8
	v_xor_b32_e32 v9, s1, v8
	v_and_b32_e32 v9, s11, v9
	v_cmp_eq_u32_e64 s0, 0, v9
	s_and_b32 exec_lo, exec_lo, s0
	s_cbranch_execz .LBB18_6
; %bb.18:                               ;   in Loop: Header=BB18_7 Depth=1
	v_lshrrev_b32_e32 v8, s6, v8
	v_lshlrev_b32_e32 v8, 2, v8
	ds_add_u32 v8, v7
	s_branch .LBB18_6
.LBB18_19:
	s_and_b32 s10, s10, 3
	s_cmp_eq_u32 s10, 0
	s_cbranch_scc1 .LBB18_25
; %bb.20:
	s_lshl_b32 s0, s12, 8
	v_mov_b32_e32 v4, 1
	v_add3_u32 v2, s0, s9, v0
	s_lshl_b32 s9, s13, 8
	v_mul_lo_u32 v3, s13, v2
	s_inst_prefetch 0x1
	s_branch .LBB18_22
	.p2align	6
.LBB18_21:                              ;   in Loop: Header=BB18_22 Depth=1
	s_or_b32 exec_lo, exec_lo, s12
	v_add_nc_u32_e32 v3, s9, v3
	v_add_nc_u32_e32 v2, 0x100, v2
	s_add_i32 s10, s10, -1
	s_cmp_lg_u32 s10, 0
	s_cbranch_scc0 .LBB18_25
.LBB18_22:                              ; =>This Inner Loop Header: Depth=1
	s_mov_b32 s12, exec_lo
	v_cmpx_gt_u32_e64 s7, v2
	s_cbranch_execz .LBB18_21
; %bb.23:                               ;   in Loop: Header=BB18_22 Depth=1
	global_load_sbyte v5, v3, s[4:5]
	s_waitcnt vmcnt(0)
	v_add_nc_u32_e32 v5, 0x80, v5
	v_xor_b32_e32 v6, s1, v5
	v_and_b32_e32 v6, s11, v6
	v_cmp_eq_u32_e64 s0, 0, v6
	s_and_b32 exec_lo, exec_lo, s0
	s_cbranch_execz .LBB18_21
; %bb.24:                               ;   in Loop: Header=BB18_22 Depth=1
	v_lshrrev_b32_e32 v5, s6, v5
	v_lshlrev_b32_e32 v5, 2, v5
	ds_add_u32 v5, v4
	s_branch .LBB18_21
.LBB18_25:
	s_inst_prefetch 0x2
	s_waitcnt lgkmcnt(0)
	s_barrier
	buffer_gl0_inv
	s_and_saveexec_b32 s0, vcc_lo
	s_cbranch_execz .LBB18_27
; %bb.26:
	ds_read_b32 v2, v1
	v_lshl_or_b32 v0, s8, 8, v0
	v_mov_b32_e32 v1, 0
	v_lshlrev_b64 v[0:1], 1, v[0:1]
	v_add_co_u32 v0, vcc_lo, s2, v0
	v_add_co_ci_u32_e64 v1, null, s3, v1, vcc_lo
	s_waitcnt lgkmcnt(0)
	global_store_short v[0:1], v2, off
.LBB18_27:
	s_endpgm
	.section	.rodata,"a",@progbits
	.p2align	6, 0x0
	.amdhsa_kernel _ZN2at6native6mbtopk23computeBlockDigitCountsIajjLi2EEEvNS_4cuda6detail10TensorInfoIKT_T0_EEjPjjS8_iijT1_PSB_Ps
		.amdhsa_group_segment_fixed_size 1024
		.amdhsa_private_segment_fixed_size 0
		.amdhsa_kernarg_size 528
		.amdhsa_user_sgpr_count 6
		.amdhsa_user_sgpr_private_segment_buffer 1
		.amdhsa_user_sgpr_dispatch_ptr 0
		.amdhsa_user_sgpr_queue_ptr 0
		.amdhsa_user_sgpr_kernarg_segment_ptr 1
		.amdhsa_user_sgpr_dispatch_id 0
		.amdhsa_user_sgpr_flat_scratch_init 0
		.amdhsa_user_sgpr_private_segment_size 0
		.amdhsa_wavefront_size32 1
		.amdhsa_uses_dynamic_stack 0
		.amdhsa_system_sgpr_private_segment_wavefront_offset 0
		.amdhsa_system_sgpr_workgroup_id_x 1
		.amdhsa_system_sgpr_workgroup_id_y 1
		.amdhsa_system_sgpr_workgroup_id_z 1
		.amdhsa_system_sgpr_workgroup_info 0
		.amdhsa_system_vgpr_workitem_id 0
		.amdhsa_next_free_vgpr 10
		.amdhsa_next_free_sgpr 22
		.amdhsa_reserve_vcc 1
		.amdhsa_reserve_flat_scratch 0
		.amdhsa_float_round_mode_32 0
		.amdhsa_float_round_mode_16_64 0
		.amdhsa_float_denorm_mode_32 3
		.amdhsa_float_denorm_mode_16_64 3
		.amdhsa_dx10_clamp 1
		.amdhsa_ieee_mode 1
		.amdhsa_fp16_overflow 0
		.amdhsa_workgroup_processor_mode 1
		.amdhsa_memory_ordered 1
		.amdhsa_forward_progress 1
		.amdhsa_shared_vgpr_count 0
		.amdhsa_exception_fp_ieee_invalid_op 0
		.amdhsa_exception_fp_denorm_src 0
		.amdhsa_exception_fp_ieee_div_zero 0
		.amdhsa_exception_fp_ieee_overflow 0
		.amdhsa_exception_fp_ieee_underflow 0
		.amdhsa_exception_fp_ieee_inexact 0
		.amdhsa_exception_int_div_zero 0
	.end_amdhsa_kernel
	.section	.text._ZN2at6native6mbtopk23computeBlockDigitCountsIajjLi2EEEvNS_4cuda6detail10TensorInfoIKT_T0_EEjPjjS8_iijT1_PSB_Ps,"axG",@progbits,_ZN2at6native6mbtopk23computeBlockDigitCountsIajjLi2EEEvNS_4cuda6detail10TensorInfoIKT_T0_EEjPjjS8_iijT1_PSB_Ps,comdat
.Lfunc_end18:
	.size	_ZN2at6native6mbtopk23computeBlockDigitCountsIajjLi2EEEvNS_4cuda6detail10TensorInfoIKT_T0_EEjPjjS8_iijT1_PSB_Ps, .Lfunc_end18-_ZN2at6native6mbtopk23computeBlockDigitCountsIajjLi2EEEvNS_4cuda6detail10TensorInfoIKT_T0_EEjPjjS8_iijT1_PSB_Ps
                                        ; -- End function
	.set _ZN2at6native6mbtopk23computeBlockDigitCountsIajjLi2EEEvNS_4cuda6detail10TensorInfoIKT_T0_EEjPjjS8_iijT1_PSB_Ps.num_vgpr, 10
	.set _ZN2at6native6mbtopk23computeBlockDigitCountsIajjLi2EEEvNS_4cuda6detail10TensorInfoIKT_T0_EEjPjjS8_iijT1_PSB_Ps.num_agpr, 0
	.set _ZN2at6native6mbtopk23computeBlockDigitCountsIajjLi2EEEvNS_4cuda6detail10TensorInfoIKT_T0_EEjPjjS8_iijT1_PSB_Ps.numbered_sgpr, 22
	.set _ZN2at6native6mbtopk23computeBlockDigitCountsIajjLi2EEEvNS_4cuda6detail10TensorInfoIKT_T0_EEjPjjS8_iijT1_PSB_Ps.num_named_barrier, 0
	.set _ZN2at6native6mbtopk23computeBlockDigitCountsIajjLi2EEEvNS_4cuda6detail10TensorInfoIKT_T0_EEjPjjS8_iijT1_PSB_Ps.private_seg_size, 0
	.set _ZN2at6native6mbtopk23computeBlockDigitCountsIajjLi2EEEvNS_4cuda6detail10TensorInfoIKT_T0_EEjPjjS8_iijT1_PSB_Ps.uses_vcc, 1
	.set _ZN2at6native6mbtopk23computeBlockDigitCountsIajjLi2EEEvNS_4cuda6detail10TensorInfoIKT_T0_EEjPjjS8_iijT1_PSB_Ps.uses_flat_scratch, 0
	.set _ZN2at6native6mbtopk23computeBlockDigitCountsIajjLi2EEEvNS_4cuda6detail10TensorInfoIKT_T0_EEjPjjS8_iijT1_PSB_Ps.has_dyn_sized_stack, 0
	.set _ZN2at6native6mbtopk23computeBlockDigitCountsIajjLi2EEEvNS_4cuda6detail10TensorInfoIKT_T0_EEjPjjS8_iijT1_PSB_Ps.has_recursion, 0
	.set _ZN2at6native6mbtopk23computeBlockDigitCountsIajjLi2EEEvNS_4cuda6detail10TensorInfoIKT_T0_EEjPjjS8_iijT1_PSB_Ps.has_indirect_call, 0
	.section	.AMDGPU.csdata,"",@progbits
; Kernel info:
; codeLenInByte = 1220
; TotalNumSgprs: 24
; NumVgprs: 10
; ScratchSize: 0
; MemoryBound: 0
; FloatMode: 240
; IeeeMode: 1
; LDSByteSize: 1024 bytes/workgroup (compile time only)
; SGPRBlocks: 0
; VGPRBlocks: 1
; NumSGPRsForWavesPerEU: 24
; NumVGPRsForWavesPerEU: 10
; Occupancy: 16
; WaveLimiterHint : 1
; COMPUTE_PGM_RSRC2:SCRATCH_EN: 0
; COMPUTE_PGM_RSRC2:USER_SGPR: 6
; COMPUTE_PGM_RSRC2:TRAP_HANDLER: 0
; COMPUTE_PGM_RSRC2:TGID_X_EN: 1
; COMPUTE_PGM_RSRC2:TGID_Y_EN: 1
; COMPUTE_PGM_RSRC2:TGID_Z_EN: 1
; COMPUTE_PGM_RSRC2:TIDIG_COMP_CNT: 0
	.section	.text._ZN2at6native6mbtopk10gatherTopKIajLi2EEEvNS_4cuda6detail10TensorInfoIKT_T0_EES8_S8_bjS8_NS5_IS6_S8_EES8_NS5_IlS8_EES8_jjPS6_PjSD_j,"axG",@progbits,_ZN2at6native6mbtopk10gatherTopKIajLi2EEEvNS_4cuda6detail10TensorInfoIKT_T0_EES8_S8_bjS8_NS5_IS6_S8_EES8_NS5_IlS8_EES8_jjPS6_PjSD_j,comdat
	.protected	_ZN2at6native6mbtopk10gatherTopKIajLi2EEEvNS_4cuda6detail10TensorInfoIKT_T0_EES8_S8_bjS8_NS5_IS6_S8_EES8_NS5_IlS8_EES8_jjPS6_PjSD_j ; -- Begin function _ZN2at6native6mbtopk10gatherTopKIajLi2EEEvNS_4cuda6detail10TensorInfoIKT_T0_EES8_S8_bjS8_NS5_IS6_S8_EES8_NS5_IlS8_EES8_jjPS6_PjSD_j
	.globl	_ZN2at6native6mbtopk10gatherTopKIajLi2EEEvNS_4cuda6detail10TensorInfoIKT_T0_EES8_S8_bjS8_NS5_IS6_S8_EES8_NS5_IlS8_EES8_jjPS6_PjSD_j
	.p2align	8
	.type	_ZN2at6native6mbtopk10gatherTopKIajLi2EEEvNS_4cuda6detail10TensorInfoIKT_T0_EES8_S8_bjS8_NS5_IS6_S8_EES8_NS5_IlS8_EES8_jjPS6_PjSD_j,@function
_ZN2at6native6mbtopk10gatherTopKIajLi2EEEvNS_4cuda6detail10TensorInfoIKT_T0_EES8_S8_bjS8_NS5_IS6_S8_EES8_NS5_IlS8_EES8_jjPS6_PjSD_j: ; @_ZN2at6native6mbtopk10gatherTopKIajLi2EEEvNS_4cuda6detail10TensorInfoIKT_T0_EES8_S8_bjS8_NS5_IS6_S8_EES8_NS5_IlS8_EES8_jjPS6_PjSD_j
; %bb.0:
	s_clause 0x1
	s_load_dwordx2 s[0:1], s[4:5], 0x2d8
	s_load_dword s2, s[4:5], 0x2d0
	s_waitcnt lgkmcnt(0)
	s_mul_i32 s1, s1, s8
	s_add_i32 s1, s1, s7
	s_mul_i32 s0, s1, s0
	s_add_i32 s0, s0, s6
	s_cmp_ge_u32 s0, s2
	s_cbranch_scc1 .LBB19_40
; %bb.1:
	s_clause 0x2
	s_load_dwordx8 s[8:15], s[4:5], 0x2a8
	s_load_dwordx2 s[22:23], s[4:5], 0x23c
	s_load_dwordx2 s[24:25], s[4:5], 0x15c
	s_waitcnt lgkmcnt(0)
	v_cvt_f32_u32_e32 v1, s10
	s_sub_i32 s2, 0, s10
	v_rcp_iflag_f32_e32 v1, v1
	v_mul_f32_e32 v1, 0x4f7ffffe, v1
	v_cvt_u32_f32_e32 v1, v1
	v_readfirstlane_b32 s1, v1
	s_mul_i32 s2, s2, s1
	s_mul_hi_u32 s2, s1, s2
	s_add_i32 s1, s1, s2
	s_mul_hi_u32 s1, s0, s1
	s_mul_i32 s2, s1, s10
	s_add_i32 s3, s1, 1
	s_sub_i32 s2, s0, s2
	s_sub_i32 s6, s2, s10
	s_cmp_ge_u32 s2, s10
	s_cselect_b32 s1, s3, s1
	s_cselect_b32 s2, s6, s2
	s_add_i32 s3, s1, 1
	s_cmp_ge_u32 s2, s10
	s_cselect_b32 s11, s3, s1
	s_load_dwordx2 s[2:3], s[4:5], 0x1d0
	v_mov_b32_e32 v1, s11
	global_load_ubyte v6, v1, s[12:13]
	s_clause 0x5
	s_load_dword s38, s[4:5], 0xc
	s_load_dword s36, s[4:5], 0xfc
	;; [unrolled: 1-line block ×3, first 2 shown]
	s_load_dwordx2 s[6:7], s[4:5], 0xf0
	s_load_dwordx2 s[26:27], s[4:5], 0x6c
	;; [unrolled: 1-line block ×3, first 2 shown]
	s_mul_i32 s12, s11, s10
	s_mov_b32 s13, 0
	s_sub_i32 s41, s0, s12
	s_waitcnt lgkmcnt(0)
	v_cvt_f32_u32_e32 v1, s38
	v_cvt_f32_u32_e32 v2, s36
	;; [unrolled: 1-line block ×3, first 2 shown]
	s_sub_i32 s16, 0, s38
	v_rcp_iflag_f32_e32 v1, v1
	v_rcp_iflag_f32_e32 v2, v2
	;; [unrolled: 1-line block ×3, first 2 shown]
	v_mul_f32_e32 v1, 0x4f7ffffe, v1
	v_mul_f32_e32 v2, 0x4f7ffffe, v2
	v_cvt_u32_f32_e32 v1, v1
	v_cvt_u32_f32_e32 v2, v2
	v_readfirstlane_b32 s1, v1
	v_mul_f32_e32 v1, 0x4f7ffffe, v3
	s_mul_i32 s16, s16, s1
	v_cvt_u32_f32_e32 v1, v1
	s_mul_hi_u32 s0, s1, s16
	v_readfirstlane_b32 s16, v2
	s_add_i32 s1, s1, s0
	s_sub_i32 s0, 0, s36
	v_readfirstlane_b32 s17, v1
	s_mul_hi_u32 s40, s11, s1
	s_sub_i32 s1, 0, s33
	s_mul_i32 s0, s0, s16
	s_mul_i32 s1, s1, s17
	s_mul_hi_u32 s0, s16, s0
	s_mul_hi_u32 s18, s17, s1
	s_add_i32 s16, s16, s0
	v_cmp_ne_u32_e64 s0, 0, v0
	v_cmp_eq_u32_e64 s1, 0, v0
	s_add_i32 s17, s17, s18
	s_mul_hi_u32 s39, s11, s16
	s_mul_hi_u32 s37, s11, s17
	s_and_saveexec_b32 s42, s1
	s_cbranch_execz .LBB19_17
; %bb.2:
	s_load_dwordx2 s[28:29], s[4:5], 0x2c8
	s_lshl_b64 s[30:31], s[12:13], 2
	s_mov_b32 s12, 0
	s_add_u32 s16, s14, s30
	s_addc_u32 s17, s15, s31
	s_mov_b32 s43, 0
	s_waitcnt lgkmcnt(0)
	s_add_u32 s18, s28, s30
	s_addc_u32 s19, s29, s31
	s_cmp_lt_u32 s10, 4
	s_cbranch_scc1 .LBB19_14
; %bb.3:
	s_mov_b32 s44, 0
.LBB19_4:                               ; =>This Inner Loop Header: Depth=1
	s_add_u32 s16, s14, s30
	s_addc_u32 s17, s15, s31
	s_add_u32 s34, s28, s30
	s_load_dwordx4 s[16:19], s[16:17], 0x0
	s_addc_u32 s35, s29, s31
	s_cmp_ge_u32 s44, s41
	s_cbranch_scc0 .LBB19_11
; %bb.5:                                ;   in Loop: Header=BB19_4 Depth=1
	s_add_i32 s45, s44, 1
	s_cmp_ge_u32 s45, s41
	s_cbranch_scc0 .LBB19_12
.LBB19_6:                               ;   in Loop: Header=BB19_4 Depth=1
	s_add_i32 s45, s45, 1
	s_cmp_ge_u32 s45, s41
	s_cbranch_scc0 .LBB19_13
.LBB19_7:                               ;   in Loop: Header=BB19_4 Depth=1
	s_add_i32 s45, s45, 1
	s_cmp_ge_u32 s45, s41
	s_cbranch_scc1 .LBB19_9
.LBB19_8:                               ;   in Loop: Header=BB19_4 Depth=1
	s_load_dword s34, s[34:35], 0xc
	s_waitcnt lgkmcnt(0)
	s_add_i32 s13, s13, s19
	s_add_i32 s12, s34, s12
.LBB19_9:                               ;   in Loop: Header=BB19_4 Depth=1
	s_waitcnt lgkmcnt(0)
	s_add_i32 s16, s16, s43
	s_add_i32 s16, s16, s17
	;; [unrolled: 1-line block ×4, first 2 shown]
	s_add_u32 s14, s14, 16
	s_addc_u32 s15, s15, 0
	s_add_u32 s28, s28, 16
	s_addc_u32 s29, s29, 0
	s_add_i32 s35, s45, 4
	s_add_u32 s18, s28, s30
	s_addc_u32 s19, s29, s31
	s_add_u32 s16, s14, s30
	s_addc_u32 s17, s15, s31
	s_add_i32 s34, s45, 1
	s_cmp_ge_u32 s35, s10
	s_cbranch_scc1 .LBB19_15
; %bb.10:                               ;   in Loop: Header=BB19_4 Depth=1
	s_mov_b32 s44, s34
	s_branch .LBB19_4
.LBB19_11:                              ;   in Loop: Header=BB19_4 Depth=1
	s_load_dword s45, s[34:35], 0x0
	s_waitcnt lgkmcnt(0)
	s_add_i32 s13, s16, s13
	s_add_i32 s12, s45, s12
	;; [unrolled: 1-line block ×3, first 2 shown]
	s_cmp_ge_u32 s45, s41
	s_cbranch_scc1 .LBB19_6
.LBB19_12:                              ;   in Loop: Header=BB19_4 Depth=1
	s_load_dword s46, s[34:35], 0x4
	s_waitcnt lgkmcnt(0)
	s_add_i32 s13, s13, s17
	s_add_i32 s12, s46, s12
	;; [unrolled: 1-line block ×3, first 2 shown]
	s_cmp_ge_u32 s45, s41
	s_cbranch_scc1 .LBB19_7
.LBB19_13:                              ;   in Loop: Header=BB19_4 Depth=1
	s_load_dword s46, s[34:35], 0x8
	s_waitcnt lgkmcnt(0)
	s_add_i32 s13, s13, s18
	s_add_i32 s12, s46, s12
	;; [unrolled: 1-line block ×3, first 2 shown]
	s_cmp_ge_u32 s45, s41
	s_cbranch_scc0 .LBB19_8
	s_branch .LBB19_9
.LBB19_14:
	s_mov_b32 s14, 0
	s_cmp_ge_u32 s14, s10
	s_cbranch_scc0 .LBB19_38
	s_branch .LBB19_16
.LBB19_15:
	s_add_i32 s14, s44, 4
	s_cmp_ge_u32 s14, s10
	s_cbranch_scc0 .LBB19_38
.LBB19_16:
	v_mov_b32_e32 v1, s12
	v_mov_b32_e32 v2, s43
	;; [unrolled: 1-line block ×4, first 2 shown]
	ds_write_b96 v4, v[1:3] offset:1056
.LBB19_17:
	s_or_b32 exec_lo, exec_lo, s42
	s_load_dwordx4 s[12:15], s[4:5], 0xd8
	s_waitcnt lgkmcnt(0)
	s_mul_i32 s15, s9, s41
	s_add_i32 s41, s41, 1
	s_lshl_b32 s18, s15, 8
	s_waitcnt vmcnt(0)
	s_barrier
	buffer_gl0_inv
	s_sub_i32 s15, s12, s18
	s_add_u32 s16, s15, 0xff
	s_addc_u32 s17, 0, 0
	s_lshr_b64 s[16:17], s[16:17], 8
	s_cmp_lt_u32 s41, s10
	s_mov_b32 s17, 0
	s_cselect_b32 s9, s9, s16
	s_cmp_eq_u32 s9, 0
	s_cbranch_scc1 .LBB19_40
; %bb.18:
	s_mul_i32 s10, s40, s38
	s_add_i32 s15, s40, 1
	s_sub_i32 s10, s11, s10
	s_mul_i32 s19, s39, s36
	s_sub_i32 s16, s10, s38
	s_cmp_ge_u32 s10, s38
	v_mov_b32_e32 v5, 0
	s_cselect_b32 s15, s15, s40
	s_cselect_b32 s10, s16, s10
	s_add_i32 s16, s15, 1
	s_cmp_ge_u32 s10, s38
	s_mul_i32 s10, s37, s33
	s_cselect_b32 s15, s16, s15
	s_sub_i32 s16, s11, s19
	s_mul_i32 s19, s15, s38
	s_mul_i32 s15, s15, s26
	s_sub_i32 s19, s11, s19
	s_add_i32 s28, s39, 1
	s_mul_i32 s19, s19, s27
	s_sub_i32 s26, s16, s36
	s_add_i32 s15, s15, s19
	s_cmp_ge_u32 s16, s36
	ds_read_b96 v[1:3], v5 offset:1056
	s_cselect_b32 s19, s28, s39
	s_cselect_b32 s16, s26, s16
	s_add_i32 s26, s19, 1
	s_cmp_ge_u32 s16, s36
	s_load_dword s27, s[4:5], 0xe8
	s_cselect_b32 s16, s26, s19
	s_sub_i32 s10, s11, s10
	s_mul_i32 s19, s16, s36
	s_mul_i32 s16, s16, s24
	s_sub_i32 s19, s11, s19
	s_add_i32 s26, s37, 1
	s_mul_i32 s19, s19, s25
	s_sub_i32 s24, s10, s33
	s_add_i32 s19, s16, s19
	s_cmp_ge_u32 s10, s33
	v_lshrrev_b32_e32 v4, 3, v0
	s_cselect_b32 s16, s26, s37
	s_cselect_b32 s10, s24, s10
	s_add_i32 s24, s16, 1
	s_cmp_ge_u32 s10, s33
	v_add_nc_u32_e32 v10, -1, v0
	s_cselect_b32 s10, s24, s16
	s_load_dword s4, s[4:5], 0x1c8
	s_mul_i32 s16, s10, s33
	v_and_b32_e32 v4, 28, v4
	s_sub_i32 s11, s11, s16
	v_lshrrev_b32_e32 v9, 3, v10
	s_mul_i32 s10, s10, s22
	s_mul_i32 s11, s11, s23
	s_waitcnt lgkmcnt(0)
	v_add_nc_u32_e32 v1, v1, v2
	s_add_i32 s16, s10, s11
	s_add_u32 s10, s20, s15
	v_lshl_add_u32 v2, v0, 2, v4
	v_and_b32_e32 v12, 0x1ffffffc, v9
	v_add_nc_u32_e32 v4, s18, v0
	s_addc_u32 s11, s21, 0
	s_add_u32 s6, s6, s19
	v_mov_b32_e32 v7, 0x80
	s_addc_u32 s7, s7, 0
	s_lshl_b64 s[16:17], s[16:17], 3
	v_and_b32_e32 v11, 0xfc, v0
	v_lshlrev_b32_e32 v13, 5, v0
	v_mbcnt_lo_u32_b32 v9, -1, 0
	s_add_u32 s15, s2, s16
	v_cmp_gt_u32_e64 s2, 32, v0
	v_lshl_add_u32 v0, v10, 2, v12
	v_mul_lo_u32 v10, s27, v4
	v_add_nc_u32_sdwa v8, sext(v6), v7 dst_sel:DWORD dst_unused:UNUSED_PAD src0_sel:BYTE_0 src1_sel:DWORD
	s_addc_u32 s16, s3, s17
	v_add_nc_u32_e32 v11, v11, v13
	v_and_b32_e32 v12, 15, v9
	v_bfe_i32 v13, v9, 4, 1
	v_add_nc_u32_e32 v14, -1, v9
	s_bitcmp1_b32 s14, 0
                                        ; implicit-def: $vgpr15
	s_cselect_b32 s3, -1, 0
	s_lshl_b32 s5, s27, 8
	s_branch .LBB19_21
.LBB19_19:                              ;   in Loop: Header=BB19_21 Depth=1
	s_or_b32 exec_lo, exec_lo, s14
	v_add_nc_u32_e32 v1, v18, v1
.LBB19_20:                              ;   in Loop: Header=BB19_21 Depth=1
	v_add_nc_u32_e32 v3, v17, v3
	v_add_nc_u32_e32 v10, s5, v10
	;; [unrolled: 1-line block ×3, first 2 shown]
	s_add_i32 s9, s9, -1
	s_cmp_lg_u32 s9, 0
	s_cbranch_scc0 .LBB19_40
.LBB19_21:                              ; =>This Inner Loop Header: Depth=1
	v_mov_b32_e32 v18, 0
	v_mov_b32_e32 v16, 0
	s_mov_b32 s14, exec_lo
	v_cmpx_gt_u32_e64 s12, v4
	s_cbranch_execz .LBB19_23
; %bb.22:                               ;   in Loop: Header=BB19_21 Depth=1
	global_load_ubyte v15, v10, s[10:11]
	s_waitcnt vmcnt(0)
	v_add_nc_u32_sdwa v16, sext(v15), v7 dst_sel:DWORD dst_unused:UNUSED_PAD src0_sel:BYTE_0 src1_sel:DWORD
	v_cmp_eq_u16_sdwa s17, v15, v6 src0_sel:DWORD src1_sel:BYTE_0
	v_cmp_gt_u32_e32 vcc_lo, v16, v8
	v_cndmask_b32_e64 v17, 0, 1, vcc_lo
	v_cmp_lt_u32_e32 vcc_lo, v16, v8
	v_cndmask_b32_e64 v16, 0, 1, vcc_lo
	v_cndmask_b32_e64 v16, v16, v17, s3
	v_and_b32_e32 v18, 1, v16
	v_cndmask_b32_e64 v16, 0, 1, s17
.LBB19_23:                              ;   in Loop: Header=BB19_21 Depth=1
	s_or_b32 exec_lo, exec_lo, s14
	ds_write_b32 v2, v18
	s_waitcnt lgkmcnt(0)
	s_barrier
	buffer_gl0_inv
	s_and_saveexec_b32 s14, s2
	s_cbranch_execz .LBB19_25
; %bb.24:                               ;   in Loop: Header=BB19_21 Depth=1
	ds_read2_b32 v[19:20], v11 offset1:1
	ds_read2_b32 v[21:22], v11 offset0:2 offset1:3
	ds_read2_b32 v[23:24], v11 offset0:4 offset1:5
	ds_read2_b32 v[25:26], v11 offset0:6 offset1:7
	v_cmp_ne_u32_e32 vcc_lo, 0, v12
	; wave barrier
	s_waitcnt lgkmcnt(3)
	v_add_nc_u32_e32 v17, v20, v19
	s_waitcnt lgkmcnt(2)
	v_add3_u32 v17, v17, v21, v22
	s_waitcnt lgkmcnt(1)
	v_add3_u32 v17, v17, v23, v24
	;; [unrolled: 2-line block ×3, first 2 shown]
	v_mov_b32_dpp v20, v17 row_shr:1 row_mask:0xf bank_mask:0xf
	v_cndmask_b32_e32 v20, 0, v20, vcc_lo
	v_cmp_lt_u32_e32 vcc_lo, 1, v12
	v_add_nc_u32_e32 v17, v20, v17
	v_mov_b32_dpp v20, v17 row_shr:2 row_mask:0xf bank_mask:0xf
	v_cndmask_b32_e32 v20, 0, v20, vcc_lo
	v_cmp_lt_u32_e32 vcc_lo, 3, v12
	v_add_nc_u32_e32 v17, v17, v20
	;; [unrolled: 4-line block ×3, first 2 shown]
	v_mov_b32_dpp v20, v17 row_shr:8 row_mask:0xf bank_mask:0xf
	v_cndmask_b32_e32 v20, 0, v20, vcc_lo
	v_cmp_gt_i32_e32 vcc_lo, 0, v14
	v_add_nc_u32_e32 v17, v17, v20
	v_cndmask_b32_e32 v21, v14, v9, vcc_lo
	ds_swizzle_b32 v20, v17 offset:swizzle(BROADCAST,32,15)
	v_lshlrev_b32_e32 v21, 2, v21
	s_waitcnt lgkmcnt(0)
	v_and_b32_e32 v20, v13, v20
	v_add_nc_u32_e32 v17, v17, v20
	ds_bpermute_b32 v17, v21, v17
	s_waitcnt lgkmcnt(0)
	v_add_nc_u32_e32 v17, v17, v19
	v_cndmask_b32_e64 v17, v17, v18, s1
	ds_write_b32 v11, v17
	; wave barrier
	ds_read2_b32 v[19:20], v11 offset0:1 offset1:2
	ds_read2_b32 v[21:22], v11 offset0:3 offset1:4
	;; [unrolled: 1-line block ×3, first 2 shown]
	ds_read_b32 v25, v11 offset:28
	s_waitcnt lgkmcnt(3)
	v_add_nc_u32_e32 v17, v19, v17
	v_add_nc_u32_e32 v19, v20, v17
	s_waitcnt lgkmcnt(2)
	v_add_nc_u32_e32 v20, v21, v19
	v_add_nc_u32_e32 v21, v22, v20
	;; [unrolled: 3-line block ×3, first 2 shown]
	s_waitcnt lgkmcnt(0)
	v_add_nc_u32_e32 v24, v25, v23
	ds_write2_b32 v11, v17, v19 offset0:1 offset1:2
	ds_write2_b32 v11, v20, v21 offset0:3 offset1:4
	;; [unrolled: 1-line block ×3, first 2 shown]
	ds_write_b32 v11, v24 offset:28
.LBB19_25:                              ;   in Loop: Header=BB19_21 Depth=1
	s_or_b32 exec_lo, exec_lo, s14
	v_mov_b32_e32 v19, 0
	s_waitcnt lgkmcnt(0)
	s_barrier
	buffer_gl0_inv
	s_and_saveexec_b32 s14, s0
; %bb.26:                               ;   in Loop: Header=BB19_21 Depth=1
	ds_read_b32 v19, v0
; %bb.27:                               ;   in Loop: Header=BB19_21 Depth=1
	s_or_b32 exec_lo, exec_lo, s14
	ds_read_b32 v17, v5 offset:1048
	s_mov_b32 s14, exec_lo
	s_waitcnt lgkmcnt(0)
	s_barrier
	buffer_gl0_inv
	v_cmpx_ne_u32_e32 0, v18
	s_cbranch_execz .LBB19_29
; %bb.28:                               ;   in Loop: Header=BB19_21 Depth=1
	v_add_nc_u32_e32 v20, v19, v3
	v_mov_b32_e32 v19, v5
	v_mul_lo_u32 v18, v20, s8
	v_mul_lo_u32 v20, v20, s4
	v_lshlrev_b64 v[18:19], 3, v[18:19]
	v_add_co_u32 v18, vcc_lo, s15, v18
	v_add_co_ci_u32_e64 v19, null, s16, v19, vcc_lo
	global_store_byte v20, v15, s[6:7]
	global_store_dwordx2 v[18:19], v[4:5], off
.LBB19_29:                              ;   in Loop: Header=BB19_21 Depth=1
	s_or_b32 exec_lo, exec_lo, s14
	v_cmp_le_u32_e32 vcc_lo, s13, v1
	s_cbranch_vccnz .LBB19_20
; %bb.30:                               ;   in Loop: Header=BB19_21 Depth=1
	ds_write_b32 v2, v16
	s_waitcnt lgkmcnt(0)
	s_waitcnt_vscnt null, 0x0
	s_barrier
	buffer_gl0_inv
	s_and_saveexec_b32 s14, s2
	s_cbranch_execz .LBB19_32
; %bb.31:                               ;   in Loop: Header=BB19_21 Depth=1
	ds_read2_b32 v[18:19], v11 offset1:1
	ds_read2_b32 v[20:21], v11 offset0:2 offset1:3
	ds_read2_b32 v[22:23], v11 offset0:4 offset1:5
	;; [unrolled: 1-line block ×3, first 2 shown]
	v_cmp_ne_u32_e32 vcc_lo, 0, v12
	; wave barrier
	s_waitcnt lgkmcnt(3)
	v_add_nc_u32_e32 v19, v19, v18
	s_waitcnt lgkmcnt(2)
	v_add3_u32 v19, v19, v20, v21
	s_waitcnt lgkmcnt(1)
	v_add3_u32 v19, v19, v22, v23
	;; [unrolled: 2-line block ×3, first 2 shown]
	v_mov_b32_dpp v20, v19 row_shr:1 row_mask:0xf bank_mask:0xf
	v_cndmask_b32_e32 v20, 0, v20, vcc_lo
	v_cmp_lt_u32_e32 vcc_lo, 1, v12
	v_add_nc_u32_e32 v19, v20, v19
	v_mov_b32_dpp v20, v19 row_shr:2 row_mask:0xf bank_mask:0xf
	v_cndmask_b32_e32 v20, 0, v20, vcc_lo
	v_cmp_lt_u32_e32 vcc_lo, 3, v12
	v_add_nc_u32_e32 v19, v19, v20
	;; [unrolled: 4-line block ×3, first 2 shown]
	v_mov_b32_dpp v20, v19 row_shr:8 row_mask:0xf bank_mask:0xf
	v_cndmask_b32_e32 v20, 0, v20, vcc_lo
	v_cmp_gt_i32_e32 vcc_lo, 0, v14
	v_add_nc_u32_e32 v19, v19, v20
	v_cndmask_b32_e32 v21, v14, v9, vcc_lo
	ds_swizzle_b32 v20, v19 offset:swizzle(BROADCAST,32,15)
	v_lshlrev_b32_e32 v21, 2, v21
	s_waitcnt lgkmcnt(0)
	v_and_b32_e32 v20, v13, v20
	v_add_nc_u32_e32 v19, v19, v20
	ds_bpermute_b32 v19, v21, v19
	s_waitcnt lgkmcnt(0)
	v_add_nc_u32_e32 v18, v19, v18
	v_cndmask_b32_e64 v24, v18, v16, s1
	ds_write_b32 v11, v24
	; wave barrier
	ds_read2_b32 v[18:19], v11 offset0:1 offset1:2
	ds_read2_b32 v[20:21], v11 offset0:3 offset1:4
	ds_read2_b32 v[22:23], v11 offset0:5 offset1:6
	ds_read_b32 v25, v11 offset:28
	s_waitcnt lgkmcnt(3)
	v_add_nc_u32_e32 v18, v18, v24
	v_add_nc_u32_e32 v19, v19, v18
	s_waitcnt lgkmcnt(2)
	v_add_nc_u32_e32 v20, v20, v19
	v_add_nc_u32_e32 v21, v21, v20
	;; [unrolled: 3-line block ×3, first 2 shown]
	s_waitcnt lgkmcnt(0)
	v_add_nc_u32_e32 v24, v25, v23
	ds_write2_b32 v11, v18, v19 offset0:1 offset1:2
	ds_write2_b32 v11, v20, v21 offset0:3 offset1:4
	;; [unrolled: 1-line block ×3, first 2 shown]
	ds_write_b32 v11, v24 offset:28
.LBB19_32:                              ;   in Loop: Header=BB19_21 Depth=1
	s_or_b32 exec_lo, exec_lo, s14
	v_mov_b32_e32 v19, 0
	s_waitcnt lgkmcnt(0)
	s_barrier
	buffer_gl0_inv
	s_and_saveexec_b32 s14, s0
; %bb.33:                               ;   in Loop: Header=BB19_21 Depth=1
	ds_read_b32 v19, v0
; %bb.34:                               ;   in Loop: Header=BB19_21 Depth=1
	s_or_b32 exec_lo, exec_lo, s14
	ds_read_b32 v18, v5 offset:1048
	s_mov_b32 s14, exec_lo
	s_waitcnt lgkmcnt(0)
	s_barrier
	buffer_gl0_inv
	v_cmpx_ne_u32_e32 0, v16
	s_cbranch_execz .LBB19_19
; %bb.35:                               ;   in Loop: Header=BB19_21 Depth=1
	v_add_nc_u32_e32 v16, v19, v1
	v_cmp_gt_u32_e32 vcc_lo, s13, v16
	s_and_b32 exec_lo, exec_lo, vcc_lo
	s_cbranch_execz .LBB19_19
; %bb.36:                               ;   in Loop: Header=BB19_21 Depth=1
	v_mul_lo_u32 v19, v16, s8
	v_mov_b32_e32 v20, v5
	v_mul_lo_u32 v16, v16, s4
	v_lshlrev_b64 v[19:20], 3, v[19:20]
	v_add_co_u32 v19, vcc_lo, s15, v19
	v_add_co_ci_u32_e64 v20, null, s16, v20, vcc_lo
	global_store_byte v16, v15, s[6:7]
	global_store_dwordx2 v[19:20], v[4:5], off
	s_branch .LBB19_19
	.p2align	6
.LBB19_37:                              ;   in Loop: Header=BB19_38 Depth=1
	s_add_u32 s16, s16, 4
	s_addc_u32 s17, s17, 0
	s_waitcnt lgkmcnt(0)
	s_add_i32 s43, s15, s43
	s_add_u32 s18, s18, 4
	s_addc_u32 s19, s19, 0
	s_add_i32 s14, s14, 1
	s_cmp_lt_u32 s14, s10
	s_cbranch_scc0 .LBB19_16
.LBB19_38:                              ; =>This Inner Loop Header: Depth=1
	s_load_dword s15, s[16:17], 0x0
	s_cmp_ge_u32 s14, s41
	s_cbranch_scc1 .LBB19_37
; %bb.39:                               ;   in Loop: Header=BB19_38 Depth=1
	s_load_dword s28, s[18:19], 0x0
	s_waitcnt lgkmcnt(0)
	s_add_i32 s13, s15, s13
	s_add_i32 s12, s28, s12
	s_branch .LBB19_37
.LBB19_40:
	s_endpgm
	.section	.rodata,"a",@progbits
	.p2align	6, 0x0
	.amdhsa_kernel _ZN2at6native6mbtopk10gatherTopKIajLi2EEEvNS_4cuda6detail10TensorInfoIKT_T0_EES8_S8_bjS8_NS5_IS6_S8_EES8_NS5_IlS8_EES8_jjPS6_PjSD_j
		.amdhsa_group_segment_fixed_size 1068
		.amdhsa_private_segment_fixed_size 0
		.amdhsa_kernarg_size 984
		.amdhsa_user_sgpr_count 6
		.amdhsa_user_sgpr_private_segment_buffer 1
		.amdhsa_user_sgpr_dispatch_ptr 0
		.amdhsa_user_sgpr_queue_ptr 0
		.amdhsa_user_sgpr_kernarg_segment_ptr 1
		.amdhsa_user_sgpr_dispatch_id 0
		.amdhsa_user_sgpr_flat_scratch_init 0
		.amdhsa_user_sgpr_private_segment_size 0
		.amdhsa_wavefront_size32 1
		.amdhsa_uses_dynamic_stack 0
		.amdhsa_system_sgpr_private_segment_wavefront_offset 0
		.amdhsa_system_sgpr_workgroup_id_x 1
		.amdhsa_system_sgpr_workgroup_id_y 1
		.amdhsa_system_sgpr_workgroup_id_z 1
		.amdhsa_system_sgpr_workgroup_info 0
		.amdhsa_system_vgpr_workitem_id 0
		.amdhsa_next_free_vgpr 27
		.amdhsa_next_free_sgpr 47
		.amdhsa_reserve_vcc 1
		.amdhsa_reserve_flat_scratch 0
		.amdhsa_float_round_mode_32 0
		.amdhsa_float_round_mode_16_64 0
		.amdhsa_float_denorm_mode_32 3
		.amdhsa_float_denorm_mode_16_64 3
		.amdhsa_dx10_clamp 1
		.amdhsa_ieee_mode 1
		.amdhsa_fp16_overflow 0
		.amdhsa_workgroup_processor_mode 1
		.amdhsa_memory_ordered 1
		.amdhsa_forward_progress 1
		.amdhsa_shared_vgpr_count 0
		.amdhsa_exception_fp_ieee_invalid_op 0
		.amdhsa_exception_fp_denorm_src 0
		.amdhsa_exception_fp_ieee_div_zero 0
		.amdhsa_exception_fp_ieee_overflow 0
		.amdhsa_exception_fp_ieee_underflow 0
		.amdhsa_exception_fp_ieee_inexact 0
		.amdhsa_exception_int_div_zero 0
	.end_amdhsa_kernel
	.section	.text._ZN2at6native6mbtopk10gatherTopKIajLi2EEEvNS_4cuda6detail10TensorInfoIKT_T0_EES8_S8_bjS8_NS5_IS6_S8_EES8_NS5_IlS8_EES8_jjPS6_PjSD_j,"axG",@progbits,_ZN2at6native6mbtopk10gatherTopKIajLi2EEEvNS_4cuda6detail10TensorInfoIKT_T0_EES8_S8_bjS8_NS5_IS6_S8_EES8_NS5_IlS8_EES8_jjPS6_PjSD_j,comdat
.Lfunc_end19:
	.size	_ZN2at6native6mbtopk10gatherTopKIajLi2EEEvNS_4cuda6detail10TensorInfoIKT_T0_EES8_S8_bjS8_NS5_IS6_S8_EES8_NS5_IlS8_EES8_jjPS6_PjSD_j, .Lfunc_end19-_ZN2at6native6mbtopk10gatherTopKIajLi2EEEvNS_4cuda6detail10TensorInfoIKT_T0_EES8_S8_bjS8_NS5_IS6_S8_EES8_NS5_IlS8_EES8_jjPS6_PjSD_j
                                        ; -- End function
	.set _ZN2at6native6mbtopk10gatherTopKIajLi2EEEvNS_4cuda6detail10TensorInfoIKT_T0_EES8_S8_bjS8_NS5_IS6_S8_EES8_NS5_IlS8_EES8_jjPS6_PjSD_j.num_vgpr, 27
	.set _ZN2at6native6mbtopk10gatherTopKIajLi2EEEvNS_4cuda6detail10TensorInfoIKT_T0_EES8_S8_bjS8_NS5_IS6_S8_EES8_NS5_IlS8_EES8_jjPS6_PjSD_j.num_agpr, 0
	.set _ZN2at6native6mbtopk10gatherTopKIajLi2EEEvNS_4cuda6detail10TensorInfoIKT_T0_EES8_S8_bjS8_NS5_IS6_S8_EES8_NS5_IlS8_EES8_jjPS6_PjSD_j.numbered_sgpr, 47
	.set _ZN2at6native6mbtopk10gatherTopKIajLi2EEEvNS_4cuda6detail10TensorInfoIKT_T0_EES8_S8_bjS8_NS5_IS6_S8_EES8_NS5_IlS8_EES8_jjPS6_PjSD_j.num_named_barrier, 0
	.set _ZN2at6native6mbtopk10gatherTopKIajLi2EEEvNS_4cuda6detail10TensorInfoIKT_T0_EES8_S8_bjS8_NS5_IS6_S8_EES8_NS5_IlS8_EES8_jjPS6_PjSD_j.private_seg_size, 0
	.set _ZN2at6native6mbtopk10gatherTopKIajLi2EEEvNS_4cuda6detail10TensorInfoIKT_T0_EES8_S8_bjS8_NS5_IS6_S8_EES8_NS5_IlS8_EES8_jjPS6_PjSD_j.uses_vcc, 1
	.set _ZN2at6native6mbtopk10gatherTopKIajLi2EEEvNS_4cuda6detail10TensorInfoIKT_T0_EES8_S8_bjS8_NS5_IS6_S8_EES8_NS5_IlS8_EES8_jjPS6_PjSD_j.uses_flat_scratch, 0
	.set _ZN2at6native6mbtopk10gatherTopKIajLi2EEEvNS_4cuda6detail10TensorInfoIKT_T0_EES8_S8_bjS8_NS5_IS6_S8_EES8_NS5_IlS8_EES8_jjPS6_PjSD_j.has_dyn_sized_stack, 0
	.set _ZN2at6native6mbtopk10gatherTopKIajLi2EEEvNS_4cuda6detail10TensorInfoIKT_T0_EES8_S8_bjS8_NS5_IS6_S8_EES8_NS5_IlS8_EES8_jjPS6_PjSD_j.has_recursion, 0
	.set _ZN2at6native6mbtopk10gatherTopKIajLi2EEEvNS_4cuda6detail10TensorInfoIKT_T0_EES8_S8_bjS8_NS5_IS6_S8_EES8_NS5_IlS8_EES8_jjPS6_PjSD_j.has_indirect_call, 0
	.section	.AMDGPU.csdata,"",@progbits
; Kernel info:
; codeLenInByte = 2512
; TotalNumSgprs: 49
; NumVgprs: 27
; ScratchSize: 0
; MemoryBound: 0
; FloatMode: 240
; IeeeMode: 1
; LDSByteSize: 1068 bytes/workgroup (compile time only)
; SGPRBlocks: 0
; VGPRBlocks: 3
; NumSGPRsForWavesPerEU: 49
; NumVGPRsForWavesPerEU: 27
; Occupancy: 16
; WaveLimiterHint : 1
; COMPUTE_PGM_RSRC2:SCRATCH_EN: 0
; COMPUTE_PGM_RSRC2:USER_SGPR: 6
; COMPUTE_PGM_RSRC2:TRAP_HANDLER: 0
; COMPUTE_PGM_RSRC2:TGID_X_EN: 1
; COMPUTE_PGM_RSRC2:TGID_Y_EN: 1
; COMPUTE_PGM_RSRC2:TGID_Z_EN: 1
; COMPUTE_PGM_RSRC2:TIDIG_COMP_CNT: 0
	.section	.text._ZN2at6native6sbtopk10gatherTopKIajLi2ELb0EEEvNS_4cuda6detail10TensorInfoIKT_T0_EES8_S8_bS8_S8_NS5_IS6_S8_EES8_NS5_IlS8_EES8_PS6_,"axG",@progbits,_ZN2at6native6sbtopk10gatherTopKIajLi2ELb0EEEvNS_4cuda6detail10TensorInfoIKT_T0_EES8_S8_bS8_S8_NS5_IS6_S8_EES8_NS5_IlS8_EES8_PS6_,comdat
	.protected	_ZN2at6native6sbtopk10gatherTopKIajLi2ELb0EEEvNS_4cuda6detail10TensorInfoIKT_T0_EES8_S8_bS8_S8_NS5_IS6_S8_EES8_NS5_IlS8_EES8_PS6_ ; -- Begin function _ZN2at6native6sbtopk10gatherTopKIajLi2ELb0EEEvNS_4cuda6detail10TensorInfoIKT_T0_EES8_S8_bS8_S8_NS5_IS6_S8_EES8_NS5_IlS8_EES8_PS6_
	.globl	_ZN2at6native6sbtopk10gatherTopKIajLi2ELb0EEEvNS_4cuda6detail10TensorInfoIKT_T0_EES8_S8_bS8_S8_NS5_IS6_S8_EES8_NS5_IlS8_EES8_PS6_
	.p2align	8
	.type	_ZN2at6native6sbtopk10gatherTopKIajLi2ELb0EEEvNS_4cuda6detail10TensorInfoIKT_T0_EES8_S8_bS8_S8_NS5_IS6_S8_EES8_NS5_IlS8_EES8_PS6_,@function
_ZN2at6native6sbtopk10gatherTopKIajLi2ELb0EEEvNS_4cuda6detail10TensorInfoIKT_T0_EES8_S8_bS8_S8_NS5_IS6_S8_EES8_NS5_IlS8_EES8_PS6_: ; @_ZN2at6native6sbtopk10gatherTopKIajLi2ELb0EEEvNS_4cuda6detail10TensorInfoIKT_T0_EES8_S8_bS8_S8_NS5_IS6_S8_EES8_NS5_IlS8_EES8_PS6_
; %bb.0:
	s_clause 0x1
	s_load_dwordx2 s[12:13], s[4:5], 0x2b8
	s_load_dwordx4 s[36:39], s[4:5], 0xd8
	s_add_u32 s10, s4, 0x2b8
	s_addc_u32 s11, s5, 0
	s_waitcnt lgkmcnt(0)
	s_mul_i32 s0, s13, s8
	s_add_i32 s0, s0, s7
	s_mul_i32 s53, s0, s12
	s_add_i32 s53, s53, s6
	s_cmp_ge_u32 s53, s39
	s_cbranch_scc1 .LBB20_410
; %bb.1:
	s_clause 0x9
	s_load_dword s2, s[4:5], 0xc
	s_load_dword s55, s[4:5], 0xfc
	;; [unrolled: 1-line block ×3, first 2 shown]
	s_load_dwordx2 s[44:45], s[4:5], 0xf0
	s_load_dwordx2 s[48:49], s[4:5], 0x23c
	;; [unrolled: 1-line block ×4, first 2 shown]
	s_load_dword s42, s[4:5], 0xe8
	s_load_dwordx2 s[8:9], s[4:5], 0x6c
	s_load_dwordx2 s[0:1], s[4:5], 0x0
	v_cmp_eq_u32_e64 s3, 0, v0
	s_mov_b32 s58, 0
	s_waitcnt lgkmcnt(0)
	v_cvt_f32_u32_e32 v1, s2
	v_cvt_f32_u32_e32 v2, s55
	v_cvt_f32_u32_e32 v3, s54
	s_sub_i32 s7, 0, s2
	s_sub_i32 s16, 0, s55
	v_rcp_iflag_f32_e32 v1, v1
	v_rcp_iflag_f32_e32 v2, v2
	;; [unrolled: 1-line block ×3, first 2 shown]
	s_sub_i32 s17, 0, s54
	v_mul_f32_e32 v1, 0x4f7ffffe, v1
	v_mul_f32_e32 v2, 0x4f7ffffe, v2
	;; [unrolled: 1-line block ×3, first 2 shown]
	v_cvt_u32_f32_e32 v1, v1
	v_cvt_u32_f32_e32 v2, v2
	;; [unrolled: 1-line block ×3, first 2 shown]
	v_readfirstlane_b32 s13, v1
	v_readfirstlane_b32 s14, v2
	;; [unrolled: 1-line block ×3, first 2 shown]
	s_mul_i32 s7, s7, s13
	s_mul_i32 s16, s16, s14
	;; [unrolled: 1-line block ×3, first 2 shown]
	s_mul_hi_u32 s7, s13, s7
	s_mul_hi_u32 s16, s14, s16
	s_mul_hi_u32 s17, s15, s17
	s_add_i32 s13, s13, s7
	s_add_i32 s14, s14, s16
	;; [unrolled: 1-line block ×3, first 2 shown]
	s_mul_hi_u32 s7, s53, s13
	s_mul_hi_u32 s57, s53, s14
	;; [unrolled: 1-line block ×3, first 2 shown]
	s_and_saveexec_b32 s13, s3
	s_cbranch_execz .LBB20_3
; %bb.2:
	v_mov_b32_e32 v1, 0
	v_mov_b32_e32 v2, s36
	v_mov_b32_e32 v3, v1
	ds_write_b96 v1, v[1:3] offset:4096
.LBB20_3:
	s_or_b32 exec_lo, exec_lo, s13
	s_mul_i32 s13, s7, s2
	s_add_i32 s14, s7, 1
	s_sub_i32 s13, s53, s13
	s_waitcnt lgkmcnt(0)
	s_sub_i32 s15, s13, s2
	s_cmp_ge_u32 s13, s2
	s_barrier
	s_cselect_b32 s7, s14, s7
	buffer_gl0_inv
	s_load_dword s14, s[10:11], 0xc
	s_cselect_b32 s13, s15, s13
	s_add_i32 s15, s7, 1
	s_cmp_ge_u32 s13, s2
	v_mbcnt_lo_u32_b32 v16, -1, 0
	s_cselect_b32 s7, s15, s7
	v_cmp_gt_u32_e32 vcc_lo, 32, v0
	s_mul_i32 s2, s7, s2
	s_mul_i32 s7, s7, s8
	s_sub_i32 s2, s53, s2
	v_lshlrev_b64 v[1:2], v16, -1
	s_mul_i32 s2, s2, s9
	v_lshrrev_b32_e32 v3, 1, v0
	s_add_i32 s7, s7, s2
	v_lshlrev_b32_e32 v17, 2, v0
	s_add_u32 s40, s0, s7
	s_addc_u32 s41, s1, 0
	s_bitcmp1_b32 s38, 0
	v_cmp_gt_i32_e64 s0, 4, v16
	s_cselect_b32 s2, -1, 0
	s_waitcnt lgkmcnt(0)
	s_and_b32 s35, s14, 0xffff
	v_not_b32_e32 v15, v1
	s_lshl_b32 s60, s35, 2
	s_bfe_u32 s1, s35, 0x80008
	v_cvt_f32_u32_e32 v2, s60
	s_xor_b32 s59, s2, -1
	s_lshl_b32 s61, s1, 3
	s_bfe_u32 s7, s14, 0xb0005
	s_and_b32 s62, vcc_lo, s0
	v_rcp_iflag_f32_e32 v1, v2
	s_cmpk_gt_u32 s36, 0xc00
	v_cvt_f32_u32_e32 v5, s35
	s_cselect_b32 s63, -1, 0
	s_cmp_gt_u32 s35, 31
	v_add_nc_u32_e32 v2, 2, v0
	s_cselect_b32 s64, -1, 0
	s_add_i32 s65, s35, -1
	v_rcp_iflag_f32_e32 v5, v5
	s_add_i32 s13, s65, s36
	s_cmp_lt_u32 s6, s12
	v_mul_f32_e32 v1, 0x4f7ffffe, v1
	s_cselect_b32 s8, 12, 18
	s_movk_i32 s6, 0x1f0
	s_add_u32 s38, s10, s8
	s_addc_u32 s39, s11, 0
	s_add_i32 s7, s7, -1
	v_cvt_u32_f32_e32 v1, v1
	s_and_b32 s7, s7, 0xffff
	s_bfe_u32 s66, s35, 0x30005
	s_cmp_gt_u32 s7, 6
	v_and_or_b32 v20, v3, s6, 0xc00
	v_readfirstlane_b32 s7, v1
	s_cselect_b32 s67, -1, 0
	s_cmp_lg_u32 s66, 0
	v_mul_f32_e32 v3, 0x4f7ffffe, v5
	s_cselect_b32 s68, -1, 0
	s_sub_i32 s8, 0, s60
	v_max_u32_e32 v2, s36, v2
	s_mul_i32 s8, s8, s7
	v_cvt_u32_f32_e32 v3, v3
	s_mul_hi_u32 s6, s7, s8
	v_mul_lo_u32 v18, s42, v0
	s_add_i32 s69, s7, s6
	v_xad_u32 v2, v0, -1, v2
	s_mul_hi_u32 s6, s36, s69
	v_readfirstlane_b32 s9, v3
	s_mul_i32 s6, s6, s60
	s_mov_b32 s43, s42
	s_sub_i32 s6, s36, s6
	v_add_nc_u32_e32 v4, -4, v2
	s_sub_i32 s8, s6, s60
	s_cmp_ge_u32 s6, s60
	v_and_b32_e32 v21, -4, v2
	s_cselect_b32 s6, s8, s6
	v_lshrrev_b32_e32 v1, 2, v4
	s_sub_i32 s8, s6, s60
	s_cmp_ge_u32 s6, s60
	v_cmp_lt_u32_e64 s7, 31, v2
	s_cselect_b32 s6, s8, s6
	s_sub_i32 s8, 0, s35
	s_sub_i32 s73, s36, s6
	s_mul_i32 s8, s8, s9
	v_add_nc_u32_e32 v1, 1, v1
	s_mul_hi_u32 s10, s9, s8
	v_add_nc_u32_e32 v24, s73, v0
	s_add_i32 s72, s9, s10
	v_mad_u64_u32 v[13:14], null, s42, v17, s[42:43]
	s_mul_hi_u32 s10, s13, s72
	v_and_b32_e32 v3, 3, v1
	s_mul_i32 s10, s10, s35
	v_and_b32_e32 v23, 0x7ffffffc, v1
	s_sub_i32 s11, s13, s10
	v_mul_lo_u32 v1, v24, s42
	s_sub_i32 s12, s11, s35
	s_cmp_ge_u32 s11, s35
	v_cmp_ne_u32_e64 s9, 0, v3
	s_cselect_b32 s12, s12, s11
	v_cmp_ne_u32_e64 s10, v2, v21
	s_sub_i32 s14, s12, s35
	s_cmp_ge_u32 s12, s35
	v_lshlrev_b32_e32 v25, 2, v3
	s_cselect_b32 s14, s14, s12
	v_or_b32_e32 v2, 2, v17
	s_sub_i32 s74, s13, s14
	v_add_co_u32 v11, s13, s40, v1
	v_add3_u32 v1, s35, s36, v0
	v_or_b32_e32 v3, 3, v17
	v_mul_lo_u32 v26, s42, v2
	v_add_co_u32 v9, s1, s40, v18
	v_subrev_nc_u32_e32 v1, s6, v1
	v_mul_lo_u32 v27, s42, v3
	v_cmp_eq_u32_e64 s0, 0, v16
	v_mov_b32_e32 v19, 0
	v_add_co_ci_u32_e64 v10, null, s41, 0, s1
	v_mul_lo_u32 v29, s42, v1
	v_cmp_gt_u32_e64 s1, s36, v0
	v_cmp_gt_u32_e64 s15, 2, v0
	v_add_nc_u32_e32 v22, v0, v21
	v_cmp_lt_u32_e64 s8, 11, v4
	v_cmp_gt_u32_e64 s11, s73, v17
	v_cmp_gt_u32_e64 s12, s36, v24
	v_add_co_ci_u32_e64 v12, null, s41, 0, s13
	v_cmp_gt_u32_e64 s13, s74, v0
	v_lshlrev_b32_e32 v28, 2, v18
	v_lshl_or_b32 v30, v16, 2, 0xc00
	v_mov_b32_e32 v35, s37
	v_mov_b32_e32 v31, 0x80
	;; [unrolled: 1-line block ×6, first 2 shown]
	s_mul_i32 s52, s42, s35
	s_mov_b32 s70, s42
	s_mov_b32 s71, s42
	;; [unrolled: 1-line block ×3, first 2 shown]
	s_lshl_b32 s76, s52, 2
	s_mov_b32 s77, 0
                                        ; implicit-def: $sgpr75
                                        ; implicit-def: $sgpr80
                                        ; implicit-def: $sgpr79
                                        ; implicit-def: $sgpr82
                                        ; implicit-def: $sgpr78
                                        ; implicit-def: $sgpr86
                                        ; implicit-def: $sgpr87
                                        ; implicit-def: $sgpr83
                                        ; implicit-def: $sgpr85
                                        ; implicit-def: $sgpr84
	s_branch .LBB20_6
.LBB20_4:                               ;   in Loop: Header=BB20_6 Depth=1
	s_or_b32 exec_lo, exec_lo, s17
	v_mov_b32_e32 v35, v4
	s_andn2_b32 s17, s84, exec_lo
	s_and_b32 s16, s16, exec_lo
	s_andn2_b32 s85, s85, exec_lo
	s_or_b32 s84, s17, s16
	s_andn2_b32 s83, s83, exec_lo
	s_andn2_b32 s87, s87, exec_lo
	;; [unrolled: 1-line block ×3, first 2 shown]
	s_orn2_b32 s17, s14, exec_lo
.LBB20_5:                               ;   in Loop: Header=BB20_6 Depth=1
	s_or_b32 exec_lo, exec_lo, s6
	s_and_b32 s6, exec_lo, s17
	s_or_b32 s58, s6, s58
	s_andn2_b32 s6, s78, exec_lo
	s_and_b32 s14, s84, exec_lo
	s_andn2_b32 s16, s82, exec_lo
	s_or_b32 s78, s6, s14
	s_and_b32 s6, s85, exec_lo
	s_andn2_b32 s14, s79, exec_lo
	s_and_b32 s17, s83, exec_lo
	s_or_b32 s82, s16, s6
	s_or_b32 s79, s14, s17
	s_andn2_b32 s6, s80, exec_lo
	s_and_b32 s14, s87, exec_lo
	s_andn2_b32 s16, s75, exec_lo
	s_and_b32 s17, s86, exec_lo
	s_or_b32 s80, s6, s14
	s_or_b32 s75, s16, s17
	s_andn2_b32 exec_lo, exec_lo, s58
	s_cbranch_execz .LBB20_406
.LBB20_6:                               ; =>This Loop Header: Depth=1
                                        ;     Child Loop BB20_11 Depth 2
                                        ;     Child Loop BB20_32 Depth 2
	;; [unrolled: 1-line block ×26, first 2 shown]
	ds_read_b64 v[1:2], v19 offset:4096
	s_waitcnt lgkmcnt(0)
	v_readfirstlane_b32 s88, v1
	s_cmp_lg_u32 s88, 0
	s_cbranch_scc1 .LBB20_51
; %bb.7:                                ;   in Loop: Header=BB20_6 Depth=1
	s_and_b32 vcc_lo, exec_lo, s63
	s_cbranch_vccz .LBB20_19
; %bb.8:                                ;   in Loop: Header=BB20_6 Depth=1
	v_cmp_gt_u32_e32 vcc_lo, 0xc01, v2
	s_mov_b32 s16, 0
	s_mov_b32 s6, 0
	s_cbranch_vccz .LBB20_20
; %bb.9:                                ;   in Loop: Header=BB20_6 Depth=1
	global_load_ushort v1, v19, s[38:39]
	global_load_ubyte v4, v[9:10], off
	v_mov_b32_e32 v5, v0
	s_mov_b32 s17, 0
	s_waitcnt vmcnt(1)
	v_add_nc_u32_e32 v2, v0, v1
	v_mul_lo_u32 v3, s42, v1
	v_mul_lo_u32 v2, s42, v2
	s_branch .LBB20_11
.LBB20_10:                              ;   in Loop: Header=BB20_11 Depth=2
	s_or_b32 exec_lo, exec_lo, s14
	v_add_nc_u32_e32 v2, v2, v3
	v_mov_b32_e32 v4, v6
	s_andn2_b32 exec_lo, exec_lo, s17
	s_cbranch_execz .LBB20_26
.LBB20_11:                              ;   Parent Loop BB20_6 Depth=1
                                        ; =>  This Inner Loop Header: Depth=2
	v_add_nc_u32_e32 v5, v5, v1
	s_waitcnt lgkmcnt(0)
	v_mov_b32_e32 v7, 0
	v_mov_b32_e32 v6, 0
	s_mov_b32 s14, exec_lo
	v_cmp_le_u32_e32 vcc_lo, s36, v5
	v_cmpx_gt_u32_e64 s36, v5
	s_cbranch_execz .LBB20_13
; %bb.12:                               ;   in Loop: Header=BB20_11 Depth=2
	global_load_ubyte v6, v2, s[40:41]
.LBB20_13:                              ;   in Loop: Header=BB20_11 Depth=2
	s_or_b32 exec_lo, exec_lo, s14
	s_waitcnt vmcnt(0)
	v_add_nc_u32_sdwa v8, sext(v4), v31 dst_sel:DWORD dst_unused:UNUSED_PAD src0_sel:BYTE_0 src1_sel:DWORD
	v_and_b32_e32 v8, v8, v33
	v_cmp_eq_u32_e64 s6, v8, v14
	s_cmp_lg_u32 s6, 0
	s_cselect_b32 s14, -1, 0
	s_and_b32 s14, s0, s14
	s_and_saveexec_b32 s18, s14
	s_cbranch_execz .LBB20_17
; %bb.14:                               ;   in Loop: Header=BB20_11 Depth=2
	s_mov_b32 s21, exec_lo
	s_bcnt1_i32_b32 s19, s6
	v_mbcnt_lo_u32_b32 v7, s21, 0
	s_mov_b32 s20, exec_lo
                                        ; implicit-def: $vgpr8
	v_cmpx_eq_u32_e32 0, v7
; %bb.15:                               ;   in Loop: Header=BB20_11 Depth=2
	s_bcnt1_i32_b32 s14, s21
	s_mul_i32 s14, s19, s14
	v_mov_b32_e32 v8, s14
	ds_add_rtn_u32 v8, v19, v8 offset:4104
; %bb.16:                               ;   in Loop: Header=BB20_11 Depth=2
	s_or_b32 exec_lo, exec_lo, s20
	s_waitcnt lgkmcnt(0)
	v_readfirstlane_b32 s14, v8
	v_mad_u32_u24 v7, s19, v7, s14
.LBB20_17:                              ;   in Loop: Header=BB20_11 Depth=2
	s_or_b32 exec_lo, exec_lo, s18
	ds_bpermute_b32 v7, v19, v7
	s_and_b32 s14, exec_lo, vcc_lo
	s_or_b32 s17, s14, s17
	s_and_saveexec_b32 s14, s6
	s_cbranch_execz .LBB20_10
; %bb.18:                               ;   in Loop: Header=BB20_11 Depth=2
	v_and_b32_e32 v8, s6, v15
	s_waitcnt lgkmcnt(0)
	v_bcnt_u32_b32 v7, v8, v7
	ds_write_b8 v7, v4
	s_branch .LBB20_10
.LBB20_19:                              ;   in Loop: Header=BB20_6 Depth=1
	s_mov_b32 s16, -1
	s_mov_b32 s6, 0
.LBB20_20:                              ;   in Loop: Header=BB20_6 Depth=1
	s_and_b32 vcc_lo, exec_lo, s16
	s_cbranch_vccz .LBB20_49
.LBB20_21:                              ;   in Loop: Header=BB20_6 Depth=1
	s_and_saveexec_b32 s14, s1
	s_cbranch_execz .LBB20_46
; %bb.22:                               ;   in Loop: Header=BB20_6 Depth=1
	global_load_ushort v2, v19, s[38:39]
	global_load_ubyte v36, v[9:10], off
	s_mov_b32 s16, exec_lo
	s_waitcnt vmcnt(1)
	v_add_nc_u32_e32 v1, v0, v2
	v_readfirstlane_b32 s17, v2
	v_mov_b32_e32 v2, v0
	v_cmpx_gt_u32_e64 s36, v1
	s_cbranch_execz .LBB20_45
; %bb.23:                               ;   in Loop: Header=BB20_6 Depth=1
	s_mov_b32 s6, 0
	s_mul_i32 s18, s42, s17
                                        ; implicit-def: $vgpr2
                                        ; implicit-def: $vgpr5
                                        ; implicit-def: $vgpr3
                                        ; implicit-def: $vgpr4
	s_and_saveexec_b32 s19, s7
	s_xor_b32 s19, exec_lo, s19
	s_cbranch_execnz .LBB20_29
; %bb.24:                               ;   in Loop: Header=BB20_6 Depth=1
	s_andn2_saveexec_b32 s19, s19
	s_cbranch_execnz .LBB20_40
.LBB20_25:                              ;   in Loop: Header=BB20_6 Depth=1
	s_or_b32 exec_lo, exec_lo, s19
	s_and_saveexec_b32 s18, s6
	s_cbranch_execnz .LBB20_41
	s_branch .LBB20_44
.LBB20_26:                              ;   in Loop: Header=BB20_6 Depth=1
	s_or_b32 exec_lo, exec_lo, s17
	s_waitcnt lgkmcnt(0)
	s_barrier
	buffer_gl0_inv
	s_and_saveexec_b32 s6, s3
	s_cbranch_execz .LBB20_28
; %bb.27:                               ;   in Loop: Header=BB20_6 Depth=1
	ds_read_b32 v1, v19 offset:4104
	s_waitcnt lgkmcnt(0)
	ds_write_b32 v19, v1 offset:4096
.LBB20_28:                              ;   in Loop: Header=BB20_6 Depth=1
	s_or_b32 exec_lo, exec_lo, s6
	s_waitcnt lgkmcnt(0)
	s_mov_b32 s6, -1
	s_barrier
	s_and_b32 vcc_lo, exec_lo, s16
	s_cbranch_vccnz .LBB20_21
	s_branch .LBB20_49
.LBB20_29:                              ;   in Loop: Header=BB20_6 Depth=1
	v_cvt_f32_u32_e32 v2, s17
	v_add_nc_u32_e32 v3, s17, v1
	s_sub_i32 s6, 0, s17
	s_not_b32 s20, s18
	v_rcp_iflag_f32_e32 v2, v2
	v_max_u32_e32 v3, s36, v3
	v_sub_nc_u32_e32 v3, v3, v0
	v_mul_f32_e32 v2, 0x4f7ffffe, v2
	v_cvt_u32_f32_e32 v2, v2
	v_mul_lo_u32 v4, s6, v2
	s_lshl_b32 s6, s17, 1
	v_cmp_ne_u32_e32 vcc_lo, s6, v3
	v_cndmask_b32_e64 v5, 0, 1, vcc_lo
	v_mul_hi_u32 v4, v2, v4
	v_or_b32_e32 v5, s6, v5
	v_add_nc_u32_e32 v2, v2, v4
	v_sub_nc_u32_e32 v3, v3, v5
	v_mul_hi_u32 v2, v3, v2
	v_mul_lo_u32 v4, v2, s17
	v_sub_nc_u32_e32 v3, v3, v4
	v_add_nc_u32_e32 v4, 1, v2
	v_subrev_nc_u32_e32 v5, s17, v3
	v_cmp_le_u32_e64 s6, s17, v3
	v_cndmask_b32_e64 v2, v2, v4, s6
	v_cndmask_b32_e64 v3, v3, v5, s6
	v_add_nc_u32_e32 v4, 1, v2
	v_cmp_le_u32_e64 s6, s17, v3
	v_mul_lo_u32 v3, s42, v1
	v_cndmask_b32_e64 v2, v2, v4, s6
	s_abs_i32 s6, s18
	v_add_co_ci_u32_e64 v2, null, 0, v2, vcc_lo
	v_mul_hi_u32 v4, s6, v2
	v_mul_lo_u32 v2, s6, v2
	s_ashr_i32 s6, s20, 31
	s_cmp_eq_u32 s17, 1
	v_xor_b32_e32 v3, s6, v3
	s_cselect_b32 s20, -1, 0
	v_cmp_eq_u32_e32 vcc_lo, 0, v4
	v_cmp_le_u32_e64 s6, v2, v3
	v_mov_b32_e32 v3, v0
                                        ; implicit-def: $vgpr2
	s_and_b32 s20, vcc_lo, s20
	s_and_b32 s21, s20, s6
	s_mov_b32 s20, -1
	s_and_saveexec_b32 s6, s21
	s_cbranch_execz .LBB20_39
; %bb.30:                               ;   in Loop: Header=BB20_6 Depth=1
	v_add_nc_u32_e32 v4, 3, v1
	v_add_nc_u32_e32 v3, 2, v1
	;; [unrolled: 1-line block ×3, first 2 shown]
	s_waitcnt vmcnt(0)
	v_lshlrev_b32_e32 v37, 24, v36
	v_mov_b32_e32 v39, 0
	v_mov_b32_e32 v8, v4
	;; [unrolled: 1-line block ×5, first 2 shown]
                                        ; implicit-def: $vgpr36
	s_and_saveexec_b32 s20, s8
	s_cbranch_execz .LBB20_34
; %bb.31:                               ;   in Loop: Header=BB20_6 Depth=1
	v_mov_b32_e32 v8, v4
	v_mov_b32_e32 v38, v23
	;; [unrolled: 1-line block ×5, first 2 shown]
	s_mov_b32 s21, 0
	s_mov_b32 s22, 0
.LBB20_32:                              ;   Parent Loop BB20_6 Depth=1
                                        ; =>  This Inner Loop Header: Depth=2
	v_mul_lo_u32 v2, v5, s42
	v_mul_lo_u32 v39, v6, s43
	v_add_nc_u32_e32 v3, 4, v5
	v_mul_lo_u32 v36, v7, s70
	v_add_nc_u32_e32 v40, 4, v6
	v_mul_lo_u32 v4, v8, s71
	v_add_nc_u32_e32 v41, 4, v7
	v_mul_lo_u32 v54, v3, s42
	v_add_co_u32 v2, s23, s40, v2
	v_add_nc_u32_e32 v42, 4, v8
	v_add_nc_u32_e32 v43, 8, v5
	v_mul_lo_u32 v53, v40, s43
	v_add_co_ci_u32_e64 v3, null, s41, 0, s23
	v_add_co_u32 v39, s23, s40, v39
	v_add_nc_u32_e32 v44, 8, v6
	v_add_nc_u32_e32 v45, 8, v7
	v_mul_lo_u32 v52, v41, s70
	v_add_co_ci_u32_e64 v40, null, s41, 0, s23
	v_add_co_u32 v41, s23, s40, v36
	v_add_nc_u32_e32 v46, 8, v8
	v_add_nc_u32_e32 v47, 12, v5
	v_mul_lo_u32 v51, v42, s71
	v_mul_lo_u32 v56, v43, s42
	v_add_co_ci_u32_e64 v42, null, s41, 0, s23
	v_add_co_u32 v43, s23, s40, v4
	v_add_nc_u32_e32 v48, 12, v6
	v_add_nc_u32_e32 v49, 12, v7
	v_mul_lo_u32 v57, v45, s70
	v_mul_lo_u32 v55, v44, s43
	v_add_co_ci_u32_e64 v44, null, s41, 0, s23
	v_add_co_u32 v45, s23, s40, v54
	v_add_nc_u32_e32 v50, 12, v8
	v_mul_lo_u32 v59, v46, s71
	v_mul_lo_u32 v61, v47, s42
	v_add_co_ci_u32_e64 v46, null, s41, 0, s23
	v_add_co_u32 v47, s23, s40, v53
	v_mul_lo_u32 v65, v49, s70
	v_mul_lo_u32 v63, v48, s43
	v_add_co_ci_u32_e64 v48, null, s41, 0, s23
	v_add_co_u32 v49, s23, s40, v52
	v_mul_lo_u32 v67, v50, s71
	v_add_co_ci_u32_e64 v50, null, s41, 0, s23
	v_add_co_u32 v51, s23, s40, v51
	v_add_co_ci_u32_e64 v52, null, s41, 0, s23
	v_add_co_u32 v53, s23, s40, v56
	;; [unrolled: 2-line block ×9, first 2 shown]
	v_add_co_ci_u32_e64 v68, null, s41, 0, s23
	s_clause 0xf
	global_load_ubyte v4, v[41:42], off
	global_load_ubyte v41, v[43:44], off
	;; [unrolled: 1-line block ×16, first 2 shown]
	v_add_nc_u32_e32 v38, -4, v38
	v_add_nc_u32_e32 v52, s22, v0
	s_add_i32 s22, s22, 16
	v_add_nc_u32_e32 v8, 16, v8
	v_add_nc_u32_e32 v7, 16, v7
	v_cmp_eq_u32_e32 vcc_lo, 0, v38
	v_add_nc_u32_e32 v6, 16, v6
	v_add_nc_u32_e32 v5, 16, v5
	v_mov_b32_e32 v39, s22
	s_or_b32 s21, vcc_lo, s21
	s_waitcnt vmcnt(9)
	v_perm_b32 v4, v40, v4, 0xc0c0004
	s_waitcnt vmcnt(8)
	v_perm_b32 v2, v37, v2, 0xc0c0007
	v_perm_b32 v37, v41, v42, 0xc0c0004
	;; [unrolled: 1-line block ×3, first 2 shown]
	s_waitcnt vmcnt(7)
	v_perm_b32 v3, v44, v3, 0xc0c0004
	s_waitcnt vmcnt(4)
	v_perm_b32 v42, v48, v46, 0xc0c0004
	v_lshl_or_b32 v40, v4, 16, v2
	s_waitcnt vmcnt(2)
	v_perm_b32 v45, v49, v50, 0xc0c0004
	s_waitcnt vmcnt(1)
	v_perm_b32 v44, v51, v49, 0xc0c0004
	v_perm_b32 v43, v47, v51, 0xc0c0004
	s_waitcnt vmcnt(0)
	v_perm_b32 v46, v50, v36, 0xc0c0004
	v_lshl_or_b32 v41, v41, 16, v37
	v_lshl_or_b32 v42, v42, 16, v3
	;; [unrolled: 1-line block ×4, first 2 shown]
	ds_write_b128 v52, v[40:43]
	s_andn2_b32 exec_lo, exec_lo, s21
	s_cbranch_execnz .LBB20_32
; %bb.33:                               ;   in Loop: Header=BB20_6 Depth=1
	s_or_b32 exec_lo, exec_lo, s21
.LBB20_34:                              ;   in Loop: Header=BB20_6 Depth=1
	s_or_b32 exec_lo, exec_lo, s20
	s_and_saveexec_b32 s20, s9
	s_cbranch_execz .LBB20_38
; %bb.35:                               ;   in Loop: Header=BB20_6 Depth=1
	v_add_nc_u32_e32 v2, v0, v39
	v_mov_b32_e32 v3, v25
	s_mov_b32 s21, 0
.LBB20_36:                              ;   Parent Loop BB20_6 Depth=1
                                        ; =>  This Inner Loop Header: Depth=2
	v_mul_lo_u32 v4, v5, s42
	v_mul_lo_u32 v36, v6, s43
	;; [unrolled: 1-line block ×4, first 2 shown]
	v_add_nc_u32_e32 v3, -4, v3
	v_add_nc_u32_e32 v8, 4, v8
	v_add_nc_u32_e32 v7, 4, v7
	;; [unrolled: 1-line block ×3, first 2 shown]
	v_add_co_u32 v38, s22, s40, v4
	v_add_co_ci_u32_e64 v39, null, s41, 0, s22
	v_add_co_u32 v40, s22, s40, v36
	v_add_co_ci_u32_e64 v41, null, s41, 0, s22
	;; [unrolled: 2-line block ×4, first 2 shown]
	s_clause 0x3
	global_load_ubyte v4, v[40:41], off
	global_load_ubyte v40, v[42:43], off
	;; [unrolled: 1-line block ×4, first 2 shown]
	v_cmp_eq_u32_e32 vcc_lo, 0, v3
	v_add_nc_u32_e32 v5, 4, v5
	s_or_b32 s21, vcc_lo, s21
	s_waitcnt vmcnt(2)
	v_perm_b32 v39, v4, v40, 0xc0c0004
	s_waitcnt vmcnt(1)
	v_perm_b32 v37, v37, v38, 0xc0c0007
	v_perm_b32 v4, v38, v4, 0xc0c0004
	s_waitcnt vmcnt(0)
	v_perm_b32 v38, v40, v36, 0xc0c0004
	v_lshl_or_b32 v37, v39, 16, v37
	v_lshl_or_b32 v4, v38, 16, v4
	ds_write_b32 v2, v37
	v_add_nc_u32_e32 v2, 4, v2
	v_mov_b32_e32 v37, v4
	s_andn2_b32 exec_lo, exec_lo, s21
	s_cbranch_execnz .LBB20_36
; %bb.37:                               ;   in Loop: Header=BB20_6 Depth=1
	s_or_b32 exec_lo, exec_lo, s21
.LBB20_38:                              ;   in Loop: Header=BB20_6 Depth=1
	s_or_b32 exec_lo, exec_lo, s20
	v_add_nc_u32_e32 v1, v1, v21
	v_mov_b32_e32 v3, v22
	s_orn2_b32 s20, s10, exec_lo
	v_add_nc_u32_e32 v2, -1, v1
.LBB20_39:                              ;   in Loop: Header=BB20_6 Depth=1
	s_or_b32 exec_lo, exec_lo, s6
	v_mov_b32_e32 v4, s18
	s_waitcnt vmcnt(0)
	v_mov_b32_e32 v5, v36
	s_and_b32 s6, s20, exec_lo
	s_andn2_saveexec_b32 s19, s19
	s_cbranch_execz .LBB20_25
.LBB20_40:                              ;   in Loop: Header=BB20_6 Depth=1
	v_mov_b32_e32 v4, s18
	s_waitcnt vmcnt(0)
	v_mov_b32_e32 v5, v36
	v_mov_b32_e32 v3, v0
	s_or_b32 s6, s6, exec_lo
	s_or_b32 exec_lo, exec_lo, s19
	s_and_saveexec_b32 s18, s6
	s_cbranch_execz .LBB20_44
.LBB20_41:                              ;   in Loop: Header=BB20_6 Depth=1
	v_mul_lo_u32 v2, s42, v1
	s_mov_b32 s19, 0
	s_sub_i32 s6, 0, s17
.LBB20_42:                              ;   Parent Loop BB20_6 Depth=1
                                        ; =>  This Inner Loop Header: Depth=2
	global_load_ubyte v36, v2, s[40:41]
	v_mov_b32_e32 v6, v1
	ds_write_b8 v3, v5
	v_add_nc_u32_e32 v2, v2, v4
	v_add_nc_u32_e32 v1, s17, v6
	v_mov_b32_e32 v3, v6
	v_cmp_le_u32_e32 vcc_lo, s36, v1
	s_or_b32 s19, vcc_lo, s19
	s_waitcnt vmcnt(0)
	v_mov_b32_e32 v5, v36
	s_andn2_b32 exec_lo, exec_lo, s19
	s_cbranch_execnz .LBB20_42
; %bb.43:                               ;   in Loop: Header=BB20_6 Depth=1
	s_or_b32 exec_lo, exec_lo, s19
	v_add_nc_u32_e32 v2, s6, v1
.LBB20_44:                              ;   in Loop: Header=BB20_6 Depth=1
	s_or_b32 exec_lo, exec_lo, s18
.LBB20_45:                              ;   in Loop: Header=BB20_6 Depth=1
	s_or_b32 exec_lo, exec_lo, s16
	s_waitcnt vmcnt(0)
	ds_write_b8 v2, v36
.LBB20_46:                              ;   in Loop: Header=BB20_6 Depth=1
	s_or_b32 exec_lo, exec_lo, s14
	s_waitcnt lgkmcnt(0)
	s_barrier
	buffer_gl0_inv
	s_and_saveexec_b32 s6, s3
; %bb.47:                               ;   in Loop: Header=BB20_6 Depth=1
	v_mov_b32_e32 v1, s36
	ds_write_b32 v19, v1 offset:4096
; %bb.48:                               ;   in Loop: Header=BB20_6 Depth=1
	s_or_b32 exec_lo, exec_lo, s6
	s_mov_b32 s6, -1
	s_waitcnt lgkmcnt(0)
	s_barrier
.LBB20_49:                              ;   in Loop: Header=BB20_6 Depth=1
	s_and_b32 vcc_lo, exec_lo, s6
	s_mov_b32 s88, 0
	s_cbranch_vccz .LBB20_51
; %bb.50:                               ;   in Loop: Header=BB20_6 Depth=1
	buffer_gl0_inv
	ds_read_b32 v1, v19 offset:4096
	s_waitcnt lgkmcnt(0)
	v_readfirstlane_b32 s88, v1
.LBB20_51:                              ;   in Loop: Header=BB20_6 Depth=1
	s_cmp_lt_i32 s88, 1
	s_mov_b32 s6, -1
                                        ; implicit-def: $vgpr4
	s_cbranch_scc1 .LBB20_61
; %bb.52:                               ;   in Loop: Header=BB20_6 Depth=1
	s_and_b32 vcc_lo, exec_lo, s6
	s_cbranch_vccnz .LBB20_72
.LBB20_53:                              ;   in Loop: Header=BB20_6 Depth=1
	s_lshl_b32 s6, s77, 7
	s_and_saveexec_b32 s14, s0
.LBB20_54:                              ;   in Loop: Header=BB20_6 Depth=1
	v_lshl_add_u32 v5, s6, 2, v20
	ds_write_b128 v5, v[1:4]
.LBB20_55:                              ;   in Loop: Header=BB20_6 Depth=1
	s_or_b32 exec_lo, exec_lo, s14
	s_waitcnt lgkmcnt(0)
	s_barrier
	buffer_gl0_inv
	s_and_saveexec_b32 s14, s62
	s_cbranch_execz .LBB20_85
; %bb.56:                               ;   in Loop: Header=BB20_6 Depth=1
	v_mov_b32_e32 v1, 0
	s_andn2_b32 vcc_lo, exec_lo, s64
	s_cbranch_vccnz .LBB20_84
; %bb.57:                               ;   in Loop: Header=BB20_6 Depth=1
	s_andn2_b32 vcc_lo, exec_lo, s67
	s_cbranch_vccnz .LBB20_81
; %bb.58:                               ;   in Loop: Header=BB20_6 Depth=1
	v_lshl_add_u32 v2, s77, 9, v30
	v_mov_b32_e32 v1, 0
	s_mov_b32 s16, 0
	.p2align	6
.LBB20_59:                              ;   Parent Loop BB20_6 Depth=1
                                        ; =>  This Inner Loop Header: Depth=2
	ds_read2_b32 v[3:4], v2 offset1:4
	ds_read2_b32 v[5:6], v2 offset0:8 offset1:12
	ds_read2_b32 v[7:8], v2 offset0:16 offset1:20
	;; [unrolled: 1-line block ×3, first 2 shown]
	v_add_nc_u32_e32 v2, 0x80, v2
	s_add_i32 s16, s16, 8
	s_cmp_eq_u32 s61, s16
	s_waitcnt lgkmcnt(3)
	v_add3_u32 v1, v3, v1, v4
	s_waitcnt lgkmcnt(2)
	v_add3_u32 v1, v5, v1, v6
	;; [unrolled: 2-line block ×4, first 2 shown]
	s_cbranch_scc0 .LBB20_59
; %bb.60:                               ;   in Loop: Header=BB20_6 Depth=1
	s_mov_b32 s16, s61
	s_andn2_b32 vcc_lo, exec_lo, s68
	s_cbranch_vccz .LBB20_82
	s_branch .LBB20_84
.LBB20_61:                              ;   in Loop: Header=BB20_6 Depth=1
	v_mov_b32_e32 v1, 0
	v_mov_b32_e32 v2, 0
	;; [unrolled: 1-line block ×4, first 2 shown]
	s_and_saveexec_b32 s89, s11
	s_cbranch_execz .LBB20_65
; %bb.62:                               ;   in Loop: Header=BB20_6 Depth=1
	v_mov_b32_e32 v5, v17
	s_mov_b32 s90, 0
	s_mov_b32 s91, 0
	;; [unrolled: 1-line block ×6, first 2 shown]
.LBB20_63:                              ;   Parent Loop BB20_6 Depth=1
                                        ; =>  This Inner Loop Header: Depth=2
	v_add_nc_u32_e32 v1, s91, v28
	v_add_nc_u32_e32 v2, s91, v13
	;; [unrolled: 1-line block ×5, first 2 shown]
	s_clause 0x3
	global_load_sbyte v1, v1, s[40:41]
	global_load_sbyte v2, v2, s[40:41]
	;; [unrolled: 1-line block ×4, first 2 shown]
	s_add_i32 s91, s91, s76
	v_cmp_le_u32_e32 vcc_lo, s73, v5
	s_waitcnt vmcnt(3)
	v_add_nc_u32_e32 v1, 0x80, v1
	s_waitcnt vmcnt(2)
	v_add_nc_u32_e32 v2, 0x80, v2
	;; [unrolled: 2-line block ×4, first 2 shown]
	v_and_b32_e32 v6, v1, v33
	v_bfe_u32 v1, v1, s81, 2
	v_and_b32_e32 v7, v2, v33
	v_bfe_u32 v2, v2, s81, 2
	;; [unrolled: 2-line block ×3, first 2 shown]
	v_cmp_eq_u32_e64 s6, v6, v14
	v_cmp_eq_u32_e64 s18, 0, v1
	v_and_b32_e32 v36, v4, v33
	v_bfe_u32 v4, v4, s81, 2
	v_cmp_eq_u32_e64 s14, v7, v14
	v_cmp_eq_u32_e64 s19, 0, v2
	;; [unrolled: 1-line block ×4, first 2 shown]
	s_and_b32 s18, s6, s18
	v_cmp_eq_u32_e64 s17, v36, v14
	v_cmp_eq_u32_e64 s21, 0, v4
	;; [unrolled: 1-line block ×5, first 2 shown]
	v_cndmask_b32_e64 v1, 0, 1, s18
	s_and_b32 s18, s14, s19
	v_cmp_eq_u32_e64 s23, 1, v2
	v_cmp_eq_u32_e64 s27, 2, v2
	v_cmp_eq_u32_e64 s31, 3, v2
	v_cndmask_b32_e64 v2, 0, 1, s18
	s_and_b32 s18, s16, s20
	v_cmp_eq_u32_e64 s24, 1, v3
	v_cmp_eq_u32_e64 s28, 2, v3
	v_cmp_eq_u32_e64 s33, 3, v3
	;; [unrolled: 5-line block ×3, first 2 shown]
	v_cndmask_b32_e64 v4, 0, 1, s18
	s_and_b32 s18, s6, s22
	v_cndmask_b32_e64 v6, 0, 1, s18
	s_and_b32 s18, s14, s23
	;; [unrolled: 2-line block ×4, first 2 shown]
	v_cmp_ne_u32_e64 s19, 0, v7
	v_cndmask_b32_e64 v36, 0, 1, s18
	s_and_b32 s18, s6, s26
	s_and_b32 s6, s6, s30
	v_cndmask_b32_e64 v37, 0, 1, s18
	s_and_b32 s18, s14, s27
	v_cndmask_b32_e64 v41, 0, 1, s6
	;; [unrolled: 2-line block ×7, first 2 shown]
	v_cndmask_b32_e64 v44, 0, 1, s6
	v_cmp_ne_u32_e64 s6, 0, v1
	v_cmp_ne_u32_e64 s18, 0, v6
	;; [unrolled: 1-line block ×11, first 2 shown]
	s_bcnt1_i32_b32 s6, s6
	s_bcnt1_i32_b32 s18, s18
	;; [unrolled: 1-line block ×4, first 2 shown]
	v_cmp_ne_u32_e64 s17, 0, v4
	v_cmp_ne_u32_e64 s21, 0, v36
	v_cmp_ne_u32_e64 s25, 0, v40
	v_cmp_ne_u32_e64 s29, 0, v44
	s_bcnt1_i32_b32 s14, s14
	s_bcnt1_i32_b32 s19, s19
	s_bcnt1_i32_b32 s23, s23
	s_bcnt1_i32_b32 s27, s27
	s_add_i32 s6, s6, s95
	s_add_i32 s18, s18, s94
	s_add_i32 s22, s22, s93
	s_add_i32 s26, s26, s92
	s_bcnt1_i32_b32 s16, s16
	s_bcnt1_i32_b32 s20, s20
	s_bcnt1_i32_b32 s24, s24
	s_bcnt1_i32_b32 s28, s28
	s_add_i32 s6, s6, s14
	s_add_i32 s14, s18, s19
	s_add_i32 s18, s22, s23
	s_add_i32 s19, s26, s27
	;; [unrolled: 8-line block ×3, first 2 shown]
	s_add_i32 s95, s6, s17
	s_add_i32 s94, s14, s21
	;; [unrolled: 1-line block ×4, first 2 shown]
	v_mov_b32_e32 v1, s95
	v_mov_b32_e32 v2, s94
	;; [unrolled: 1-line block ×4, first 2 shown]
	s_or_b32 s90, vcc_lo, s90
	s_andn2_b32 exec_lo, exec_lo, s90
	s_cbranch_execnz .LBB20_63
; %bb.64:                               ;   in Loop: Header=BB20_6 Depth=1
	s_or_b32 exec_lo, exec_lo, s90
.LBB20_65:                              ;   in Loop: Header=BB20_6 Depth=1
	s_or_b32 exec_lo, exec_lo, s89
	s_and_saveexec_b32 s18, s12
	s_cbranch_execz .LBB20_71
; %bb.66:                               ;   in Loop: Header=BB20_6 Depth=1
	global_load_ubyte v8, v[11:12], off
	v_mov_b32_e32 v5, v29
	v_mov_b32_e32 v6, v24
	s_mov_b32 s19, 0
	s_branch .LBB20_68
.LBB20_67:                              ;   in Loop: Header=BB20_68 Depth=2
	s_or_b32 exec_lo, exec_lo, s14
	s_waitcnt vmcnt(0)
	v_add_nc_u32_sdwa v8, sext(v8), v31 dst_sel:DWORD dst_unused:UNUSED_PAD src0_sel:BYTE_0 src1_sel:DWORD
	s_and_b32 s14, exec_lo, vcc_lo
	v_add_nc_u32_e32 v5, s52, v5
	s_or_b32 s19, s14, s19
	v_and_b32_e32 v36, v8, v33
	v_bfe_u32 v8, v8, s81, 2
	v_cmp_eq_u32_e32 vcc_lo, v36, v14
	v_cmp_eq_u32_e64 s6, 0, v8
	v_cmp_eq_u32_e64 s14, 1, v8
	v_cmp_eq_u32_e64 s16, 2, v8
	v_cmp_eq_u32_e64 s17, 3, v8
	s_and_b32 s6, vcc_lo, s6
	v_cndmask_b32_e64 v8, 0, 1, s6
	s_and_b32 s6, vcc_lo, s14
	v_cndmask_b32_e64 v36, 0, 1, s6
	s_and_b32 s6, vcc_lo, s16
	v_cndmask_b32_e64 v37, 0, 1, s6
	s_and_b32 s6, vcc_lo, s17
	v_cmp_ne_u32_e32 vcc_lo, 0, v8
	v_cndmask_b32_e64 v38, 0, 1, s6
	v_cmp_ne_u32_e64 s6, 0, v36
	v_cmp_ne_u32_e64 s14, 0, v37
	v_mov_b32_e32 v8, v7
	s_bcnt1_i32_b32 s17, vcc_lo
	v_cmp_ne_u32_e64 s16, 0, v38
	s_bcnt1_i32_b32 s6, s6
	s_bcnt1_i32_b32 s14, s14
	v_add_nc_u32_e32 v1, s17, v1
	v_add_nc_u32_e32 v2, s6, v2
	s_bcnt1_i32_b32 s16, s16
	v_add_nc_u32_e32 v3, s14, v3
	v_add_nc_u32_e32 v4, s16, v4
	s_andn2_b32 exec_lo, exec_lo, s19
	s_cbranch_execz .LBB20_70
.LBB20_68:                              ;   Parent Loop BB20_6 Depth=1
                                        ; =>  This Inner Loop Header: Depth=2
	v_add_nc_u32_e32 v6, s35, v6
	v_mov_b32_e32 v7, 0
	s_mov_b32 s14, exec_lo
	v_cmp_le_u32_e32 vcc_lo, s36, v6
	v_cmpx_gt_u32_e64 s36, v6
	s_cbranch_execz .LBB20_67
; %bb.69:                               ;   in Loop: Header=BB20_68 Depth=2
	global_load_ubyte v7, v5, s[40:41]
	s_branch .LBB20_67
.LBB20_70:                              ;   in Loop: Header=BB20_6 Depth=1
	s_or_b32 exec_lo, exec_lo, s19
.LBB20_71:                              ;   in Loop: Header=BB20_6 Depth=1
	s_or_b32 exec_lo, exec_lo, s18
	s_branch .LBB20_53
.LBB20_72:                              ;   in Loop: Header=BB20_6 Depth=1
	s_mul_hi_u32 s6, s88, s69
	v_mov_b32_e32 v1, 0
	s_mul_i32 s6, s6, s60
	v_mov_b32_e32 v2, 0
	s_sub_i32 s6, s88, s6
	v_mov_b32_e32 v3, 0
	s_sub_i32 s14, s6, s60
	s_cmp_ge_u32 s6, s60
	v_mov_b32_e32 v4, 0
	s_cselect_b32 s6, s14, s6
	s_mov_b32 s90, exec_lo
	s_sub_i32 s14, s6, s60
	s_cmp_ge_u32 s6, s60
	s_cselect_b32 s6, s14, s6
	s_sub_i32 s89, s88, s6
	v_cmpx_gt_u32_e64 s89, v17
	s_cbranch_execz .LBB20_76
; %bb.73:                               ;   in Loop: Header=BB20_6 Depth=1
	v_mov_b32_e32 v5, v17
	s_mov_b32 s91, 0
	s_mov_b32 s92, 0
	;; [unrolled: 1-line block ×5, first 2 shown]
.LBB20_74:                              ;   Parent Loop BB20_6 Depth=1
                                        ; =>  This Inner Loop Header: Depth=2
	ds_read_b32 v1, v5
	v_add_nc_u32_e32 v5, s60, v5
	v_cmp_le_u32_e32 vcc_lo, s89, v5
	s_waitcnt lgkmcnt(0)
	v_add_nc_u32_sdwa v2, sext(v1), v31 dst_sel:DWORD dst_unused:UNUSED_PAD src0_sel:BYTE_0 src1_sel:DWORD
	v_add_nc_u32_sdwa v3, sext(v1), v31 dst_sel:DWORD dst_unused:UNUSED_PAD src0_sel:BYTE_1 src1_sel:DWORD
	v_add_nc_u32_sdwa v4, sext(v1), v31 dst_sel:DWORD dst_unused:UNUSED_PAD src0_sel:BYTE_2 src1_sel:DWORD
	v_add_nc_u32_sdwa v1, sext(v1), v31 dst_sel:DWORD dst_unused:UNUSED_PAD src0_sel:BYTE_3 src1_sel:DWORD
	v_and_b32_e32 v6, v2, v33
	v_bfe_u32 v2, v2, s81, 2
	v_and_b32_e32 v7, v3, v33
	v_bfe_u32 v3, v3, s81, 2
	;; [unrolled: 2-line block ×3, first 2 shown]
	v_cmp_eq_u32_e64 s6, v6, v14
	v_cmp_eq_u32_e64 s18, 0, v2
	v_and_b32_e32 v36, v1, v33
	v_bfe_u32 v1, v1, s81, 2
	v_cmp_eq_u32_e64 s14, v7, v14
	v_cmp_eq_u32_e64 s19, 0, v3
	;; [unrolled: 1-line block ×4, first 2 shown]
	s_and_b32 s18, s6, s18
	v_cmp_eq_u32_e64 s17, v36, v14
	v_cmp_eq_u32_e64 s21, 0, v1
	;; [unrolled: 1-line block ×5, first 2 shown]
	v_cndmask_b32_e64 v1, 0, 1, s18
	s_and_b32 s18, s14, s19
	v_cmp_eq_u32_e64 s22, 1, v2
	v_cmp_eq_u32_e64 s26, 2, v2
	v_cmp_eq_u32_e64 s30, 3, v2
	v_cndmask_b32_e64 v2, 0, 1, s18
	s_and_b32 s18, s16, s20
	v_cmp_eq_u32_e64 s23, 1, v3
	v_cmp_eq_u32_e64 s27, 2, v3
	v_cmp_eq_u32_e64 s31, 3, v3
	;; [unrolled: 5-line block ×3, first 2 shown]
	v_cndmask_b32_e64 v4, 0, 1, s18
	s_and_b32 s18, s6, s22
	v_cndmask_b32_e64 v6, 0, 1, s18
	s_and_b32 s18, s14, s23
	;; [unrolled: 2-line block ×4, first 2 shown]
	v_cmp_ne_u32_e64 s19, 0, v7
	v_cndmask_b32_e64 v36, 0, 1, s18
	s_and_b32 s18, s6, s26
	s_and_b32 s6, s6, s30
	v_cndmask_b32_e64 v37, 0, 1, s18
	s_and_b32 s18, s14, s27
	v_cndmask_b32_e64 v41, 0, 1, s6
	;; [unrolled: 2-line block ×7, first 2 shown]
	v_cndmask_b32_e64 v44, 0, 1, s6
	v_cmp_ne_u32_e64 s6, 0, v1
	v_cmp_ne_u32_e64 s18, 0, v6
	;; [unrolled: 1-line block ×11, first 2 shown]
	s_bcnt1_i32_b32 s6, s6
	s_bcnt1_i32_b32 s18, s18
	;; [unrolled: 1-line block ×4, first 2 shown]
	v_cmp_ne_u32_e64 s17, 0, v4
	v_cmp_ne_u32_e64 s21, 0, v36
	;; [unrolled: 1-line block ×4, first 2 shown]
	s_bcnt1_i32_b32 s14, s14
	s_bcnt1_i32_b32 s19, s19
	s_bcnt1_i32_b32 s23, s23
	s_bcnt1_i32_b32 s27, s27
	s_add_i32 s6, s6, s95
	s_add_i32 s18, s18, s94
	s_add_i32 s22, s22, s93
	s_add_i32 s26, s26, s92
	s_bcnt1_i32_b32 s16, s16
	s_bcnt1_i32_b32 s20, s20
	s_bcnt1_i32_b32 s24, s24
	s_bcnt1_i32_b32 s28, s28
	s_add_i32 s6, s6, s14
	s_add_i32 s14, s18, s19
	s_add_i32 s18, s22, s23
	s_add_i32 s19, s26, s27
	;; [unrolled: 8-line block ×3, first 2 shown]
	s_add_i32 s95, s6, s17
	s_add_i32 s94, s14, s21
	;; [unrolled: 1-line block ×4, first 2 shown]
	v_mov_b32_e32 v1, s95
	v_mov_b32_e32 v2, s94
	;; [unrolled: 1-line block ×4, first 2 shown]
	s_or_b32 s91, vcc_lo, s91
	s_andn2_b32 exec_lo, exec_lo, s91
	s_cbranch_execnz .LBB20_74
; %bb.75:                               ;   in Loop: Header=BB20_6 Depth=1
	s_or_b32 exec_lo, exec_lo, s91
.LBB20_76:                              ;   in Loop: Header=BB20_6 Depth=1
	s_or_b32 exec_lo, exec_lo, s90
	v_add_nc_u32_e32 v5, s89, v0
	s_mov_b32 s19, exec_lo
	v_cmpx_gt_u32_e64 s88, v5
	s_cbranch_execz .LBB20_80
; %bb.77:                               ;   in Loop: Header=BB20_6 Depth=1
	s_mov_b32 s20, 0
.LBB20_78:                              ;   Parent Loop BB20_6 Depth=1
                                        ; =>  This Inner Loop Header: Depth=2
	ds_read_i8 v6, v5
	v_add_nc_u32_e32 v5, s35, v5
	v_cmp_le_u32_e32 vcc_lo, s88, v5
	s_waitcnt lgkmcnt(0)
	v_add_nc_u32_e32 v6, 0x80, v6
	v_and_b32_e32 v7, v6, v33
	v_bfe_u32 v6, v6, s81, 2
	v_cmp_eq_u32_e64 s6, v7, v14
	v_cmp_eq_u32_e64 s14, 0, v6
	;; [unrolled: 1-line block ×5, first 2 shown]
	s_and_b32 s14, s6, s14
	v_cndmask_b32_e64 v6, 0, 1, s14
	s_and_b32 s14, s6, s16
	v_cndmask_b32_e64 v7, 0, 1, s14
	s_and_b32 s14, s6, s17
	s_and_b32 s6, s6, s18
	v_cndmask_b32_e64 v8, 0, 1, s14
	v_cndmask_b32_e64 v36, 0, 1, s6
	v_cmp_ne_u32_e64 s6, 0, v6
	v_cmp_ne_u32_e64 s14, 0, v7
	;; [unrolled: 1-line block ×4, first 2 shown]
	s_bcnt1_i32_b32 s6, s6
	s_bcnt1_i32_b32 s14, s14
	v_add_nc_u32_e32 v1, s6, v1
	s_bcnt1_i32_b32 s16, s16
	s_bcnt1_i32_b32 s17, s17
	v_add_nc_u32_e32 v2, s14, v2
	v_add_nc_u32_e32 v3, s16, v3
	;; [unrolled: 1-line block ×3, first 2 shown]
	s_or_b32 s20, vcc_lo, s20
	s_andn2_b32 exec_lo, exec_lo, s20
	s_cbranch_execnz .LBB20_78
; %bb.79:                               ;   in Loop: Header=BB20_6 Depth=1
	s_or_b32 exec_lo, exec_lo, s20
.LBB20_80:                              ;   in Loop: Header=BB20_6 Depth=1
	s_or_b32 exec_lo, exec_lo, s19
	s_lshl_b32 s6, s77, 7
	s_and_saveexec_b32 s14, s0
	s_cbranch_execnz .LBB20_54
	s_branch .LBB20_55
.LBB20_81:                              ;   in Loop: Header=BB20_6 Depth=1
	v_mov_b32_e32 v1, 0
	s_mov_b32 s16, 0
	s_andn2_b32 vcc_lo, exec_lo, s68
	s_cbranch_vccnz .LBB20_84
.LBB20_82:                              ;   in Loop: Header=BB20_6 Depth=1
	s_lshl_b32 s17, s77, 9
	s_lshl_b32 s16, s16, 4
	v_add3_u32 v2, s17, s16, v30
	s_mov_b32 s16, s66
.LBB20_83:                              ;   Parent Loop BB20_6 Depth=1
                                        ; =>  This Inner Loop Header: Depth=2
	ds_read_b32 v3, v2
	v_add_nc_u32_e32 v2, 16, v2
	s_add_i32 s16, s16, -1
	s_cmp_lg_u32 s16, 0
	s_waitcnt lgkmcnt(0)
	v_add_nc_u32_e32 v1, v3, v1
	s_cbranch_scc1 .LBB20_83
.LBB20_84:                              ;   in Loop: Header=BB20_6 Depth=1
	v_add_lshl_u32 v2, s6, v16, 2
	ds_write_b32 v2, v1 offset:3072
.LBB20_85:                              ;   in Loop: Header=BB20_6 Depth=1
	s_or_b32 exec_lo, exec_lo, s14
	s_lshl_b32 s6, s6, 2
	s_waitcnt lgkmcnt(0)
	v_mov_b32_e32 v1, s6
	s_barrier
	buffer_gl0_inv
	v_cmp_eq_u32_e64 s14, 1, v35
	s_lshl_b32 s18, 3, s81
	ds_read_b128 v[1:4], v1 offset:3072
	s_mov_b32 s27, -1
	s_not_b32 s19, s18
	s_mov_b32 s16, 0
	s_andn2_b32 vcc_lo, exec_lo, s59
	s_mov_b32 s24, 0
	s_mov_b32 s23, 0
                                        ; implicit-def: $sgpr25
                                        ; implicit-def: $sgpr26
                                        ; implicit-def: $vgpr5
	s_waitcnt lgkmcnt(0)
	v_readfirstlane_b32 s17, v1
	v_readfirstlane_b32 s20, v2
	v_readfirstlane_b32 s21, v3
	v_readfirstlane_b32 s22, v4
                                        ; implicit-def: $vgpr4
                                        ; implicit-def: $vgpr1
                                        ; implicit-def: $vgpr2
                                        ; implicit-def: $vgpr3
	s_cbranch_vccnz .LBB20_243
; %bb.86:                               ;   in Loop: Header=BB20_6 Depth=1
	s_cmp_eq_u32 s17, 1
	v_mov_b32_e32 v2, v14
	v_mov_b32_e32 v3, v33
	;; [unrolled: 1-line block ×3, first 2 shown]
	s_cselect_b32 s6, -1, 0
	s_mov_b32 s29, -1
	s_and_b32 s6, s6, s14
                                        ; implicit-def: $sgpr26
                                        ; implicit-def: $sgpr25
	s_and_saveexec_b32 s23, s6
	s_cbranch_execz .LBB20_112
; %bb.87:                               ;   in Loop: Header=BB20_6 Depth=1
	ds_read_b32 v1, v19 offset:4096
	s_waitcnt lgkmcnt(0)
	s_barrier
	buffer_gl0_inv
	v_readfirstlane_b32 s27, v1
	s_and_saveexec_b32 s24, s15
; %bb.88:                               ;   in Loop: Header=BB20_6 Depth=1
	ds_write_b8 v0, v19 offset:3072
; %bb.89:                               ;   in Loop: Header=BB20_6 Depth=1
	s_or_b32 exec_lo, exec_lo, s24
	v_and_b32_e32 v2, s19, v14
	v_or_b32_e32 v3, s18, v33
	s_mov_b32 s25, -1
	s_mov_b32 s26, 0
	s_cmp_eq_u32 s27, 0
	s_mov_b32 s24, 0
	s_mov_b32 s28, -1
	s_waitcnt lgkmcnt(0)
	s_barrier
	buffer_gl0_inv
                                        ; implicit-def: $vgpr5
	s_cbranch_scc1 .LBB20_100
; %bb.90:                               ;   in Loop: Header=BB20_6 Depth=1
	s_add_i32 s24, s27, s65
                                        ; implicit-def: $vgpr5
	s_mul_hi_u32 s28, s24, s72
	s_mul_i32 s28, s28, s35
	s_sub_i32 s28, s24, s28
	s_sub_i32 s29, s28, s35
	s_cmp_ge_u32 s28, s35
	s_cselect_b32 s28, s29, s28
	s_sub_i32 s29, s28, s35
	s_cmp_ge_u32 s28, s35
	s_cselect_b32 s28, s29, s28
	s_mov_b32 s29, exec_lo
	s_sub_i32 s30, s24, s28
	s_mov_b32 s28, 0
	s_mov_b32 s24, 0
	v_cmpx_gt_u32_e64 s30, v0
	s_cbranch_execz .LBB20_99
; %bb.91:                               ;   in Loop: Header=BB20_6 Depth=1
	v_mov_b32_e32 v1, v0
                                        ; implicit-def: $sgpr31
	s_inst_prefetch 0x1
	s_branch .LBB20_94
	.p2align	6
.LBB20_92:                              ;   in Loop: Header=BB20_94 Depth=2
	s_or_b32 exec_lo, exec_lo, s33
	s_waitcnt lgkmcnt(0)
	s_barrier
	buffer_gl0_inv
	ds_read_u16 v4, v19 offset:3072
	s_mov_b32 s34, -1
	s_waitcnt lgkmcnt(0)
	s_barrier
	buffer_gl0_inv
	v_cmp_ne_u32_sdwa s33, v4, v19 src0_sel:BYTE_0 src1_sel:DWORD
	s_and_b32 vcc_lo, exec_lo, s33
	s_mov_b32 s33, -1
	s_cbranch_vccz .LBB20_97
.LBB20_93:                              ;   in Loop: Header=BB20_94 Depth=2
	s_and_b32 s34, exec_lo, s34
	s_or_b32 s24, s34, s24
	s_andn2_b32 s31, s31, exec_lo
	s_and_b32 s33, s33, exec_lo
	s_or_b32 s31, s31, s33
	s_andn2_b32 exec_lo, exec_lo, s24
	s_cbranch_execz .LBB20_98
.LBB20_94:                              ;   Parent Loop BB20_6 Depth=1
                                        ; =>  This Inner Loop Header: Depth=2
	s_mov_b32 s33, exec_lo
	v_cmpx_gt_u32_e64 s27, v1
	s_cbranch_execz .LBB20_92
; %bb.95:                               ;   in Loop: Header=BB20_94 Depth=2
	ds_read_u8 v4, v1
	s_waitcnt lgkmcnt(0)
	v_add_nc_u32_sdwa v5, sext(v4), v31 dst_sel:DWORD dst_unused:UNUSED_PAD src0_sel:BYTE_0 src1_sel:DWORD
	v_and_b32_e32 v5, v5, v3
	v_cmp_eq_u32_e32 vcc_lo, v5, v2
	s_and_b32 exec_lo, exec_lo, vcc_lo
	s_cbranch_execz .LBB20_92
; %bb.96:                               ;   in Loop: Header=BB20_94 Depth=2
	v_lshlrev_b16 v4, 8, v4
	v_or_b32_e32 v4, 1, v4
	ds_write_b16 v19, v4 offset:3072
	s_branch .LBB20_92
.LBB20_97:                              ;   in Loop: Header=BB20_94 Depth=2
	v_add_nc_u32_e32 v1, s35, v1
	s_mov_b32 s33, 0
	v_cmp_le_u32_e32 vcc_lo, s30, v1
	s_orn2_b32 s34, vcc_lo, exec_lo
	s_branch .LBB20_93
.LBB20_98:                              ;   in Loop: Header=BB20_6 Depth=1
	s_inst_prefetch 0x2
	s_or_b32 exec_lo, exec_lo, s24
	v_lshrrev_b32_sdwa v5, v32, v4 dst_sel:DWORD dst_unused:UNUSED_PAD src0_sel:DWORD src1_sel:WORD_0
	s_and_b32 s24, s31, exec_lo
.LBB20_99:                              ;   in Loop: Header=BB20_6 Depth=1
	s_or_b32 exec_lo, exec_lo, s29
.LBB20_100:                             ;   in Loop: Header=BB20_6 Depth=1
	s_and_b32 vcc_lo, exec_lo, s28
	s_cbranch_vccz .LBB20_111
; %bb.101:                              ;   in Loop: Header=BB20_6 Depth=1
                                        ; implicit-def: $vgpr5
	s_and_saveexec_b32 s25, s13
	s_cbranch_execz .LBB20_110
; %bb.102:                              ;   in Loop: Header=BB20_6 Depth=1
	v_mov_b32_e32 v1, v18
	v_mov_b32_e32 v4, v0
	s_mov_b32 s26, 0
                                        ; implicit-def: $sgpr27
	s_inst_prefetch 0x1
	s_branch .LBB20_105
	.p2align	6
.LBB20_103:                             ;   in Loop: Header=BB20_105 Depth=2
	s_or_b32 exec_lo, exec_lo, s28
	s_waitcnt lgkmcnt(0)
	s_barrier
	buffer_gl0_inv
	ds_read_u16 v5, v19 offset:3072
	s_mov_b32 s28, -1
	s_waitcnt lgkmcnt(0)
	s_barrier
	buffer_gl0_inv
	v_cmp_ne_u32_sdwa s29, v5, v19 src0_sel:BYTE_0 src1_sel:DWORD
	s_and_b32 vcc_lo, exec_lo, s29
	s_mov_b32 s29, -1
	s_cbranch_vccz .LBB20_108
.LBB20_104:                             ;   in Loop: Header=BB20_105 Depth=2
	s_and_b32 s28, exec_lo, s28
	s_or_b32 s26, s28, s26
	s_andn2_b32 s27, s27, exec_lo
	s_and_b32 s28, s29, exec_lo
	s_or_b32 s27, s27, s28
	s_andn2_b32 exec_lo, exec_lo, s26
	s_cbranch_execz .LBB20_109
.LBB20_105:                             ;   Parent Loop BB20_6 Depth=1
                                        ; =>  This Inner Loop Header: Depth=2
	s_mov_b32 s28, exec_lo
	v_cmpx_gt_u32_e64 s36, v4
	s_cbranch_execz .LBB20_103
; %bb.106:                              ;   in Loop: Header=BB20_105 Depth=2
	global_load_ubyte v5, v1, s[40:41]
	s_waitcnt vmcnt(0)
	v_add_nc_u32_sdwa v6, sext(v5), v31 dst_sel:DWORD dst_unused:UNUSED_PAD src0_sel:BYTE_0 src1_sel:DWORD
	v_and_b32_e32 v6, v6, v3
	v_cmp_eq_u32_e32 vcc_lo, v6, v2
	s_and_b32 exec_lo, exec_lo, vcc_lo
	s_cbranch_execz .LBB20_103
; %bb.107:                              ;   in Loop: Header=BB20_105 Depth=2
	v_lshlrev_b16 v5, 8, v5
	v_or_b32_e32 v5, 1, v5
	ds_write_b16 v19, v5 offset:3072
	s_branch .LBB20_103
.LBB20_108:                             ;   in Loop: Header=BB20_105 Depth=2
	v_add_nc_u32_e32 v4, s35, v4
	v_add_nc_u32_e32 v1, s52, v1
	s_mov_b32 s29, 0
	v_cmp_le_u32_e32 vcc_lo, s74, v4
	s_orn2_b32 s28, vcc_lo, exec_lo
	s_branch .LBB20_104
.LBB20_109:                             ;   in Loop: Header=BB20_6 Depth=1
	s_inst_prefetch 0x2
	s_or_b32 exec_lo, exec_lo, s26
	v_lshrrev_b32_sdwa v5, v32, v5 dst_sel:DWORD dst_unused:UNUSED_PAD src0_sel:DWORD src1_sel:WORD_0
	s_andn2_b32 s24, s24, exec_lo
	s_and_b32 s26, s27, exec_lo
	s_or_b32 s24, s24, s26
.LBB20_110:                             ;   in Loop: Header=BB20_6 Depth=1
	s_or_b32 exec_lo, exec_lo, s25
	s_mov_b32 s25, 0
	s_mov_b32 s26, -1
.LBB20_111:                             ;   in Loop: Header=BB20_6 Depth=1
	s_orn2_b32 s29, s24, exec_lo
.LBB20_112:                             ;   in Loop: Header=BB20_6 Depth=1
	s_or_b32 exec_lo, exec_lo, s23
	s_mov_b32 s27, 0
	s_mov_b32 s24, 0
	;; [unrolled: 1-line block ×3, first 2 shown]
                                        ; implicit-def: $vgpr4
                                        ; implicit-def: $vgpr1
	s_and_saveexec_b32 s28, s29
	s_cbranch_execz .LBB20_242
; %bb.113:                              ;   in Loop: Header=BB20_6 Depth=1
	v_mov_b32_e32 v4, 1
	v_mov_b32_e32 v1, 1
	s_xor_b32 s23, s6, -1
	s_mov_b32 s30, 0
	s_and_saveexec_b32 s6, s23
	s_cbranch_execz .LBB20_122
; %bb.114:                              ;   in Loop: Header=BB20_6 Depth=1
	s_mov_b32 s23, exec_lo
	v_cmpx_ge_u32_e64 s17, v35
	s_xor_b32 s23, exec_lo, s23
	s_cbranch_execz .LBB20_119
; %bb.115:                              ;   in Loop: Header=BB20_6 Depth=1
	ds_read_b32 v1, v19 offset:4096
	v_and_b32_e32 v2, s19, v2
	v_or_b32_e32 v3, s18, v3
	s_waitcnt lgkmcnt(0)
	v_cmp_ne_u32_e32 vcc_lo, 0, v1
	s_cbranch_vccnz .LBB20_119
; %bb.116:                              ;   in Loop: Header=BB20_6 Depth=1
	s_and_saveexec_b32 s24, s3
; %bb.117:                              ;   in Loop: Header=BB20_6 Depth=1
	v_mov_b32_e32 v1, s17
	ds_write_b32 v19, v1 offset:4100
; %bb.118:                              ;   in Loop: Header=BB20_6 Depth=1
	s_or_b32 exec_lo, exec_lo, s24
	s_waitcnt lgkmcnt(0)
	s_barrier
	buffer_gl0_inv
.LBB20_119:                             ;   in Loop: Header=BB20_6 Depth=1
	s_or_saveexec_b32 s23, s23
	v_mov_b32_e32 v1, 8
	v_mov_b32_e32 v4, v35
	s_mov_b32 s24, 0
	s_xor_b32 exec_lo, exec_lo, s23
; %bb.120:                              ;   in Loop: Header=BB20_6 Depth=1
	v_subrev_nc_u32_e32 v4, s17, v35
	v_mov_b32_e32 v1, 0
	s_mov_b32 s24, exec_lo
; %bb.121:                              ;   in Loop: Header=BB20_6 Depth=1
	s_or_b32 exec_lo, exec_lo, s23
	s_and_b32 s30, s24, exec_lo
.LBB20_122:                             ;   in Loop: Header=BB20_6 Depth=1
	s_or_b32 exec_lo, exec_lo, s6
	s_mov_b32 s29, -1
                                        ; implicit-def: $sgpr23
                                        ; implicit-def: $sgpr24
	s_and_saveexec_b32 s6, s30
	s_xor_b32 s6, exec_lo, s6
	s_cbranch_execz .LBB20_239
; %bb.123:                              ;   in Loop: Header=BB20_6 Depth=1
	v_cmp_eq_u32_e32 vcc_lo, 1, v4
	s_cmp_eq_u32 s20, 1
	s_mov_b32 s31, -1
	s_cselect_b32 s23, -1, 0
                                        ; implicit-def: $sgpr24
	s_and_b32 s30, s23, vcc_lo
                                        ; implicit-def: $sgpr23
	s_and_saveexec_b32 s29, s30
	s_cbranch_execz .LBB20_149
; %bb.124:                              ;   in Loop: Header=BB20_6 Depth=1
	ds_read_b32 v5, v19 offset:4096
	s_waitcnt lgkmcnt(0)
	s_barrier
	buffer_gl0_inv
	v_readfirstlane_b32 s33, v5
	s_and_saveexec_b32 s23, s15
; %bb.125:                              ;   in Loop: Header=BB20_6 Depth=1
	ds_write_b8 v0, v19 offset:3072
; %bb.126:                              ;   in Loop: Header=BB20_6 Depth=1
	s_or_b32 exec_lo, exec_lo, s23
	s_lshl_b32 s23, 1, s81
	v_or_b32_e32 v3, s18, v3
	v_and_or_b32 v2, v2, s19, s23
	s_mov_b32 s23, -1
	s_mov_b32 s24, 0
	s_cmp_eq_u32 s33, 0
	s_mov_b32 s31, 0
	s_mov_b32 s34, -1
	s_waitcnt lgkmcnt(0)
	s_barrier
	buffer_gl0_inv
                                        ; implicit-def: $vgpr5
	s_cbranch_scc1 .LBB20_137
; %bb.127:                              ;   in Loop: Header=BB20_6 Depth=1
	s_add_i32 s31, s33, s65
                                        ; implicit-def: $vgpr5
	s_mul_hi_u32 s34, s31, s72
	s_mul_i32 s34, s34, s35
	s_sub_i32 s34, s31, s34
	s_sub_i32 s88, s34, s35
	s_cmp_ge_u32 s34, s35
	s_cselect_b32 s34, s88, s34
	s_sub_i32 s88, s34, s35
	s_cmp_ge_u32 s34, s35
	s_cselect_b32 s34, s88, s34
	s_mov_b32 s88, exec_lo
	s_sub_i32 s89, s31, s34
	s_mov_b32 s34, 0
	s_mov_b32 s31, 0
	v_cmpx_gt_u32_e64 s89, v0
	s_cbranch_execz .LBB20_136
; %bb.128:                              ;   in Loop: Header=BB20_6 Depth=1
	v_mov_b32_e32 v5, v0
                                        ; implicit-def: $sgpr90
	s_inst_prefetch 0x1
	s_branch .LBB20_131
	.p2align	6
.LBB20_129:                             ;   in Loop: Header=BB20_131 Depth=2
	s_or_b32 exec_lo, exec_lo, s91
	s_waitcnt lgkmcnt(0)
	s_barrier
	buffer_gl0_inv
	ds_read_u16 v6, v19 offset:3072
	s_mov_b32 s92, -1
	s_waitcnt lgkmcnt(0)
	s_barrier
	buffer_gl0_inv
	v_cmp_ne_u32_sdwa s91, v6, v19 src0_sel:BYTE_0 src1_sel:DWORD
	s_and_b32 vcc_lo, exec_lo, s91
	s_mov_b32 s91, -1
	s_cbranch_vccz .LBB20_134
.LBB20_130:                             ;   in Loop: Header=BB20_131 Depth=2
	s_and_b32 s92, exec_lo, s92
	s_or_b32 s31, s92, s31
	s_andn2_b32 s90, s90, exec_lo
	s_and_b32 s91, s91, exec_lo
	s_or_b32 s90, s90, s91
	s_andn2_b32 exec_lo, exec_lo, s31
	s_cbranch_execz .LBB20_135
.LBB20_131:                             ;   Parent Loop BB20_6 Depth=1
                                        ; =>  This Inner Loop Header: Depth=2
	s_mov_b32 s91, exec_lo
	v_cmpx_gt_u32_e64 s33, v5
	s_cbranch_execz .LBB20_129
; %bb.132:                              ;   in Loop: Header=BB20_131 Depth=2
	ds_read_u8 v6, v5
	s_waitcnt lgkmcnt(0)
	v_add_nc_u32_sdwa v7, sext(v6), v31 dst_sel:DWORD dst_unused:UNUSED_PAD src0_sel:BYTE_0 src1_sel:DWORD
	v_and_b32_e32 v7, v7, v3
	v_cmp_eq_u32_e32 vcc_lo, v7, v2
	s_and_b32 exec_lo, exec_lo, vcc_lo
	s_cbranch_execz .LBB20_129
; %bb.133:                              ;   in Loop: Header=BB20_131 Depth=2
	v_lshlrev_b16 v6, 8, v6
	v_or_b32_e32 v6, 1, v6
	ds_write_b16 v19, v6 offset:3072
	s_branch .LBB20_129
.LBB20_134:                             ;   in Loop: Header=BB20_131 Depth=2
	v_add_nc_u32_e32 v5, s35, v5
	s_mov_b32 s91, 0
	v_cmp_le_u32_e32 vcc_lo, s89, v5
	s_orn2_b32 s92, vcc_lo, exec_lo
	s_branch .LBB20_130
.LBB20_135:                             ;   in Loop: Header=BB20_6 Depth=1
	s_inst_prefetch 0x2
	s_or_b32 exec_lo, exec_lo, s31
	v_lshrrev_b32_sdwa v5, v32, v6 dst_sel:DWORD dst_unused:UNUSED_PAD src0_sel:DWORD src1_sel:WORD_0
	s_and_b32 s31, s90, exec_lo
.LBB20_136:                             ;   in Loop: Header=BB20_6 Depth=1
	s_or_b32 exec_lo, exec_lo, s88
.LBB20_137:                             ;   in Loop: Header=BB20_6 Depth=1
	s_and_b32 vcc_lo, exec_lo, s34
	s_cbranch_vccz .LBB20_148
; %bb.138:                              ;   in Loop: Header=BB20_6 Depth=1
                                        ; implicit-def: $vgpr5
	s_and_saveexec_b32 s23, s13
	s_cbranch_execz .LBB20_147
; %bb.139:                              ;   in Loop: Header=BB20_6 Depth=1
	v_mov_b32_e32 v5, v18
	v_mov_b32_e32 v6, v0
	s_mov_b32 s24, 0
                                        ; implicit-def: $sgpr33
	s_inst_prefetch 0x1
	s_branch .LBB20_142
	.p2align	6
.LBB20_140:                             ;   in Loop: Header=BB20_142 Depth=2
	s_or_b32 exec_lo, exec_lo, s34
	s_waitcnt lgkmcnt(0)
	s_barrier
	buffer_gl0_inv
	ds_read_u16 v7, v19 offset:3072
	s_mov_b32 s34, -1
	s_waitcnt lgkmcnt(0)
	s_barrier
	buffer_gl0_inv
	v_cmp_eq_u32_sdwa s88, v7, v19 src0_sel:BYTE_0 src1_sel:DWORD
	s_and_b32 vcc_lo, exec_lo, s88
	s_mov_b32 s88, -1
	s_cbranch_vccnz .LBB20_145
.LBB20_141:                             ;   in Loop: Header=BB20_142 Depth=2
	s_and_b32 s34, exec_lo, s34
	s_or_b32 s24, s34, s24
	s_andn2_b32 s33, s33, exec_lo
	s_and_b32 s34, s88, exec_lo
	s_or_b32 s33, s33, s34
	s_andn2_b32 exec_lo, exec_lo, s24
	s_cbranch_execz .LBB20_146
.LBB20_142:                             ;   Parent Loop BB20_6 Depth=1
                                        ; =>  This Inner Loop Header: Depth=2
	s_mov_b32 s34, exec_lo
	v_cmpx_gt_u32_e64 s36, v6
	s_cbranch_execz .LBB20_140
; %bb.143:                              ;   in Loop: Header=BB20_142 Depth=2
	global_load_ubyte v7, v5, s[40:41]
	s_waitcnt vmcnt(0)
	v_add_nc_u32_sdwa v8, sext(v7), v31 dst_sel:DWORD dst_unused:UNUSED_PAD src0_sel:BYTE_0 src1_sel:DWORD
	v_and_b32_e32 v8, v8, v3
	v_cmp_eq_u32_e32 vcc_lo, v8, v2
	s_and_b32 exec_lo, exec_lo, vcc_lo
	s_cbranch_execz .LBB20_140
; %bb.144:                              ;   in Loop: Header=BB20_142 Depth=2
	v_lshlrev_b16 v7, 8, v7
	v_or_b32_e32 v7, 1, v7
	ds_write_b16 v19, v7 offset:3072
	s_branch .LBB20_140
.LBB20_145:                             ;   in Loop: Header=BB20_142 Depth=2
	v_add_nc_u32_e32 v6, s35, v6
	v_add_nc_u32_e32 v5, s52, v5
	s_mov_b32 s88, 0
	v_cmp_le_u32_e32 vcc_lo, s74, v6
	s_orn2_b32 s34, vcc_lo, exec_lo
	s_branch .LBB20_141
.LBB20_146:                             ;   in Loop: Header=BB20_6 Depth=1
	s_inst_prefetch 0x2
	s_or_b32 exec_lo, exec_lo, s24
	v_lshrrev_b32_sdwa v5, v32, v7 dst_sel:DWORD dst_unused:UNUSED_PAD src0_sel:DWORD src1_sel:WORD_0
	s_andn2_b32 s24, s31, exec_lo
	s_and_b32 s31, s33, exec_lo
	s_or_b32 s31, s24, s31
.LBB20_147:                             ;   in Loop: Header=BB20_6 Depth=1
	s_or_b32 exec_lo, exec_lo, s23
	s_mov_b32 s23, 0
	s_mov_b32 s24, -1
.LBB20_148:                             ;   in Loop: Header=BB20_6 Depth=1
	s_orn2_b32 s31, s31, exec_lo
.LBB20_149:                             ;   in Loop: Header=BB20_6 Depth=1
	s_or_b32 exec_lo, exec_lo, s29
	s_mov_b32 s33, 0
	s_and_saveexec_b32 s29, s31
	s_cbranch_execz .LBB20_238
; %bb.150:                              ;   in Loop: Header=BB20_6 Depth=1
	v_mov_b32_e32 v6, 1
	v_mov_b32_e32 v1, 1
	s_xor_b32 s31, s30, -1
	s_mov_b32 s88, 0
	s_and_saveexec_b32 s30, s31
	s_cbranch_execz .LBB20_159
; %bb.151:                              ;   in Loop: Header=BB20_6 Depth=1
	s_mov_b32 s31, exec_lo
	v_cmpx_ge_u32_e64 s20, v4
	s_xor_b32 s31, exec_lo, s31
	s_cbranch_execz .LBB20_156
; %bb.152:                              ;   in Loop: Header=BB20_6 Depth=1
	ds_read_b32 v1, v19 offset:4096
	s_lshl_b32 s33, 1, s81
	v_or_b32_e32 v3, s18, v3
	v_and_or_b32 v2, v2, s19, s33
	s_waitcnt lgkmcnt(0)
	v_cmp_ne_u32_e32 vcc_lo, 0, v1
	s_cbranch_vccnz .LBB20_156
; %bb.153:                              ;   in Loop: Header=BB20_6 Depth=1
	s_and_saveexec_b32 s33, s3
; %bb.154:                              ;   in Loop: Header=BB20_6 Depth=1
	v_mov_b32_e32 v1, s20
	ds_write_b32 v19, v1 offset:4100
; %bb.155:                              ;   in Loop: Header=BB20_6 Depth=1
	s_or_b32 exec_lo, exec_lo, s33
	s_waitcnt lgkmcnt(0)
	s_barrier
	buffer_gl0_inv
.LBB20_156:                             ;   in Loop: Header=BB20_6 Depth=1
	s_or_saveexec_b32 s31, s31
	v_mov_b32_e32 v1, 8
	s_mov_b32 s33, 0
	s_xor_b32 exec_lo, exec_lo, s31
; %bb.157:                              ;   in Loop: Header=BB20_6 Depth=1
	v_subrev_nc_u32_e32 v4, s20, v4
	v_mov_b32_e32 v1, 0
	s_mov_b32 s33, exec_lo
; %bb.158:                              ;   in Loop: Header=BB20_6 Depth=1
	s_or_b32 exec_lo, exec_lo, s31
	v_mov_b32_e32 v6, v4
	s_and_b32 s88, s33, exec_lo
.LBB20_159:                             ;   in Loop: Header=BB20_6 Depth=1
	s_or_b32 exec_lo, exec_lo, s30
	s_mov_b32 s34, -1
                                        ; implicit-def: $sgpr31
                                        ; implicit-def: $sgpr33
	s_and_saveexec_b32 s30, s88
	s_cbranch_execz .LBB20_237
; %bb.160:                              ;   in Loop: Header=BB20_6 Depth=1
	v_cmp_eq_u32_e32 vcc_lo, 1, v6
	s_cmp_eq_u32 s21, 1
	s_mov_b32 s89, -1
	s_cselect_b32 s31, -1, 0
                                        ; implicit-def: $sgpr33
	s_and_b32 s88, s31, vcc_lo
                                        ; implicit-def: $sgpr31
	s_and_saveexec_b32 s34, s88
	s_cbranch_execz .LBB20_186
; %bb.161:                              ;   in Loop: Header=BB20_6 Depth=1
	ds_read_b32 v4, v19 offset:4096
	s_waitcnt lgkmcnt(0)
	s_barrier
	buffer_gl0_inv
	v_readfirstlane_b32 s90, v4
	s_and_saveexec_b32 s31, s15
; %bb.162:                              ;   in Loop: Header=BB20_6 Depth=1
	ds_write_b8 v0, v19 offset:3072
; %bb.163:                              ;   in Loop: Header=BB20_6 Depth=1
	s_or_b32 exec_lo, exec_lo, s31
	s_lshl_b32 s31, 2, s81
	v_or_b32_e32 v3, s18, v3
	v_and_or_b32 v2, v2, s19, s31
	s_mov_b32 s31, -1
	s_mov_b32 s33, 0
	s_cmp_eq_u32 s90, 0
	s_mov_b32 s89, 0
	s_mov_b32 s91, -1
	s_waitcnt lgkmcnt(0)
	s_barrier
	buffer_gl0_inv
                                        ; implicit-def: $vgpr5
	s_cbranch_scc1 .LBB20_174
; %bb.164:                              ;   in Loop: Header=BB20_6 Depth=1
	s_add_i32 s89, s90, s65
                                        ; implicit-def: $vgpr5
	s_mul_hi_u32 s91, s89, s72
	s_mul_i32 s91, s91, s35
	s_sub_i32 s91, s89, s91
	s_sub_i32 s92, s91, s35
	s_cmp_ge_u32 s91, s35
	s_cselect_b32 s91, s92, s91
	s_sub_i32 s92, s91, s35
	s_cmp_ge_u32 s91, s35
	s_cselect_b32 s91, s92, s91
	s_mov_b32 s92, exec_lo
	s_sub_i32 s93, s89, s91
	s_mov_b32 s91, 0
	s_mov_b32 s89, 0
	v_cmpx_gt_u32_e64 s93, v0
	s_cbranch_execz .LBB20_173
; %bb.165:                              ;   in Loop: Header=BB20_6 Depth=1
	v_mov_b32_e32 v4, v0
                                        ; implicit-def: $sgpr94
	s_inst_prefetch 0x1
	s_branch .LBB20_168
	.p2align	6
.LBB20_166:                             ;   in Loop: Header=BB20_168 Depth=2
	s_or_b32 exec_lo, exec_lo, s95
	s_waitcnt lgkmcnt(0)
	s_barrier
	buffer_gl0_inv
	ds_read_u16 v5, v19 offset:3072
	s_mov_b32 s96, -1
	s_waitcnt lgkmcnt(0)
	s_barrier
	buffer_gl0_inv
	v_cmp_ne_u32_sdwa s95, v5, v19 src0_sel:BYTE_0 src1_sel:DWORD
	s_and_b32 vcc_lo, exec_lo, s95
	s_mov_b32 s95, -1
	s_cbranch_vccz .LBB20_171
.LBB20_167:                             ;   in Loop: Header=BB20_168 Depth=2
	s_and_b32 s96, exec_lo, s96
	s_or_b32 s89, s96, s89
	s_andn2_b32 s94, s94, exec_lo
	s_and_b32 s95, s95, exec_lo
	s_or_b32 s94, s94, s95
	s_andn2_b32 exec_lo, exec_lo, s89
	s_cbranch_execz .LBB20_172
.LBB20_168:                             ;   Parent Loop BB20_6 Depth=1
                                        ; =>  This Inner Loop Header: Depth=2
	s_mov_b32 s95, exec_lo
	v_cmpx_gt_u32_e64 s90, v4
	s_cbranch_execz .LBB20_166
; %bb.169:                              ;   in Loop: Header=BB20_168 Depth=2
	ds_read_u8 v5, v4
	s_waitcnt lgkmcnt(0)
	v_add_nc_u32_sdwa v7, sext(v5), v31 dst_sel:DWORD dst_unused:UNUSED_PAD src0_sel:BYTE_0 src1_sel:DWORD
	v_and_b32_e32 v7, v7, v3
	v_cmp_eq_u32_e32 vcc_lo, v7, v2
	s_and_b32 exec_lo, exec_lo, vcc_lo
	s_cbranch_execz .LBB20_166
; %bb.170:                              ;   in Loop: Header=BB20_168 Depth=2
	v_lshlrev_b16 v5, 8, v5
	v_or_b32_e32 v5, 1, v5
	ds_write_b16 v19, v5 offset:3072
	s_branch .LBB20_166
.LBB20_171:                             ;   in Loop: Header=BB20_168 Depth=2
	v_add_nc_u32_e32 v4, s35, v4
	s_mov_b32 s95, 0
	v_cmp_le_u32_e32 vcc_lo, s93, v4
	s_orn2_b32 s96, vcc_lo, exec_lo
	s_branch .LBB20_167
.LBB20_172:                             ;   in Loop: Header=BB20_6 Depth=1
	s_inst_prefetch 0x2
	s_or_b32 exec_lo, exec_lo, s89
	v_lshrrev_b32_sdwa v5, v32, v5 dst_sel:DWORD dst_unused:UNUSED_PAD src0_sel:DWORD src1_sel:WORD_0
	s_and_b32 s89, s94, exec_lo
.LBB20_173:                             ;   in Loop: Header=BB20_6 Depth=1
	s_or_b32 exec_lo, exec_lo, s92
.LBB20_174:                             ;   in Loop: Header=BB20_6 Depth=1
	s_and_b32 vcc_lo, exec_lo, s91
	s_cbranch_vccz .LBB20_185
; %bb.175:                              ;   in Loop: Header=BB20_6 Depth=1
                                        ; implicit-def: $vgpr5
	s_and_saveexec_b32 s31, s13
	s_cbranch_execz .LBB20_184
; %bb.176:                              ;   in Loop: Header=BB20_6 Depth=1
	v_mov_b32_e32 v4, v18
	v_mov_b32_e32 v5, v0
	s_mov_b32 s33, 0
                                        ; implicit-def: $sgpr90
	s_inst_prefetch 0x1
	s_branch .LBB20_179
	.p2align	6
.LBB20_177:                             ;   in Loop: Header=BB20_179 Depth=2
	s_or_b32 exec_lo, exec_lo, s91
	s_waitcnt lgkmcnt(0)
	s_barrier
	buffer_gl0_inv
	ds_read_u16 v7, v19 offset:3072
	s_mov_b32 s91, -1
	s_waitcnt lgkmcnt(0)
	s_barrier
	buffer_gl0_inv
	v_cmp_eq_u32_sdwa s92, v7, v19 src0_sel:BYTE_0 src1_sel:DWORD
	s_and_b32 vcc_lo, exec_lo, s92
	s_mov_b32 s92, -1
	s_cbranch_vccnz .LBB20_182
.LBB20_178:                             ;   in Loop: Header=BB20_179 Depth=2
	s_and_b32 s91, exec_lo, s91
	s_or_b32 s33, s91, s33
	s_andn2_b32 s90, s90, exec_lo
	s_and_b32 s91, s92, exec_lo
	s_or_b32 s90, s90, s91
	s_andn2_b32 exec_lo, exec_lo, s33
	s_cbranch_execz .LBB20_183
.LBB20_179:                             ;   Parent Loop BB20_6 Depth=1
                                        ; =>  This Inner Loop Header: Depth=2
	s_mov_b32 s91, exec_lo
	v_cmpx_gt_u32_e64 s36, v5
	s_cbranch_execz .LBB20_177
; %bb.180:                              ;   in Loop: Header=BB20_179 Depth=2
	global_load_ubyte v7, v4, s[40:41]
	s_waitcnt vmcnt(0)
	v_add_nc_u32_sdwa v8, sext(v7), v31 dst_sel:DWORD dst_unused:UNUSED_PAD src0_sel:BYTE_0 src1_sel:DWORD
	v_and_b32_e32 v8, v8, v3
	v_cmp_eq_u32_e32 vcc_lo, v8, v2
	s_and_b32 exec_lo, exec_lo, vcc_lo
	s_cbranch_execz .LBB20_177
; %bb.181:                              ;   in Loop: Header=BB20_179 Depth=2
	v_lshlrev_b16 v7, 8, v7
	v_or_b32_e32 v7, 1, v7
	ds_write_b16 v19, v7 offset:3072
	s_branch .LBB20_177
.LBB20_182:                             ;   in Loop: Header=BB20_179 Depth=2
	v_add_nc_u32_e32 v5, s35, v5
	v_add_nc_u32_e32 v4, s52, v4
	s_mov_b32 s92, 0
	v_cmp_le_u32_e32 vcc_lo, s74, v5
	s_orn2_b32 s91, vcc_lo, exec_lo
	s_branch .LBB20_178
.LBB20_183:                             ;   in Loop: Header=BB20_6 Depth=1
	s_inst_prefetch 0x2
	s_or_b32 exec_lo, exec_lo, s33
	v_lshrrev_b32_sdwa v5, v32, v7 dst_sel:DWORD dst_unused:UNUSED_PAD src0_sel:DWORD src1_sel:WORD_0
	s_andn2_b32 s33, s89, exec_lo
	s_and_b32 s89, s90, exec_lo
	s_or_b32 s89, s33, s89
.LBB20_184:                             ;   in Loop: Header=BB20_6 Depth=1
	s_or_b32 exec_lo, exec_lo, s31
	s_mov_b32 s31, 0
	s_mov_b32 s33, -1
.LBB20_185:                             ;   in Loop: Header=BB20_6 Depth=1
	s_orn2_b32 s89, s89, exec_lo
.LBB20_186:                             ;   in Loop: Header=BB20_6 Depth=1
	s_or_b32 exec_lo, exec_lo, s34
	s_mov_b32 s90, 0
	s_and_saveexec_b32 s34, s89
	s_cbranch_execz .LBB20_236
; %bb.187:                              ;   in Loop: Header=BB20_6 Depth=1
	v_mov_b32_e32 v4, 1
	v_mov_b32_e32 v1, 1
	s_xor_b32 s89, s88, -1
	s_mov_b32 s92, 0
	s_and_saveexec_b32 s88, s89
	s_cbranch_execz .LBB20_196
; %bb.188:                              ;   in Loop: Header=BB20_6 Depth=1
	s_mov_b32 s89, exec_lo
	v_cmpx_ge_u32_e64 s21, v6
	s_xor_b32 s89, exec_lo, s89
	s_cbranch_execz .LBB20_193
; %bb.189:                              ;   in Loop: Header=BB20_6 Depth=1
	ds_read_b32 v1, v19 offset:4096
	s_lshl_b32 s90, 2, s81
	v_or_b32_e32 v3, s18, v3
	v_and_or_b32 v2, v2, s19, s90
	s_waitcnt lgkmcnt(0)
	v_cmp_ne_u32_e32 vcc_lo, 0, v1
	s_cbranch_vccnz .LBB20_193
; %bb.190:                              ;   in Loop: Header=BB20_6 Depth=1
	s_and_saveexec_b32 s90, s3
; %bb.191:                              ;   in Loop: Header=BB20_6 Depth=1
	v_mov_b32_e32 v1, s21
	ds_write_b32 v19, v1 offset:4100
; %bb.192:                              ;   in Loop: Header=BB20_6 Depth=1
	s_or_b32 exec_lo, exec_lo, s90
	s_waitcnt lgkmcnt(0)
	s_barrier
	buffer_gl0_inv
.LBB20_193:                             ;   in Loop: Header=BB20_6 Depth=1
	s_or_saveexec_b32 s89, s89
	v_mov_b32_e32 v1, 8
	s_mov_b32 s90, 0
	s_xor_b32 exec_lo, exec_lo, s89
; %bb.194:                              ;   in Loop: Header=BB20_6 Depth=1
	v_subrev_nc_u32_e32 v6, s21, v6
	v_mov_b32_e32 v1, 0
	s_mov_b32 s90, exec_lo
; %bb.195:                              ;   in Loop: Header=BB20_6 Depth=1
	s_or_b32 exec_lo, exec_lo, s89
	v_mov_b32_e32 v4, v6
	s_and_b32 s92, s90, exec_lo
.LBB20_196:                             ;   in Loop: Header=BB20_6 Depth=1
	s_or_b32 exec_lo, exec_lo, s88
	s_mov_b32 s91, -1
                                        ; implicit-def: $sgpr90
                                        ; implicit-def: $sgpr89
	s_and_saveexec_b32 s88, s92
	s_cbranch_execz .LBB20_235
; %bb.197:                              ;   in Loop: Header=BB20_6 Depth=1
	v_cmp_eq_u32_e32 vcc_lo, 1, v4
	s_cmp_eq_u32 s22, 1
	s_mov_b32 s93, -1
	s_cselect_b32 s89, -1, 0
                                        ; implicit-def: $sgpr90
	s_and_b32 s91, s89, vcc_lo
                                        ; implicit-def: $sgpr89
	s_and_saveexec_b32 s92, s91
	s_cbranch_execz .LBB20_223
; %bb.198:                              ;   in Loop: Header=BB20_6 Depth=1
	ds_read_b32 v5, v19 offset:4096
	s_waitcnt lgkmcnt(0)
	s_barrier
	buffer_gl0_inv
	v_readfirstlane_b32 s94, v5
	s_and_saveexec_b32 s89, s15
; %bb.199:                              ;   in Loop: Header=BB20_6 Depth=1
	ds_write_b8 v0, v19 offset:3072
; %bb.200:                              ;   in Loop: Header=BB20_6 Depth=1
	s_or_b32 exec_lo, exec_lo, s89
	v_or_b32_e32 v2, s18, v2
	v_or_b32_e32 v3, s18, v3
	s_mov_b32 s89, -1
	s_mov_b32 s90, 0
	s_cmp_eq_u32 s94, 0
	s_mov_b32 s93, 0
	s_mov_b32 s95, -1
	s_waitcnt lgkmcnt(0)
	s_barrier
	buffer_gl0_inv
                                        ; implicit-def: $vgpr5
	s_cbranch_scc1 .LBB20_211
; %bb.201:                              ;   in Loop: Header=BB20_6 Depth=1
	s_add_i32 s93, s94, s65
                                        ; implicit-def: $vgpr5
	s_mul_hi_u32 s95, s93, s72
	s_mul_i32 s95, s95, s35
	s_sub_i32 s95, s93, s95
	s_sub_i32 s96, s95, s35
	s_cmp_ge_u32 s95, s35
	s_cselect_b32 s95, s96, s95
	s_sub_i32 s96, s95, s35
	s_cmp_ge_u32 s95, s35
	s_cselect_b32 s95, s96, s95
	s_mov_b32 s96, exec_lo
	s_sub_i32 s97, s93, s95
	s_mov_b32 s95, 0
	s_mov_b32 s93, 0
	v_cmpx_gt_u32_e64 s97, v0
	s_cbranch_execz .LBB20_210
; %bb.202:                              ;   in Loop: Header=BB20_6 Depth=1
	v_mov_b32_e32 v5, v0
                                        ; implicit-def: $sgpr98
	s_inst_prefetch 0x1
	s_branch .LBB20_205
	.p2align	6
.LBB20_203:                             ;   in Loop: Header=BB20_205 Depth=2
	s_or_b32 exec_lo, exec_lo, s99
	s_waitcnt lgkmcnt(0)
	s_barrier
	buffer_gl0_inv
	ds_read_u16 v6, v19 offset:3072
	s_mov_b32 s104, -1
	s_waitcnt lgkmcnt(0)
	s_barrier
	buffer_gl0_inv
	v_cmp_ne_u32_sdwa s99, v6, v19 src0_sel:BYTE_0 src1_sel:DWORD
	s_and_b32 vcc_lo, exec_lo, s99
	s_mov_b32 s99, -1
	s_cbranch_vccz .LBB20_208
.LBB20_204:                             ;   in Loop: Header=BB20_205 Depth=2
	s_and_b32 s104, exec_lo, s104
	s_or_b32 s93, s104, s93
	s_andn2_b32 s98, s98, exec_lo
	s_and_b32 s99, s99, exec_lo
	s_or_b32 s98, s98, s99
	s_andn2_b32 exec_lo, exec_lo, s93
	s_cbranch_execz .LBB20_209
.LBB20_205:                             ;   Parent Loop BB20_6 Depth=1
                                        ; =>  This Inner Loop Header: Depth=2
	s_mov_b32 s99, exec_lo
	v_cmpx_gt_u32_e64 s94, v5
	s_cbranch_execz .LBB20_203
; %bb.206:                              ;   in Loop: Header=BB20_205 Depth=2
	ds_read_u8 v6, v5
	s_waitcnt lgkmcnt(0)
	v_add_nc_u32_sdwa v7, sext(v6), v31 dst_sel:DWORD dst_unused:UNUSED_PAD src0_sel:BYTE_0 src1_sel:DWORD
	v_and_b32_e32 v7, v7, v3
	v_cmp_eq_u32_e32 vcc_lo, v7, v2
	s_and_b32 exec_lo, exec_lo, vcc_lo
	s_cbranch_execz .LBB20_203
; %bb.207:                              ;   in Loop: Header=BB20_205 Depth=2
	v_lshlrev_b16 v6, 8, v6
	v_or_b32_e32 v6, 1, v6
	ds_write_b16 v19, v6 offset:3072
	s_branch .LBB20_203
.LBB20_208:                             ;   in Loop: Header=BB20_205 Depth=2
	v_add_nc_u32_e32 v5, s35, v5
	s_mov_b32 s99, 0
	v_cmp_le_u32_e32 vcc_lo, s97, v5
	s_orn2_b32 s104, vcc_lo, exec_lo
	s_branch .LBB20_204
.LBB20_209:                             ;   in Loop: Header=BB20_6 Depth=1
	s_inst_prefetch 0x2
	s_or_b32 exec_lo, exec_lo, s93
	v_lshrrev_b32_sdwa v5, v32, v6 dst_sel:DWORD dst_unused:UNUSED_PAD src0_sel:DWORD src1_sel:WORD_0
	s_and_b32 s93, s98, exec_lo
.LBB20_210:                             ;   in Loop: Header=BB20_6 Depth=1
	s_or_b32 exec_lo, exec_lo, s96
.LBB20_211:                             ;   in Loop: Header=BB20_6 Depth=1
	s_and_b32 vcc_lo, exec_lo, s95
	s_cbranch_vccz .LBB20_222
; %bb.212:                              ;   in Loop: Header=BB20_6 Depth=1
                                        ; implicit-def: $vgpr5
	s_and_saveexec_b32 s89, s13
	s_cbranch_execz .LBB20_221
; %bb.213:                              ;   in Loop: Header=BB20_6 Depth=1
	v_mov_b32_e32 v5, v18
	v_mov_b32_e32 v6, v0
	s_mov_b32 s90, 0
                                        ; implicit-def: $sgpr94
	s_inst_prefetch 0x1
	s_branch .LBB20_216
	.p2align	6
.LBB20_214:                             ;   in Loop: Header=BB20_216 Depth=2
	s_or_b32 exec_lo, exec_lo, s95
	s_waitcnt lgkmcnt(0)
	s_barrier
	buffer_gl0_inv
	ds_read_u16 v7, v19 offset:3072
	s_mov_b32 s95, -1
	s_waitcnt lgkmcnt(0)
	s_barrier
	buffer_gl0_inv
	v_cmp_eq_u32_sdwa s96, v7, v19 src0_sel:BYTE_0 src1_sel:DWORD
	s_and_b32 vcc_lo, exec_lo, s96
	s_mov_b32 s96, -1
	s_cbranch_vccnz .LBB20_219
.LBB20_215:                             ;   in Loop: Header=BB20_216 Depth=2
	s_and_b32 s95, exec_lo, s95
	s_or_b32 s90, s95, s90
	s_andn2_b32 s94, s94, exec_lo
	s_and_b32 s95, s96, exec_lo
	s_or_b32 s94, s94, s95
	s_andn2_b32 exec_lo, exec_lo, s90
	s_cbranch_execz .LBB20_220
.LBB20_216:                             ;   Parent Loop BB20_6 Depth=1
                                        ; =>  This Inner Loop Header: Depth=2
	s_mov_b32 s95, exec_lo
	v_cmpx_gt_u32_e64 s36, v6
	s_cbranch_execz .LBB20_214
; %bb.217:                              ;   in Loop: Header=BB20_216 Depth=2
	global_load_ubyte v7, v5, s[40:41]
	s_waitcnt vmcnt(0)
	v_add_nc_u32_sdwa v8, sext(v7), v31 dst_sel:DWORD dst_unused:UNUSED_PAD src0_sel:BYTE_0 src1_sel:DWORD
	v_and_b32_e32 v8, v8, v3
	v_cmp_eq_u32_e32 vcc_lo, v8, v2
	s_and_b32 exec_lo, exec_lo, vcc_lo
	s_cbranch_execz .LBB20_214
; %bb.218:                              ;   in Loop: Header=BB20_216 Depth=2
	v_lshlrev_b16 v7, 8, v7
	v_or_b32_e32 v7, 1, v7
	ds_write_b16 v19, v7 offset:3072
	s_branch .LBB20_214
.LBB20_219:                             ;   in Loop: Header=BB20_216 Depth=2
	v_add_nc_u32_e32 v6, s35, v6
	v_add_nc_u32_e32 v5, s52, v5
	s_mov_b32 s96, 0
	v_cmp_le_u32_e32 vcc_lo, s74, v6
	s_orn2_b32 s95, vcc_lo, exec_lo
	s_branch .LBB20_215
.LBB20_220:                             ;   in Loop: Header=BB20_6 Depth=1
	s_inst_prefetch 0x2
	s_or_b32 exec_lo, exec_lo, s90
	v_lshrrev_b32_sdwa v5, v32, v7 dst_sel:DWORD dst_unused:UNUSED_PAD src0_sel:DWORD src1_sel:WORD_0
	s_andn2_b32 s90, s93, exec_lo
	s_and_b32 s93, s94, exec_lo
	s_or_b32 s93, s90, s93
.LBB20_221:                             ;   in Loop: Header=BB20_6 Depth=1
	s_or_b32 exec_lo, exec_lo, s89
	s_mov_b32 s89, 0
	s_mov_b32 s90, -1
.LBB20_222:                             ;   in Loop: Header=BB20_6 Depth=1
	s_orn2_b32 s93, s93, exec_lo
.LBB20_223:                             ;   in Loop: Header=BB20_6 Depth=1
	s_or_b32 exec_lo, exec_lo, s92
	s_mov_b32 s94, 0
	s_and_saveexec_b32 s92, s93
	s_cbranch_execz .LBB20_234
; %bb.224:                              ;   in Loop: Header=BB20_6 Depth=1
	v_mov_b32_e32 v1, 1
	v_mov_b32_e32 v6, 1
	s_xor_b32 s93, s91, -1
	s_and_saveexec_b32 s91, s93
	s_cbranch_execz .LBB20_233
; %bb.225:                              ;   in Loop: Header=BB20_6 Depth=1
	s_mov_b32 s93, exec_lo
	v_cmpx_ge_u32_e64 s22, v4
	s_xor_b32 s93, exec_lo, s93
	s_cbranch_execz .LBB20_230
; %bb.226:                              ;   in Loop: Header=BB20_6 Depth=1
	ds_read_b32 v1, v19 offset:4096
	v_or_b32_e32 v2, s18, v2
	v_or_b32_e32 v3, s18, v3
	s_waitcnt lgkmcnt(0)
	v_cmp_ne_u32_e32 vcc_lo, 0, v1
	s_cbranch_vccnz .LBB20_230
; %bb.227:                              ;   in Loop: Header=BB20_6 Depth=1
	s_and_saveexec_b32 s94, s3
; %bb.228:                              ;   in Loop: Header=BB20_6 Depth=1
	v_mov_b32_e32 v1, s22
	ds_write_b32 v19, v1 offset:4100
; %bb.229:                              ;   in Loop: Header=BB20_6 Depth=1
	s_or_b32 exec_lo, exec_lo, s94
	s_waitcnt lgkmcnt(0)
	s_barrier
	buffer_gl0_inv
.LBB20_230:                             ;   in Loop: Header=BB20_6 Depth=1
	s_andn2_saveexec_b32 s93, s93
; %bb.231:                              ;   in Loop: Header=BB20_6 Depth=1
	v_subrev_nc_u32_e32 v4, s22, v4
; %bb.232:                              ;   in Loop: Header=BB20_6 Depth=1
	s_or_b32 exec_lo, exec_lo, s93
	v_mov_b32_e32 v1, 8
	v_mov_b32_e32 v6, v4
.LBB20_233:                             ;   in Loop: Header=BB20_6 Depth=1
	s_or_b32 exec_lo, exec_lo, s91
	v_mov_b32_e32 v4, v6
	s_mov_b32 s94, exec_lo
.LBB20_234:                             ;   in Loop: Header=BB20_6 Depth=1
	s_or_b32 exec_lo, exec_lo, s92
	s_orn2_b32 s91, s94, exec_lo
.LBB20_235:                             ;   in Loop: Header=BB20_6 Depth=1
	s_or_b32 exec_lo, exec_lo, s88
	v_mov_b32_e32 v6, v4
	s_andn2_b32 s33, s33, exec_lo
	s_and_b32 s88, s90, exec_lo
	s_andn2_b32 s31, s31, exec_lo
	s_and_b32 s89, s89, exec_lo
	s_or_b32 s33, s33, s88
	s_or_b32 s31, s31, s89
	s_and_b32 s90, s91, exec_lo
.LBB20_236:                             ;   in Loop: Header=BB20_6 Depth=1
	s_or_b32 exec_lo, exec_lo, s34
	s_orn2_b32 s34, s90, exec_lo
.LBB20_237:                             ;   in Loop: Header=BB20_6 Depth=1
	s_or_b32 exec_lo, exec_lo, s30
	v_mov_b32_e32 v4, v6
	s_andn2_b32 s24, s24, exec_lo
	s_and_b32 s30, s33, exec_lo
	s_andn2_b32 s23, s23, exec_lo
	s_and_b32 s31, s31, exec_lo
	s_or_b32 s24, s24, s30
	s_or_b32 s23, s23, s31
	s_and_b32 s33, s34, exec_lo
.LBB20_238:                             ;   in Loop: Header=BB20_6 Depth=1
	s_or_b32 exec_lo, exec_lo, s29
	s_orn2_b32 s29, s33, exec_lo
.LBB20_239:                             ;   in Loop: Header=BB20_6 Depth=1
	s_or_b32 exec_lo, exec_lo, s6
	s_mov_b32 s6, 0
	s_mov_b32 s30, 0
	s_and_saveexec_b32 s31, s29
	s_xor_b32 s29, exec_lo, s31
; %bb.240:                              ;   in Loop: Header=BB20_6 Depth=1
	v_cmp_ne_u32_e32 vcc_lo, 8, v1
	v_cmp_eq_u32_e64 s6, 8, v1
	s_and_b32 s30, vcc_lo, exec_lo
	s_and_b32 s6, s6, exec_lo
; %bb.241:                              ;   in Loop: Header=BB20_6 Depth=1
	s_or_b32 exec_lo, exec_lo, s29
	s_andn2_b32 s26, s26, exec_lo
	s_and_b32 s24, s24, exec_lo
	s_andn2_b32 s25, s25, exec_lo
	s_and_b32 s23, s23, exec_lo
	s_or_b32 s26, s26, s24
	s_or_b32 s25, s25, s23
	s_and_b32 s23, s30, exec_lo
	s_and_b32 s24, s6, exec_lo
.LBB20_242:                             ;   in Loop: Header=BB20_6 Depth=1
	s_or_b32 exec_lo, exec_lo, s28
.LBB20_243:                             ;   in Loop: Header=BB20_6 Depth=1
	s_and_b32 vcc_lo, exec_lo, s27
	s_cbranch_vccz .LBB20_256
; %bb.244:                              ;   in Loop: Header=BB20_6 Depth=1
	s_cmp_eq_u32 s22, 1
	s_mov_b32 s26, -1
	s_cselect_b32 s6, -1, 0
                                        ; implicit-def: $sgpr16
	s_and_b32 s6, s6, s14
                                        ; implicit-def: $sgpr14
	s_and_saveexec_b32 s25, s6
	s_cbranch_execz .LBB20_271
; %bb.245:                              ;   in Loop: Header=BB20_6 Depth=1
	ds_read_b32 v1, v19 offset:4096
	s_waitcnt lgkmcnt(0)
	s_barrier
	buffer_gl0_inv
	v_readfirstlane_b32 s27, v1
	s_and_saveexec_b32 s14, s15
; %bb.246:                              ;   in Loop: Header=BB20_6 Depth=1
	ds_write_b8 v0, v19 offset:3072
; %bb.247:                              ;   in Loop: Header=BB20_6 Depth=1
	s_or_b32 exec_lo, exec_lo, s14
	v_or_b32_e32 v14, s18, v14
	v_or_b32_e32 v33, s18, v33
	s_mov_b32 s16, -1
	s_mov_b32 s14, 0
	s_cmp_eq_u32 s27, 0
	s_mov_b32 s26, 0
	s_mov_b32 s28, -1
	s_waitcnt lgkmcnt(0)
	s_barrier
	buffer_gl0_inv
                                        ; implicit-def: $vgpr34
	s_cbranch_scc1 .LBB20_259
; %bb.248:                              ;   in Loop: Header=BB20_6 Depth=1
	s_add_i32 s26, s27, s65
                                        ; implicit-def: $vgpr34
	s_mul_hi_u32 s28, s26, s72
	s_mul_i32 s28, s28, s35
	s_sub_i32 s28, s26, s28
	s_sub_i32 s29, s28, s35
	s_cmp_ge_u32 s28, s35
	s_cselect_b32 s28, s29, s28
	s_sub_i32 s29, s28, s35
	s_cmp_ge_u32 s28, s35
	s_cselect_b32 s28, s29, s28
	s_mov_b32 s29, exec_lo
	s_sub_i32 s30, s26, s28
	s_mov_b32 s28, 0
	s_mov_b32 s26, 0
	v_cmpx_gt_u32_e64 s30, v0
	s_cbranch_execz .LBB20_258
; %bb.249:                              ;   in Loop: Header=BB20_6 Depth=1
	v_mov_b32_e32 v1, v0
                                        ; implicit-def: $sgpr31
	s_inst_prefetch 0x1
	s_branch .LBB20_252
	.p2align	6
.LBB20_250:                             ;   in Loop: Header=BB20_252 Depth=2
	s_or_b32 exec_lo, exec_lo, s33
	s_waitcnt lgkmcnt(0)
	s_barrier
	buffer_gl0_inv
	ds_read_u16 v2, v19 offset:3072
	s_mov_b32 s34, -1
	s_waitcnt lgkmcnt(0)
	s_barrier
	buffer_gl0_inv
	v_cmp_ne_u32_sdwa s33, v2, v19 src0_sel:BYTE_0 src1_sel:DWORD
	s_and_b32 vcc_lo, exec_lo, s33
	s_mov_b32 s33, -1
	s_cbranch_vccz .LBB20_255
.LBB20_251:                             ;   in Loop: Header=BB20_252 Depth=2
	s_and_b32 s34, exec_lo, s34
	s_or_b32 s26, s34, s26
	s_andn2_b32 s31, s31, exec_lo
	s_and_b32 s33, s33, exec_lo
	s_or_b32 s31, s31, s33
	s_andn2_b32 exec_lo, exec_lo, s26
	s_cbranch_execz .LBB20_257
.LBB20_252:                             ;   Parent Loop BB20_6 Depth=1
                                        ; =>  This Inner Loop Header: Depth=2
	s_mov_b32 s33, exec_lo
	v_cmpx_gt_u32_e64 s27, v1
	s_cbranch_execz .LBB20_250
; %bb.253:                              ;   in Loop: Header=BB20_252 Depth=2
	ds_read_u8 v2, v1
	s_waitcnt lgkmcnt(0)
	v_add_nc_u32_sdwa v3, sext(v2), v31 dst_sel:DWORD dst_unused:UNUSED_PAD src0_sel:BYTE_0 src1_sel:DWORD
	v_and_b32_e32 v3, v3, v33
	v_cmp_eq_u32_e32 vcc_lo, v3, v14
	s_and_b32 exec_lo, exec_lo, vcc_lo
	s_cbranch_execz .LBB20_250
; %bb.254:                              ;   in Loop: Header=BB20_252 Depth=2
	v_lshlrev_b16 v2, 8, v2
	v_or_b32_e32 v2, 1, v2
	ds_write_b16 v19, v2 offset:3072
	s_branch .LBB20_250
.LBB20_255:                             ;   in Loop: Header=BB20_252 Depth=2
	v_add_nc_u32_e32 v1, s35, v1
	s_mov_b32 s33, 0
	v_cmp_le_u32_e32 vcc_lo, s30, v1
	s_orn2_b32 s34, vcc_lo, exec_lo
	s_branch .LBB20_251
.LBB20_256:                             ;   in Loop: Header=BB20_6 Depth=1
	v_mov_b32_e32 v14, v2
	v_mov_b32_e32 v33, v3
	;; [unrolled: 1-line block ×3, first 2 shown]
	s_mov_b32 s14, 0
	s_and_saveexec_b32 s6, s24
	s_cbranch_execnz .LBB20_402
	s_branch .LBB20_403
.LBB20_257:                             ;   in Loop: Header=BB20_6 Depth=1
	s_inst_prefetch 0x2
	s_or_b32 exec_lo, exec_lo, s26
	v_lshrrev_b32_sdwa v34, v32, v2 dst_sel:DWORD dst_unused:UNUSED_PAD src0_sel:DWORD src1_sel:WORD_0
	s_and_b32 s26, s31, exec_lo
.LBB20_258:                             ;   in Loop: Header=BB20_6 Depth=1
	s_or_b32 exec_lo, exec_lo, s29
.LBB20_259:                             ;   in Loop: Header=BB20_6 Depth=1
	s_and_b32 vcc_lo, exec_lo, s28
	s_cbranch_vccz .LBB20_270
; %bb.260:                              ;   in Loop: Header=BB20_6 Depth=1
                                        ; implicit-def: $vgpr34
	s_and_saveexec_b32 s14, s13
	s_cbranch_execz .LBB20_269
; %bb.261:                              ;   in Loop: Header=BB20_6 Depth=1
	v_mov_b32_e32 v1, v18
	v_mov_b32_e32 v2, v0
	s_mov_b32 s16, 0
                                        ; implicit-def: $sgpr27
	s_inst_prefetch 0x1
	s_branch .LBB20_264
	.p2align	6
.LBB20_262:                             ;   in Loop: Header=BB20_264 Depth=2
	s_or_b32 exec_lo, exec_lo, s28
	s_waitcnt lgkmcnt(0)
	s_barrier
	buffer_gl0_inv
	ds_read_u16 v3, v19 offset:3072
	s_mov_b32 s28, -1
	s_waitcnt lgkmcnt(0)
	s_barrier
	buffer_gl0_inv
	v_cmp_ne_u32_sdwa s29, v3, v19 src0_sel:BYTE_0 src1_sel:DWORD
	s_and_b32 vcc_lo, exec_lo, s29
	s_mov_b32 s29, -1
	s_cbranch_vccz .LBB20_267
.LBB20_263:                             ;   in Loop: Header=BB20_264 Depth=2
	s_and_b32 s28, exec_lo, s28
	s_or_b32 s16, s28, s16
	s_andn2_b32 s27, s27, exec_lo
	s_and_b32 s28, s29, exec_lo
	s_or_b32 s27, s27, s28
	s_andn2_b32 exec_lo, exec_lo, s16
	s_cbranch_execz .LBB20_268
.LBB20_264:                             ;   Parent Loop BB20_6 Depth=1
                                        ; =>  This Inner Loop Header: Depth=2
	s_mov_b32 s28, exec_lo
	v_cmpx_gt_u32_e64 s36, v2
	s_cbranch_execz .LBB20_262
; %bb.265:                              ;   in Loop: Header=BB20_264 Depth=2
	global_load_ubyte v3, v1, s[40:41]
	s_waitcnt vmcnt(0)
	v_add_nc_u32_sdwa v4, sext(v3), v31 dst_sel:DWORD dst_unused:UNUSED_PAD src0_sel:BYTE_0 src1_sel:DWORD
	v_and_b32_e32 v4, v4, v33
	v_cmp_eq_u32_e32 vcc_lo, v4, v14
	s_and_b32 exec_lo, exec_lo, vcc_lo
	s_cbranch_execz .LBB20_262
; %bb.266:                              ;   in Loop: Header=BB20_264 Depth=2
	v_lshlrev_b16 v3, 8, v3
	v_or_b32_e32 v3, 1, v3
	ds_write_b16 v19, v3 offset:3072
	s_branch .LBB20_262
.LBB20_267:                             ;   in Loop: Header=BB20_264 Depth=2
	v_add_nc_u32_e32 v2, s35, v2
	v_add_nc_u32_e32 v1, s52, v1
	s_mov_b32 s29, 0
	v_cmp_le_u32_e32 vcc_lo, s74, v2
	s_orn2_b32 s28, vcc_lo, exec_lo
	s_branch .LBB20_263
.LBB20_268:                             ;   in Loop: Header=BB20_6 Depth=1
	s_inst_prefetch 0x2
	s_or_b32 exec_lo, exec_lo, s16
	v_lshrrev_b32_sdwa v34, v32, v3 dst_sel:DWORD dst_unused:UNUSED_PAD src0_sel:DWORD src1_sel:WORD_0
	s_andn2_b32 s16, s26, exec_lo
	s_and_b32 s26, s27, exec_lo
	s_or_b32 s26, s16, s26
.LBB20_269:                             ;   in Loop: Header=BB20_6 Depth=1
	s_or_b32 exec_lo, exec_lo, s14
	s_mov_b32 s16, 0
	s_mov_b32 s14, -1
.LBB20_270:                             ;   in Loop: Header=BB20_6 Depth=1
	s_orn2_b32 s26, s26, exec_lo
.LBB20_271:                             ;   in Loop: Header=BB20_6 Depth=1
	s_or_b32 exec_lo, exec_lo, s25
                                        ; implicit-def: $vgpr4
                                        ; implicit-def: $vgpr1
	s_and_saveexec_b32 s25, s26
	s_cbranch_execz .LBB20_401
; %bb.272:                              ;   in Loop: Header=BB20_6 Depth=1
	v_mov_b32_e32 v4, 1
	v_mov_b32_e32 v1, 1
	s_xor_b32 s26, s6, -1
	s_mov_b32 s28, 0
	s_and_saveexec_b32 s6, s26
	s_cbranch_execz .LBB20_281
; %bb.273:                              ;   in Loop: Header=BB20_6 Depth=1
	s_mov_b32 s26, exec_lo
	v_cmpx_ge_u32_e64 s22, v35
	s_xor_b32 s26, exec_lo, s26
	s_cbranch_execz .LBB20_278
; %bb.274:                              ;   in Loop: Header=BB20_6 Depth=1
	ds_read_b32 v1, v19 offset:4096
	v_or_b32_e32 v14, s18, v14
	v_or_b32_e32 v33, s18, v33
	s_waitcnt lgkmcnt(0)
	v_cmp_ne_u32_e32 vcc_lo, 0, v1
	s_cbranch_vccnz .LBB20_278
; %bb.275:                              ;   in Loop: Header=BB20_6 Depth=1
	s_and_saveexec_b32 s27, s3
; %bb.276:                              ;   in Loop: Header=BB20_6 Depth=1
	v_mov_b32_e32 v1, s22
	ds_write_b32 v19, v1 offset:4100
; %bb.277:                              ;   in Loop: Header=BB20_6 Depth=1
	s_or_b32 exec_lo, exec_lo, s27
	s_waitcnt lgkmcnt(0)
	s_barrier
	buffer_gl0_inv
.LBB20_278:                             ;   in Loop: Header=BB20_6 Depth=1
	s_or_saveexec_b32 s26, s26
	v_mov_b32_e32 v1, 5
	s_mov_b32 s27, 0
	s_xor_b32 exec_lo, exec_lo, s26
; %bb.279:                              ;   in Loop: Header=BB20_6 Depth=1
	v_subrev_nc_u32_e32 v35, s22, v35
	v_mov_b32_e32 v1, 0
	s_mov_b32 s27, exec_lo
; %bb.280:                              ;   in Loop: Header=BB20_6 Depth=1
	s_or_b32 exec_lo, exec_lo, s26
	v_mov_b32_e32 v4, v35
	s_and_b32 s28, s27, exec_lo
.LBB20_281:                             ;   in Loop: Header=BB20_6 Depth=1
	s_or_b32 exec_lo, exec_lo, s6
	s_mov_b32 s27, -1
                                        ; implicit-def: $sgpr22
                                        ; implicit-def: $sgpr26
	s_and_saveexec_b32 s6, s28
	s_xor_b32 s6, exec_lo, s6
	s_cbranch_execz .LBB20_398
; %bb.282:                              ;   in Loop: Header=BB20_6 Depth=1
	v_cmp_eq_u32_e32 vcc_lo, 1, v4
	s_cmp_eq_u32 s21, 1
	s_mov_b32 s29, -1
	s_cselect_b32 s22, -1, 0
                                        ; implicit-def: $sgpr26
	s_and_b32 s28, s22, vcc_lo
                                        ; implicit-def: $sgpr22
	s_and_saveexec_b32 s27, s28
	s_cbranch_execz .LBB20_308
; %bb.283:                              ;   in Loop: Header=BB20_6 Depth=1
	ds_read_b32 v2, v19 offset:4096
	s_waitcnt lgkmcnt(0)
	s_barrier
	buffer_gl0_inv
	v_readfirstlane_b32 s30, v2
	s_and_saveexec_b32 s22, s15
; %bb.284:                              ;   in Loop: Header=BB20_6 Depth=1
	ds_write_b8 v0, v19 offset:3072
; %bb.285:                              ;   in Loop: Header=BB20_6 Depth=1
	s_or_b32 exec_lo, exec_lo, s22
	s_lshl_b32 s22, 2, s81
	v_or_b32_e32 v33, s18, v33
	v_and_or_b32 v14, v14, s19, s22
	s_mov_b32 s22, -1
	s_mov_b32 s26, 0
	s_cmp_eq_u32 s30, 0
	s_mov_b32 s29, 0
	s_mov_b32 s31, -1
	s_waitcnt lgkmcnt(0)
	s_barrier
	buffer_gl0_inv
                                        ; implicit-def: $vgpr34
	s_cbranch_scc1 .LBB20_296
; %bb.286:                              ;   in Loop: Header=BB20_6 Depth=1
	s_add_i32 s29, s30, s65
                                        ; implicit-def: $vgpr34
	s_mul_hi_u32 s31, s29, s72
	s_mul_i32 s31, s31, s35
	s_sub_i32 s31, s29, s31
	s_sub_i32 s33, s31, s35
	s_cmp_ge_u32 s31, s35
	s_cselect_b32 s31, s33, s31
	s_sub_i32 s33, s31, s35
	s_cmp_ge_u32 s31, s35
	s_cselect_b32 s31, s33, s31
	s_mov_b32 s33, exec_lo
	s_sub_i32 s34, s29, s31
	s_mov_b32 s31, 0
	s_mov_b32 s29, 0
	v_cmpx_gt_u32_e64 s34, v0
	s_cbranch_execz .LBB20_295
; %bb.287:                              ;   in Loop: Header=BB20_6 Depth=1
	v_mov_b32_e32 v2, v0
                                        ; implicit-def: $sgpr88
	s_inst_prefetch 0x1
	s_branch .LBB20_290
	.p2align	6
.LBB20_288:                             ;   in Loop: Header=BB20_290 Depth=2
	s_or_b32 exec_lo, exec_lo, s89
	s_waitcnt lgkmcnt(0)
	s_barrier
	buffer_gl0_inv
	ds_read_u16 v3, v19 offset:3072
	s_mov_b32 s90, -1
	s_waitcnt lgkmcnt(0)
	s_barrier
	buffer_gl0_inv
	v_cmp_ne_u32_sdwa s89, v3, v19 src0_sel:BYTE_0 src1_sel:DWORD
	s_and_b32 vcc_lo, exec_lo, s89
	s_mov_b32 s89, -1
	s_cbranch_vccz .LBB20_293
.LBB20_289:                             ;   in Loop: Header=BB20_290 Depth=2
	s_and_b32 s90, exec_lo, s90
	s_or_b32 s29, s90, s29
	s_andn2_b32 s88, s88, exec_lo
	s_and_b32 s89, s89, exec_lo
	s_or_b32 s88, s88, s89
	s_andn2_b32 exec_lo, exec_lo, s29
	s_cbranch_execz .LBB20_294
.LBB20_290:                             ;   Parent Loop BB20_6 Depth=1
                                        ; =>  This Inner Loop Header: Depth=2
	s_mov_b32 s89, exec_lo
	v_cmpx_gt_u32_e64 s30, v2
	s_cbranch_execz .LBB20_288
; %bb.291:                              ;   in Loop: Header=BB20_290 Depth=2
	ds_read_u8 v3, v2
	s_waitcnt lgkmcnt(0)
	v_add_nc_u32_sdwa v5, sext(v3), v31 dst_sel:DWORD dst_unused:UNUSED_PAD src0_sel:BYTE_0 src1_sel:DWORD
	v_and_b32_e32 v5, v5, v33
	v_cmp_eq_u32_e32 vcc_lo, v5, v14
	s_and_b32 exec_lo, exec_lo, vcc_lo
	s_cbranch_execz .LBB20_288
; %bb.292:                              ;   in Loop: Header=BB20_290 Depth=2
	v_lshlrev_b16 v3, 8, v3
	v_or_b32_e32 v3, 1, v3
	ds_write_b16 v19, v3 offset:3072
	s_branch .LBB20_288
.LBB20_293:                             ;   in Loop: Header=BB20_290 Depth=2
	v_add_nc_u32_e32 v2, s35, v2
	s_mov_b32 s89, 0
	v_cmp_le_u32_e32 vcc_lo, s34, v2
	s_orn2_b32 s90, vcc_lo, exec_lo
	s_branch .LBB20_289
.LBB20_294:                             ;   in Loop: Header=BB20_6 Depth=1
	s_inst_prefetch 0x2
	s_or_b32 exec_lo, exec_lo, s29
	v_lshrrev_b32_sdwa v34, v32, v3 dst_sel:DWORD dst_unused:UNUSED_PAD src0_sel:DWORD src1_sel:WORD_0
	s_and_b32 s29, s88, exec_lo
.LBB20_295:                             ;   in Loop: Header=BB20_6 Depth=1
	s_or_b32 exec_lo, exec_lo, s33
.LBB20_296:                             ;   in Loop: Header=BB20_6 Depth=1
	s_and_b32 vcc_lo, exec_lo, s31
	s_cbranch_vccz .LBB20_307
; %bb.297:                              ;   in Loop: Header=BB20_6 Depth=1
                                        ; implicit-def: $vgpr34
	s_and_saveexec_b32 s22, s13
	s_cbranch_execz .LBB20_306
; %bb.298:                              ;   in Loop: Header=BB20_6 Depth=1
	v_mov_b32_e32 v2, v18
	v_mov_b32_e32 v3, v0
	s_mov_b32 s26, 0
                                        ; implicit-def: $sgpr30
	s_inst_prefetch 0x1
	s_branch .LBB20_301
	.p2align	6
.LBB20_299:                             ;   in Loop: Header=BB20_301 Depth=2
	s_or_b32 exec_lo, exec_lo, s31
	s_waitcnt lgkmcnt(0)
	s_barrier
	buffer_gl0_inv
	ds_read_u16 v5, v19 offset:3072
	s_mov_b32 s31, -1
	s_waitcnt lgkmcnt(0)
	s_barrier
	buffer_gl0_inv
	v_cmp_eq_u32_sdwa s33, v5, v19 src0_sel:BYTE_0 src1_sel:DWORD
	s_and_b32 vcc_lo, exec_lo, s33
	s_mov_b32 s33, -1
	s_cbranch_vccnz .LBB20_304
.LBB20_300:                             ;   in Loop: Header=BB20_301 Depth=2
	s_and_b32 s31, exec_lo, s31
	s_or_b32 s26, s31, s26
	s_andn2_b32 s30, s30, exec_lo
	s_and_b32 s31, s33, exec_lo
	s_or_b32 s30, s30, s31
	s_andn2_b32 exec_lo, exec_lo, s26
	s_cbranch_execz .LBB20_305
.LBB20_301:                             ;   Parent Loop BB20_6 Depth=1
                                        ; =>  This Inner Loop Header: Depth=2
	s_mov_b32 s31, exec_lo
	v_cmpx_gt_u32_e64 s36, v3
	s_cbranch_execz .LBB20_299
; %bb.302:                              ;   in Loop: Header=BB20_301 Depth=2
	global_load_ubyte v5, v2, s[40:41]
	s_waitcnt vmcnt(0)
	v_add_nc_u32_sdwa v6, sext(v5), v31 dst_sel:DWORD dst_unused:UNUSED_PAD src0_sel:BYTE_0 src1_sel:DWORD
	v_and_b32_e32 v6, v6, v33
	v_cmp_eq_u32_e32 vcc_lo, v6, v14
	s_and_b32 exec_lo, exec_lo, vcc_lo
	s_cbranch_execz .LBB20_299
; %bb.303:                              ;   in Loop: Header=BB20_301 Depth=2
	v_lshlrev_b16 v5, 8, v5
	v_or_b32_e32 v5, 1, v5
	ds_write_b16 v19, v5 offset:3072
	s_branch .LBB20_299
.LBB20_304:                             ;   in Loop: Header=BB20_301 Depth=2
	v_add_nc_u32_e32 v3, s35, v3
	v_add_nc_u32_e32 v2, s52, v2
	s_mov_b32 s33, 0
	v_cmp_le_u32_e32 vcc_lo, s74, v3
	s_orn2_b32 s31, vcc_lo, exec_lo
	s_branch .LBB20_300
.LBB20_305:                             ;   in Loop: Header=BB20_6 Depth=1
	s_inst_prefetch 0x2
	s_or_b32 exec_lo, exec_lo, s26
	v_lshrrev_b32_sdwa v34, v32, v5 dst_sel:DWORD dst_unused:UNUSED_PAD src0_sel:DWORD src1_sel:WORD_0
	s_andn2_b32 s26, s29, exec_lo
	s_and_b32 s29, s30, exec_lo
	s_or_b32 s29, s26, s29
.LBB20_306:                             ;   in Loop: Header=BB20_6 Depth=1
	s_or_b32 exec_lo, exec_lo, s22
	s_mov_b32 s22, 0
	s_mov_b32 s26, -1
.LBB20_307:                             ;   in Loop: Header=BB20_6 Depth=1
	s_orn2_b32 s29, s29, exec_lo
.LBB20_308:                             ;   in Loop: Header=BB20_6 Depth=1
	s_or_b32 exec_lo, exec_lo, s27
	s_mov_b32 s30, 0
	s_and_saveexec_b32 s27, s29
	s_cbranch_execz .LBB20_397
; %bb.309:                              ;   in Loop: Header=BB20_6 Depth=1
	v_mov_b32_e32 v2, 1
	v_mov_b32_e32 v1, 1
	s_xor_b32 s29, s28, -1
	s_mov_b32 s31, 0
	s_and_saveexec_b32 s28, s29
	s_cbranch_execz .LBB20_318
; %bb.310:                              ;   in Loop: Header=BB20_6 Depth=1
	s_mov_b32 s29, exec_lo
	v_cmpx_ge_u32_e64 s21, v4
	s_xor_b32 s29, exec_lo, s29
	s_cbranch_execz .LBB20_315
; %bb.311:                              ;   in Loop: Header=BB20_6 Depth=1
	ds_read_b32 v1, v19 offset:4096
	s_lshl_b32 s30, 2, s81
	v_or_b32_e32 v33, s18, v33
	v_and_or_b32 v14, v14, s19, s30
	s_waitcnt lgkmcnt(0)
	v_cmp_ne_u32_e32 vcc_lo, 0, v1
	s_cbranch_vccnz .LBB20_315
; %bb.312:                              ;   in Loop: Header=BB20_6 Depth=1
	s_and_saveexec_b32 s30, s3
; %bb.313:                              ;   in Loop: Header=BB20_6 Depth=1
	v_mov_b32_e32 v1, s21
	ds_write_b32 v19, v1 offset:4100
; %bb.314:                              ;   in Loop: Header=BB20_6 Depth=1
	s_or_b32 exec_lo, exec_lo, s30
	s_waitcnt lgkmcnt(0)
	s_barrier
	buffer_gl0_inv
.LBB20_315:                             ;   in Loop: Header=BB20_6 Depth=1
	s_or_saveexec_b32 s29, s29
	v_mov_b32_e32 v1, 5
	s_mov_b32 s30, 0
	s_xor_b32 exec_lo, exec_lo, s29
; %bb.316:                              ;   in Loop: Header=BB20_6 Depth=1
	v_subrev_nc_u32_e32 v4, s21, v4
	v_mov_b32_e32 v1, 0
	s_mov_b32 s30, exec_lo
; %bb.317:                              ;   in Loop: Header=BB20_6 Depth=1
	s_or_b32 exec_lo, exec_lo, s29
	v_mov_b32_e32 v2, v4
	s_and_b32 s31, s30, exec_lo
.LBB20_318:                             ;   in Loop: Header=BB20_6 Depth=1
	s_or_b32 exec_lo, exec_lo, s28
	s_mov_b32 s30, -1
                                        ; implicit-def: $sgpr28
                                        ; implicit-def: $sgpr29
	s_and_saveexec_b32 s21, s31
	s_cbranch_execz .LBB20_396
; %bb.319:                              ;   in Loop: Header=BB20_6 Depth=1
	v_cmp_eq_u32_e32 vcc_lo, 1, v2
	s_cmp_eq_u32 s20, 1
	s_mov_b32 s33, -1
	s_cselect_b32 s28, -1, 0
                                        ; implicit-def: $sgpr29
	s_and_b32 s31, s28, vcc_lo
                                        ; implicit-def: $sgpr28
	s_and_saveexec_b32 s30, s31
	s_cbranch_execz .LBB20_345
; %bb.320:                              ;   in Loop: Header=BB20_6 Depth=1
	ds_read_b32 v3, v19 offset:4096
	s_waitcnt lgkmcnt(0)
	s_barrier
	buffer_gl0_inv
	v_readfirstlane_b32 s34, v3
	s_and_saveexec_b32 s28, s15
; %bb.321:                              ;   in Loop: Header=BB20_6 Depth=1
	ds_write_b8 v0, v19 offset:3072
; %bb.322:                              ;   in Loop: Header=BB20_6 Depth=1
	s_or_b32 exec_lo, exec_lo, s28
	s_lshl_b32 s28, 1, s81
	v_or_b32_e32 v33, s18, v33
	v_and_or_b32 v14, v14, s19, s28
	s_mov_b32 s28, -1
	s_mov_b32 s29, 0
	s_cmp_eq_u32 s34, 0
	s_mov_b32 s33, 0
	s_mov_b32 s88, -1
	s_waitcnt lgkmcnt(0)
	s_barrier
	buffer_gl0_inv
                                        ; implicit-def: $vgpr34
	s_cbranch_scc1 .LBB20_333
; %bb.323:                              ;   in Loop: Header=BB20_6 Depth=1
	s_add_i32 s33, s34, s65
                                        ; implicit-def: $vgpr34
	s_mul_hi_u32 s88, s33, s72
	s_mul_i32 s88, s88, s35
	s_sub_i32 s88, s33, s88
	s_sub_i32 s89, s88, s35
	s_cmp_ge_u32 s88, s35
	s_cselect_b32 s88, s89, s88
	s_sub_i32 s89, s88, s35
	s_cmp_ge_u32 s88, s35
	s_cselect_b32 s88, s89, s88
	s_mov_b32 s89, exec_lo
	s_sub_i32 s90, s33, s88
	s_mov_b32 s88, 0
	s_mov_b32 s33, 0
	v_cmpx_gt_u32_e64 s90, v0
	s_cbranch_execz .LBB20_332
; %bb.324:                              ;   in Loop: Header=BB20_6 Depth=1
	v_mov_b32_e32 v3, v0
                                        ; implicit-def: $sgpr91
	s_inst_prefetch 0x1
	s_branch .LBB20_327
	.p2align	6
.LBB20_325:                             ;   in Loop: Header=BB20_327 Depth=2
	s_or_b32 exec_lo, exec_lo, s92
	s_waitcnt lgkmcnt(0)
	s_barrier
	buffer_gl0_inv
	ds_read_u16 v4, v19 offset:3072
	s_mov_b32 s93, -1
	s_waitcnt lgkmcnt(0)
	s_barrier
	buffer_gl0_inv
	v_cmp_ne_u32_sdwa s92, v4, v19 src0_sel:BYTE_0 src1_sel:DWORD
	s_and_b32 vcc_lo, exec_lo, s92
	s_mov_b32 s92, -1
	s_cbranch_vccz .LBB20_330
.LBB20_326:                             ;   in Loop: Header=BB20_327 Depth=2
	s_and_b32 s93, exec_lo, s93
	s_or_b32 s33, s93, s33
	s_andn2_b32 s91, s91, exec_lo
	s_and_b32 s92, s92, exec_lo
	s_or_b32 s91, s91, s92
	s_andn2_b32 exec_lo, exec_lo, s33
	s_cbranch_execz .LBB20_331
.LBB20_327:                             ;   Parent Loop BB20_6 Depth=1
                                        ; =>  This Inner Loop Header: Depth=2
	s_mov_b32 s92, exec_lo
	v_cmpx_gt_u32_e64 s34, v3
	s_cbranch_execz .LBB20_325
; %bb.328:                              ;   in Loop: Header=BB20_327 Depth=2
	ds_read_u8 v4, v3
	s_waitcnt lgkmcnt(0)
	v_add_nc_u32_sdwa v5, sext(v4), v31 dst_sel:DWORD dst_unused:UNUSED_PAD src0_sel:BYTE_0 src1_sel:DWORD
	v_and_b32_e32 v5, v5, v33
	v_cmp_eq_u32_e32 vcc_lo, v5, v14
	s_and_b32 exec_lo, exec_lo, vcc_lo
	s_cbranch_execz .LBB20_325
; %bb.329:                              ;   in Loop: Header=BB20_327 Depth=2
	v_lshlrev_b16 v4, 8, v4
	v_or_b32_e32 v4, 1, v4
	ds_write_b16 v19, v4 offset:3072
	s_branch .LBB20_325
.LBB20_330:                             ;   in Loop: Header=BB20_327 Depth=2
	v_add_nc_u32_e32 v3, s35, v3
	s_mov_b32 s92, 0
	v_cmp_le_u32_e32 vcc_lo, s90, v3
	s_orn2_b32 s93, vcc_lo, exec_lo
	s_branch .LBB20_326
.LBB20_331:                             ;   in Loop: Header=BB20_6 Depth=1
	s_inst_prefetch 0x2
	s_or_b32 exec_lo, exec_lo, s33
	v_lshrrev_b32_sdwa v34, v32, v4 dst_sel:DWORD dst_unused:UNUSED_PAD src0_sel:DWORD src1_sel:WORD_0
	s_and_b32 s33, s91, exec_lo
.LBB20_332:                             ;   in Loop: Header=BB20_6 Depth=1
	s_or_b32 exec_lo, exec_lo, s89
.LBB20_333:                             ;   in Loop: Header=BB20_6 Depth=1
	s_and_b32 vcc_lo, exec_lo, s88
	s_cbranch_vccz .LBB20_344
; %bb.334:                              ;   in Loop: Header=BB20_6 Depth=1
                                        ; implicit-def: $vgpr34
	s_and_saveexec_b32 s28, s13
	s_cbranch_execz .LBB20_343
; %bb.335:                              ;   in Loop: Header=BB20_6 Depth=1
	v_mov_b32_e32 v3, v18
	v_mov_b32_e32 v4, v0
	s_mov_b32 s29, 0
                                        ; implicit-def: $sgpr34
	s_inst_prefetch 0x1
	s_branch .LBB20_338
	.p2align	6
.LBB20_336:                             ;   in Loop: Header=BB20_338 Depth=2
	s_or_b32 exec_lo, exec_lo, s88
	s_waitcnt lgkmcnt(0)
	s_barrier
	buffer_gl0_inv
	ds_read_u16 v5, v19 offset:3072
	s_mov_b32 s88, -1
	s_waitcnt lgkmcnt(0)
	s_barrier
	buffer_gl0_inv
	v_cmp_eq_u32_sdwa s89, v5, v19 src0_sel:BYTE_0 src1_sel:DWORD
	s_and_b32 vcc_lo, exec_lo, s89
	s_mov_b32 s89, -1
	s_cbranch_vccnz .LBB20_341
.LBB20_337:                             ;   in Loop: Header=BB20_338 Depth=2
	s_and_b32 s88, exec_lo, s88
	s_or_b32 s29, s88, s29
	s_andn2_b32 s34, s34, exec_lo
	s_and_b32 s88, s89, exec_lo
	s_or_b32 s34, s34, s88
	s_andn2_b32 exec_lo, exec_lo, s29
	s_cbranch_execz .LBB20_342
.LBB20_338:                             ;   Parent Loop BB20_6 Depth=1
                                        ; =>  This Inner Loop Header: Depth=2
	s_mov_b32 s88, exec_lo
	v_cmpx_gt_u32_e64 s36, v4
	s_cbranch_execz .LBB20_336
; %bb.339:                              ;   in Loop: Header=BB20_338 Depth=2
	global_load_ubyte v5, v3, s[40:41]
	s_waitcnt vmcnt(0)
	v_add_nc_u32_sdwa v6, sext(v5), v31 dst_sel:DWORD dst_unused:UNUSED_PAD src0_sel:BYTE_0 src1_sel:DWORD
	v_and_b32_e32 v6, v6, v33
	v_cmp_eq_u32_e32 vcc_lo, v6, v14
	s_and_b32 exec_lo, exec_lo, vcc_lo
	s_cbranch_execz .LBB20_336
; %bb.340:                              ;   in Loop: Header=BB20_338 Depth=2
	v_lshlrev_b16 v5, 8, v5
	v_or_b32_e32 v5, 1, v5
	ds_write_b16 v19, v5 offset:3072
	s_branch .LBB20_336
.LBB20_341:                             ;   in Loop: Header=BB20_338 Depth=2
	v_add_nc_u32_e32 v4, s35, v4
	v_add_nc_u32_e32 v3, s52, v3
	s_mov_b32 s89, 0
	v_cmp_le_u32_e32 vcc_lo, s74, v4
	s_orn2_b32 s88, vcc_lo, exec_lo
	s_branch .LBB20_337
.LBB20_342:                             ;   in Loop: Header=BB20_6 Depth=1
	s_inst_prefetch 0x2
	s_or_b32 exec_lo, exec_lo, s29
	v_lshrrev_b32_sdwa v34, v32, v5 dst_sel:DWORD dst_unused:UNUSED_PAD src0_sel:DWORD src1_sel:WORD_0
	s_andn2_b32 s29, s33, exec_lo
	s_and_b32 s33, s34, exec_lo
	s_or_b32 s33, s29, s33
.LBB20_343:                             ;   in Loop: Header=BB20_6 Depth=1
	s_or_b32 exec_lo, exec_lo, s28
	s_mov_b32 s28, 0
	s_mov_b32 s29, -1
.LBB20_344:                             ;   in Loop: Header=BB20_6 Depth=1
	s_orn2_b32 s33, s33, exec_lo
.LBB20_345:                             ;   in Loop: Header=BB20_6 Depth=1
	s_or_b32 exec_lo, exec_lo, s30
	s_mov_b32 s34, 0
	s_and_saveexec_b32 s30, s33
	s_cbranch_execz .LBB20_395
; %bb.346:                              ;   in Loop: Header=BB20_6 Depth=1
	v_mov_b32_e32 v3, 1
	v_mov_b32_e32 v1, 1
	s_xor_b32 s33, s31, -1
	s_mov_b32 s88, 0
	s_and_saveexec_b32 s31, s33
	s_cbranch_execz .LBB20_355
; %bb.347:                              ;   in Loop: Header=BB20_6 Depth=1
	s_mov_b32 s33, exec_lo
	v_cmpx_ge_u32_e64 s20, v2
	s_xor_b32 s33, exec_lo, s33
	s_cbranch_execz .LBB20_352
; %bb.348:                              ;   in Loop: Header=BB20_6 Depth=1
	ds_read_b32 v1, v19 offset:4096
	s_lshl_b32 s34, 1, s81
	v_or_b32_e32 v33, s18, v33
	v_and_or_b32 v14, v14, s19, s34
	s_waitcnt lgkmcnt(0)
	v_cmp_ne_u32_e32 vcc_lo, 0, v1
	s_cbranch_vccnz .LBB20_352
; %bb.349:                              ;   in Loop: Header=BB20_6 Depth=1
	s_and_saveexec_b32 s34, s3
; %bb.350:                              ;   in Loop: Header=BB20_6 Depth=1
	v_mov_b32_e32 v1, s20
	ds_write_b32 v19, v1 offset:4100
; %bb.351:                              ;   in Loop: Header=BB20_6 Depth=1
	s_or_b32 exec_lo, exec_lo, s34
	s_waitcnt lgkmcnt(0)
	s_barrier
	buffer_gl0_inv
.LBB20_352:                             ;   in Loop: Header=BB20_6 Depth=1
	s_or_saveexec_b32 s33, s33
	v_mov_b32_e32 v1, 5
	s_mov_b32 s34, 0
	s_xor_b32 exec_lo, exec_lo, s33
; %bb.353:                              ;   in Loop: Header=BB20_6 Depth=1
	v_subrev_nc_u32_e32 v2, s20, v2
	v_mov_b32_e32 v1, 0
	s_mov_b32 s34, exec_lo
; %bb.354:                              ;   in Loop: Header=BB20_6 Depth=1
	s_or_b32 exec_lo, exec_lo, s33
	v_mov_b32_e32 v3, v2
	s_and_b32 s88, s34, exec_lo
.LBB20_355:                             ;   in Loop: Header=BB20_6 Depth=1
	s_or_b32 exec_lo, exec_lo, s31
	s_mov_b32 s34, -1
                                        ; implicit-def: $sgpr33
                                        ; implicit-def: $sgpr31
	s_and_saveexec_b32 s20, s88
	s_cbranch_execz .LBB20_394
; %bb.356:                              ;   in Loop: Header=BB20_6 Depth=1
	v_cmp_eq_u32_e32 vcc_lo, 1, v3
	s_cmp_eq_u32 s17, 1
	s_mov_b32 s89, -1
	s_cselect_b32 s31, -1, 0
                                        ; implicit-def: $sgpr33
	s_and_b32 s34, s31, vcc_lo
                                        ; implicit-def: $sgpr31
	s_and_saveexec_b32 s88, s34
	s_cbranch_execz .LBB20_382
; %bb.357:                              ;   in Loop: Header=BB20_6 Depth=1
	ds_read_b32 v2, v19 offset:4096
	s_waitcnt lgkmcnt(0)
	s_barrier
	buffer_gl0_inv
	v_readfirstlane_b32 s90, v2
	s_and_saveexec_b32 s31, s15
; %bb.358:                              ;   in Loop: Header=BB20_6 Depth=1
	ds_write_b8 v0, v19 offset:3072
; %bb.359:                              ;   in Loop: Header=BB20_6 Depth=1
	s_or_b32 exec_lo, exec_lo, s31
	v_and_b32_e32 v14, s19, v14
	v_or_b32_e32 v33, s18, v33
	s_mov_b32 s31, -1
	s_mov_b32 s33, 0
	s_cmp_eq_u32 s90, 0
	s_mov_b32 s89, 0
	s_mov_b32 s91, -1
	s_waitcnt lgkmcnt(0)
	s_barrier
	buffer_gl0_inv
                                        ; implicit-def: $vgpr34
	s_cbranch_scc1 .LBB20_370
; %bb.360:                              ;   in Loop: Header=BB20_6 Depth=1
	s_add_i32 s89, s90, s65
                                        ; implicit-def: $vgpr34
	s_mul_hi_u32 s91, s89, s72
	s_mul_i32 s91, s91, s35
	s_sub_i32 s91, s89, s91
	s_sub_i32 s92, s91, s35
	s_cmp_ge_u32 s91, s35
	s_cselect_b32 s91, s92, s91
	s_sub_i32 s92, s91, s35
	s_cmp_ge_u32 s91, s35
	s_cselect_b32 s91, s92, s91
	s_mov_b32 s92, exec_lo
	s_sub_i32 s93, s89, s91
	s_mov_b32 s91, 0
	s_mov_b32 s89, 0
	v_cmpx_gt_u32_e64 s93, v0
	s_cbranch_execz .LBB20_369
; %bb.361:                              ;   in Loop: Header=BB20_6 Depth=1
	v_mov_b32_e32 v2, v0
                                        ; implicit-def: $sgpr94
	s_inst_prefetch 0x1
	s_branch .LBB20_364
	.p2align	6
.LBB20_362:                             ;   in Loop: Header=BB20_364 Depth=2
	s_or_b32 exec_lo, exec_lo, s95
	s_waitcnt lgkmcnt(0)
	s_barrier
	buffer_gl0_inv
	ds_read_u16 v4, v19 offset:3072
	s_mov_b32 s96, -1
	s_waitcnt lgkmcnt(0)
	s_barrier
	buffer_gl0_inv
	v_cmp_ne_u32_sdwa s95, v4, v19 src0_sel:BYTE_0 src1_sel:DWORD
	s_and_b32 vcc_lo, exec_lo, s95
	s_mov_b32 s95, -1
	s_cbranch_vccz .LBB20_367
.LBB20_363:                             ;   in Loop: Header=BB20_364 Depth=2
	s_and_b32 s96, exec_lo, s96
	s_or_b32 s89, s96, s89
	s_andn2_b32 s94, s94, exec_lo
	s_and_b32 s95, s95, exec_lo
	s_or_b32 s94, s94, s95
	s_andn2_b32 exec_lo, exec_lo, s89
	s_cbranch_execz .LBB20_368
.LBB20_364:                             ;   Parent Loop BB20_6 Depth=1
                                        ; =>  This Inner Loop Header: Depth=2
	s_mov_b32 s95, exec_lo
	v_cmpx_gt_u32_e64 s90, v2
	s_cbranch_execz .LBB20_362
; %bb.365:                              ;   in Loop: Header=BB20_364 Depth=2
	ds_read_u8 v4, v2
	s_waitcnt lgkmcnt(0)
	v_add_nc_u32_sdwa v5, sext(v4), v31 dst_sel:DWORD dst_unused:UNUSED_PAD src0_sel:BYTE_0 src1_sel:DWORD
	v_and_b32_e32 v5, v5, v33
	v_cmp_eq_u32_e32 vcc_lo, v5, v14
	s_and_b32 exec_lo, exec_lo, vcc_lo
	s_cbranch_execz .LBB20_362
; %bb.366:                              ;   in Loop: Header=BB20_364 Depth=2
	v_lshlrev_b16 v4, 8, v4
	v_or_b32_e32 v4, 1, v4
	ds_write_b16 v19, v4 offset:3072
	s_branch .LBB20_362
.LBB20_367:                             ;   in Loop: Header=BB20_364 Depth=2
	v_add_nc_u32_e32 v2, s35, v2
	s_mov_b32 s95, 0
	v_cmp_le_u32_e32 vcc_lo, s93, v2
	s_orn2_b32 s96, vcc_lo, exec_lo
	s_branch .LBB20_363
.LBB20_368:                             ;   in Loop: Header=BB20_6 Depth=1
	s_inst_prefetch 0x2
	s_or_b32 exec_lo, exec_lo, s89
	v_lshrrev_b32_sdwa v34, v32, v4 dst_sel:DWORD dst_unused:UNUSED_PAD src0_sel:DWORD src1_sel:WORD_0
	s_and_b32 s89, s94, exec_lo
.LBB20_369:                             ;   in Loop: Header=BB20_6 Depth=1
	s_or_b32 exec_lo, exec_lo, s92
.LBB20_370:                             ;   in Loop: Header=BB20_6 Depth=1
	s_and_b32 vcc_lo, exec_lo, s91
	s_cbranch_vccz .LBB20_381
; %bb.371:                              ;   in Loop: Header=BB20_6 Depth=1
                                        ; implicit-def: $vgpr34
	s_and_saveexec_b32 s31, s13
	s_cbranch_execz .LBB20_380
; %bb.372:                              ;   in Loop: Header=BB20_6 Depth=1
	v_mov_b32_e32 v2, v18
	v_mov_b32_e32 v4, v0
	s_mov_b32 s33, 0
                                        ; implicit-def: $sgpr90
	s_inst_prefetch 0x1
	s_branch .LBB20_375
	.p2align	6
.LBB20_373:                             ;   in Loop: Header=BB20_375 Depth=2
	s_or_b32 exec_lo, exec_lo, s91
	s_waitcnt lgkmcnt(0)
	s_barrier
	buffer_gl0_inv
	ds_read_u16 v5, v19 offset:3072
	s_mov_b32 s91, -1
	s_waitcnt lgkmcnt(0)
	s_barrier
	buffer_gl0_inv
	v_cmp_eq_u32_sdwa s92, v5, v19 src0_sel:BYTE_0 src1_sel:DWORD
	s_and_b32 vcc_lo, exec_lo, s92
	s_mov_b32 s92, -1
	s_cbranch_vccnz .LBB20_378
.LBB20_374:                             ;   in Loop: Header=BB20_375 Depth=2
	s_and_b32 s91, exec_lo, s91
	s_or_b32 s33, s91, s33
	s_andn2_b32 s90, s90, exec_lo
	s_and_b32 s91, s92, exec_lo
	s_or_b32 s90, s90, s91
	s_andn2_b32 exec_lo, exec_lo, s33
	s_cbranch_execz .LBB20_379
.LBB20_375:                             ;   Parent Loop BB20_6 Depth=1
                                        ; =>  This Inner Loop Header: Depth=2
	s_mov_b32 s91, exec_lo
	v_cmpx_gt_u32_e64 s36, v4
	s_cbranch_execz .LBB20_373
; %bb.376:                              ;   in Loop: Header=BB20_375 Depth=2
	global_load_ubyte v5, v2, s[40:41]
	s_waitcnt vmcnt(0)
	v_add_nc_u32_sdwa v6, sext(v5), v31 dst_sel:DWORD dst_unused:UNUSED_PAD src0_sel:BYTE_0 src1_sel:DWORD
	v_and_b32_e32 v6, v6, v33
	v_cmp_eq_u32_e32 vcc_lo, v6, v14
	s_and_b32 exec_lo, exec_lo, vcc_lo
	s_cbranch_execz .LBB20_373
; %bb.377:                              ;   in Loop: Header=BB20_375 Depth=2
	v_lshlrev_b16 v5, 8, v5
	v_or_b32_e32 v5, 1, v5
	ds_write_b16 v19, v5 offset:3072
	s_branch .LBB20_373
.LBB20_378:                             ;   in Loop: Header=BB20_375 Depth=2
	v_add_nc_u32_e32 v4, s35, v4
	v_add_nc_u32_e32 v2, s52, v2
	s_mov_b32 s92, 0
	v_cmp_le_u32_e32 vcc_lo, s74, v4
	s_orn2_b32 s91, vcc_lo, exec_lo
	s_branch .LBB20_374
.LBB20_379:                             ;   in Loop: Header=BB20_6 Depth=1
	s_inst_prefetch 0x2
	s_or_b32 exec_lo, exec_lo, s33
	v_lshrrev_b32_sdwa v34, v32, v5 dst_sel:DWORD dst_unused:UNUSED_PAD src0_sel:DWORD src1_sel:WORD_0
	s_andn2_b32 s33, s89, exec_lo
	s_and_b32 s89, s90, exec_lo
	s_or_b32 s89, s33, s89
.LBB20_380:                             ;   in Loop: Header=BB20_6 Depth=1
	s_or_b32 exec_lo, exec_lo, s31
	s_mov_b32 s31, 0
	s_mov_b32 s33, -1
.LBB20_381:                             ;   in Loop: Header=BB20_6 Depth=1
	s_orn2_b32 s89, s89, exec_lo
.LBB20_382:                             ;   in Loop: Header=BB20_6 Depth=1
	s_or_b32 exec_lo, exec_lo, s88
	s_mov_b32 s90, 0
	s_and_saveexec_b32 s88, s89
	s_cbranch_execz .LBB20_393
; %bb.383:                              ;   in Loop: Header=BB20_6 Depth=1
	v_mov_b32_e32 v1, 1
	v_mov_b32_e32 v2, 1
	s_xor_b32 s89, s34, -1
	s_and_saveexec_b32 s34, s89
	s_cbranch_execz .LBB20_392
; %bb.384:                              ;   in Loop: Header=BB20_6 Depth=1
	s_mov_b32 s89, exec_lo
	v_cmpx_ge_u32_e64 s17, v3
	s_xor_b32 s89, exec_lo, s89
	s_cbranch_execz .LBB20_389
; %bb.385:                              ;   in Loop: Header=BB20_6 Depth=1
	ds_read_b32 v1, v19 offset:4096
	v_and_b32_e32 v14, s19, v14
	v_or_b32_e32 v33, s18, v33
	s_waitcnt lgkmcnt(0)
	v_cmp_ne_u32_e32 vcc_lo, 0, v1
	s_cbranch_vccnz .LBB20_389
; %bb.386:                              ;   in Loop: Header=BB20_6 Depth=1
	s_and_saveexec_b32 s18, s3
; %bb.387:                              ;   in Loop: Header=BB20_6 Depth=1
	v_mov_b32_e32 v1, s17
	ds_write_b32 v19, v1 offset:4100
; %bb.388:                              ;   in Loop: Header=BB20_6 Depth=1
	s_or_b32 exec_lo, exec_lo, s18
	s_waitcnt lgkmcnt(0)
	s_barrier
	buffer_gl0_inv
.LBB20_389:                             ;   in Loop: Header=BB20_6 Depth=1
	s_andn2_saveexec_b32 s18, s89
; %bb.390:                              ;   in Loop: Header=BB20_6 Depth=1
	v_subrev_nc_u32_e32 v3, s17, v3
; %bb.391:                              ;   in Loop: Header=BB20_6 Depth=1
	s_or_b32 exec_lo, exec_lo, s18
	v_mov_b32_e32 v1, 5
	v_mov_b32_e32 v2, v3
.LBB20_392:                             ;   in Loop: Header=BB20_6 Depth=1
	s_or_b32 exec_lo, exec_lo, s34
	v_mov_b32_e32 v3, v2
	s_mov_b32 s90, exec_lo
.LBB20_393:                             ;   in Loop: Header=BB20_6 Depth=1
	s_or_b32 exec_lo, exec_lo, s88
	s_orn2_b32 s34, s90, exec_lo
.LBB20_394:                             ;   in Loop: Header=BB20_6 Depth=1
	s_or_b32 exec_lo, exec_lo, s20
	v_mov_b32_e32 v2, v3
	s_andn2_b32 s17, s29, exec_lo
	s_and_b32 s18, s33, exec_lo
	s_andn2_b32 s19, s28, exec_lo
	s_and_b32 s20, s31, exec_lo
	s_or_b32 s29, s17, s18
	s_or_b32 s28, s19, s20
	s_and_b32 s34, s34, exec_lo
.LBB20_395:                             ;   in Loop: Header=BB20_6 Depth=1
	s_or_b32 exec_lo, exec_lo, s30
	s_orn2_b32 s30, s34, exec_lo
.LBB20_396:                             ;   in Loop: Header=BB20_6 Depth=1
	s_or_b32 exec_lo, exec_lo, s21
	v_mov_b32_e32 v4, v2
	s_andn2_b32 s17, s26, exec_lo
	s_and_b32 s18, s29, exec_lo
	s_andn2_b32 s19, s22, exec_lo
	s_and_b32 s20, s28, exec_lo
	s_or_b32 s26, s17, s18
	s_or_b32 s22, s19, s20
	s_and_b32 s30, s30, exec_lo
.LBB20_397:                             ;   in Loop: Header=BB20_6 Depth=1
	s_or_b32 exec_lo, exec_lo, s27
	s_orn2_b32 s27, s30, exec_lo
.LBB20_398:                             ;   in Loop: Header=BB20_6 Depth=1
	s_or_b32 exec_lo, exec_lo, s6
	s_mov_b32 s6, s24
	s_mov_b32 s17, s23
	s_and_saveexec_b32 s18, s27
; %bb.399:                              ;   in Loop: Header=BB20_6 Depth=1
	v_cmp_ne_u32_e32 vcc_lo, 5, v1
	v_cmp_eq_u32_e64 s6, 5, v1
	s_andn2_b32 s17, s23, exec_lo
	s_andn2_b32 s19, s24, exec_lo
	s_and_b32 s20, vcc_lo, exec_lo
	s_and_b32 s6, s6, exec_lo
	s_or_b32 s17, s17, s20
	s_or_b32 s6, s19, s6
; %bb.400:                              ;   in Loop: Header=BB20_6 Depth=1
	s_or_b32 exec_lo, exec_lo, s18
	s_andn2_b32 s14, s14, exec_lo
	s_and_b32 s18, s26, exec_lo
	s_andn2_b32 s16, s16, exec_lo
	s_and_b32 s19, s22, exec_lo
	s_or_b32 s14, s14, s18
	s_or_b32 s16, s16, s19
	s_andn2_b32 s18, s23, exec_lo
	s_and_b32 s17, s17, exec_lo
	s_andn2_b32 s19, s24, exec_lo
	s_and_b32 s6, s6, exec_lo
	s_or_b32 s23, s18, s17
	s_or_b32 s24, s19, s6
.LBB20_401:                             ;   in Loop: Header=BB20_6 Depth=1
	s_or_b32 exec_lo, exec_lo, s25
	s_mov_b32 s25, 0
	s_mov_b32 s26, 0
	s_and_saveexec_b32 s6, s24
.LBB20_402:                             ;   in Loop: Header=BB20_6 Depth=1
	v_mov_b32_e32 v1, 0
	s_or_b32 s23, s23, exec_lo
.LBB20_403:                             ;   in Loop: Header=BB20_6 Depth=1
	s_or_b32 exec_lo, exec_lo, s6
	s_andn2_b32 s6, s85, exec_lo
	s_and_b32 s14, s14, exec_lo
	s_andn2_b32 s18, s83, exec_lo
	s_and_b32 s16, s16, exec_lo
	v_mov_b32_e32 v35, v4
	s_or_b32 s85, s6, s14
	s_or_b32 s83, s18, s16
	s_andn2_b32 s6, s87, exec_lo
	s_and_b32 s14, s26, exec_lo
	s_andn2_b32 s16, s86, exec_lo
	s_and_b32 s18, s25, exec_lo
	s_mov_b32 s17, -1
	s_andn2_b32 s84, s84, exec_lo
	s_or_b32 s87, s6, s14
	s_or_b32 s86, s16, s18
	s_and_saveexec_b32 s6, s23
	s_xor_b32 s6, exec_lo, s6
	s_cbranch_execz .LBB20_5
; %bb.404:                              ;   in Loop: Header=BB20_6 Depth=1
	s_mov_b32 s14, -1
	s_mov_b32 s16, -1
	s_mov_b32 s17, exec_lo
	v_cmpx_eq_u32_e32 0, v1
	s_cbranch_execz .LBB20_4
; %bb.405:                              ;   in Loop: Header=BB20_6 Depth=1
	s_xor_b32 s77, s77, 1
	s_add_i32 s18, s81, -2
	s_cmp_eq_u32 s81, 0
	s_mov_b32 s81, s18
	s_cselect_b32 s14, -1, 0
	s_xor_b32 s16, exec_lo, -1
	s_orn2_b32 s14, s14, exec_lo
	s_branch .LBB20_4
.LBB20_406:
	s_or_b32 exec_lo, exec_lo, s58
	s_xor_b32 s7, s82, -1
	s_xor_b32 s12, s79, -1
	;; [unrolled: 1-line block ×5, first 2 shown]
	s_mov_b32 s9, 0
	s_and_saveexec_b32 s10, s8
	s_xor_b32 s8, exec_lo, s10
	s_cbranch_execnz .LBB20_411
; %bb.407:
	s_andn2_saveexec_b32 s0, s8
	s_cbranch_execnz .LBB20_430
.LBB20_408:
	s_or_b32 exec_lo, exec_lo, s0
	s_and_saveexec_b32 s0, s9
.LBB20_409:
	; divergent unreachable
.LBB20_410:
	s_endpgm
.LBB20_411:
	s_mov_b32 s10, 0
	s_and_saveexec_b32 s9, s11
	s_xor_b32 s9, exec_lo, s9
	s_cbranch_execz .LBB20_428
; %bb.412:
	s_mov_b32 s11, 0
	s_and_saveexec_b32 s10, s12
	s_xor_b32 s10, exec_lo, s10
	s_cbranch_execz .LBB20_426
; %bb.413:
	;; [unrolled: 5-line block ×3, first 2 shown]
	s_and_saveexec_b32 s7, s6
	s_xor_b32 s6, exec_lo, s7
; %bb.415:
	v_xor_b32_e32 v34, 0xffffff80, v14
; %bb.416:
	s_or_b32 exec_lo, exec_lo, s6
	s_and_saveexec_b32 s6, s3
; %bb.417:
	v_mov_b32_e32 v1, 0
	ds_write_b32 v1, v1 offset:4108
; %bb.418:
	s_or_b32 exec_lo, exec_lo, s6
	v_mov_b32_e32 v3, 0
	s_waitcnt lgkmcnt(0)
	s_barrier
	buffer_gl0_inv
	s_and_saveexec_b32 s3, s1
	s_cbranch_execz .LBB20_420
; %bb.419:
	global_load_ubyte v3, v[9:10], off
.LBB20_420:
	s_or_b32 exec_lo, exec_lo, s3
	s_mul_i32 s3, s57, s55
	s_add_i32 s12, s36, 31
	s_sub_i32 s3, s53, s3
	s_andn2_b32 s12, s12, 31
	s_add_i32 s6, s57, 1
	s_sub_i32 s7, s3, s55
	s_cmp_ge_u32 s3, s55
	v_cmp_gt_u32_e32 vcc_lo, s12, v0
	s_cselect_b32 s6, s6, s57
	s_cselect_b32 s3, s7, s3
	s_add_i32 s7, s6, 1
	s_cmp_ge_u32 s3, s55
	s_mul_i32 s3, s56, s54
	s_cselect_b32 s6, s7, s6
	s_sub_i32 s3, s53, s3
	s_mul_i32 s7, s6, s55
	s_mul_i32 s6, s6, s50
	s_sub_i32 s7, s53, s7
	s_add_i32 s13, s56, 1
	s_mul_i32 s7, s7, s51
	s_sub_i32 s14, s3, s54
	s_add_i32 s6, s6, s7
	s_cmp_ge_u32 s3, s54
	s_mov_b32 s18, -1
	s_cselect_b32 s7, s13, s56
	s_cselect_b32 s3, s14, s3
	s_clause 0x1
	s_load_dword s13, s[4:5], 0x1c8
	s_load_dword s14, s[4:5], 0x2a8
	s_add_i32 s15, s7, 1
	s_cmp_ge_u32 s3, s54
	s_mov_b32 s5, 0
	s_cselect_b32 s3, s15, s7
	s_mul_i32 s4, s3, s54
	s_mul_i32 s3, s3, s48
	s_sub_i32 s4, s53, s4
	s_mul_i32 s4, s4, s49
	s_add_i32 s4, s3, s4
	s_add_u32 s6, s44, s6
	s_addc_u32 s7, s45, 0
	s_lshl_b64 s[16:17], s[4:5], 3
	s_mov_b32 s3, 0
	s_add_u32 s15, s46, s16
	s_addc_u32 s16, s47, s17
	s_and_saveexec_b32 s17, vcc_lo
	s_cbranch_execnz .LBB20_431
; %bb.421:
	s_or_b32 exec_lo, exec_lo, s17
	s_and_saveexec_b32 s2, s18
	s_cbranch_execnz .LBB20_446
.LBB20_422:
	s_or_b32 exec_lo, exec_lo, s2
	s_and_saveexec_b32 s0, s3
	s_xor_b32 s0, exec_lo, s0
	s_cbranch_execnz .LBB20_469
.LBB20_423:
	s_or_b32 exec_lo, exec_lo, s0
	s_and_b32 s12, s5, exec_lo
.LBB20_424:
	s_andn2_saveexec_b32 s0, s11
	s_cbranch_execnz .LBB20_471
.LBB20_425:
	s_or_b32 exec_lo, exec_lo, s0
	s_and_b32 s11, s12, exec_lo
.LBB20_426:
	s_andn2_saveexec_b32 s0, s10
	s_cbranch_execnz .LBB20_470
.LBB20_427:
	s_or_b32 exec_lo, exec_lo, s0
	s_and_b32 s10, s11, exec_lo
.LBB20_428:
	s_andn2_saveexec_b32 s0, s9
	s_cbranch_execnz .LBB20_465
.LBB20_429:
	s_or_b32 exec_lo, exec_lo, s0
	s_and_b32 s9, s10, exec_lo
	s_andn2_saveexec_b32 s0, s8
	s_cbranch_execz .LBB20_408
.LBB20_430:
	s_or_b32 s9, s9, exec_lo
	s_trap 2
	s_or_b32 exec_lo, exec_lo, s0
	s_and_saveexec_b32 s0, s9
	s_cbranch_execnz .LBB20_409
	s_branch .LBB20_410
.LBB20_431:
	v_add_nc_u32_e32 v1, s35, v0
	v_mov_b32_e32 v4, 0x80
	v_mov_b32_e32 v2, 0
	s_mov_b32 s18, 0
                                        ; implicit-def: $sgpr19
                                        ; implicit-def: $vgpr11
	v_mul_lo_u32 v5, s42, v1
	v_add_nc_u32_sdwa v6, sext(v34), v4 dst_sel:DWORD dst_unused:UNUSED_PAD src0_sel:BYTE_0 src1_sel:DWORD
	v_mov_b32_e32 v1, v0
	s_branch .LBB20_433
.LBB20_432:                             ;   in Loop: Header=BB20_433 Depth=1
	s_or_b32 exec_lo, exec_lo, s21
	s_xor_b32 s3, s20, -1
	s_and_b32 s4, exec_lo, s4
	v_mov_b32_e32 v3, v8
	s_or_b32 s18, s4, s18
	v_mov_b32_e32 v1, v7
	s_andn2_b32 s4, s19, exec_lo
	s_and_b32 s3, s3, exec_lo
	s_or_b32 s19, s4, s3
	s_andn2_b32 exec_lo, exec_lo, s18
	s_cbranch_execz .LBB20_445
.LBB20_433:                             ; =>This Inner Loop Header: Depth=1
	v_add_nc_u32_e32 v7, s35, v1
	v_mov_b32_e32 v8, 0
	s_mov_b32 s4, exec_lo
	v_cmpx_gt_u32_e64 s36, v7
	s_cbranch_execz .LBB20_435
; %bb.434:                              ;   in Loop: Header=BB20_433 Depth=1
	global_load_ubyte v8, v5, s[40:41]
.LBB20_435:                             ;   in Loop: Header=BB20_433 Depth=1
	s_or_b32 exec_lo, exec_lo, s4
	s_waitcnt vmcnt(0)
	v_add_nc_u32_sdwa v12, sext(v3), v4 dst_sel:DWORD dst_unused:UNUSED_PAD src0_sel:BYTE_0 src1_sel:DWORD
	v_cmp_gt_u32_e64 s3, v12, v6
	v_cndmask_b32_e64 v13, 0, 1, s3
	v_cmp_lt_u32_e64 s3, v12, v6
	v_cndmask_b32_e64 v12, 0, 1, s3
	v_cmp_gt_u32_e64 s3, s36, v1
	v_cndmask_b32_e64 v12, v12, v13, s2
	v_and_b32_e32 v12, 1, v12
	v_cmp_eq_u32_e64 s4, 1, v12
	s_and_b32 s20, s3, s4
	v_cndmask_b32_e64 v12, 0, 1, s20
	v_cmp_ne_u32_e64 s3, 0, v12
	s_cmp_lg_u32 s3, 0
	s_cselect_b32 s4, -1, 0
	s_and_b32 s4, s0, s4
	s_and_saveexec_b32 s21, s4
	s_cbranch_execz .LBB20_439
; %bb.436:                              ;   in Loop: Header=BB20_433 Depth=1
	s_mov_b32 s24, exec_lo
	s_bcnt1_i32_b32 s22, s3
	s_waitcnt lgkmcnt(0)
	v_mbcnt_lo_u32_b32 v11, s24, 0
	s_mov_b32 s23, exec_lo
                                        ; implicit-def: $vgpr12
	v_cmpx_eq_u32_e32 0, v11
; %bb.437:                              ;   in Loop: Header=BB20_433 Depth=1
	s_bcnt1_i32_b32 s4, s24
	s_mul_i32 s4, s22, s4
	v_mov_b32_e32 v12, s4
	ds_add_rtn_u32 v12, v2, v12 offset:4108
; %bb.438:                              ;   in Loop: Header=BB20_433 Depth=1
	s_or_b32 exec_lo, exec_lo, s23
	s_waitcnt lgkmcnt(0)
	v_readfirstlane_b32 s4, v12
	v_mad_u32_u24 v11, s22, v11, s4
.LBB20_439:                             ;   in Loop: Header=BB20_433 Depth=1
	s_or_b32 exec_lo, exec_lo, s21
	s_waitcnt lgkmcnt(0)
	ds_bpermute_b32 v11, v2, v11
	s_mov_b32 s4, -1
	s_mov_b32 s22, -1
	s_and_saveexec_b32 s21, s20
	s_cbranch_execz .LBB20_443
; %bb.440:                              ;   in Loop: Header=BB20_433 Depth=1
	v_and_b32_e32 v12, s3, v15
	s_mov_b32 s20, 0
	s_mov_b32 s22, exec_lo
	s_waitcnt lgkmcnt(0)
	v_bcnt_u32_b32 v12, v12, v11
	v_cmpx_gt_u32_e64 s37, v12
; %bb.441:                              ;   in Loop: Header=BB20_433 Depth=1
	v_mul_lo_u32 v13, v12, s14
	v_mov_b32_e32 v14, v2
	v_mul_lo_u32 v16, v12, s13
	s_mov_b32 s20, exec_lo
	v_lshlrev_b64 v[13:14], 3, v[13:14]
	v_add_co_u32 v12, s3, s15, v13
	v_add_co_ci_u32_e64 v13, null, s16, v14, s3
	global_store_byte v16, v3, s[6:7]
	global_store_dwordx2 v[12:13], v[1:2], off
; %bb.442:                              ;   in Loop: Header=BB20_433 Depth=1
	s_or_b32 exec_lo, exec_lo, s22
	s_orn2_b32 s22, s20, exec_lo
.LBB20_443:                             ;   in Loop: Header=BB20_433 Depth=1
	s_or_b32 exec_lo, exec_lo, s21
	s_mov_b32 s20, -1
	s_and_saveexec_b32 s21, s22
	s_cbranch_execz .LBB20_432
; %bb.444:                              ;   in Loop: Header=BB20_433 Depth=1
	v_cmp_le_u32_e64 s3, s12, v7
	v_add_nc_u32_e32 v5, s52, v5
	s_xor_b32 s20, exec_lo, -1
	s_orn2_b32 s4, s3, exec_lo
	s_branch .LBB20_432
.LBB20_445:
	s_or_b32 exec_lo, exec_lo, s18
	s_mov_b32 s3, exec_lo
	s_orn2_b32 s18, s19, exec_lo
	s_or_b32 exec_lo, exec_lo, s17
	s_and_saveexec_b32 s2, s18
	s_cbranch_execz .LBB20_422
.LBB20_446:
	v_mov_b32_e32 v6, 0
	s_waitcnt vmcnt(0) lgkmcnt(0)
	s_waitcnt_vscnt null, 0x0
	s_barrier
	buffer_gl0_inv
	s_and_saveexec_b32 s4, s1
	s_cbranch_execz .LBB20_448
; %bb.447:
	global_load_ubyte v6, v[9:10], off
.LBB20_448:
	s_or_b32 exec_lo, exec_lo, s4
	s_mov_b32 s1, 0
	s_and_saveexec_b32 s4, vcc_lo
	s_cbranch_execz .LBB20_468
; %bb.449:
	v_add_nc_u32_e32 v1, s35, v0
	s_mov_b32 s5, 0
                                        ; implicit-def: $sgpr17
                                        ; implicit-def: $vgpr5
	v_mul_lo_u32 v2, s42, v1
	v_mov_b32_e32 v1, 0
	s_branch .LBB20_452
.LBB20_450:                             ;   in Loop: Header=BB20_452 Depth=1
	s_or_b32 exec_lo, exec_lo, s18
	s_orn2_b32 s20, s20, exec_lo
	s_orn2_b32 s19, s19, exec_lo
.LBB20_451:                             ;   in Loop: Header=BB20_452 Depth=1
	s_or_b32 exec_lo, exec_lo, s1
	s_xor_b32 s1, s20, -1
	s_and_b32 s18, exec_lo, s19
	v_mov_b32_e32 v0, v3
	s_or_b32 s5, s18, s5
	v_mov_b32_e32 v6, v4
	s_andn2_b32 s17, s17, exec_lo
	s_and_b32 s1, s1, exec_lo
	s_or_b32 s17, s17, s1
	s_andn2_b32 exec_lo, exec_lo, s5
	s_cbranch_execz .LBB20_466
.LBB20_452:                             ; =>This Inner Loop Header: Depth=1
	v_add_nc_u32_e32 v3, s35, v0
	v_mov_b32_e32 v4, 0
	s_mov_b32 s1, exec_lo
	v_cmpx_gt_u32_e64 s36, v3
	s_cbranch_execz .LBB20_454
; %bb.453:                              ;   in Loop: Header=BB20_452 Depth=1
	global_load_ubyte v4, v2, s[40:41]
.LBB20_454:                             ;   in Loop: Header=BB20_452 Depth=1
	s_or_b32 exec_lo, exec_lo, s1
	v_cmp_gt_u32_e32 vcc_lo, s36, v0
	s_waitcnt vmcnt(0)
	v_cmp_eq_u16_sdwa s1, v6, v34 src0_sel:BYTE_0 src1_sel:BYTE_0
	s_and_b32 s18, vcc_lo, s1
	v_cndmask_b32_e64 v6, 0, 1, s18
	v_cmp_ne_u32_e32 vcc_lo, 0, v6
	s_cmp_lg_u32 vcc_lo, 0
	s_cselect_b32 s1, -1, 0
	s_and_b32 s1, s0, s1
	s_and_saveexec_b32 s19, s1
	s_cbranch_execz .LBB20_458
; %bb.455:                              ;   in Loop: Header=BB20_452 Depth=1
	s_mov_b32 s22, exec_lo
	s_bcnt1_i32_b32 s20, vcc_lo
	v_mbcnt_lo_u32_b32 v5, s22, 0
	s_mov_b32 s21, exec_lo
                                        ; implicit-def: $vgpr6
	v_cmpx_eq_u32_e32 0, v5
; %bb.456:                              ;   in Loop: Header=BB20_452 Depth=1
	s_bcnt1_i32_b32 s1, s22
	s_mul_i32 s1, s20, s1
	v_mov_b32_e32 v6, s1
	ds_add_rtn_u32 v6, v1, v6 offset:4108
; %bb.457:                              ;   in Loop: Header=BB20_452 Depth=1
	s_or_b32 exec_lo, exec_lo, s21
	s_waitcnt lgkmcnt(0)
	v_readfirstlane_b32 s1, v6
	v_mad_u32_u24 v5, s20, v5, s1
.LBB20_458:                             ;   in Loop: Header=BB20_452 Depth=1
	s_or_b32 exec_lo, exec_lo, s19
	ds_bpermute_b32 v5, v1, v5
	s_cmp_eq_u32 vcc_lo, 0
	s_mov_b32 s19, -1
	s_cselect_b32 s20, -1, 0
	s_waitcnt lgkmcnt(0)
	v_cmp_gt_u32_e64 s1, s37, v5
	s_or_b32 s21, s20, s1
	s_mov_b32 s20, -1
	s_and_saveexec_b32 s1, s21
	s_cbranch_execz .LBB20_451
; %bb.459:                              ;   in Loop: Header=BB20_452 Depth=1
	v_and_b32_e32 v6, vcc_lo, v15
	v_sub_nc_u32_e32 v7, s37, v5
	s_mov_b32 s21, -1
	v_bcnt_u32_b32 v6, v6, 0
	v_bcnt_u32_b32 v6, 0, v6
	v_cmp_gt_u32_e32 vcc_lo, v7, v6
	s_and_b32 s22, s18, vcc_lo
	s_and_saveexec_b32 s18, s22
	s_cbranch_execz .LBB20_463
; %bb.460:                              ;   in Loop: Header=BB20_452 Depth=1
	v_add_nc_u32_e32 v6, v5, v6
	s_mov_b32 s21, 0
	s_mov_b32 s20, exec_lo
	v_cmpx_gt_u32_e64 s37, v6
; %bb.461:                              ;   in Loop: Header=BB20_452 Depth=1
	v_mul_lo_u32 v7, v6, s14
	v_mov_b32_e32 v8, v1
	v_mul_lo_u32 v9, v6, s13
	s_mov_b32 s21, exec_lo
	v_lshlrev_b64 v[7:8], 3, v[7:8]
	v_add_co_u32 v6, vcc_lo, s15, v7
	v_add_co_ci_u32_e64 v7, null, s16, v8, vcc_lo
	global_store_byte v9, v34, s[6:7]
	global_store_dwordx2 v[6:7], v[0:1], off
; %bb.462:                              ;   in Loop: Header=BB20_452 Depth=1
	s_or_b32 exec_lo, exec_lo, s20
	s_xor_b32 s20, exec_lo, -1
	s_orn2_b32 s21, s21, exec_lo
.LBB20_463:                             ;   in Loop: Header=BB20_452 Depth=1
	s_or_b32 exec_lo, exec_lo, s18
	s_and_saveexec_b32 s18, s21
	s_cbranch_execz .LBB20_450
; %bb.464:                              ;   in Loop: Header=BB20_452 Depth=1
	v_cmp_le_u32_e32 vcc_lo, s12, v3
	v_add_nc_u32_e32 v2, s52, v2
	s_or_b32 s20, s20, exec_lo
	s_orn2_b32 s19, vcc_lo, exec_lo
	s_branch .LBB20_450
.LBB20_465:
	s_or_b32 s10, s10, exec_lo
	s_trap 2
	s_branch .LBB20_429
.LBB20_466:
	s_or_b32 exec_lo, exec_lo, s5
	s_mov_b32 s0, 0
	s_and_saveexec_b32 s1, s17
	s_xor_b32 s1, exec_lo, s1
	s_cbranch_execnz .LBB20_472
.LBB20_467:
	s_or_b32 exec_lo, exec_lo, s1
	s_and_b32 s1, s0, exec_lo
.LBB20_468:
	s_or_b32 exec_lo, exec_lo, s4
	s_and_b32 s5, s1, exec_lo
	s_andn2_b32 s3, s3, exec_lo
	s_or_b32 exec_lo, exec_lo, s2
	s_and_saveexec_b32 s0, s3
	s_xor_b32 s0, exec_lo, s0
	s_cbranch_execz .LBB20_423
.LBB20_469:
	s_or_b32 s5, s5, exec_lo
	s_trap 2
	s_branch .LBB20_423
.LBB20_470:
	s_or_b32 s11, s11, exec_lo
	s_trap 2
	s_branch .LBB20_427
.LBB20_471:
	s_or_b32 s12, s12, exec_lo
	s_trap 2
	s_branch .LBB20_425
.LBB20_472:
	s_mov_b32 s0, exec_lo
	s_trap 2
	s_branch .LBB20_467
	.section	.rodata,"a",@progbits
	.p2align	6, 0x0
	.amdhsa_kernel _ZN2at6native6sbtopk10gatherTopKIajLi2ELb0EEEvNS_4cuda6detail10TensorInfoIKT_T0_EES8_S8_bS8_S8_NS5_IS6_S8_EES8_NS5_IlS8_EES8_PS6_
		.amdhsa_group_segment_fixed_size 4112
		.amdhsa_private_segment_fixed_size 0
		.amdhsa_kernarg_size 952
		.amdhsa_user_sgpr_count 6
		.amdhsa_user_sgpr_private_segment_buffer 1
		.amdhsa_user_sgpr_dispatch_ptr 0
		.amdhsa_user_sgpr_queue_ptr 0
		.amdhsa_user_sgpr_kernarg_segment_ptr 1
		.amdhsa_user_sgpr_dispatch_id 0
		.amdhsa_user_sgpr_flat_scratch_init 0
		.amdhsa_user_sgpr_private_segment_size 0
		.amdhsa_wavefront_size32 1
		.amdhsa_uses_dynamic_stack 0
		.amdhsa_system_sgpr_private_segment_wavefront_offset 0
		.amdhsa_system_sgpr_workgroup_id_x 1
		.amdhsa_system_sgpr_workgroup_id_y 1
		.amdhsa_system_sgpr_workgroup_id_z 1
		.amdhsa_system_sgpr_workgroup_info 0
		.amdhsa_system_vgpr_workitem_id 0
		.amdhsa_next_free_vgpr 69
		.amdhsa_next_free_sgpr 105
		.amdhsa_reserve_vcc 1
		.amdhsa_reserve_flat_scratch 0
		.amdhsa_float_round_mode_32 0
		.amdhsa_float_round_mode_16_64 0
		.amdhsa_float_denorm_mode_32 3
		.amdhsa_float_denorm_mode_16_64 3
		.amdhsa_dx10_clamp 1
		.amdhsa_ieee_mode 1
		.amdhsa_fp16_overflow 0
		.amdhsa_workgroup_processor_mode 1
		.amdhsa_memory_ordered 1
		.amdhsa_forward_progress 1
		.amdhsa_shared_vgpr_count 0
		.amdhsa_exception_fp_ieee_invalid_op 0
		.amdhsa_exception_fp_denorm_src 0
		.amdhsa_exception_fp_ieee_div_zero 0
		.amdhsa_exception_fp_ieee_overflow 0
		.amdhsa_exception_fp_ieee_underflow 0
		.amdhsa_exception_fp_ieee_inexact 0
		.amdhsa_exception_int_div_zero 0
	.end_amdhsa_kernel
	.section	.text._ZN2at6native6sbtopk10gatherTopKIajLi2ELb0EEEvNS_4cuda6detail10TensorInfoIKT_T0_EES8_S8_bS8_S8_NS5_IS6_S8_EES8_NS5_IlS8_EES8_PS6_,"axG",@progbits,_ZN2at6native6sbtopk10gatherTopKIajLi2ELb0EEEvNS_4cuda6detail10TensorInfoIKT_T0_EES8_S8_bS8_S8_NS5_IS6_S8_EES8_NS5_IlS8_EES8_PS6_,comdat
.Lfunc_end20:
	.size	_ZN2at6native6sbtopk10gatherTopKIajLi2ELb0EEEvNS_4cuda6detail10TensorInfoIKT_T0_EES8_S8_bS8_S8_NS5_IS6_S8_EES8_NS5_IlS8_EES8_PS6_, .Lfunc_end20-_ZN2at6native6sbtopk10gatherTopKIajLi2ELb0EEEvNS_4cuda6detail10TensorInfoIKT_T0_EES8_S8_bS8_S8_NS5_IS6_S8_EES8_NS5_IlS8_EES8_PS6_
                                        ; -- End function
	.set _ZN2at6native6sbtopk10gatherTopKIajLi2ELb0EEEvNS_4cuda6detail10TensorInfoIKT_T0_EES8_S8_bS8_S8_NS5_IS6_S8_EES8_NS5_IlS8_EES8_PS6_.num_vgpr, 69
	.set _ZN2at6native6sbtopk10gatherTopKIajLi2ELb0EEEvNS_4cuda6detail10TensorInfoIKT_T0_EES8_S8_bS8_S8_NS5_IS6_S8_EES8_NS5_IlS8_EES8_PS6_.num_agpr, 0
	.set _ZN2at6native6sbtopk10gatherTopKIajLi2ELb0EEEvNS_4cuda6detail10TensorInfoIKT_T0_EES8_S8_bS8_S8_NS5_IS6_S8_EES8_NS5_IlS8_EES8_PS6_.numbered_sgpr, 105
	.set _ZN2at6native6sbtopk10gatherTopKIajLi2ELb0EEEvNS_4cuda6detail10TensorInfoIKT_T0_EES8_S8_bS8_S8_NS5_IS6_S8_EES8_NS5_IlS8_EES8_PS6_.num_named_barrier, 0
	.set _ZN2at6native6sbtopk10gatherTopKIajLi2ELb0EEEvNS_4cuda6detail10TensorInfoIKT_T0_EES8_S8_bS8_S8_NS5_IS6_S8_EES8_NS5_IlS8_EES8_PS6_.private_seg_size, 0
	.set _ZN2at6native6sbtopk10gatherTopKIajLi2ELb0EEEvNS_4cuda6detail10TensorInfoIKT_T0_EES8_S8_bS8_S8_NS5_IS6_S8_EES8_NS5_IlS8_EES8_PS6_.uses_vcc, 1
	.set _ZN2at6native6sbtopk10gatherTopKIajLi2ELb0EEEvNS_4cuda6detail10TensorInfoIKT_T0_EES8_S8_bS8_S8_NS5_IS6_S8_EES8_NS5_IlS8_EES8_PS6_.uses_flat_scratch, 0
	.set _ZN2at6native6sbtopk10gatherTopKIajLi2ELb0EEEvNS_4cuda6detail10TensorInfoIKT_T0_EES8_S8_bS8_S8_NS5_IS6_S8_EES8_NS5_IlS8_EES8_PS6_.has_dyn_sized_stack, 0
	.set _ZN2at6native6sbtopk10gatherTopKIajLi2ELb0EEEvNS_4cuda6detail10TensorInfoIKT_T0_EES8_S8_bS8_S8_NS5_IS6_S8_EES8_NS5_IlS8_EES8_PS6_.has_recursion, 0
	.set _ZN2at6native6sbtopk10gatherTopKIajLi2ELb0EEEvNS_4cuda6detail10TensorInfoIKT_T0_EES8_S8_bS8_S8_NS5_IS6_S8_EES8_NS5_IlS8_EES8_PS6_.has_indirect_call, 0
	.section	.AMDGPU.csdata,"",@progbits
; Kernel info:
; codeLenInByte = 15428
; TotalNumSgprs: 107
; NumVgprs: 69
; ScratchSize: 0
; MemoryBound: 0
; FloatMode: 240
; IeeeMode: 1
; LDSByteSize: 4112 bytes/workgroup (compile time only)
; SGPRBlocks: 0
; VGPRBlocks: 8
; NumSGPRsForWavesPerEU: 107
; NumVGPRsForWavesPerEU: 69
; Occupancy: 12
; WaveLimiterHint : 1
; COMPUTE_PGM_RSRC2:SCRATCH_EN: 0
; COMPUTE_PGM_RSRC2:USER_SGPR: 6
; COMPUTE_PGM_RSRC2:TRAP_HANDLER: 0
; COMPUTE_PGM_RSRC2:TGID_X_EN: 1
; COMPUTE_PGM_RSRC2:TGID_Y_EN: 1
; COMPUTE_PGM_RSRC2:TGID_Z_EN: 1
; COMPUTE_PGM_RSRC2:TIDIG_COMP_CNT: 0
	.section	.text._ZN2at6native6mbtopk23computeBlockDigitCountsIajjLi3EEEvNS_4cuda6detail10TensorInfoIKT_T0_EEjPjjS8_iijT1_PSB_Ps,"axG",@progbits,_ZN2at6native6mbtopk23computeBlockDigitCountsIajjLi3EEEvNS_4cuda6detail10TensorInfoIKT_T0_EEjPjjS8_iijT1_PSB_Ps,comdat
	.protected	_ZN2at6native6mbtopk23computeBlockDigitCountsIajjLi3EEEvNS_4cuda6detail10TensorInfoIKT_T0_EEjPjjS8_iijT1_PSB_Ps ; -- Begin function _ZN2at6native6mbtopk23computeBlockDigitCountsIajjLi3EEEvNS_4cuda6detail10TensorInfoIKT_T0_EEjPjjS8_iijT1_PSB_Ps
	.globl	_ZN2at6native6mbtopk23computeBlockDigitCountsIajjLi3EEEvNS_4cuda6detail10TensorInfoIKT_T0_EEjPjjS8_iijT1_PSB_Ps
	.p2align	8
	.type	_ZN2at6native6mbtopk23computeBlockDigitCountsIajjLi3EEEvNS_4cuda6detail10TensorInfoIKT_T0_EEjPjjS8_iijT1_PSB_Ps,@function
_ZN2at6native6mbtopk23computeBlockDigitCountsIajjLi3EEEvNS_4cuda6detail10TensorInfoIKT_T0_EEjPjjS8_iijT1_PSB_Ps: ; @_ZN2at6native6mbtopk23computeBlockDigitCountsIajjLi3EEEvNS_4cuda6detail10TensorInfoIKT_T0_EEjPjjS8_iijT1_PSB_Ps
; %bb.0:
	s_clause 0x2
	s_load_dwordx2 s[10:11], s[4:5], 0xf8
	s_load_dwordx4 s[12:15], s[4:5], 0xe8
	s_load_dwordx2 s[0:1], s[4:5], 0x110
	s_mov_b32 s9, 0
	s_waitcnt lgkmcnt(0)
	v_cvt_f32_u32_e32 v1, s10
	s_sub_i32 s3, 0, s10
	s_mul_i32 s1, s1, s8
	s_add_i32 s1, s1, s7
	v_rcp_iflag_f32_e32 v1, v1
	s_mul_i32 s16, s1, s0
	s_add_i32 s16, s16, s6
	v_mul_f32_e32 v1, 0x4f7ffffe, v1
	v_cvt_u32_f32_e32 v1, v1
	v_readfirstlane_b32 s2, v1
	s_mul_i32 s3, s3, s2
	s_mul_hi_u32 s0, s2, s3
	s_add_i32 s2, s2, s0
	s_mul_hi_u32 s0, s16, s2
	s_mul_i32 s1, s0, s10
	s_add_i32 s2, s0, 1
	s_sub_i32 s1, s16, s1
	s_sub_i32 s3, s1, s10
	s_cmp_ge_u32 s1, s10
	s_cselect_b32 s0, s2, s0
	s_cselect_b32 s1, s3, s1
	s_add_i32 s2, s0, 1
	s_cmp_ge_u32 s1, s10
	s_cselect_b32 s8, s2, s0
	s_cmp_ge_u32 s8, s12
	s_cbranch_scc1 .LBB21_27
; %bb.1:
	s_clause 0x1
	s_load_dwordx2 s[6:7], s[4:5], 0xc
	s_load_dwordx4 s[0:3], s[4:5], 0x100
	s_lshl_b64 s[18:19], s[8:9], 2
	v_cmp_gt_u32_e32 vcc_lo, 0x100, v0
	s_waitcnt lgkmcnt(0)
	v_cvt_f32_u32_e32 v1, s7
	v_cvt_f32_u32_e32 v2, s6
	s_add_u32 s0, s0, s18
	s_addc_u32 s1, s1, s19
	s_sub_i32 s12, 0, s7
	v_rcp_iflag_f32_e32 v1, v1
	v_rcp_iflag_f32_e32 v2, v2
	v_mul_f32_e32 v1, 0x4f7ffffe, v1
	v_cvt_u32_f32_e32 v1, v1
	v_readfirstlane_b32 s9, v1
	v_mul_f32_e32 v1, 0x4f7ffffe, v2
	s_mul_i32 s12, s12, s9
	v_cvt_u32_f32_e32 v1, v1
	s_mul_hi_u32 s12, s9, s12
	s_add_i32 s9, s9, s12
	v_readfirstlane_b32 s18, v1
	s_mul_hi_u32 s9, s8, s9
	v_lshlrev_b32_e32 v1, 2, v0
	s_mul_i32 s12, s9, s7
	s_add_i32 s17, s9, 1
	s_sub_i32 s12, s8, s12
	s_sub_i32 s19, s12, s7
	s_cmp_ge_u32 s12, s7
	s_cselect_b32 s9, s17, s9
	s_cselect_b32 s12, s19, s12
	s_add_i32 s17, s9, 1
	s_cmp_ge_u32 s12, s7
	s_cselect_b32 s17, s17, s9
	s_and_saveexec_b32 s9, vcc_lo
; %bb.2:
	v_mov_b32_e32 v2, 0
	ds_write_b32 v1, v2
; %bb.3:
	s_or_b32 exec_lo, exec_lo, s9
	s_load_dword s9, s[4:5], 0xd8
	s_mul_i32 s12, s8, s10
	s_waitcnt lgkmcnt(0)
	s_sub_i32 s19, s16, s12
	s_barrier
	s_mul_i32 s12, s15, s19
	s_add_i32 s19, s19, 1
	s_lshl_b32 s12, s12, 8
	buffer_gl0_inv
	s_sub_i32 s20, s9, s12
	s_add_u32 s20, s20, 0xff
	s_addc_u32 s21, 0, 0
	s_lshr_b64 s[20:21], s[20:21], 8
	s_cmp_lt_u32 s19, s10
	s_cselect_b32 s10, s15, s20
	s_mov_b32 s15, 0
	s_cmp_lt_i32 s10, 1
	s_cbranch_scc1 .LBB21_25
; %bb.4:
	s_sub_i32 s19, 0, s6
	s_clause 0x1
	s_load_dwordx4 s[20:23], s[4:5], 0x6c
	s_load_dwordx2 s[4:5], s[4:5], 0x0
	s_mul_i32 s19, s19, s18
	s_mul_i32 s7, s17, s7
	s_mul_hi_u32 s19, s18, s19
	s_sub_i32 s7, s8, s7
	s_add_i32 s18, s18, s19
	s_load_dword s1, s[0:1], 0x0
	s_mul_hi_u32 s18, s17, s18
	s_mul_i32 s19, s18, s6
	s_sub_i32 s8, s17, s19
	s_add_i32 s19, s18, 1
	s_waitcnt lgkmcnt(0)
	s_sub_i32 s23, s8, s6
	s_cmp_ge_u32 s8, s6
	s_cselect_b32 s0, s19, s18
	s_cselect_b32 s8, s23, s8
	s_add_i32 s18, s0, 1
	s_cmp_ge_u32 s8, s6
	s_mul_i32 s7, s7, s22
	s_cselect_b32 s0, s18, s0
	s_mul_i32 s6, s0, s6
	s_mul_i32 s0, s0, s20
	s_sub_i32 s6, s17, s6
	s_mul_i32 s6, s6, s21
	s_add_i32 s6, s6, s7
	s_add_i32 s6, s6, s0
	s_add_u32 s4, s4, s6
	s_addc_u32 s5, s5, 0
	s_and_b32 s6, s14, 0xff
	s_cmp_lt_u32 s10, 4
	s_cbranch_scc1 .LBB21_19
; %bb.5:
	v_add_nc_u32_e32 v6, s12, v0
	v_mov_b32_e32 v7, 1
	s_and_b32 s15, s10, 0x7ffffffc
	s_lshl_b32 s7, s13, 10
	s_mov_b32 s8, 0
	v_add_nc_u32_e32 v2, 0x300, v6
	v_add_nc_u32_e32 v4, 0x200, v6
	;; [unrolled: 1-line block ×3, first 2 shown]
	v_mul_lo_u32 v6, s13, v6
	s_mov_b32 s14, 0
	v_mul_lo_u32 v3, s13, v2
	v_mul_lo_u32 v4, s13, v4
	;; [unrolled: 1-line block ×3, first 2 shown]
	s_branch .LBB21_7
.LBB21_6:                               ;   in Loop: Header=BB21_7 Depth=1
	s_or_b32 exec_lo, exec_lo, s17
	v_add_nc_u32_e32 v2, 0x400, v2
	s_add_i32 s14, s14, 4
	s_add_i32 s8, s8, s7
	s_cmp_eq_u32 s15, s14
	s_cbranch_scc1 .LBB21_19
.LBB21_7:                               ; =>This Inner Loop Header: Depth=1
	v_add_nc_u32_e32 v8, 0xfffffd00, v2
	s_mov_b32 s17, exec_lo
	v_cmpx_gt_u32_e64 s9, v8
	s_cbranch_execz .LBB21_10
; %bb.8:                                ;   in Loop: Header=BB21_7 Depth=1
	v_add_nc_u32_e32 v8, s8, v6
	global_load_sbyte v8, v8, s[4:5]
	s_waitcnt vmcnt(0)
	v_add_nc_u32_e32 v8, 0x80, v8
	v_xor_b32_e32 v9, s1, v8
	v_and_b32_e32 v9, s11, v9
	v_cmp_eq_u32_e64 s0, 0, v9
	s_and_b32 exec_lo, exec_lo, s0
; %bb.9:                                ;   in Loop: Header=BB21_7 Depth=1
	v_lshrrev_b32_e32 v8, s6, v8
	v_lshlrev_b32_e32 v8, 2, v8
	ds_add_u32 v8, v7
.LBB21_10:                              ;   in Loop: Header=BB21_7 Depth=1
	s_or_b32 exec_lo, exec_lo, s17
	v_add_nc_u32_e32 v8, 0xfffffe00, v2
	s_mov_b32 s17, exec_lo
	v_cmpx_gt_u32_e64 s9, v8
	s_cbranch_execz .LBB21_13
; %bb.11:                               ;   in Loop: Header=BB21_7 Depth=1
	v_add_nc_u32_e32 v8, s8, v5
	global_load_sbyte v8, v8, s[4:5]
	s_waitcnt vmcnt(0)
	v_add_nc_u32_e32 v8, 0x80, v8
	v_xor_b32_e32 v9, s1, v8
	v_and_b32_e32 v9, s11, v9
	v_cmp_eq_u32_e64 s0, 0, v9
	s_and_b32 exec_lo, exec_lo, s0
; %bb.12:                               ;   in Loop: Header=BB21_7 Depth=1
	v_lshrrev_b32_e32 v8, s6, v8
	v_lshlrev_b32_e32 v8, 2, v8
	ds_add_u32 v8, v7
.LBB21_13:                              ;   in Loop: Header=BB21_7 Depth=1
	s_or_b32 exec_lo, exec_lo, s17
	v_add_nc_u32_e32 v8, 0xffffff00, v2
	s_mov_b32 s17, exec_lo
	v_cmpx_gt_u32_e64 s9, v8
	s_cbranch_execz .LBB21_16
; %bb.14:                               ;   in Loop: Header=BB21_7 Depth=1
	v_add_nc_u32_e32 v8, s8, v4
	global_load_sbyte v8, v8, s[4:5]
	s_waitcnt vmcnt(0)
	v_add_nc_u32_e32 v8, 0x80, v8
	v_xor_b32_e32 v9, s1, v8
	v_and_b32_e32 v9, s11, v9
	v_cmp_eq_u32_e64 s0, 0, v9
	s_and_b32 exec_lo, exec_lo, s0
; %bb.15:                               ;   in Loop: Header=BB21_7 Depth=1
	v_lshrrev_b32_e32 v8, s6, v8
	v_lshlrev_b32_e32 v8, 2, v8
	ds_add_u32 v8, v7
.LBB21_16:                              ;   in Loop: Header=BB21_7 Depth=1
	s_or_b32 exec_lo, exec_lo, s17
	s_mov_b32 s17, exec_lo
	v_cmpx_gt_u32_e64 s9, v2
	s_cbranch_execz .LBB21_6
; %bb.17:                               ;   in Loop: Header=BB21_7 Depth=1
	v_add_nc_u32_e32 v8, s8, v3
	global_load_sbyte v8, v8, s[4:5]
	s_waitcnt vmcnt(0)
	v_add_nc_u32_e32 v8, 0x80, v8
	v_xor_b32_e32 v9, s1, v8
	v_and_b32_e32 v9, s11, v9
	v_cmp_eq_u32_e64 s0, 0, v9
	s_and_b32 exec_lo, exec_lo, s0
	s_cbranch_execz .LBB21_6
; %bb.18:                               ;   in Loop: Header=BB21_7 Depth=1
	v_lshrrev_b32_e32 v8, s6, v8
	v_lshlrev_b32_e32 v8, 2, v8
	ds_add_u32 v8, v7
	s_branch .LBB21_6
.LBB21_19:
	s_and_b32 s7, s10, 3
	s_cmp_eq_u32 s7, 0
	s_cbranch_scc1 .LBB21_25
; %bb.20:
	s_lshl_b32 s0, s15, 8
	v_mov_b32_e32 v4, 1
	v_add3_u32 v2, s0, s12, v0
	s_lshl_b32 s8, s13, 8
	v_mul_lo_u32 v3, s13, v2
	s_inst_prefetch 0x1
	s_branch .LBB21_22
	.p2align	6
.LBB21_21:                              ;   in Loop: Header=BB21_22 Depth=1
	s_or_b32 exec_lo, exec_lo, s10
	v_add_nc_u32_e32 v3, s8, v3
	v_add_nc_u32_e32 v2, 0x100, v2
	s_add_i32 s7, s7, -1
	s_cmp_lg_u32 s7, 0
	s_cbranch_scc0 .LBB21_25
.LBB21_22:                              ; =>This Inner Loop Header: Depth=1
	s_mov_b32 s10, exec_lo
	v_cmpx_gt_u32_e64 s9, v2
	s_cbranch_execz .LBB21_21
; %bb.23:                               ;   in Loop: Header=BB21_22 Depth=1
	global_load_sbyte v5, v3, s[4:5]
	s_waitcnt vmcnt(0)
	v_add_nc_u32_e32 v5, 0x80, v5
	v_xor_b32_e32 v6, s1, v5
	v_and_b32_e32 v6, s11, v6
	v_cmp_eq_u32_e64 s0, 0, v6
	s_and_b32 exec_lo, exec_lo, s0
	s_cbranch_execz .LBB21_21
; %bb.24:                               ;   in Loop: Header=BB21_22 Depth=1
	v_lshrrev_b32_e32 v5, s6, v5
	v_lshlrev_b32_e32 v5, 2, v5
	ds_add_u32 v5, v4
	s_branch .LBB21_21
.LBB21_25:
	s_inst_prefetch 0x2
	s_waitcnt lgkmcnt(0)
	s_barrier
	buffer_gl0_inv
	s_and_saveexec_b32 s0, vcc_lo
	s_cbranch_execz .LBB21_27
; %bb.26:
	ds_read_b32 v2, v1
	v_lshl_or_b32 v0, s16, 8, v0
	v_mov_b32_e32 v1, 0
	v_lshlrev_b64 v[0:1], 1, v[0:1]
	v_add_co_u32 v0, vcc_lo, s2, v0
	v_add_co_ci_u32_e64 v1, null, s3, v1, vcc_lo
	s_waitcnt lgkmcnt(0)
	global_store_short v[0:1], v2, off
.LBB21_27:
	s_endpgm
	.section	.rodata,"a",@progbits
	.p2align	6, 0x0
	.amdhsa_kernel _ZN2at6native6mbtopk23computeBlockDigitCountsIajjLi3EEEvNS_4cuda6detail10TensorInfoIKT_T0_EEjPjjS8_iijT1_PSB_Ps
		.amdhsa_group_segment_fixed_size 1024
		.amdhsa_private_segment_fixed_size 0
		.amdhsa_kernarg_size 528
		.amdhsa_user_sgpr_count 6
		.amdhsa_user_sgpr_private_segment_buffer 1
		.amdhsa_user_sgpr_dispatch_ptr 0
		.amdhsa_user_sgpr_queue_ptr 0
		.amdhsa_user_sgpr_kernarg_segment_ptr 1
		.amdhsa_user_sgpr_dispatch_id 0
		.amdhsa_user_sgpr_flat_scratch_init 0
		.amdhsa_user_sgpr_private_segment_size 0
		.amdhsa_wavefront_size32 1
		.amdhsa_uses_dynamic_stack 0
		.amdhsa_system_sgpr_private_segment_wavefront_offset 0
		.amdhsa_system_sgpr_workgroup_id_x 1
		.amdhsa_system_sgpr_workgroup_id_y 1
		.amdhsa_system_sgpr_workgroup_id_z 1
		.amdhsa_system_sgpr_workgroup_info 0
		.amdhsa_system_vgpr_workitem_id 0
		.amdhsa_next_free_vgpr 10
		.amdhsa_next_free_sgpr 24
		.amdhsa_reserve_vcc 1
		.amdhsa_reserve_flat_scratch 0
		.amdhsa_float_round_mode_32 0
		.amdhsa_float_round_mode_16_64 0
		.amdhsa_float_denorm_mode_32 3
		.amdhsa_float_denorm_mode_16_64 3
		.amdhsa_dx10_clamp 1
		.amdhsa_ieee_mode 1
		.amdhsa_fp16_overflow 0
		.amdhsa_workgroup_processor_mode 1
		.amdhsa_memory_ordered 1
		.amdhsa_forward_progress 1
		.amdhsa_shared_vgpr_count 0
		.amdhsa_exception_fp_ieee_invalid_op 0
		.amdhsa_exception_fp_denorm_src 0
		.amdhsa_exception_fp_ieee_div_zero 0
		.amdhsa_exception_fp_ieee_overflow 0
		.amdhsa_exception_fp_ieee_underflow 0
		.amdhsa_exception_fp_ieee_inexact 0
		.amdhsa_exception_int_div_zero 0
	.end_amdhsa_kernel
	.section	.text._ZN2at6native6mbtopk23computeBlockDigitCountsIajjLi3EEEvNS_4cuda6detail10TensorInfoIKT_T0_EEjPjjS8_iijT1_PSB_Ps,"axG",@progbits,_ZN2at6native6mbtopk23computeBlockDigitCountsIajjLi3EEEvNS_4cuda6detail10TensorInfoIKT_T0_EEjPjjS8_iijT1_PSB_Ps,comdat
.Lfunc_end21:
	.size	_ZN2at6native6mbtopk23computeBlockDigitCountsIajjLi3EEEvNS_4cuda6detail10TensorInfoIKT_T0_EEjPjjS8_iijT1_PSB_Ps, .Lfunc_end21-_ZN2at6native6mbtopk23computeBlockDigitCountsIajjLi3EEEvNS_4cuda6detail10TensorInfoIKT_T0_EEjPjjS8_iijT1_PSB_Ps
                                        ; -- End function
	.set _ZN2at6native6mbtopk23computeBlockDigitCountsIajjLi3EEEvNS_4cuda6detail10TensorInfoIKT_T0_EEjPjjS8_iijT1_PSB_Ps.num_vgpr, 10
	.set _ZN2at6native6mbtopk23computeBlockDigitCountsIajjLi3EEEvNS_4cuda6detail10TensorInfoIKT_T0_EEjPjjS8_iijT1_PSB_Ps.num_agpr, 0
	.set _ZN2at6native6mbtopk23computeBlockDigitCountsIajjLi3EEEvNS_4cuda6detail10TensorInfoIKT_T0_EEjPjjS8_iijT1_PSB_Ps.numbered_sgpr, 24
	.set _ZN2at6native6mbtopk23computeBlockDigitCountsIajjLi3EEEvNS_4cuda6detail10TensorInfoIKT_T0_EEjPjjS8_iijT1_PSB_Ps.num_named_barrier, 0
	.set _ZN2at6native6mbtopk23computeBlockDigitCountsIajjLi3EEEvNS_4cuda6detail10TensorInfoIKT_T0_EEjPjjS8_iijT1_PSB_Ps.private_seg_size, 0
	.set _ZN2at6native6mbtopk23computeBlockDigitCountsIajjLi3EEEvNS_4cuda6detail10TensorInfoIKT_T0_EEjPjjS8_iijT1_PSB_Ps.uses_vcc, 1
	.set _ZN2at6native6mbtopk23computeBlockDigitCountsIajjLi3EEEvNS_4cuda6detail10TensorInfoIKT_T0_EEjPjjS8_iijT1_PSB_Ps.uses_flat_scratch, 0
	.set _ZN2at6native6mbtopk23computeBlockDigitCountsIajjLi3EEEvNS_4cuda6detail10TensorInfoIKT_T0_EEjPjjS8_iijT1_PSB_Ps.has_dyn_sized_stack, 0
	.set _ZN2at6native6mbtopk23computeBlockDigitCountsIajjLi3EEEvNS_4cuda6detail10TensorInfoIKT_T0_EEjPjjS8_iijT1_PSB_Ps.has_recursion, 0
	.set _ZN2at6native6mbtopk23computeBlockDigitCountsIajjLi3EEEvNS_4cuda6detail10TensorInfoIKT_T0_EEjPjjS8_iijT1_PSB_Ps.has_indirect_call, 0
	.section	.AMDGPU.csdata,"",@progbits
; Kernel info:
; codeLenInByte = 1284
; TotalNumSgprs: 26
; NumVgprs: 10
; ScratchSize: 0
; MemoryBound: 0
; FloatMode: 240
; IeeeMode: 1
; LDSByteSize: 1024 bytes/workgroup (compile time only)
; SGPRBlocks: 0
; VGPRBlocks: 1
; NumSGPRsForWavesPerEU: 26
; NumVGPRsForWavesPerEU: 10
; Occupancy: 16
; WaveLimiterHint : 1
; COMPUTE_PGM_RSRC2:SCRATCH_EN: 0
; COMPUTE_PGM_RSRC2:USER_SGPR: 6
; COMPUTE_PGM_RSRC2:TRAP_HANDLER: 0
; COMPUTE_PGM_RSRC2:TGID_X_EN: 1
; COMPUTE_PGM_RSRC2:TGID_Y_EN: 1
; COMPUTE_PGM_RSRC2:TGID_Z_EN: 1
; COMPUTE_PGM_RSRC2:TIDIG_COMP_CNT: 0
	.section	.text._ZN2at6native6mbtopk10gatherTopKIajLi3EEEvNS_4cuda6detail10TensorInfoIKT_T0_EES8_S8_bjS8_NS5_IS6_S8_EES8_NS5_IlS8_EES8_jjPS6_PjSD_j,"axG",@progbits,_ZN2at6native6mbtopk10gatherTopKIajLi3EEEvNS_4cuda6detail10TensorInfoIKT_T0_EES8_S8_bjS8_NS5_IS6_S8_EES8_NS5_IlS8_EES8_jjPS6_PjSD_j,comdat
	.protected	_ZN2at6native6mbtopk10gatherTopKIajLi3EEEvNS_4cuda6detail10TensorInfoIKT_T0_EES8_S8_bjS8_NS5_IS6_S8_EES8_NS5_IlS8_EES8_jjPS6_PjSD_j ; -- Begin function _ZN2at6native6mbtopk10gatherTopKIajLi3EEEvNS_4cuda6detail10TensorInfoIKT_T0_EES8_S8_bjS8_NS5_IS6_S8_EES8_NS5_IlS8_EES8_jjPS6_PjSD_j
	.globl	_ZN2at6native6mbtopk10gatherTopKIajLi3EEEvNS_4cuda6detail10TensorInfoIKT_T0_EES8_S8_bjS8_NS5_IS6_S8_EES8_NS5_IlS8_EES8_jjPS6_PjSD_j
	.p2align	8
	.type	_ZN2at6native6mbtopk10gatherTopKIajLi3EEEvNS_4cuda6detail10TensorInfoIKT_T0_EES8_S8_bjS8_NS5_IS6_S8_EES8_NS5_IlS8_EES8_jjPS6_PjSD_j,@function
_ZN2at6native6mbtopk10gatherTopKIajLi3EEEvNS_4cuda6detail10TensorInfoIKT_T0_EES8_S8_bjS8_NS5_IS6_S8_EES8_NS5_IlS8_EES8_jjPS6_PjSD_j: ; @_ZN2at6native6mbtopk10gatherTopKIajLi3EEEvNS_4cuda6detail10TensorInfoIKT_T0_EES8_S8_bjS8_NS5_IS6_S8_EES8_NS5_IlS8_EES8_jjPS6_PjSD_j
; %bb.0:
	s_clause 0x1
	s_load_dwordx2 s[0:1], s[4:5], 0x2d8
	s_load_dword s2, s[4:5], 0x2d0
	s_waitcnt lgkmcnt(0)
	s_mul_i32 s1, s1, s8
	s_add_i32 s1, s1, s7
	s_mul_i32 s0, s1, s0
	s_add_i32 s0, s0, s6
	s_cmp_ge_u32 s0, s2
	s_cbranch_scc1 .LBB22_40
; %bb.1:
	s_clause 0x4
	s_load_dwordx8 s[8:15], s[4:5], 0x2a8
	s_load_dwordx2 s[40:41], s[4:5], 0xc
	s_load_dwordx2 s[38:39], s[4:5], 0xfc
	;; [unrolled: 1-line block ×3, first 2 shown]
	s_load_dwordx4 s[16:19], s[4:5], 0x23c
	s_waitcnt lgkmcnt(0)
	v_cvt_f32_u32_e32 v1, s10
	s_sub_i32 s2, 0, s10
	v_cvt_f32_u32_e32 v2, s40
	v_cvt_f32_u32_e32 v3, s36
	v_rcp_iflag_f32_e32 v1, v1
	v_rcp_iflag_f32_e32 v2, v2
	v_mul_f32_e32 v1, 0x4f7ffffe, v1
	v_mul_f32_e32 v2, 0x4f7ffffe, v2
	v_cvt_u32_f32_e32 v1, v1
	v_cvt_u32_f32_e32 v2, v2
	v_readfirstlane_b32 s1, v1
	s_mul_i32 s2, s2, s1
	s_mul_hi_u32 s2, s1, s2
	s_add_i32 s1, s1, s2
	s_mul_hi_u32 s1, s0, s1
	s_mul_i32 s2, s1, s10
	s_add_i32 s3, s1, 1
	s_sub_i32 s2, s0, s2
	s_sub_i32 s6, s2, s10
	s_cmp_ge_u32 s2, s10
	s_cselect_b32 s1, s3, s1
	s_cselect_b32 s2, s6, s2
	s_add_i32 s3, s1, 1
	s_cmp_ge_u32 s2, s10
	s_cselect_b32 s11, s3, s1
	s_sub_i32 s6, 0, s41
	v_mov_b32_e32 v1, s11
	global_load_ubyte v6, v1, s[12:13]
	v_cvt_f32_u32_e32 v1, s41
	s_mul_i32 s12, s11, s10
	s_clause 0x1
	s_load_dwordx4 s[20:23], s[4:5], 0x15c
	s_load_dwordx2 s[2:3], s[4:5], 0x0
	s_sub_i32 s19, s0, s12
	s_clause 0x1
	s_load_dwordx2 s[34:35], s[4:5], 0xf0
	s_load_dwordx4 s[24:27], s[4:5], 0x6c
	v_rcp_iflag_f32_e32 v1, v1
	v_mul_f32_e32 v1, 0x4f7ffffe, v1
	v_cvt_u32_f32_e32 v1, v1
	v_readfirstlane_b32 s1, v1
	v_cvt_f32_u32_e32 v1, s39
	s_mul_i32 s6, s6, s1
	v_rcp_iflag_f32_e32 v1, v1
	s_mul_hi_u32 s6, s1, s6
	s_add_i32 s1, s1, s6
	s_mul_hi_u32 s1, s11, s1
	s_mul_i32 s6, s1, s41
	s_add_i32 s13, s1, 1
	s_sub_i32 s0, s11, s6
	v_mul_f32_e32 v1, 0x4f7ffffe, v1
	s_waitcnt lgkmcnt(0)
	s_sub_i32 s23, s0, s41
	s_cmp_ge_u32 s0, s41
	s_load_dwordx2 s[6:7], s[4:5], 0x1d0
	s_cselect_b32 s1, s13, s1
	v_cvt_u32_f32_e32 v1, v1
	s_cselect_b32 s0, s23, s0
	s_add_i32 s13, s1, 1
	s_cmp_ge_u32 s0, s41
	v_readfirstlane_b32 s0, v1
	v_cvt_f32_u32_e32 v1, s37
	s_cselect_b32 s27, s13, s1
	v_readfirstlane_b32 s13, v2
	v_cvt_f32_u32_e32 v2, s38
	s_sub_i32 s23, 0, s39
	v_rcp_iflag_f32_e32 v1, v1
	s_mul_i32 s23, s23, s0
	s_sub_i32 s1, 0, s40
	s_mul_hi_u32 s23, s0, s23
	v_rcp_iflag_f32_e32 v2, v2
	s_add_i32 s0, s0, s23
	s_mul_i32 s1, s1, s13
	s_mul_hi_u32 s0, s11, s0
	s_mul_hi_u32 s1, s13, s1
	s_mul_i32 s23, s0, s39
	v_mul_f32_e32 v1, 0x4f7ffffe, v1
	s_add_i32 s1, s13, s1
	s_sub_i32 s13, s11, s23
	s_add_i32 s23, s0, 1
	s_sub_i32 s28, s13, s39
	v_mul_f32_e32 v2, 0x4f7ffffe, v2
	s_cmp_ge_u32 s13, s39
	v_cvt_u32_f32_e32 v1, v1
	s_cselect_b32 s0, s23, s0
	s_cselect_b32 s13, s28, s13
	s_add_i32 s23, s0, 1
	v_cvt_u32_f32_e32 v2, v2
	s_cmp_ge_u32 s13, s39
	v_readfirstlane_b32 s13, v1
	v_rcp_iflag_f32_e32 v1, v3
	s_cselect_b32 s33, s23, s0
	s_sub_i32 s23, 0, s37
	v_readfirstlane_b32 s0, v2
	s_mul_i32 s23, s23, s13
	s_sub_i32 s28, 0, s38
	s_mul_hi_u32 s23, s13, s23
	s_mul_hi_u32 s50, s27, s1
	s_mul_i32 s28, s28, s0
	s_add_i32 s13, s13, s23
	s_mul_hi_u32 s23, s0, s28
	s_mul_hi_u32 s13, s11, s13
	v_mul_f32_e32 v1, 0x4f7ffffe, v1
	s_add_i32 s28, s0, s23
	s_mul_i32 s0, s13, s37
	s_add_i32 s23, s13, 1
	s_sub_i32 s0, s11, s0
	v_cvt_u32_f32_e32 v1, v1
	s_sub_i32 s29, s0, s37
	s_cmp_ge_u32 s0, s37
	v_cmp_eq_u32_e64 s1, 0, v0
	s_cselect_b32 s13, s23, s13
	s_cselect_b32 s0, s29, s0
	s_add_i32 s23, s13, 1
	v_readfirstlane_b32 s29, v1
	s_cmp_ge_u32 s0, s37
	s_mul_hi_u32 s49, s33, s28
	s_cselect_b32 s23, s23, s13
	s_sub_i32 s0, 0, s36
	s_mov_b32 s13, 0
	s_mul_i32 s0, s0, s29
	s_mul_hi_u32 s30, s29, s0
	v_cmp_ne_u32_e64 s0, 0, v0
	s_add_i32 s29, s29, s30
	s_mul_hi_u32 s48, s23, s29
	s_and_saveexec_b32 s51, s1
	s_cbranch_execz .LBB22_17
; %bb.2:
	s_load_dwordx2 s[42:43], s[4:5], 0x2c8
	s_lshl_b64 s[44:45], s[12:13], 2
	s_mov_b32 s12, 0
	s_add_u32 s28, s14, s44
	s_addc_u32 s29, s15, s45
	s_mov_b32 s52, 0
	s_waitcnt lgkmcnt(0)
	s_add_u32 s30, s42, s44
	s_addc_u32 s31, s43, s45
	s_cmp_lt_u32 s10, 4
	s_cbranch_scc1 .LBB22_14
; %bb.3:
	s_mov_b32 s53, 0
.LBB22_4:                               ; =>This Inner Loop Header: Depth=1
	s_add_u32 s28, s14, s44
	s_addc_u32 s29, s15, s45
	s_add_u32 s46, s42, s44
	s_load_dwordx4 s[28:31], s[28:29], 0x0
	s_addc_u32 s47, s43, s45
	s_cmp_ge_u32 s53, s19
	s_cbranch_scc0 .LBB22_11
; %bb.5:                                ;   in Loop: Header=BB22_4 Depth=1
	s_add_i32 s54, s53, 1
	s_cmp_ge_u32 s54, s19
	s_cbranch_scc0 .LBB22_12
.LBB22_6:                               ;   in Loop: Header=BB22_4 Depth=1
	s_add_i32 s54, s54, 1
	s_cmp_ge_u32 s54, s19
	s_cbranch_scc0 .LBB22_13
.LBB22_7:                               ;   in Loop: Header=BB22_4 Depth=1
	s_add_i32 s54, s54, 1
	s_cmp_ge_u32 s54, s19
	s_cbranch_scc1 .LBB22_9
.LBB22_8:                               ;   in Loop: Header=BB22_4 Depth=1
	s_load_dword s46, s[46:47], 0xc
	s_waitcnt lgkmcnt(0)
	s_add_i32 s13, s13, s31
	s_add_i32 s12, s46, s12
.LBB22_9:                               ;   in Loop: Header=BB22_4 Depth=1
	s_waitcnt lgkmcnt(0)
	s_add_i32 s28, s28, s52
	s_add_i32 s28, s28, s29
	;; [unrolled: 1-line block ×4, first 2 shown]
	s_add_u32 s14, s14, 16
	s_addc_u32 s15, s15, 0
	s_add_u32 s42, s42, 16
	s_addc_u32 s43, s43, 0
	s_add_i32 s47, s54, 4
	s_add_u32 s30, s42, s44
	s_addc_u32 s31, s43, s45
	s_add_u32 s28, s14, s44
	s_addc_u32 s29, s15, s45
	s_add_i32 s46, s54, 1
	s_cmp_ge_u32 s47, s10
	s_cbranch_scc1 .LBB22_15
; %bb.10:                               ;   in Loop: Header=BB22_4 Depth=1
	s_mov_b32 s53, s46
	s_branch .LBB22_4
.LBB22_11:                              ;   in Loop: Header=BB22_4 Depth=1
	s_load_dword s54, s[46:47], 0x0
	s_waitcnt lgkmcnt(0)
	s_add_i32 s13, s28, s13
	s_add_i32 s12, s54, s12
	;; [unrolled: 1-line block ×3, first 2 shown]
	s_cmp_ge_u32 s54, s19
	s_cbranch_scc1 .LBB22_6
.LBB22_12:                              ;   in Loop: Header=BB22_4 Depth=1
	s_load_dword s55, s[46:47], 0x4
	s_waitcnt lgkmcnt(0)
	s_add_i32 s13, s13, s29
	s_add_i32 s12, s55, s12
	;; [unrolled: 1-line block ×3, first 2 shown]
	s_cmp_ge_u32 s54, s19
	s_cbranch_scc1 .LBB22_7
.LBB22_13:                              ;   in Loop: Header=BB22_4 Depth=1
	s_load_dword s55, s[46:47], 0x8
	s_waitcnt lgkmcnt(0)
	s_add_i32 s13, s13, s30
	s_add_i32 s12, s55, s12
	;; [unrolled: 1-line block ×3, first 2 shown]
	s_cmp_ge_u32 s54, s19
	s_cbranch_scc0 .LBB22_8
	s_branch .LBB22_9
.LBB22_14:
	s_mov_b32 s14, 0
	s_cmp_ge_u32 s14, s10
	s_cbranch_scc0 .LBB22_38
	s_branch .LBB22_16
.LBB22_15:
	s_add_i32 s14, s53, 4
	s_cmp_ge_u32 s14, s10
	s_cbranch_scc0 .LBB22_38
.LBB22_16:
	v_mov_b32_e32 v1, s12
	v_mov_b32_e32 v2, s52
	;; [unrolled: 1-line block ×4, first 2 shown]
	ds_write_b96 v4, v[1:3] offset:1056
.LBB22_17:
	s_or_b32 exec_lo, exec_lo, s51
	s_load_dwordx4 s[12:15], s[4:5], 0xd8
	s_waitcnt lgkmcnt(0)
	s_mul_i32 s15, s9, s19
	s_add_i32 s19, s19, 1
	s_lshl_b32 s15, s15, 8
	s_waitcnt vmcnt(0)
	s_barrier
	buffer_gl0_inv
	s_sub_i32 s28, s12, s15
	s_add_u32 s28, s28, 0xff
	s_addc_u32 s29, 0, 0
	s_lshr_b64 s[28:29], s[28:29], 8
	s_cmp_lt_u32 s19, s10
	s_mov_b32 s19, 0
	s_cselect_b32 s9, s9, s28
	s_cmp_eq_u32 s9, 0
	s_cbranch_scc1 .LBB22_40
; %bb.18:
	s_mul_i32 s28, s50, s40
	s_mul_i32 s10, s27, s41
	s_sub_i32 s28, s27, s28
	s_sub_i32 s10, s11, s10
	s_add_i32 s29, s50, 1
	s_sub_i32 s30, s28, s40
	s_cmp_ge_u32 s28, s40
	s_mul_i32 s10, s10, s26
	s_cselect_b32 s29, s29, s50
	s_cselect_b32 s28, s30, s28
	s_add_i32 s30, s29, 1
	s_cmp_ge_u32 s28, s40
	s_mul_i32 s28, s33, s39
	s_cselect_b32 s29, s30, s29
	s_mul_i32 s30, s49, s38
	s_mul_i32 s31, s29, s40
	;; [unrolled: 1-line block ×3, first 2 shown]
	s_sub_i32 s26, s27, s31
	s_sub_i32 s24, s33, s30
	s_mul_i32 s25, s26, s25
	s_sub_i32 s27, s11, s28
	s_add_i32 s10, s25, s10
	s_add_i32 s25, s49, 1
	;; [unrolled: 1-line block ×3, first 2 shown]
	s_sub_i32 s26, s24, s38
	s_cmp_ge_u32 s24, s38
	s_mul_i32 s28, s48, s36
	s_cselect_b32 s25, s25, s49
	s_cselect_b32 s24, s26, s24
	s_add_i32 s26, s25, 1
	s_cmp_ge_u32 s24, s38
	s_mul_i32 s27, s27, s22
	s_cselect_b32 s24, s26, s25
	s_mul_i32 s25, s23, s37
	s_mul_i32 s26, s24, s38
	;; [unrolled: 1-line block ×3, first 2 shown]
	s_sub_i32 s26, s33, s26
	s_sub_i32 s11, s11, s25
	s_mul_i32 s21, s26, s21
	s_add_i32 s22, s48, 1
	s_add_i32 s20, s21, s27
	s_sub_i32 s21, s23, s28
	s_add_i32 s20, s20, s24
	s_sub_i32 s24, s21, s36
	s_cmp_ge_u32 s21, s36
	v_mov_b32_e32 v5, 0
	s_cselect_b32 s22, s22, s48
	s_cselect_b32 s21, s24, s21
	s_add_i32 s24, s22, 1
	s_cmp_ge_u32 s21, s36
	s_mul_i32 s11, s11, s18
	s_cselect_b32 s21, s24, s22
	ds_read_b96 v[1:3], v5 offset:1056
	s_mul_i32 s22, s21, s36
	s_mul_i32 s21, s21, s16
	s_sub_i32 s22, s23, s22
	v_lshrrev_b32_e32 v4, 3, v0
	s_mul_i32 s17, s22, s17
	v_add_nc_u32_e32 v10, -1, v0
	s_add_i32 s11, s17, s11
	v_mov_b32_e32 v7, 0x80
	s_add_i32 s18, s11, s21
	s_add_u32 s10, s2, s10
	s_addc_u32 s11, s3, 0
	s_add_u32 s16, s34, s20
	s_addc_u32 s17, s35, 0
	s_lshl_b64 s[2:3], s[18:19], 3
	s_clause 0x1
	s_load_dword s18, s[4:5], 0xe8
	s_load_dword s4, s[4:5], 0x1c8
	v_and_b32_e32 v4, 28, v4
	v_lshrrev_b32_e32 v9, 3, v10
	v_and_b32_e32 v11, 0xfc, v0
	s_waitcnt lgkmcnt(0)
	v_add_nc_u32_e32 v1, v1, v2
	v_lshlrev_b32_e32 v13, 5, v0
	v_lshl_add_u32 v2, v0, 2, v4
	v_and_b32_e32 v12, 0x1ffffffc, v9
	v_add_nc_u32_e32 v4, s15, v0
	v_mbcnt_lo_u32_b32 v9, -1, 0
	s_add_u32 s6, s6, s2
	v_cmp_gt_u32_e64 s2, 32, v0
	v_lshl_add_u32 v0, v10, 2, v12
	s_addc_u32 s7, s7, s3
	v_add_nc_u32_sdwa v8, sext(v6), v7 dst_sel:DWORD dst_unused:UNUSED_PAD src0_sel:BYTE_0 src1_sel:DWORD
	v_add_nc_u32_e32 v11, v11, v13
	v_and_b32_e32 v12, 15, v9
	v_bfe_i32 v13, v9, 4, 1
	v_add_nc_u32_e32 v14, -1, v9
	v_mul_lo_u32 v10, s18, v4
	s_bitcmp1_b32 s14, 0
                                        ; implicit-def: $vgpr15
	s_cselect_b32 s3, -1, 0
	s_lshl_b32 s5, s18, 8
	s_branch .LBB22_21
.LBB22_19:                              ;   in Loop: Header=BB22_21 Depth=1
	s_or_b32 exec_lo, exec_lo, s14
	v_add_nc_u32_e32 v1, v18, v1
.LBB22_20:                              ;   in Loop: Header=BB22_21 Depth=1
	v_add_nc_u32_e32 v3, v17, v3
	v_add_nc_u32_e32 v10, s5, v10
	v_add_nc_u32_e32 v4, 0x100, v4
	s_add_i32 s9, s9, -1
	s_cmp_lg_u32 s9, 0
	s_cbranch_scc0 .LBB22_40
.LBB22_21:                              ; =>This Inner Loop Header: Depth=1
	v_mov_b32_e32 v18, 0
	v_mov_b32_e32 v16, 0
	s_mov_b32 s14, exec_lo
	v_cmpx_gt_u32_e64 s12, v4
	s_cbranch_execz .LBB22_23
; %bb.22:                               ;   in Loop: Header=BB22_21 Depth=1
	global_load_ubyte v15, v10, s[10:11]
	s_waitcnt vmcnt(0)
	v_add_nc_u32_sdwa v16, sext(v15), v7 dst_sel:DWORD dst_unused:UNUSED_PAD src0_sel:BYTE_0 src1_sel:DWORD
	v_cmp_eq_u16_sdwa s15, v15, v6 src0_sel:DWORD src1_sel:BYTE_0
	v_cmp_gt_u32_e32 vcc_lo, v16, v8
	v_cndmask_b32_e64 v17, 0, 1, vcc_lo
	v_cmp_lt_u32_e32 vcc_lo, v16, v8
	v_cndmask_b32_e64 v16, 0, 1, vcc_lo
	v_cndmask_b32_e64 v16, v16, v17, s3
	v_and_b32_e32 v18, 1, v16
	v_cndmask_b32_e64 v16, 0, 1, s15
.LBB22_23:                              ;   in Loop: Header=BB22_21 Depth=1
	s_or_b32 exec_lo, exec_lo, s14
	ds_write_b32 v2, v18
	s_waitcnt lgkmcnt(0)
	s_barrier
	buffer_gl0_inv
	s_and_saveexec_b32 s14, s2
	s_cbranch_execz .LBB22_25
; %bb.24:                               ;   in Loop: Header=BB22_21 Depth=1
	ds_read2_b32 v[19:20], v11 offset1:1
	ds_read2_b32 v[21:22], v11 offset0:2 offset1:3
	ds_read2_b32 v[23:24], v11 offset0:4 offset1:5
	;; [unrolled: 1-line block ×3, first 2 shown]
	v_cmp_ne_u32_e32 vcc_lo, 0, v12
	; wave barrier
	s_waitcnt lgkmcnt(3)
	v_add_nc_u32_e32 v17, v20, v19
	s_waitcnt lgkmcnt(2)
	v_add3_u32 v17, v17, v21, v22
	s_waitcnt lgkmcnt(1)
	v_add3_u32 v17, v17, v23, v24
	;; [unrolled: 2-line block ×3, first 2 shown]
	v_mov_b32_dpp v20, v17 row_shr:1 row_mask:0xf bank_mask:0xf
	v_cndmask_b32_e32 v20, 0, v20, vcc_lo
	v_cmp_lt_u32_e32 vcc_lo, 1, v12
	v_add_nc_u32_e32 v17, v20, v17
	v_mov_b32_dpp v20, v17 row_shr:2 row_mask:0xf bank_mask:0xf
	v_cndmask_b32_e32 v20, 0, v20, vcc_lo
	v_cmp_lt_u32_e32 vcc_lo, 3, v12
	v_add_nc_u32_e32 v17, v17, v20
	;; [unrolled: 4-line block ×3, first 2 shown]
	v_mov_b32_dpp v20, v17 row_shr:8 row_mask:0xf bank_mask:0xf
	v_cndmask_b32_e32 v20, 0, v20, vcc_lo
	v_cmp_gt_i32_e32 vcc_lo, 0, v14
	v_add_nc_u32_e32 v17, v17, v20
	v_cndmask_b32_e32 v21, v14, v9, vcc_lo
	ds_swizzle_b32 v20, v17 offset:swizzle(BROADCAST,32,15)
	v_lshlrev_b32_e32 v21, 2, v21
	s_waitcnt lgkmcnt(0)
	v_and_b32_e32 v20, v13, v20
	v_add_nc_u32_e32 v17, v17, v20
	ds_bpermute_b32 v17, v21, v17
	s_waitcnt lgkmcnt(0)
	v_add_nc_u32_e32 v17, v17, v19
	v_cndmask_b32_e64 v17, v17, v18, s1
	ds_write_b32 v11, v17
	; wave barrier
	ds_read2_b32 v[19:20], v11 offset0:1 offset1:2
	ds_read2_b32 v[21:22], v11 offset0:3 offset1:4
	;; [unrolled: 1-line block ×3, first 2 shown]
	ds_read_b32 v25, v11 offset:28
	s_waitcnt lgkmcnt(3)
	v_add_nc_u32_e32 v17, v19, v17
	v_add_nc_u32_e32 v19, v20, v17
	s_waitcnt lgkmcnt(2)
	v_add_nc_u32_e32 v20, v21, v19
	v_add_nc_u32_e32 v21, v22, v20
	s_waitcnt lgkmcnt(1)
	v_add_nc_u32_e32 v22, v23, v21
	v_add_nc_u32_e32 v23, v24, v22
	s_waitcnt lgkmcnt(0)
	v_add_nc_u32_e32 v24, v25, v23
	ds_write2_b32 v11, v17, v19 offset0:1 offset1:2
	ds_write2_b32 v11, v20, v21 offset0:3 offset1:4
	;; [unrolled: 1-line block ×3, first 2 shown]
	ds_write_b32 v11, v24 offset:28
.LBB22_25:                              ;   in Loop: Header=BB22_21 Depth=1
	s_or_b32 exec_lo, exec_lo, s14
	v_mov_b32_e32 v19, 0
	s_waitcnt lgkmcnt(0)
	s_barrier
	buffer_gl0_inv
	s_and_saveexec_b32 s14, s0
; %bb.26:                               ;   in Loop: Header=BB22_21 Depth=1
	ds_read_b32 v19, v0
; %bb.27:                               ;   in Loop: Header=BB22_21 Depth=1
	s_or_b32 exec_lo, exec_lo, s14
	ds_read_b32 v17, v5 offset:1048
	s_mov_b32 s14, exec_lo
	s_waitcnt lgkmcnt(0)
	s_barrier
	buffer_gl0_inv
	v_cmpx_ne_u32_e32 0, v18
	s_cbranch_execz .LBB22_29
; %bb.28:                               ;   in Loop: Header=BB22_21 Depth=1
	v_add_nc_u32_e32 v20, v19, v3
	v_mov_b32_e32 v19, v5
	v_mul_lo_u32 v18, v20, s8
	v_mul_lo_u32 v20, v20, s4
	v_lshlrev_b64 v[18:19], 3, v[18:19]
	v_add_co_u32 v18, vcc_lo, s6, v18
	v_add_co_ci_u32_e64 v19, null, s7, v19, vcc_lo
	global_store_byte v20, v15, s[16:17]
	global_store_dwordx2 v[18:19], v[4:5], off
.LBB22_29:                              ;   in Loop: Header=BB22_21 Depth=1
	s_or_b32 exec_lo, exec_lo, s14
	v_cmp_le_u32_e32 vcc_lo, s13, v1
	s_cbranch_vccnz .LBB22_20
; %bb.30:                               ;   in Loop: Header=BB22_21 Depth=1
	ds_write_b32 v2, v16
	s_waitcnt lgkmcnt(0)
	s_waitcnt_vscnt null, 0x0
	s_barrier
	buffer_gl0_inv
	s_and_saveexec_b32 s14, s2
	s_cbranch_execz .LBB22_32
; %bb.31:                               ;   in Loop: Header=BB22_21 Depth=1
	ds_read2_b32 v[18:19], v11 offset1:1
	ds_read2_b32 v[20:21], v11 offset0:2 offset1:3
	ds_read2_b32 v[22:23], v11 offset0:4 offset1:5
	;; [unrolled: 1-line block ×3, first 2 shown]
	v_cmp_ne_u32_e32 vcc_lo, 0, v12
	; wave barrier
	s_waitcnt lgkmcnt(3)
	v_add_nc_u32_e32 v19, v19, v18
	s_waitcnt lgkmcnt(2)
	v_add3_u32 v19, v19, v20, v21
	s_waitcnt lgkmcnt(1)
	v_add3_u32 v19, v19, v22, v23
	s_waitcnt lgkmcnt(0)
	v_add3_u32 v19, v19, v24, v25
	v_mov_b32_dpp v20, v19 row_shr:1 row_mask:0xf bank_mask:0xf
	v_cndmask_b32_e32 v20, 0, v20, vcc_lo
	v_cmp_lt_u32_e32 vcc_lo, 1, v12
	v_add_nc_u32_e32 v19, v20, v19
	v_mov_b32_dpp v20, v19 row_shr:2 row_mask:0xf bank_mask:0xf
	v_cndmask_b32_e32 v20, 0, v20, vcc_lo
	v_cmp_lt_u32_e32 vcc_lo, 3, v12
	v_add_nc_u32_e32 v19, v19, v20
	;; [unrolled: 4-line block ×3, first 2 shown]
	v_mov_b32_dpp v20, v19 row_shr:8 row_mask:0xf bank_mask:0xf
	v_cndmask_b32_e32 v20, 0, v20, vcc_lo
	v_cmp_gt_i32_e32 vcc_lo, 0, v14
	v_add_nc_u32_e32 v19, v19, v20
	v_cndmask_b32_e32 v21, v14, v9, vcc_lo
	ds_swizzle_b32 v20, v19 offset:swizzle(BROADCAST,32,15)
	v_lshlrev_b32_e32 v21, 2, v21
	s_waitcnt lgkmcnt(0)
	v_and_b32_e32 v20, v13, v20
	v_add_nc_u32_e32 v19, v19, v20
	ds_bpermute_b32 v19, v21, v19
	s_waitcnt lgkmcnt(0)
	v_add_nc_u32_e32 v18, v19, v18
	v_cndmask_b32_e64 v24, v18, v16, s1
	ds_write_b32 v11, v24
	; wave barrier
	ds_read2_b32 v[18:19], v11 offset0:1 offset1:2
	ds_read2_b32 v[20:21], v11 offset0:3 offset1:4
	ds_read2_b32 v[22:23], v11 offset0:5 offset1:6
	ds_read_b32 v25, v11 offset:28
	s_waitcnt lgkmcnt(3)
	v_add_nc_u32_e32 v18, v18, v24
	v_add_nc_u32_e32 v19, v19, v18
	s_waitcnt lgkmcnt(2)
	v_add_nc_u32_e32 v20, v20, v19
	v_add_nc_u32_e32 v21, v21, v20
	;; [unrolled: 3-line block ×3, first 2 shown]
	s_waitcnt lgkmcnt(0)
	v_add_nc_u32_e32 v24, v25, v23
	ds_write2_b32 v11, v18, v19 offset0:1 offset1:2
	ds_write2_b32 v11, v20, v21 offset0:3 offset1:4
	;; [unrolled: 1-line block ×3, first 2 shown]
	ds_write_b32 v11, v24 offset:28
.LBB22_32:                              ;   in Loop: Header=BB22_21 Depth=1
	s_or_b32 exec_lo, exec_lo, s14
	v_mov_b32_e32 v19, 0
	s_waitcnt lgkmcnt(0)
	s_barrier
	buffer_gl0_inv
	s_and_saveexec_b32 s14, s0
; %bb.33:                               ;   in Loop: Header=BB22_21 Depth=1
	ds_read_b32 v19, v0
; %bb.34:                               ;   in Loop: Header=BB22_21 Depth=1
	s_or_b32 exec_lo, exec_lo, s14
	ds_read_b32 v18, v5 offset:1048
	s_mov_b32 s14, exec_lo
	s_waitcnt lgkmcnt(0)
	s_barrier
	buffer_gl0_inv
	v_cmpx_ne_u32_e32 0, v16
	s_cbranch_execz .LBB22_19
; %bb.35:                               ;   in Loop: Header=BB22_21 Depth=1
	v_add_nc_u32_e32 v16, v19, v1
	v_cmp_gt_u32_e32 vcc_lo, s13, v16
	s_and_b32 exec_lo, exec_lo, vcc_lo
	s_cbranch_execz .LBB22_19
; %bb.36:                               ;   in Loop: Header=BB22_21 Depth=1
	v_mul_lo_u32 v19, v16, s8
	v_mov_b32_e32 v20, v5
	v_mul_lo_u32 v16, v16, s4
	v_lshlrev_b64 v[19:20], 3, v[19:20]
	v_add_co_u32 v19, vcc_lo, s6, v19
	v_add_co_ci_u32_e64 v20, null, s7, v20, vcc_lo
	global_store_byte v16, v15, s[16:17]
	global_store_dwordx2 v[19:20], v[4:5], off
	s_branch .LBB22_19
	.p2align	6
.LBB22_37:                              ;   in Loop: Header=BB22_38 Depth=1
	s_add_u32 s28, s28, 4
	s_addc_u32 s29, s29, 0
	s_waitcnt lgkmcnt(0)
	s_add_i32 s52, s15, s52
	s_add_u32 s30, s30, 4
	s_addc_u32 s31, s31, 0
	s_add_i32 s14, s14, 1
	s_cmp_lt_u32 s14, s10
	s_cbranch_scc0 .LBB22_16
.LBB22_38:                              ; =>This Inner Loop Header: Depth=1
	s_load_dword s15, s[28:29], 0x0
	s_cmp_ge_u32 s14, s19
	s_cbranch_scc1 .LBB22_37
; %bb.39:                               ;   in Loop: Header=BB22_38 Depth=1
	s_load_dword s42, s[30:31], 0x0
	s_waitcnt lgkmcnt(0)
	s_add_i32 s13, s15, s13
	s_add_i32 s12, s42, s12
	s_branch .LBB22_37
.LBB22_40:
	s_endpgm
	.section	.rodata,"a",@progbits
	.p2align	6, 0x0
	.amdhsa_kernel _ZN2at6native6mbtopk10gatherTopKIajLi3EEEvNS_4cuda6detail10TensorInfoIKT_T0_EES8_S8_bjS8_NS5_IS6_S8_EES8_NS5_IlS8_EES8_jjPS6_PjSD_j
		.amdhsa_group_segment_fixed_size 1068
		.amdhsa_private_segment_fixed_size 0
		.amdhsa_kernarg_size 984
		.amdhsa_user_sgpr_count 6
		.amdhsa_user_sgpr_private_segment_buffer 1
		.amdhsa_user_sgpr_dispatch_ptr 0
		.amdhsa_user_sgpr_queue_ptr 0
		.amdhsa_user_sgpr_kernarg_segment_ptr 1
		.amdhsa_user_sgpr_dispatch_id 0
		.amdhsa_user_sgpr_flat_scratch_init 0
		.amdhsa_user_sgpr_private_segment_size 0
		.amdhsa_wavefront_size32 1
		.amdhsa_uses_dynamic_stack 0
		.amdhsa_system_sgpr_private_segment_wavefront_offset 0
		.amdhsa_system_sgpr_workgroup_id_x 1
		.amdhsa_system_sgpr_workgroup_id_y 1
		.amdhsa_system_sgpr_workgroup_id_z 1
		.amdhsa_system_sgpr_workgroup_info 0
		.amdhsa_system_vgpr_workitem_id 0
		.amdhsa_next_free_vgpr 27
		.amdhsa_next_free_sgpr 56
		.amdhsa_reserve_vcc 1
		.amdhsa_reserve_flat_scratch 0
		.amdhsa_float_round_mode_32 0
		.amdhsa_float_round_mode_16_64 0
		.amdhsa_float_denorm_mode_32 3
		.amdhsa_float_denorm_mode_16_64 3
		.amdhsa_dx10_clamp 1
		.amdhsa_ieee_mode 1
		.amdhsa_fp16_overflow 0
		.amdhsa_workgroup_processor_mode 1
		.amdhsa_memory_ordered 1
		.amdhsa_forward_progress 1
		.amdhsa_shared_vgpr_count 0
		.amdhsa_exception_fp_ieee_invalid_op 0
		.amdhsa_exception_fp_denorm_src 0
		.amdhsa_exception_fp_ieee_div_zero 0
		.amdhsa_exception_fp_ieee_overflow 0
		.amdhsa_exception_fp_ieee_underflow 0
		.amdhsa_exception_fp_ieee_inexact 0
		.amdhsa_exception_int_div_zero 0
	.end_amdhsa_kernel
	.section	.text._ZN2at6native6mbtopk10gatherTopKIajLi3EEEvNS_4cuda6detail10TensorInfoIKT_T0_EES8_S8_bjS8_NS5_IS6_S8_EES8_NS5_IlS8_EES8_jjPS6_PjSD_j,"axG",@progbits,_ZN2at6native6mbtopk10gatherTopKIajLi3EEEvNS_4cuda6detail10TensorInfoIKT_T0_EES8_S8_bjS8_NS5_IS6_S8_EES8_NS5_IlS8_EES8_jjPS6_PjSD_j,comdat
.Lfunc_end22:
	.size	_ZN2at6native6mbtopk10gatherTopKIajLi3EEEvNS_4cuda6detail10TensorInfoIKT_T0_EES8_S8_bjS8_NS5_IS6_S8_EES8_NS5_IlS8_EES8_jjPS6_PjSD_j, .Lfunc_end22-_ZN2at6native6mbtopk10gatherTopKIajLi3EEEvNS_4cuda6detail10TensorInfoIKT_T0_EES8_S8_bjS8_NS5_IS6_S8_EES8_NS5_IlS8_EES8_jjPS6_PjSD_j
                                        ; -- End function
	.set _ZN2at6native6mbtopk10gatherTopKIajLi3EEEvNS_4cuda6detail10TensorInfoIKT_T0_EES8_S8_bjS8_NS5_IS6_S8_EES8_NS5_IlS8_EES8_jjPS6_PjSD_j.num_vgpr, 27
	.set _ZN2at6native6mbtopk10gatherTopKIajLi3EEEvNS_4cuda6detail10TensorInfoIKT_T0_EES8_S8_bjS8_NS5_IS6_S8_EES8_NS5_IlS8_EES8_jjPS6_PjSD_j.num_agpr, 0
	.set _ZN2at6native6mbtopk10gatherTopKIajLi3EEEvNS_4cuda6detail10TensorInfoIKT_T0_EES8_S8_bjS8_NS5_IS6_S8_EES8_NS5_IlS8_EES8_jjPS6_PjSD_j.numbered_sgpr, 56
	.set _ZN2at6native6mbtopk10gatherTopKIajLi3EEEvNS_4cuda6detail10TensorInfoIKT_T0_EES8_S8_bjS8_NS5_IS6_S8_EES8_NS5_IlS8_EES8_jjPS6_PjSD_j.num_named_barrier, 0
	.set _ZN2at6native6mbtopk10gatherTopKIajLi3EEEvNS_4cuda6detail10TensorInfoIKT_T0_EES8_S8_bjS8_NS5_IS6_S8_EES8_NS5_IlS8_EES8_jjPS6_PjSD_j.private_seg_size, 0
	.set _ZN2at6native6mbtopk10gatherTopKIajLi3EEEvNS_4cuda6detail10TensorInfoIKT_T0_EES8_S8_bjS8_NS5_IS6_S8_EES8_NS5_IlS8_EES8_jjPS6_PjSD_j.uses_vcc, 1
	.set _ZN2at6native6mbtopk10gatherTopKIajLi3EEEvNS_4cuda6detail10TensorInfoIKT_T0_EES8_S8_bjS8_NS5_IS6_S8_EES8_NS5_IlS8_EES8_jjPS6_PjSD_j.uses_flat_scratch, 0
	.set _ZN2at6native6mbtopk10gatherTopKIajLi3EEEvNS_4cuda6detail10TensorInfoIKT_T0_EES8_S8_bjS8_NS5_IS6_S8_EES8_NS5_IlS8_EES8_jjPS6_PjSD_j.has_dyn_sized_stack, 0
	.set _ZN2at6native6mbtopk10gatherTopKIajLi3EEEvNS_4cuda6detail10TensorInfoIKT_T0_EES8_S8_bjS8_NS5_IS6_S8_EES8_NS5_IlS8_EES8_jjPS6_PjSD_j.has_recursion, 0
	.set _ZN2at6native6mbtopk10gatherTopKIajLi3EEEvNS_4cuda6detail10TensorInfoIKT_T0_EES8_S8_bjS8_NS5_IS6_S8_EES8_NS5_IlS8_EES8_jjPS6_PjSD_j.has_indirect_call, 0
	.section	.AMDGPU.csdata,"",@progbits
; Kernel info:
; codeLenInByte = 2832
; TotalNumSgprs: 58
; NumVgprs: 27
; ScratchSize: 0
; MemoryBound: 0
; FloatMode: 240
; IeeeMode: 1
; LDSByteSize: 1068 bytes/workgroup (compile time only)
; SGPRBlocks: 0
; VGPRBlocks: 3
; NumSGPRsForWavesPerEU: 58
; NumVGPRsForWavesPerEU: 27
; Occupancy: 16
; WaveLimiterHint : 1
; COMPUTE_PGM_RSRC2:SCRATCH_EN: 0
; COMPUTE_PGM_RSRC2:USER_SGPR: 6
; COMPUTE_PGM_RSRC2:TRAP_HANDLER: 0
; COMPUTE_PGM_RSRC2:TGID_X_EN: 1
; COMPUTE_PGM_RSRC2:TGID_Y_EN: 1
; COMPUTE_PGM_RSRC2:TGID_Z_EN: 1
; COMPUTE_PGM_RSRC2:TIDIG_COMP_CNT: 0
	.section	.text._ZN2at6native6sbtopk10gatherTopKIajLi3ELb0EEEvNS_4cuda6detail10TensorInfoIKT_T0_EES8_S8_bS8_S8_NS5_IS6_S8_EES8_NS5_IlS8_EES8_PS6_,"axG",@progbits,_ZN2at6native6sbtopk10gatherTopKIajLi3ELb0EEEvNS_4cuda6detail10TensorInfoIKT_T0_EES8_S8_bS8_S8_NS5_IS6_S8_EES8_NS5_IlS8_EES8_PS6_,comdat
	.protected	_ZN2at6native6sbtopk10gatherTopKIajLi3ELb0EEEvNS_4cuda6detail10TensorInfoIKT_T0_EES8_S8_bS8_S8_NS5_IS6_S8_EES8_NS5_IlS8_EES8_PS6_ ; -- Begin function _ZN2at6native6sbtopk10gatherTopKIajLi3ELb0EEEvNS_4cuda6detail10TensorInfoIKT_T0_EES8_S8_bS8_S8_NS5_IS6_S8_EES8_NS5_IlS8_EES8_PS6_
	.globl	_ZN2at6native6sbtopk10gatherTopKIajLi3ELb0EEEvNS_4cuda6detail10TensorInfoIKT_T0_EES8_S8_bS8_S8_NS5_IS6_S8_EES8_NS5_IlS8_EES8_PS6_
	.p2align	8
	.type	_ZN2at6native6sbtopk10gatherTopKIajLi3ELb0EEEvNS_4cuda6detail10TensorInfoIKT_T0_EES8_S8_bS8_S8_NS5_IS6_S8_EES8_NS5_IlS8_EES8_PS6_,@function
_ZN2at6native6sbtopk10gatherTopKIajLi3ELb0EEEvNS_4cuda6detail10TensorInfoIKT_T0_EES8_S8_bS8_S8_NS5_IS6_S8_EES8_NS5_IlS8_EES8_PS6_: ; @_ZN2at6native6sbtopk10gatherTopKIajLi3ELb0EEEvNS_4cuda6detail10TensorInfoIKT_T0_EES8_S8_bS8_S8_NS5_IS6_S8_EES8_NS5_IlS8_EES8_PS6_
; %bb.0:
	s_clause 0x1
	s_load_dwordx2 s[12:13], s[4:5], 0x2b8
	s_load_dwordx4 s[36:39], s[4:5], 0xd8
	s_add_u32 s10, s4, 0x2b8
	s_addc_u32 s11, s5, 0
	s_waitcnt lgkmcnt(0)
	s_mul_i32 s0, s13, s8
	s_add_i32 s0, s0, s7
	s_mul_i32 s60, s0, s12
	s_add_i32 s60, s60, s6
	s_cmp_ge_u32 s60, s39
	s_cbranch_scc1 .LBB23_410
; %bb.1:
	s_clause 0x6
	s_load_dwordx2 s[14:15], s[4:5], 0xc
	s_load_dwordx2 s[58:59], s[4:5], 0xfc
	;; [unrolled: 1-line block ×4, first 2 shown]
	s_load_dwordx4 s[40:43], s[4:5], 0x23c
	s_load_dwordx2 s[0:1], s[4:5], 0x1d0
	; meta instruction
	s_load_dwordx2 s[54:55], s[4:5], 0xf0
	s_mov_b32 s64, 0
	s_waitcnt lgkmcnt(0)
	v_cvt_f32_u32_e32 v1, s15
	v_cvt_f32_u32_e32 v3, s59
	;; [unrolled: 1-line block ×3, first 2 shown]
	v_writelane_b32 v69, s0, 0
	v_cvt_f32_u32_e32 v5, s57
	v_rcp_iflag_f32_e32 v1, v1
	v_rcp_iflag_f32_e32 v3, v3
	;; [unrolled: 1-line block ×3, first 2 shown]
	v_writelane_b32 v69, s1, 1
	s_clause 0x1
	s_load_dword s50, s[4:5], 0xe8
	s_load_dwordx4 s[0:3], s[4:5], 0x6c
	s_waitcnt lgkmcnt(0)
	s_sub_i32 s3, 0, s15
	v_rcp_iflag_f32_e32 v5, v5
	v_cvt_f32_u32_e32 v4, s58
	v_cvt_f32_u32_e32 v6, s56
	v_mul_f32_e32 v1, 0x4f7ffffe, v1
	v_mul_f32_e32 v3, 0x4f7ffffe, v3
	;; [unrolled: 1-line block ×3, first 2 shown]
	v_rcp_iflag_f32_e32 v4, v4
	v_cvt_u32_f32_e32 v1, v1
	v_cvt_u32_f32_e32 v3, v3
	;; [unrolled: 1-line block ×3, first 2 shown]
	v_mul_f32_e32 v5, 0x4f7ffffe, v5
	v_readfirstlane_b32 s7, v1
	v_readfirstlane_b32 s17, v3
	v_rcp_iflag_f32_e32 v1, v6
	v_mul_f32_e32 v4, 0x4f7ffffe, v4
	s_mul_i32 s3, s3, s7
	s_mul_hi_u32 s3, s7, s3
	v_cvt_u32_f32_e32 v3, v4
	s_add_i32 s7, s7, s3
	s_mul_hi_u32 s3, s60, s7
	v_mul_f32_e32 v1, 0x4f7ffffe, v1
	s_mul_i32 s7, s3, s15
	s_add_i32 s13, s3, 1
	s_sub_i32 s7, s60, s7
	v_cvt_u32_f32_e32 v1, v1
	s_sub_i32 s16, s7, s15
	s_cmp_ge_u32 s7, s15
	s_cselect_b32 s3, s13, s3
	s_cselect_b32 s7, s16, s7
	s_add_i32 s13, s3, 1
	s_cmp_ge_u32 s7, s15
	v_readfirstlane_b32 s20, v1
	s_cselect_b32 s7, s13, s3
	s_sub_i32 s3, 0, s59
	v_readfirstlane_b32 s13, v2
	s_mul_i32 s3, s3, s17
	s_sub_i32 s16, 0, s14
	s_mul_hi_u32 s3, s17, s3
	v_cvt_u32_f32_e32 v2, v5
	s_add_i32 s17, s17, s3
	s_mul_i32 s16, s16, s13
	s_mul_hi_u32 s3, s60, s17
	s_mul_hi_u32 s16, s13, s16
	s_mul_i32 s17, s3, s59
	s_add_i32 s13, s13, s16
	s_sub_i32 s16, s60, s17
	s_add_i32 s17, s3, 1
	s_sub_i32 s18, s16, s59
	s_cmp_ge_u32 s16, s59
	v_readfirstlane_b32 s19, v2
	s_cselect_b32 s3, s17, s3
	s_cselect_b32 s16, s18, s16
	s_add_i32 s17, s3, 1
	s_cmp_ge_u32 s16, s59
	v_readfirstlane_b32 s16, v3
	s_cselect_b32 s61, s17, s3
	s_sub_i32 s3, 0, s57
	s_sub_i32 s17, 0, s58
	s_mul_i32 s3, s3, s19
	s_mul_i32 s17, s17, s16
	s_mul_hi_u32 s3, s19, s3
	s_mul_hi_u32 s17, s16, s17
	s_add_i32 s19, s19, s3
	s_add_i32 s16, s16, s17
	s_mul_hi_u32 s3, s60, s19
	s_mul_hi_u32 s13, s7, s13
	s_mul_i32 s18, s3, s57
	s_mul_hi_u32 s63, s61, s16
	s_sub_i32 s17, s60, s18
	s_add_i32 s18, s3, 1
	s_sub_i32 s19, s17, s57
	s_cmp_ge_u32 s17, s57
	s_cselect_b32 s3, s18, s3
	s_cselect_b32 s17, s19, s17
	s_add_i32 s18, s3, 1
	s_cmp_ge_u32 s17, s57
	s_cselect_b32 s47, s18, s3
	s_sub_i32 s3, 0, s56
	s_mul_i32 s3, s3, s20
	s_mul_hi_u32 s17, s20, s3
	v_cmp_eq_u32_e64 s3, 0, v0
	s_add_i32 s20, s20, s17
	s_mul_hi_u32 s62, s47, s20
	s_and_saveexec_b32 s16, s3
	s_cbranch_execz .LBB23_3
; %bb.2:
	v_mov_b32_e32 v1, 0
	v_mov_b32_e32 v2, s36
	;; [unrolled: 1-line block ×3, first 2 shown]
	ds_write_b96 v1, v[1:3] offset:4096
.LBB23_3:
	s_or_b32 exec_lo, exec_lo, s16
	s_mul_i32 s16, s13, s14
	s_mul_i32 s15, s7, s15
	s_sub_i32 s16, s7, s16
	s_sub_i32 s15, s60, s15
	s_add_i32 s17, s13, 1
	s_sub_i32 s18, s16, s14
	s_cmp_ge_u32 s16, s14
	s_waitcnt lgkmcnt(0)
	s_cselect_b32 s13, s17, s13
	s_cselect_b32 s16, s18, s16
	s_barrier
	buffer_gl0_inv
	s_load_dword s18, s[10:11], 0xc
	s_add_i32 s17, s13, 1
	s_cmp_ge_u32 s16, s14
	s_mul_i32 s15, s15, s2
	s_cselect_b32 s13, s17, s13
	v_mbcnt_lo_u32_b32 v16, -1, 0
	s_mul_i32 s14, s13, s14
	s_mul_i32 s13, s13, s0
	s_sub_i32 s7, s7, s14
	v_cmp_gt_u32_e32 vcc_lo, 32, v0
	s_mul_i32 s1, s7, s1
	v_lshlrev_b64 v[1:2], v16, -1
	s_add_i32 s0, s1, s15
	v_lshrrev_b32_e32 v3, 1, v0
	s_add_i32 s0, s0, s13
	v_lshlrev_b32_e32 v17, 2, v0
	s_add_u32 s48, s8, s0
	s_addc_u32 s49, s9, 0
	s_bitcmp1_b32 s38, 0
	v_cmp_gt_i32_e64 s0, 4, v16
	s_cselect_b32 s2, -1, 0
	s_waitcnt lgkmcnt(0)
	s_and_b32 s35, s18, 0xffff
	v_not_b32_e32 v15, v1
	s_lshl_b32 s66, s35, 2
	s_bfe_u32 s1, s35, 0x80008
	v_cvt_f32_u32_e32 v2, s66
	s_xor_b32 s65, s2, -1
	s_lshl_b32 s67, s1, 3
	s_bfe_u32 s7, s18, 0xb0005
	s_and_b32 s68, vcc_lo, s0
	v_rcp_iflag_f32_e32 v1, v2
	s_cmpk_gt_u32 s36, 0xc00
	v_cvt_f32_u32_e32 v5, s35
	s_cselect_b32 s69, -1, 0
	s_cmp_gt_u32 s35, 31
	v_add_nc_u32_e32 v2, 2, v0
	s_cselect_b32 s70, -1, 0
	s_add_i32 s71, s35, -1
	v_rcp_iflag_f32_e32 v5, v5
	s_add_i32 s13, s71, s36
	s_cmp_lt_u32 s6, s12
	v_mul_f32_e32 v1, 0x4f7ffffe, v1
	s_cselect_b32 s8, 12, 18
	s_movk_i32 s6, 0x1f0
	s_add_u32 s38, s10, s8
	s_addc_u32 s39, s11, 0
	s_add_i32 s7, s7, -1
	v_cvt_u32_f32_e32 v1, v1
	s_and_b32 s7, s7, 0xffff
	s_bfe_u32 s72, s35, 0x30005
	s_cmp_gt_u32 s7, 6
	v_and_or_b32 v20, v3, s6, 0xc00
	v_readfirstlane_b32 s7, v1
	s_cselect_b32 s73, -1, 0
	s_cmp_lg_u32 s72, 0
	v_mul_f32_e32 v3, 0x4f7ffffe, v5
	s_cselect_b32 s74, -1, 0
	s_sub_i32 s8, 0, s66
	v_max_u32_e32 v2, s36, v2
	s_mul_i32 s8, s8, s7
	v_cvt_u32_f32_e32 v3, v3
	s_mul_hi_u32 s6, s7, s8
	v_mul_lo_u32 v18, s50, v0
	s_add_i32 s75, s7, s6
	v_xad_u32 v2, v0, -1, v2
	s_mul_hi_u32 s6, s36, s75
	v_readfirstlane_b32 s9, v3
	s_mul_i32 s6, s6, s66
	s_mov_b32 s51, s50
	s_sub_i32 s6, s36, s6
	v_add_nc_u32_e32 v4, -4, v2
	s_sub_i32 s8, s6, s66
	s_cmp_ge_u32 s6, s66
	v_and_b32_e32 v21, -4, v2
	s_cselect_b32 s6, s8, s6
	v_lshrrev_b32_e32 v1, 2, v4
	s_sub_i32 s8, s6, s66
	s_cmp_ge_u32 s6, s66
	v_cmp_lt_u32_e64 s7, 31, v2
	s_cselect_b32 s6, s8, s6
	s_sub_i32 s8, 0, s35
	s_sub_i32 s79, s36, s6
	s_mul_i32 s8, s8, s9
	v_add_nc_u32_e32 v1, 1, v1
	s_mul_hi_u32 s10, s9, s8
	v_add_nc_u32_e32 v24, s79, v0
	s_add_i32 s78, s9, s10
	v_mad_u64_u32 v[13:14], null, s50, v17, s[50:51]
	s_mul_hi_u32 s10, s13, s78
	v_and_b32_e32 v3, 3, v1
	s_mul_i32 s10, s10, s35
	v_and_b32_e32 v23, 0x7ffffffc, v1
	s_sub_i32 s11, s13, s10
	v_mul_lo_u32 v1, v24, s50
	s_sub_i32 s12, s11, s35
	s_cmp_ge_u32 s11, s35
	v_cmp_ne_u32_e64 s9, 0, v3
	s_cselect_b32 s12, s12, s11
	v_cmp_ne_u32_e64 s10, v2, v21
	s_sub_i32 s14, s12, s35
	s_cmp_ge_u32 s12, s35
	v_lshlrev_b32_e32 v25, 2, v3
	s_cselect_b32 s14, s14, s12
	v_or_b32_e32 v2, 2, v17
	s_sub_i32 s80, s13, s14
	v_add_co_u32 v11, s13, s48, v1
	v_add3_u32 v1, s35, s36, v0
	v_or_b32_e32 v3, 3, v17
	v_mul_lo_u32 v26, s50, v2
	v_add_co_u32 v9, s1, s48, v18
	v_subrev_nc_u32_e32 v1, s6, v1
	v_mul_lo_u32 v27, s50, v3
	v_cmp_eq_u32_e64 s0, 0, v16
	v_mov_b32_e32 v19, 0
	v_add_co_ci_u32_e64 v10, null, s49, 0, s1
	v_mul_lo_u32 v29, s50, v1
	v_cmp_gt_u32_e64 s1, s36, v0
	v_cmp_gt_u32_e64 s15, 2, v0
	v_add_nc_u32_e32 v22, v0, v21
	v_cmp_lt_u32_e64 s8, 11, v4
	v_cmp_gt_u32_e64 s11, s79, v17
	v_cmp_gt_u32_e64 s12, s36, v24
	v_add_co_ci_u32_e64 v12, null, s49, 0, s13
	v_cmp_gt_u32_e64 s13, s80, v0
	v_lshlrev_b32_e32 v28, 2, v18
	v_lshl_or_b32 v30, v16, 2, 0xc00
	v_mov_b32_e32 v35, s37
	v_mov_b32_e32 v31, 0x80
	;; [unrolled: 1-line block ×6, first 2 shown]
	s_mul_i32 s43, s50, s35
	s_mov_b32 s76, s50
	s_mov_b32 s77, s50
	;; [unrolled: 1-line block ×3, first 2 shown]
	s_lshl_b32 s82, s43, 2
	s_mov_b32 s83, 0
                                        ; implicit-def: $sgpr81
                                        ; implicit-def: $sgpr86
                                        ; implicit-def: $sgpr85
                                        ; implicit-def: $sgpr88
                                        ; implicit-def: $sgpr84
                                        ; implicit-def: $sgpr92
                                        ; implicit-def: $sgpr93
                                        ; implicit-def: $sgpr89
                                        ; implicit-def: $sgpr91
                                        ; implicit-def: $sgpr90
	s_branch .LBB23_6
.LBB23_4:                               ;   in Loop: Header=BB23_6 Depth=1
	s_or_b32 exec_lo, exec_lo, s17
	v_mov_b32_e32 v35, v4
	s_andn2_b32 s17, s90, exec_lo
	s_and_b32 s16, s16, exec_lo
	s_andn2_b32 s91, s91, exec_lo
	s_or_b32 s90, s17, s16
	s_andn2_b32 s89, s89, exec_lo
	s_andn2_b32 s93, s93, exec_lo
	;; [unrolled: 1-line block ×3, first 2 shown]
	s_orn2_b32 s17, s14, exec_lo
.LBB23_5:                               ;   in Loop: Header=BB23_6 Depth=1
	s_or_b32 exec_lo, exec_lo, s6
	s_and_b32 s6, exec_lo, s17
	s_or_b32 s64, s6, s64
	s_andn2_b32 s6, s84, exec_lo
	s_and_b32 s14, s90, exec_lo
	s_andn2_b32 s16, s88, exec_lo
	s_or_b32 s84, s6, s14
	s_and_b32 s6, s91, exec_lo
	s_andn2_b32 s14, s85, exec_lo
	s_and_b32 s17, s89, exec_lo
	s_or_b32 s88, s16, s6
	s_or_b32 s85, s14, s17
	s_andn2_b32 s6, s86, exec_lo
	s_and_b32 s14, s93, exec_lo
	s_andn2_b32 s16, s81, exec_lo
	s_and_b32 s17, s92, exec_lo
	s_or_b32 s86, s6, s14
	s_or_b32 s81, s16, s17
	s_andn2_b32 exec_lo, exec_lo, s64
	s_cbranch_execz .LBB23_406
.LBB23_6:                               ; =>This Loop Header: Depth=1
                                        ;     Child Loop BB23_11 Depth 2
                                        ;     Child Loop BB23_32 Depth 2
	;; [unrolled: 1-line block ×26, first 2 shown]
	ds_read_b64 v[1:2], v19 offset:4096
	s_waitcnt lgkmcnt(0)
	v_readfirstlane_b32 s94, v1
	s_cmp_lg_u32 s94, 0
	s_cbranch_scc1 .LBB23_51
; %bb.7:                                ;   in Loop: Header=BB23_6 Depth=1
	s_and_b32 vcc_lo, exec_lo, s69
	s_cbranch_vccz .LBB23_19
; %bb.8:                                ;   in Loop: Header=BB23_6 Depth=1
	v_cmp_gt_u32_e32 vcc_lo, 0xc01, v2
	s_mov_b32 s16, 0
	s_mov_b32 s6, 0
	s_cbranch_vccz .LBB23_20
; %bb.9:                                ;   in Loop: Header=BB23_6 Depth=1
	global_load_ushort v1, v19, s[38:39]
	global_load_ubyte v4, v[9:10], off
	v_mov_b32_e32 v5, v0
	s_mov_b32 s17, 0
	s_waitcnt vmcnt(1)
	v_add_nc_u32_e32 v2, v0, v1
	v_mul_lo_u32 v3, s50, v1
	v_mul_lo_u32 v2, s50, v2
	s_branch .LBB23_11
.LBB23_10:                              ;   in Loop: Header=BB23_11 Depth=2
	s_or_b32 exec_lo, exec_lo, s14
	v_add_nc_u32_e32 v2, v2, v3
	v_mov_b32_e32 v4, v6
	s_andn2_b32 exec_lo, exec_lo, s17
	s_cbranch_execz .LBB23_26
.LBB23_11:                              ;   Parent Loop BB23_6 Depth=1
                                        ; =>  This Inner Loop Header: Depth=2
	v_add_nc_u32_e32 v5, v5, v1
	s_waitcnt lgkmcnt(0)
	v_mov_b32_e32 v7, 0
	v_mov_b32_e32 v6, 0
	s_mov_b32 s14, exec_lo
	v_cmp_le_u32_e32 vcc_lo, s36, v5
	v_cmpx_gt_u32_e64 s36, v5
	s_cbranch_execz .LBB23_13
; %bb.12:                               ;   in Loop: Header=BB23_11 Depth=2
	global_load_ubyte v6, v2, s[48:49]
.LBB23_13:                              ;   in Loop: Header=BB23_11 Depth=2
	s_or_b32 exec_lo, exec_lo, s14
	s_waitcnt vmcnt(0)
	v_add_nc_u32_sdwa v8, sext(v4), v31 dst_sel:DWORD dst_unused:UNUSED_PAD src0_sel:BYTE_0 src1_sel:DWORD
	v_and_b32_e32 v8, v8, v33
	v_cmp_eq_u32_e64 s6, v8, v14
	s_cmp_lg_u32 s6, 0
	s_cselect_b32 s14, -1, 0
	s_and_b32 s14, s0, s14
	s_and_saveexec_b32 s18, s14
	s_cbranch_execz .LBB23_17
; %bb.14:                               ;   in Loop: Header=BB23_11 Depth=2
	s_mov_b32 s21, exec_lo
	s_bcnt1_i32_b32 s19, s6
	v_mbcnt_lo_u32_b32 v7, s21, 0
	s_mov_b32 s20, exec_lo
                                        ; implicit-def: $vgpr8
	v_cmpx_eq_u32_e32 0, v7
; %bb.15:                               ;   in Loop: Header=BB23_11 Depth=2
	s_bcnt1_i32_b32 s14, s21
	s_mul_i32 s14, s19, s14
	v_mov_b32_e32 v8, s14
	ds_add_rtn_u32 v8, v19, v8 offset:4104
; %bb.16:                               ;   in Loop: Header=BB23_11 Depth=2
	s_or_b32 exec_lo, exec_lo, s20
	s_waitcnt lgkmcnt(0)
	v_readfirstlane_b32 s14, v8
	v_mad_u32_u24 v7, s19, v7, s14
.LBB23_17:                              ;   in Loop: Header=BB23_11 Depth=2
	s_or_b32 exec_lo, exec_lo, s18
	ds_bpermute_b32 v7, v19, v7
	s_and_b32 s14, exec_lo, vcc_lo
	s_or_b32 s17, s14, s17
	s_and_saveexec_b32 s14, s6
	s_cbranch_execz .LBB23_10
; %bb.18:                               ;   in Loop: Header=BB23_11 Depth=2
	v_and_b32_e32 v8, s6, v15
	s_waitcnt lgkmcnt(0)
	v_bcnt_u32_b32 v7, v8, v7
	ds_write_b8 v7, v4
	s_branch .LBB23_10
.LBB23_19:                              ;   in Loop: Header=BB23_6 Depth=1
	s_mov_b32 s16, -1
	s_mov_b32 s6, 0
.LBB23_20:                              ;   in Loop: Header=BB23_6 Depth=1
	s_and_b32 vcc_lo, exec_lo, s16
	s_cbranch_vccz .LBB23_49
.LBB23_21:                              ;   in Loop: Header=BB23_6 Depth=1
	s_and_saveexec_b32 s14, s1
	s_cbranch_execz .LBB23_46
; %bb.22:                               ;   in Loop: Header=BB23_6 Depth=1
	global_load_ushort v2, v19, s[38:39]
	global_load_ubyte v36, v[9:10], off
	s_mov_b32 s16, exec_lo
	s_waitcnt vmcnt(1)
	v_add_nc_u32_e32 v1, v0, v2
	v_readfirstlane_b32 s17, v2
	v_mov_b32_e32 v2, v0
	v_cmpx_gt_u32_e64 s36, v1
	s_cbranch_execz .LBB23_45
; %bb.23:                               ;   in Loop: Header=BB23_6 Depth=1
	s_mov_b32 s6, 0
	s_mul_i32 s18, s50, s17
                                        ; implicit-def: $vgpr2
                                        ; implicit-def: $vgpr5
                                        ; implicit-def: $vgpr3
                                        ; implicit-def: $vgpr4
	s_and_saveexec_b32 s19, s7
	s_xor_b32 s19, exec_lo, s19
	s_cbranch_execnz .LBB23_29
; %bb.24:                               ;   in Loop: Header=BB23_6 Depth=1
	s_andn2_saveexec_b32 s19, s19
	s_cbranch_execnz .LBB23_40
.LBB23_25:                              ;   in Loop: Header=BB23_6 Depth=1
	s_or_b32 exec_lo, exec_lo, s19
	s_and_saveexec_b32 s18, s6
	s_cbranch_execnz .LBB23_41
	s_branch .LBB23_44
.LBB23_26:                              ;   in Loop: Header=BB23_6 Depth=1
	s_or_b32 exec_lo, exec_lo, s17
	s_waitcnt lgkmcnt(0)
	s_barrier
	buffer_gl0_inv
	s_and_saveexec_b32 s6, s3
	s_cbranch_execz .LBB23_28
; %bb.27:                               ;   in Loop: Header=BB23_6 Depth=1
	ds_read_b32 v1, v19 offset:4104
	s_waitcnt lgkmcnt(0)
	ds_write_b32 v19, v1 offset:4096
.LBB23_28:                              ;   in Loop: Header=BB23_6 Depth=1
	s_or_b32 exec_lo, exec_lo, s6
	s_waitcnt lgkmcnt(0)
	s_mov_b32 s6, -1
	s_barrier
	s_and_b32 vcc_lo, exec_lo, s16
	s_cbranch_vccnz .LBB23_21
	s_branch .LBB23_49
.LBB23_29:                              ;   in Loop: Header=BB23_6 Depth=1
	v_cvt_f32_u32_e32 v2, s17
	v_add_nc_u32_e32 v3, s17, v1
	s_sub_i32 s6, 0, s17
	s_not_b32 s20, s18
	v_rcp_iflag_f32_e32 v2, v2
	v_max_u32_e32 v3, s36, v3
	v_sub_nc_u32_e32 v3, v3, v0
	v_mul_f32_e32 v2, 0x4f7ffffe, v2
	v_cvt_u32_f32_e32 v2, v2
	v_mul_lo_u32 v4, s6, v2
	s_lshl_b32 s6, s17, 1
	v_cmp_ne_u32_e32 vcc_lo, s6, v3
	v_cndmask_b32_e64 v5, 0, 1, vcc_lo
	v_mul_hi_u32 v4, v2, v4
	v_or_b32_e32 v5, s6, v5
	v_add_nc_u32_e32 v2, v2, v4
	v_sub_nc_u32_e32 v3, v3, v5
	v_mul_hi_u32 v2, v3, v2
	v_mul_lo_u32 v4, v2, s17
	v_sub_nc_u32_e32 v3, v3, v4
	v_add_nc_u32_e32 v4, 1, v2
	v_subrev_nc_u32_e32 v5, s17, v3
	v_cmp_le_u32_e64 s6, s17, v3
	v_cndmask_b32_e64 v2, v2, v4, s6
	v_cndmask_b32_e64 v3, v3, v5, s6
	v_add_nc_u32_e32 v4, 1, v2
	v_cmp_le_u32_e64 s6, s17, v3
	v_mul_lo_u32 v3, s50, v1
	v_cndmask_b32_e64 v2, v2, v4, s6
	s_abs_i32 s6, s18
	v_add_co_ci_u32_e64 v2, null, 0, v2, vcc_lo
	v_mul_hi_u32 v4, s6, v2
	v_mul_lo_u32 v2, s6, v2
	s_ashr_i32 s6, s20, 31
	s_cmp_eq_u32 s17, 1
	v_xor_b32_e32 v3, s6, v3
	s_cselect_b32 s20, -1, 0
	v_cmp_eq_u32_e32 vcc_lo, 0, v4
	v_cmp_le_u32_e64 s6, v2, v3
	v_mov_b32_e32 v3, v0
                                        ; implicit-def: $vgpr2
	s_and_b32 s20, vcc_lo, s20
	s_and_b32 s21, s20, s6
	s_mov_b32 s20, -1
	s_and_saveexec_b32 s6, s21
	s_cbranch_execz .LBB23_39
; %bb.30:                               ;   in Loop: Header=BB23_6 Depth=1
	v_add_nc_u32_e32 v4, 3, v1
	v_add_nc_u32_e32 v3, 2, v1
	;; [unrolled: 1-line block ×3, first 2 shown]
	s_waitcnt vmcnt(0)
	v_lshlrev_b32_e32 v37, 24, v36
	v_mov_b32_e32 v39, 0
	v_mov_b32_e32 v8, v4
	;; [unrolled: 1-line block ×5, first 2 shown]
                                        ; implicit-def: $vgpr36
	s_and_saveexec_b32 s20, s8
	s_cbranch_execz .LBB23_34
; %bb.31:                               ;   in Loop: Header=BB23_6 Depth=1
	v_mov_b32_e32 v8, v4
	v_mov_b32_e32 v38, v23
	;; [unrolled: 1-line block ×5, first 2 shown]
	s_mov_b32 s21, 0
	s_mov_b32 s22, 0
.LBB23_32:                              ;   Parent Loop BB23_6 Depth=1
                                        ; =>  This Inner Loop Header: Depth=2
	v_add_nc_u32_e32 v39, 4, v5
	v_add_nc_u32_e32 v40, 4, v6
	;; [unrolled: 1-line block ×3, first 2 shown]
	v_mul_lo_u32 v4, v7, s76
	v_add_nc_u32_e32 v42, 4, v8
	v_add_nc_u32_e32 v43, 8, v5
	;; [unrolled: 1-line block ×9, first 2 shown]
	v_mul_lo_u32 v3, v8, s77
	v_mul_lo_u32 v36, v6, s51
	;; [unrolled: 1-line block ×15, first 2 shown]
	v_add_co_u32 v41, s25, s48, v4
	v_add_co_u32 v43, s26, s48, v3
	;; [unrolled: 1-line block ×4, first 2 shown]
	v_add_co_ci_u32_e64 v42, null, s49, 0, s25
	v_add_co_ci_u32_e64 v44, null, s49, 0, s26
	;; [unrolled: 1-line block ×4, first 2 shown]
	v_add_co_u32 v45, s23, s48, v54
	v_add_co_u32 v47, s24, s48, v53
	;; [unrolled: 1-line block ×12, first 2 shown]
	v_add_co_ci_u32_e64 v46, null, s49, 0, s23
	v_add_co_ci_u32_e64 v48, null, s49, 0, s24
	;; [unrolled: 1-line block ×12, first 2 shown]
	s_clause 0xf
	global_load_ubyte v4, v[41:42], off
	global_load_ubyte v41, v[43:44], off
	;; [unrolled: 1-line block ×16, first 2 shown]
	v_add_nc_u32_e32 v38, -4, v38
	v_add_nc_u32_e32 v52, s22, v0
	s_add_i32 s22, s22, 16
	v_add_nc_u32_e32 v8, 16, v8
	v_add_nc_u32_e32 v7, 16, v7
	v_cmp_eq_u32_e32 vcc_lo, 0, v38
	v_add_nc_u32_e32 v6, 16, v6
	v_add_nc_u32_e32 v5, 16, v5
	v_mov_b32_e32 v39, s22
	s_or_b32 s21, vcc_lo, s21
	s_waitcnt vmcnt(13)
	v_perm_b32 v4, v40, v4, 0xc0c0004
	s_waitcnt vmcnt(12)
	v_perm_b32 v2, v37, v2, 0xc0c0007
	;; [unrolled: 2-line block ×5, first 2 shown]
	v_lshl_or_b32 v40, v4, 16, v2
	s_waitcnt vmcnt(5)
	v_perm_b32 v43, v47, v46, 0xc0c0004
	s_waitcnt vmcnt(3)
	v_perm_b32 v44, v49, v48, 0xc0c0004
	s_waitcnt vmcnt(2)
	v_perm_b32 v45, v50, v49, 0xc0c0004
	s_waitcnt vmcnt(1)
	v_perm_b32 v46, v48, v51, 0xc0c0004
	s_waitcnt vmcnt(0)
	v_perm_b32 v47, v51, v36, 0xc0c0004
	v_lshl_or_b32 v41, v37, 16, v3
	v_lshl_or_b32 v42, v43, 16, v42
	;; [unrolled: 1-line block ×4, first 2 shown]
	ds_write_b128 v52, v[40:43]
	s_andn2_b32 exec_lo, exec_lo, s21
	s_cbranch_execnz .LBB23_32
; %bb.33:                               ;   in Loop: Header=BB23_6 Depth=1
	s_or_b32 exec_lo, exec_lo, s21
.LBB23_34:                              ;   in Loop: Header=BB23_6 Depth=1
	s_or_b32 exec_lo, exec_lo, s20
	s_and_saveexec_b32 s20, s9
	s_cbranch_execz .LBB23_38
; %bb.35:                               ;   in Loop: Header=BB23_6 Depth=1
	v_add_nc_u32_e32 v2, v0, v39
	v_mov_b32_e32 v3, v25
	s_mov_b32 s21, 0
.LBB23_36:                              ;   Parent Loop BB23_6 Depth=1
                                        ; =>  This Inner Loop Header: Depth=2
	v_mul_lo_u32 v4, v5, s50
	v_mul_lo_u32 v36, v6, s51
	;; [unrolled: 1-line block ×4, first 2 shown]
	v_add_nc_u32_e32 v3, -4, v3
	v_add_nc_u32_e32 v8, 4, v8
	v_add_nc_u32_e32 v7, 4, v7
	;; [unrolled: 1-line block ×3, first 2 shown]
	v_add_co_u32 v38, s22, s48, v4
	v_add_co_ci_u32_e64 v39, null, s49, 0, s22
	v_add_co_u32 v40, s22, s48, v36
	v_add_co_ci_u32_e64 v41, null, s49, 0, s22
	v_add_co_u32 v42, s22, s48, v42
	v_add_co_ci_u32_e64 v43, null, s49, 0, s22
	v_add_co_u32 v44, s22, s48, v44
	v_add_co_ci_u32_e64 v45, null, s49, 0, s22
	s_clause 0x3
	global_load_ubyte v4, v[40:41], off
	global_load_ubyte v40, v[42:43], off
	;; [unrolled: 1-line block ×4, first 2 shown]
	v_cmp_eq_u32_e32 vcc_lo, 0, v3
	v_add_nc_u32_e32 v5, 4, v5
	s_or_b32 s21, vcc_lo, s21
	s_waitcnt vmcnt(2)
	v_perm_b32 v39, v4, v40, 0xc0c0004
	s_waitcnt vmcnt(1)
	v_perm_b32 v37, v37, v38, 0xc0c0007
	v_perm_b32 v4, v38, v4, 0xc0c0004
	s_waitcnt vmcnt(0)
	v_perm_b32 v38, v40, v36, 0xc0c0004
	v_lshl_or_b32 v37, v39, 16, v37
	v_lshl_or_b32 v4, v38, 16, v4
	ds_write_b32 v2, v37
	v_add_nc_u32_e32 v2, 4, v2
	v_mov_b32_e32 v37, v4
	s_andn2_b32 exec_lo, exec_lo, s21
	s_cbranch_execnz .LBB23_36
; %bb.37:                               ;   in Loop: Header=BB23_6 Depth=1
	s_or_b32 exec_lo, exec_lo, s21
.LBB23_38:                              ;   in Loop: Header=BB23_6 Depth=1
	s_or_b32 exec_lo, exec_lo, s20
	v_add_nc_u32_e32 v1, v1, v21
	v_mov_b32_e32 v3, v22
	s_orn2_b32 s20, s10, exec_lo
	v_add_nc_u32_e32 v2, -1, v1
.LBB23_39:                              ;   in Loop: Header=BB23_6 Depth=1
	s_or_b32 exec_lo, exec_lo, s6
	v_mov_b32_e32 v4, s18
	s_waitcnt vmcnt(0)
	v_mov_b32_e32 v5, v36
	s_and_b32 s6, s20, exec_lo
	s_andn2_saveexec_b32 s19, s19
	s_cbranch_execz .LBB23_25
.LBB23_40:                              ;   in Loop: Header=BB23_6 Depth=1
	v_mov_b32_e32 v4, s18
	s_waitcnt vmcnt(0)
	v_mov_b32_e32 v5, v36
	v_mov_b32_e32 v3, v0
	s_or_b32 s6, s6, exec_lo
	s_or_b32 exec_lo, exec_lo, s19
	s_and_saveexec_b32 s18, s6
	s_cbranch_execz .LBB23_44
.LBB23_41:                              ;   in Loop: Header=BB23_6 Depth=1
	v_mul_lo_u32 v2, s50, v1
	s_mov_b32 s19, 0
	s_sub_i32 s6, 0, s17
.LBB23_42:                              ;   Parent Loop BB23_6 Depth=1
                                        ; =>  This Inner Loop Header: Depth=2
	global_load_ubyte v36, v2, s[48:49]
	v_mov_b32_e32 v6, v1
	ds_write_b8 v3, v5
	v_add_nc_u32_e32 v2, v2, v4
	v_add_nc_u32_e32 v1, s17, v6
	v_mov_b32_e32 v3, v6
	v_cmp_le_u32_e32 vcc_lo, s36, v1
	s_or_b32 s19, vcc_lo, s19
	s_waitcnt vmcnt(0)
	v_mov_b32_e32 v5, v36
	s_andn2_b32 exec_lo, exec_lo, s19
	s_cbranch_execnz .LBB23_42
; %bb.43:                               ;   in Loop: Header=BB23_6 Depth=1
	s_or_b32 exec_lo, exec_lo, s19
	v_add_nc_u32_e32 v2, s6, v1
.LBB23_44:                              ;   in Loop: Header=BB23_6 Depth=1
	s_or_b32 exec_lo, exec_lo, s18
.LBB23_45:                              ;   in Loop: Header=BB23_6 Depth=1
	s_or_b32 exec_lo, exec_lo, s16
	s_waitcnt vmcnt(0)
	ds_write_b8 v2, v36
.LBB23_46:                              ;   in Loop: Header=BB23_6 Depth=1
	s_or_b32 exec_lo, exec_lo, s14
	s_waitcnt lgkmcnt(0)
	s_barrier
	buffer_gl0_inv
	s_and_saveexec_b32 s6, s3
; %bb.47:                               ;   in Loop: Header=BB23_6 Depth=1
	v_mov_b32_e32 v1, s36
	ds_write_b32 v19, v1 offset:4096
; %bb.48:                               ;   in Loop: Header=BB23_6 Depth=1
	s_or_b32 exec_lo, exec_lo, s6
	s_mov_b32 s6, -1
	s_waitcnt lgkmcnt(0)
	s_barrier
.LBB23_49:                              ;   in Loop: Header=BB23_6 Depth=1
	s_and_b32 vcc_lo, exec_lo, s6
	s_mov_b32 s94, 0
	s_cbranch_vccz .LBB23_51
; %bb.50:                               ;   in Loop: Header=BB23_6 Depth=1
	buffer_gl0_inv
	ds_read_b32 v1, v19 offset:4096
	s_waitcnt lgkmcnt(0)
	v_readfirstlane_b32 s94, v1
.LBB23_51:                              ;   in Loop: Header=BB23_6 Depth=1
	s_cmp_lt_i32 s94, 1
	s_mov_b32 s6, -1
                                        ; implicit-def: $vgpr4
	s_cbranch_scc1 .LBB23_61
; %bb.52:                               ;   in Loop: Header=BB23_6 Depth=1
	s_and_b32 vcc_lo, exec_lo, s6
	s_cbranch_vccnz .LBB23_72
.LBB23_53:                              ;   in Loop: Header=BB23_6 Depth=1
	s_lshl_b32 s6, s83, 7
	s_and_saveexec_b32 s14, s0
.LBB23_54:                              ;   in Loop: Header=BB23_6 Depth=1
	v_lshl_add_u32 v5, s6, 2, v20
	ds_write_b128 v5, v[1:4]
.LBB23_55:                              ;   in Loop: Header=BB23_6 Depth=1
	s_or_b32 exec_lo, exec_lo, s14
	s_waitcnt lgkmcnt(0)
	s_barrier
	buffer_gl0_inv
	s_and_saveexec_b32 s14, s68
	s_cbranch_execz .LBB23_85
; %bb.56:                               ;   in Loop: Header=BB23_6 Depth=1
	v_mov_b32_e32 v1, 0
	s_andn2_b32 vcc_lo, exec_lo, s70
	s_cbranch_vccnz .LBB23_84
; %bb.57:                               ;   in Loop: Header=BB23_6 Depth=1
	s_andn2_b32 vcc_lo, exec_lo, s73
	s_cbranch_vccnz .LBB23_81
; %bb.58:                               ;   in Loop: Header=BB23_6 Depth=1
	v_lshl_add_u32 v2, s83, 9, v30
	v_mov_b32_e32 v1, 0
	s_mov_b32 s16, 0
	.p2align	6
.LBB23_59:                              ;   Parent Loop BB23_6 Depth=1
                                        ; =>  This Inner Loop Header: Depth=2
	ds_read2_b32 v[3:4], v2 offset1:4
	ds_read2_b32 v[5:6], v2 offset0:8 offset1:12
	ds_read2_b32 v[7:8], v2 offset0:16 offset1:20
	;; [unrolled: 1-line block ×3, first 2 shown]
	v_add_nc_u32_e32 v2, 0x80, v2
	s_add_i32 s16, s16, 8
	s_cmp_eq_u32 s67, s16
	s_waitcnt lgkmcnt(3)
	v_add3_u32 v1, v3, v1, v4
	s_waitcnt lgkmcnt(2)
	v_add3_u32 v1, v5, v1, v6
	;; [unrolled: 2-line block ×4, first 2 shown]
	s_cbranch_scc0 .LBB23_59
; %bb.60:                               ;   in Loop: Header=BB23_6 Depth=1
	s_mov_b32 s16, s67
	s_andn2_b32 vcc_lo, exec_lo, s74
	s_cbranch_vccz .LBB23_82
	s_branch .LBB23_84
.LBB23_61:                              ;   in Loop: Header=BB23_6 Depth=1
	v_mov_b32_e32 v1, 0
	v_mov_b32_e32 v2, 0
	;; [unrolled: 1-line block ×4, first 2 shown]
	s_and_saveexec_b32 s95, s11
	s_cbranch_execz .LBB23_65
; %bb.62:                               ;   in Loop: Header=BB23_6 Depth=1
	v_mov_b32_e32 v5, v17
	s_mov_b32 s96, 0
	s_mov_b32 s97, 0
	;; [unrolled: 1-line block ×5, first 2 shown]
	s_mov_b32 vcc_hi, 0
.LBB23_63:                              ;   Parent Loop BB23_6 Depth=1
                                        ; =>  This Inner Loop Header: Depth=2
	v_add_nc_u32_e32 v1, s97, v28
	v_add_nc_u32_e32 v2, s97, v13
	;; [unrolled: 1-line block ×5, first 2 shown]
	s_clause 0x3
	global_load_sbyte v1, v1, s[48:49]
	global_load_sbyte v2, v2, s[48:49]
	;; [unrolled: 1-line block ×4, first 2 shown]
	s_add_i32 s97, s97, s82
	v_cmp_le_u32_e32 vcc_lo, s79, v5
	s_waitcnt vmcnt(3)
	v_add_nc_u32_e32 v1, 0x80, v1
	s_waitcnt vmcnt(2)
	v_add_nc_u32_e32 v2, 0x80, v2
	;; [unrolled: 2-line block ×4, first 2 shown]
	v_and_b32_e32 v6, v1, v33
	v_bfe_u32 v1, v1, s87, 2
	v_and_b32_e32 v7, v2, v33
	v_bfe_u32 v2, v2, s87, 2
	;; [unrolled: 2-line block ×3, first 2 shown]
	v_cmp_eq_u32_e64 s6, v6, v14
	v_cmp_eq_u32_e64 s18, 0, v1
	v_and_b32_e32 v36, v4, v33
	v_bfe_u32 v4, v4, s87, 2
	v_cmp_eq_u32_e64 s14, v7, v14
	v_cmp_eq_u32_e64 s19, 0, v2
	;; [unrolled: 1-line block ×4, first 2 shown]
	s_and_b32 s18, s6, s18
	v_cmp_eq_u32_e64 s17, v36, v14
	v_cmp_eq_u32_e64 s21, 0, v4
	;; [unrolled: 1-line block ×5, first 2 shown]
	v_cndmask_b32_e64 v1, 0, 1, s18
	s_and_b32 s18, s14, s19
	v_cmp_eq_u32_e64 s23, 1, v2
	v_cmp_eq_u32_e64 s27, 2, v2
	v_cmp_eq_u32_e64 s31, 3, v2
	v_cndmask_b32_e64 v2, 0, 1, s18
	s_and_b32 s18, s16, s20
	v_cmp_eq_u32_e64 s24, 1, v3
	v_cmp_eq_u32_e64 s28, 2, v3
	v_cmp_eq_u32_e64 s33, 3, v3
	;; [unrolled: 5-line block ×3, first 2 shown]
	v_cndmask_b32_e64 v4, 0, 1, s18
	s_and_b32 s18, s6, s22
	v_cndmask_b32_e64 v6, 0, 1, s18
	s_and_b32 s18, s14, s23
	;; [unrolled: 2-line block ×4, first 2 shown]
	v_cmp_ne_u32_e64 s19, 0, v7
	v_cndmask_b32_e64 v36, 0, 1, s18
	s_and_b32 s18, s6, s26
	s_and_b32 s6, s6, s30
	v_cndmask_b32_e64 v37, 0, 1, s18
	s_and_b32 s18, s14, s27
	v_cndmask_b32_e64 v41, 0, 1, s6
	;; [unrolled: 2-line block ×7, first 2 shown]
	v_cndmask_b32_e64 v44, 0, 1, s6
	v_cmp_ne_u32_e64 s6, 0, v1
	v_cmp_ne_u32_e64 s18, 0, v6
	;; [unrolled: 1-line block ×11, first 2 shown]
	s_bcnt1_i32_b32 s6, s6
	s_bcnt1_i32_b32 s18, s18
	;; [unrolled: 1-line block ×4, first 2 shown]
	v_cmp_ne_u32_e64 s17, 0, v4
	v_cmp_ne_u32_e64 s21, 0, v36
	;; [unrolled: 1-line block ×4, first 2 shown]
	s_bcnt1_i32_b32 s14, s14
	s_bcnt1_i32_b32 s19, s19
	;; [unrolled: 1-line block ×4, first 2 shown]
	s_add_i32 s6, s6, vcc_hi
	s_add_i32 s18, s18, s104
	s_add_i32 s22, s22, s99
	;; [unrolled: 1-line block ×3, first 2 shown]
	s_bcnt1_i32_b32 s16, s16
	s_bcnt1_i32_b32 s20, s20
	;; [unrolled: 1-line block ×4, first 2 shown]
	s_add_i32 s6, s6, s14
	s_add_i32 s14, s18, s19
	;; [unrolled: 1-line block ×4, first 2 shown]
	s_bcnt1_i32_b32 s17, s17
	s_bcnt1_i32_b32 s21, s21
	;; [unrolled: 1-line block ×4, first 2 shown]
	s_add_i32 s6, s6, s16
	s_add_i32 s14, s14, s20
	;; [unrolled: 1-line block ×4, first 2 shown]
	s_add_i32 vcc_hi, s6, s17
	s_add_i32 s104, s14, s21
	s_add_i32 s99, s16, s25
	;; [unrolled: 1-line block ×3, first 2 shown]
	v_mov_b32_e32 v1, vcc_hi
	v_mov_b32_e32 v2, s104
	v_mov_b32_e32 v3, s99
	;; [unrolled: 1-line block ×3, first 2 shown]
	s_or_b32 s96, vcc_lo, s96
	s_andn2_b32 exec_lo, exec_lo, s96
	s_cbranch_execnz .LBB23_63
; %bb.64:                               ;   in Loop: Header=BB23_6 Depth=1
	s_or_b32 exec_lo, exec_lo, s96
.LBB23_65:                              ;   in Loop: Header=BB23_6 Depth=1
	s_or_b32 exec_lo, exec_lo, s95
	s_and_saveexec_b32 s18, s12
	s_cbranch_execz .LBB23_71
; %bb.66:                               ;   in Loop: Header=BB23_6 Depth=1
	global_load_ubyte v8, v[11:12], off
	v_mov_b32_e32 v5, v29
	v_mov_b32_e32 v6, v24
	s_mov_b32 s19, 0
	s_branch .LBB23_68
.LBB23_67:                              ;   in Loop: Header=BB23_68 Depth=2
	s_or_b32 exec_lo, exec_lo, s14
	s_waitcnt vmcnt(0)
	v_add_nc_u32_sdwa v8, sext(v8), v31 dst_sel:DWORD dst_unused:UNUSED_PAD src0_sel:BYTE_0 src1_sel:DWORD
	s_and_b32 s14, exec_lo, vcc_lo
	v_add_nc_u32_e32 v5, s43, v5
	s_or_b32 s19, s14, s19
	v_and_b32_e32 v36, v8, v33
	v_bfe_u32 v8, v8, s87, 2
	v_cmp_eq_u32_e32 vcc_lo, v36, v14
	v_cmp_eq_u32_e64 s6, 0, v8
	v_cmp_eq_u32_e64 s14, 1, v8
	;; [unrolled: 1-line block ×4, first 2 shown]
	s_and_b32 s6, vcc_lo, s6
	v_cndmask_b32_e64 v8, 0, 1, s6
	s_and_b32 s6, vcc_lo, s14
	v_cndmask_b32_e64 v36, 0, 1, s6
	;; [unrolled: 2-line block ×3, first 2 shown]
	s_and_b32 s6, vcc_lo, s17
	v_cmp_ne_u32_e32 vcc_lo, 0, v8
	v_cndmask_b32_e64 v38, 0, 1, s6
	v_cmp_ne_u32_e64 s6, 0, v36
	v_cmp_ne_u32_e64 s14, 0, v37
	v_mov_b32_e32 v8, v7
	s_bcnt1_i32_b32 s17, vcc_lo
	v_cmp_ne_u32_e64 s16, 0, v38
	s_bcnt1_i32_b32 s6, s6
	s_bcnt1_i32_b32 s14, s14
	v_add_nc_u32_e32 v1, s17, v1
	v_add_nc_u32_e32 v2, s6, v2
	s_bcnt1_i32_b32 s16, s16
	v_add_nc_u32_e32 v3, s14, v3
	v_add_nc_u32_e32 v4, s16, v4
	s_andn2_b32 exec_lo, exec_lo, s19
	s_cbranch_execz .LBB23_70
.LBB23_68:                              ;   Parent Loop BB23_6 Depth=1
                                        ; =>  This Inner Loop Header: Depth=2
	v_add_nc_u32_e32 v6, s35, v6
	v_mov_b32_e32 v7, 0
	s_mov_b32 s14, exec_lo
	v_cmp_le_u32_e32 vcc_lo, s36, v6
	v_cmpx_gt_u32_e64 s36, v6
	s_cbranch_execz .LBB23_67
; %bb.69:                               ;   in Loop: Header=BB23_68 Depth=2
	global_load_ubyte v7, v5, s[48:49]
	s_branch .LBB23_67
.LBB23_70:                              ;   in Loop: Header=BB23_6 Depth=1
	s_or_b32 exec_lo, exec_lo, s19
.LBB23_71:                              ;   in Loop: Header=BB23_6 Depth=1
	s_or_b32 exec_lo, exec_lo, s18
	s_branch .LBB23_53
.LBB23_72:                              ;   in Loop: Header=BB23_6 Depth=1
	s_mul_hi_u32 s6, s94, s75
	v_mov_b32_e32 v1, 0
	s_mul_i32 s6, s6, s66
	v_mov_b32_e32 v2, 0
	s_sub_i32 s6, s94, s6
	v_mov_b32_e32 v3, 0
	s_sub_i32 s14, s6, s66
	s_cmp_ge_u32 s6, s66
	v_mov_b32_e32 v4, 0
	s_cselect_b32 s6, s14, s6
	s_mov_b32 s96, exec_lo
	s_sub_i32 s14, s6, s66
	s_cmp_ge_u32 s6, s66
	s_cselect_b32 s6, s14, s6
	s_sub_i32 s95, s94, s6
	v_cmpx_gt_u32_e64 s95, v17
	s_cbranch_execz .LBB23_76
; %bb.73:                               ;   in Loop: Header=BB23_6 Depth=1
	v_mov_b32_e32 v5, v17
	s_mov_b32 s97, 0
	s_mov_b32 s98, 0
	;; [unrolled: 1-line block ×4, first 2 shown]
	s_mov_b32 vcc_hi, 0
.LBB23_74:                              ;   Parent Loop BB23_6 Depth=1
                                        ; =>  This Inner Loop Header: Depth=2
	ds_read_b32 v1, v5
	v_add_nc_u32_e32 v5, s66, v5
	v_cmp_le_u32_e32 vcc_lo, s95, v5
	s_waitcnt lgkmcnt(0)
	v_add_nc_u32_sdwa v2, sext(v1), v31 dst_sel:DWORD dst_unused:UNUSED_PAD src0_sel:BYTE_0 src1_sel:DWORD
	v_add_nc_u32_sdwa v3, sext(v1), v31 dst_sel:DWORD dst_unused:UNUSED_PAD src0_sel:BYTE_1 src1_sel:DWORD
	v_add_nc_u32_sdwa v4, sext(v1), v31 dst_sel:DWORD dst_unused:UNUSED_PAD src0_sel:BYTE_2 src1_sel:DWORD
	v_add_nc_u32_sdwa v1, sext(v1), v31 dst_sel:DWORD dst_unused:UNUSED_PAD src0_sel:BYTE_3 src1_sel:DWORD
	v_and_b32_e32 v6, v2, v33
	v_bfe_u32 v2, v2, s87, 2
	v_and_b32_e32 v7, v3, v33
	v_bfe_u32 v3, v3, s87, 2
	;; [unrolled: 2-line block ×3, first 2 shown]
	v_cmp_eq_u32_e64 s6, v6, v14
	v_cmp_eq_u32_e64 s18, 0, v2
	v_and_b32_e32 v36, v1, v33
	v_bfe_u32 v1, v1, s87, 2
	v_cmp_eq_u32_e64 s14, v7, v14
	v_cmp_eq_u32_e64 s19, 0, v3
	;; [unrolled: 1-line block ×4, first 2 shown]
	s_and_b32 s18, s6, s18
	v_cmp_eq_u32_e64 s17, v36, v14
	v_cmp_eq_u32_e64 s21, 0, v1
	;; [unrolled: 1-line block ×5, first 2 shown]
	v_cndmask_b32_e64 v1, 0, 1, s18
	s_and_b32 s18, s14, s19
	v_cmp_eq_u32_e64 s22, 1, v2
	v_cmp_eq_u32_e64 s26, 2, v2
	v_cmp_eq_u32_e64 s30, 3, v2
	v_cndmask_b32_e64 v2, 0, 1, s18
	s_and_b32 s18, s16, s20
	v_cmp_eq_u32_e64 s23, 1, v3
	v_cmp_eq_u32_e64 s27, 2, v3
	v_cmp_eq_u32_e64 s31, 3, v3
	;; [unrolled: 5-line block ×3, first 2 shown]
	v_cndmask_b32_e64 v4, 0, 1, s18
	s_and_b32 s18, s6, s22
	v_cndmask_b32_e64 v6, 0, 1, s18
	s_and_b32 s18, s14, s23
	;; [unrolled: 2-line block ×4, first 2 shown]
	v_cmp_ne_u32_e64 s19, 0, v7
	v_cndmask_b32_e64 v36, 0, 1, s18
	s_and_b32 s18, s6, s26
	s_and_b32 s6, s6, s30
	v_cndmask_b32_e64 v37, 0, 1, s18
	s_and_b32 s18, s14, s27
	v_cndmask_b32_e64 v41, 0, 1, s6
	;; [unrolled: 2-line block ×7, first 2 shown]
	v_cndmask_b32_e64 v44, 0, 1, s6
	v_cmp_ne_u32_e64 s6, 0, v1
	v_cmp_ne_u32_e64 s18, 0, v6
	v_cmp_ne_u32_e64 s22, 0, v37
	v_cmp_ne_u32_e64 s26, 0, v41
	v_cmp_ne_u32_e64 s14, 0, v2
	v_cmp_ne_u32_e64 s23, 0, v38
	v_cmp_ne_u32_e64 s27, 0, v42
	v_cmp_ne_u32_e64 s16, 0, v3
	v_cmp_ne_u32_e64 s20, 0, v8
	v_cmp_ne_u32_e64 s24, 0, v39
	v_cmp_ne_u32_e64 s28, 0, v43
	s_bcnt1_i32_b32 s6, s6
	s_bcnt1_i32_b32 s18, s18
	;; [unrolled: 1-line block ×4, first 2 shown]
	v_cmp_ne_u32_e64 s17, 0, v4
	v_cmp_ne_u32_e64 s21, 0, v36
	;; [unrolled: 1-line block ×4, first 2 shown]
	s_bcnt1_i32_b32 s14, s14
	s_bcnt1_i32_b32 s19, s19
	;; [unrolled: 1-line block ×4, first 2 shown]
	s_add_i32 s6, s6, vcc_hi
	s_add_i32 s18, s18, s104
	s_add_i32 s22, s22, s99
	;; [unrolled: 1-line block ×3, first 2 shown]
	s_bcnt1_i32_b32 s16, s16
	s_bcnt1_i32_b32 s20, s20
	;; [unrolled: 1-line block ×4, first 2 shown]
	s_add_i32 s6, s6, s14
	s_add_i32 s14, s18, s19
	;; [unrolled: 1-line block ×4, first 2 shown]
	s_bcnt1_i32_b32 s17, s17
	s_bcnt1_i32_b32 s21, s21
	s_bcnt1_i32_b32 s25, s25
	s_bcnt1_i32_b32 s29, s29
	s_add_i32 s6, s6, s16
	s_add_i32 s14, s14, s20
	;; [unrolled: 1-line block ×4, first 2 shown]
	s_add_i32 vcc_hi, s6, s17
	s_add_i32 s104, s14, s21
	s_add_i32 s99, s16, s25
	;; [unrolled: 1-line block ×3, first 2 shown]
	v_mov_b32_e32 v1, vcc_hi
	v_mov_b32_e32 v2, s104
	v_mov_b32_e32 v3, s99
	;; [unrolled: 1-line block ×3, first 2 shown]
	s_or_b32 s97, vcc_lo, s97
	s_andn2_b32 exec_lo, exec_lo, s97
	s_cbranch_execnz .LBB23_74
; %bb.75:                               ;   in Loop: Header=BB23_6 Depth=1
	s_or_b32 exec_lo, exec_lo, s97
.LBB23_76:                              ;   in Loop: Header=BB23_6 Depth=1
	s_or_b32 exec_lo, exec_lo, s96
	v_add_nc_u32_e32 v5, s95, v0
	s_mov_b32 s19, exec_lo
	v_cmpx_gt_u32_e64 s94, v5
	s_cbranch_execz .LBB23_80
; %bb.77:                               ;   in Loop: Header=BB23_6 Depth=1
	s_mov_b32 s20, 0
.LBB23_78:                              ;   Parent Loop BB23_6 Depth=1
                                        ; =>  This Inner Loop Header: Depth=2
	ds_read_i8 v6, v5
	v_add_nc_u32_e32 v5, s35, v5
	v_cmp_le_u32_e32 vcc_lo, s94, v5
	s_waitcnt lgkmcnt(0)
	v_add_nc_u32_e32 v6, 0x80, v6
	v_and_b32_e32 v7, v6, v33
	v_bfe_u32 v6, v6, s87, 2
	v_cmp_eq_u32_e64 s6, v7, v14
	v_cmp_eq_u32_e64 s14, 0, v6
	;; [unrolled: 1-line block ×5, first 2 shown]
	s_and_b32 s14, s6, s14
	v_cndmask_b32_e64 v6, 0, 1, s14
	s_and_b32 s14, s6, s16
	v_cndmask_b32_e64 v7, 0, 1, s14
	s_and_b32 s14, s6, s17
	s_and_b32 s6, s6, s18
	v_cndmask_b32_e64 v8, 0, 1, s14
	v_cndmask_b32_e64 v36, 0, 1, s6
	v_cmp_ne_u32_e64 s6, 0, v6
	v_cmp_ne_u32_e64 s14, 0, v7
	;; [unrolled: 1-line block ×4, first 2 shown]
	s_bcnt1_i32_b32 s6, s6
	s_bcnt1_i32_b32 s14, s14
	v_add_nc_u32_e32 v1, s6, v1
	s_bcnt1_i32_b32 s16, s16
	s_bcnt1_i32_b32 s17, s17
	v_add_nc_u32_e32 v2, s14, v2
	v_add_nc_u32_e32 v3, s16, v3
	;; [unrolled: 1-line block ×3, first 2 shown]
	s_or_b32 s20, vcc_lo, s20
	s_andn2_b32 exec_lo, exec_lo, s20
	s_cbranch_execnz .LBB23_78
; %bb.79:                               ;   in Loop: Header=BB23_6 Depth=1
	s_or_b32 exec_lo, exec_lo, s20
.LBB23_80:                              ;   in Loop: Header=BB23_6 Depth=1
	s_or_b32 exec_lo, exec_lo, s19
	s_lshl_b32 s6, s83, 7
	s_and_saveexec_b32 s14, s0
	s_cbranch_execnz .LBB23_54
	s_branch .LBB23_55
.LBB23_81:                              ;   in Loop: Header=BB23_6 Depth=1
	v_mov_b32_e32 v1, 0
	s_mov_b32 s16, 0
	s_andn2_b32 vcc_lo, exec_lo, s74
	s_cbranch_vccnz .LBB23_84
.LBB23_82:                              ;   in Loop: Header=BB23_6 Depth=1
	s_lshl_b32 s17, s83, 9
	s_lshl_b32 s16, s16, 4
	v_add3_u32 v2, s17, s16, v30
	s_mov_b32 s16, s72
.LBB23_83:                              ;   Parent Loop BB23_6 Depth=1
                                        ; =>  This Inner Loop Header: Depth=2
	ds_read_b32 v3, v2
	v_add_nc_u32_e32 v2, 16, v2
	s_add_i32 s16, s16, -1
	s_cmp_lg_u32 s16, 0
	s_waitcnt lgkmcnt(0)
	v_add_nc_u32_e32 v1, v3, v1
	s_cbranch_scc1 .LBB23_83
.LBB23_84:                              ;   in Loop: Header=BB23_6 Depth=1
	v_add_lshl_u32 v2, s6, v16, 2
	ds_write_b32 v2, v1 offset:3072
.LBB23_85:                              ;   in Loop: Header=BB23_6 Depth=1
	s_or_b32 exec_lo, exec_lo, s14
	s_lshl_b32 s6, s6, 2
	s_waitcnt lgkmcnt(0)
	v_mov_b32_e32 v1, s6
	s_barrier
	buffer_gl0_inv
	v_cmp_eq_u32_e64 s14, 1, v35
	s_lshl_b32 s18, 3, s87
	ds_read_b128 v[1:4], v1 offset:3072
	s_mov_b32 s27, -1
	s_not_b32 s19, s18
	s_mov_b32 s16, 0
	s_andn2_b32 vcc_lo, exec_lo, s65
	s_mov_b32 s24, 0
	s_mov_b32 s23, 0
                                        ; implicit-def: $sgpr25
                                        ; implicit-def: $sgpr26
                                        ; implicit-def: $vgpr5
	s_waitcnt lgkmcnt(0)
	v_readfirstlane_b32 s17, v1
	v_readfirstlane_b32 s20, v2
	;; [unrolled: 1-line block ×4, first 2 shown]
                                        ; implicit-def: $vgpr4
                                        ; implicit-def: $vgpr1
                                        ; implicit-def: $vgpr2
                                        ; implicit-def: $vgpr3
	s_cbranch_vccnz .LBB23_243
; %bb.86:                               ;   in Loop: Header=BB23_6 Depth=1
	s_cmp_eq_u32 s17, 1
	v_mov_b32_e32 v2, v14
	v_mov_b32_e32 v3, v33
	;; [unrolled: 1-line block ×3, first 2 shown]
	s_cselect_b32 s6, -1, 0
	s_mov_b32 s29, -1
	s_and_b32 s6, s6, s14
                                        ; implicit-def: $sgpr26
                                        ; implicit-def: $sgpr25
	s_and_saveexec_b32 s23, s6
	s_cbranch_execz .LBB23_112
; %bb.87:                               ;   in Loop: Header=BB23_6 Depth=1
	ds_read_b32 v1, v19 offset:4096
	s_waitcnt lgkmcnt(0)
	s_barrier
	buffer_gl0_inv
	v_readfirstlane_b32 s27, v1
	s_and_saveexec_b32 s24, s15
; %bb.88:                               ;   in Loop: Header=BB23_6 Depth=1
	ds_write_b8 v0, v19 offset:3072
; %bb.89:                               ;   in Loop: Header=BB23_6 Depth=1
	s_or_b32 exec_lo, exec_lo, s24
	v_and_b32_e32 v2, s19, v14
	v_or_b32_e32 v3, s18, v33
	s_mov_b32 s25, -1
	s_mov_b32 s26, 0
	s_cmp_eq_u32 s27, 0
	s_mov_b32 s24, 0
	s_mov_b32 s28, -1
	s_waitcnt lgkmcnt(0)
	s_barrier
	buffer_gl0_inv
                                        ; implicit-def: $vgpr5
	s_cbranch_scc1 .LBB23_100
; %bb.90:                               ;   in Loop: Header=BB23_6 Depth=1
	s_add_i32 s24, s27, s71
                                        ; implicit-def: $vgpr5
	s_mul_hi_u32 s28, s24, s78
	s_mul_i32 s28, s28, s35
	s_sub_i32 s28, s24, s28
	s_sub_i32 s29, s28, s35
	s_cmp_ge_u32 s28, s35
	s_cselect_b32 s28, s29, s28
	s_sub_i32 s29, s28, s35
	s_cmp_ge_u32 s28, s35
	s_cselect_b32 s28, s29, s28
	s_mov_b32 s29, exec_lo
	s_sub_i32 s30, s24, s28
	s_mov_b32 s28, 0
	s_mov_b32 s24, 0
	v_cmpx_gt_u32_e64 s30, v0
	s_cbranch_execz .LBB23_99
; %bb.91:                               ;   in Loop: Header=BB23_6 Depth=1
	v_mov_b32_e32 v1, v0
                                        ; implicit-def: $sgpr31
	s_inst_prefetch 0x1
	s_branch .LBB23_94
	.p2align	6
.LBB23_92:                              ;   in Loop: Header=BB23_94 Depth=2
	s_or_b32 exec_lo, exec_lo, s33
	s_waitcnt lgkmcnt(0)
	s_barrier
	buffer_gl0_inv
	ds_read_u16 v4, v19 offset:3072
	s_mov_b32 s34, -1
	s_waitcnt lgkmcnt(0)
	s_barrier
	buffer_gl0_inv
	v_cmp_ne_u32_sdwa s33, v4, v19 src0_sel:BYTE_0 src1_sel:DWORD
	s_and_b32 vcc_lo, exec_lo, s33
	s_mov_b32 s33, -1
	s_cbranch_vccz .LBB23_97
.LBB23_93:                              ;   in Loop: Header=BB23_94 Depth=2
	s_and_b32 s34, exec_lo, s34
	s_or_b32 s24, s34, s24
	s_andn2_b32 s31, s31, exec_lo
	s_and_b32 s33, s33, exec_lo
	s_or_b32 s31, s31, s33
	s_andn2_b32 exec_lo, exec_lo, s24
	s_cbranch_execz .LBB23_98
.LBB23_94:                              ;   Parent Loop BB23_6 Depth=1
                                        ; =>  This Inner Loop Header: Depth=2
	s_mov_b32 s33, exec_lo
	v_cmpx_gt_u32_e64 s27, v1
	s_cbranch_execz .LBB23_92
; %bb.95:                               ;   in Loop: Header=BB23_94 Depth=2
	ds_read_u8 v4, v1
	s_waitcnt lgkmcnt(0)
	v_add_nc_u32_sdwa v5, sext(v4), v31 dst_sel:DWORD dst_unused:UNUSED_PAD src0_sel:BYTE_0 src1_sel:DWORD
	v_and_b32_e32 v5, v5, v3
	v_cmp_eq_u32_e32 vcc_lo, v5, v2
	s_and_b32 exec_lo, exec_lo, vcc_lo
	s_cbranch_execz .LBB23_92
; %bb.96:                               ;   in Loop: Header=BB23_94 Depth=2
	v_lshlrev_b16 v4, 8, v4
	v_or_b32_e32 v4, 1, v4
	ds_write_b16 v19, v4 offset:3072
	s_branch .LBB23_92
.LBB23_97:                              ;   in Loop: Header=BB23_94 Depth=2
	v_add_nc_u32_e32 v1, s35, v1
	s_mov_b32 s33, 0
	v_cmp_le_u32_e32 vcc_lo, s30, v1
	s_orn2_b32 s34, vcc_lo, exec_lo
	s_branch .LBB23_93
.LBB23_98:                              ;   in Loop: Header=BB23_6 Depth=1
	s_inst_prefetch 0x2
	s_or_b32 exec_lo, exec_lo, s24
	v_lshrrev_b32_sdwa v5, v32, v4 dst_sel:DWORD dst_unused:UNUSED_PAD src0_sel:DWORD src1_sel:WORD_0
	s_and_b32 s24, s31, exec_lo
.LBB23_99:                              ;   in Loop: Header=BB23_6 Depth=1
	s_or_b32 exec_lo, exec_lo, s29
.LBB23_100:                             ;   in Loop: Header=BB23_6 Depth=1
	s_and_b32 vcc_lo, exec_lo, s28
	s_cbranch_vccz .LBB23_111
; %bb.101:                              ;   in Loop: Header=BB23_6 Depth=1
                                        ; implicit-def: $vgpr5
	s_and_saveexec_b32 s25, s13
	s_cbranch_execz .LBB23_110
; %bb.102:                              ;   in Loop: Header=BB23_6 Depth=1
	v_mov_b32_e32 v1, v18
	v_mov_b32_e32 v4, v0
	s_mov_b32 s26, 0
                                        ; implicit-def: $sgpr27
	s_inst_prefetch 0x1
	s_branch .LBB23_105
	.p2align	6
.LBB23_103:                             ;   in Loop: Header=BB23_105 Depth=2
	s_or_b32 exec_lo, exec_lo, s28
	s_waitcnt lgkmcnt(0)
	s_barrier
	buffer_gl0_inv
	ds_read_u16 v5, v19 offset:3072
	s_mov_b32 s28, -1
	s_waitcnt lgkmcnt(0)
	s_barrier
	buffer_gl0_inv
	v_cmp_ne_u32_sdwa s29, v5, v19 src0_sel:BYTE_0 src1_sel:DWORD
	s_and_b32 vcc_lo, exec_lo, s29
	s_mov_b32 s29, -1
	s_cbranch_vccz .LBB23_108
.LBB23_104:                             ;   in Loop: Header=BB23_105 Depth=2
	s_and_b32 s28, exec_lo, s28
	s_or_b32 s26, s28, s26
	s_andn2_b32 s27, s27, exec_lo
	s_and_b32 s28, s29, exec_lo
	s_or_b32 s27, s27, s28
	s_andn2_b32 exec_lo, exec_lo, s26
	s_cbranch_execz .LBB23_109
.LBB23_105:                             ;   Parent Loop BB23_6 Depth=1
                                        ; =>  This Inner Loop Header: Depth=2
	s_mov_b32 s28, exec_lo
	v_cmpx_gt_u32_e64 s36, v4
	s_cbranch_execz .LBB23_103
; %bb.106:                              ;   in Loop: Header=BB23_105 Depth=2
	global_load_ubyte v5, v1, s[48:49]
	s_waitcnt vmcnt(0)
	v_add_nc_u32_sdwa v6, sext(v5), v31 dst_sel:DWORD dst_unused:UNUSED_PAD src0_sel:BYTE_0 src1_sel:DWORD
	v_and_b32_e32 v6, v6, v3
	v_cmp_eq_u32_e32 vcc_lo, v6, v2
	s_and_b32 exec_lo, exec_lo, vcc_lo
	s_cbranch_execz .LBB23_103
; %bb.107:                              ;   in Loop: Header=BB23_105 Depth=2
	v_lshlrev_b16 v5, 8, v5
	v_or_b32_e32 v5, 1, v5
	ds_write_b16 v19, v5 offset:3072
	s_branch .LBB23_103
.LBB23_108:                             ;   in Loop: Header=BB23_105 Depth=2
	v_add_nc_u32_e32 v4, s35, v4
	v_add_nc_u32_e32 v1, s43, v1
	s_mov_b32 s29, 0
	v_cmp_le_u32_e32 vcc_lo, s80, v4
	s_orn2_b32 s28, vcc_lo, exec_lo
	s_branch .LBB23_104
.LBB23_109:                             ;   in Loop: Header=BB23_6 Depth=1
	s_inst_prefetch 0x2
	s_or_b32 exec_lo, exec_lo, s26
	v_lshrrev_b32_sdwa v5, v32, v5 dst_sel:DWORD dst_unused:UNUSED_PAD src0_sel:DWORD src1_sel:WORD_0
	s_andn2_b32 s24, s24, exec_lo
	s_and_b32 s26, s27, exec_lo
	s_or_b32 s24, s24, s26
.LBB23_110:                             ;   in Loop: Header=BB23_6 Depth=1
	s_or_b32 exec_lo, exec_lo, s25
	s_mov_b32 s25, 0
	s_mov_b32 s26, -1
.LBB23_111:                             ;   in Loop: Header=BB23_6 Depth=1
	s_orn2_b32 s29, s24, exec_lo
.LBB23_112:                             ;   in Loop: Header=BB23_6 Depth=1
	s_or_b32 exec_lo, exec_lo, s23
	s_mov_b32 s27, 0
	s_mov_b32 s24, 0
	s_mov_b32 s23, 0
                                        ; implicit-def: $vgpr4
                                        ; implicit-def: $vgpr1
	s_and_saveexec_b32 s28, s29
	s_cbranch_execz .LBB23_242
; %bb.113:                              ;   in Loop: Header=BB23_6 Depth=1
	v_mov_b32_e32 v4, 1
	v_mov_b32_e32 v1, 1
	s_xor_b32 s23, s6, -1
	s_mov_b32 s30, 0
	s_and_saveexec_b32 s6, s23
	s_cbranch_execz .LBB23_122
; %bb.114:                              ;   in Loop: Header=BB23_6 Depth=1
	s_mov_b32 s23, exec_lo
	v_cmpx_ge_u32_e64 s17, v35
	s_xor_b32 s23, exec_lo, s23
	s_cbranch_execz .LBB23_119
; %bb.115:                              ;   in Loop: Header=BB23_6 Depth=1
	ds_read_b32 v1, v19 offset:4096
	v_and_b32_e32 v2, s19, v2
	v_or_b32_e32 v3, s18, v3
	s_waitcnt lgkmcnt(0)
	v_cmp_ne_u32_e32 vcc_lo, 0, v1
	s_cbranch_vccnz .LBB23_119
; %bb.116:                              ;   in Loop: Header=BB23_6 Depth=1
	s_and_saveexec_b32 s24, s3
; %bb.117:                              ;   in Loop: Header=BB23_6 Depth=1
	v_mov_b32_e32 v1, s17
	ds_write_b32 v19, v1 offset:4100
; %bb.118:                              ;   in Loop: Header=BB23_6 Depth=1
	s_or_b32 exec_lo, exec_lo, s24
	s_waitcnt lgkmcnt(0)
	s_barrier
	buffer_gl0_inv
.LBB23_119:                             ;   in Loop: Header=BB23_6 Depth=1
	s_or_saveexec_b32 s23, s23
	v_mov_b32_e32 v1, 8
	v_mov_b32_e32 v4, v35
	s_mov_b32 s24, 0
	s_xor_b32 exec_lo, exec_lo, s23
; %bb.120:                              ;   in Loop: Header=BB23_6 Depth=1
	v_subrev_nc_u32_e32 v4, s17, v35
	v_mov_b32_e32 v1, 0
	s_mov_b32 s24, exec_lo
; %bb.121:                              ;   in Loop: Header=BB23_6 Depth=1
	s_or_b32 exec_lo, exec_lo, s23
	s_and_b32 s30, s24, exec_lo
.LBB23_122:                             ;   in Loop: Header=BB23_6 Depth=1
	s_or_b32 exec_lo, exec_lo, s6
	s_mov_b32 s29, -1
                                        ; implicit-def: $sgpr23
                                        ; implicit-def: $sgpr24
	s_and_saveexec_b32 s6, s30
	s_xor_b32 s6, exec_lo, s6
	s_cbranch_execz .LBB23_239
; %bb.123:                              ;   in Loop: Header=BB23_6 Depth=1
	v_cmp_eq_u32_e32 vcc_lo, 1, v4
	s_cmp_eq_u32 s20, 1
	s_mov_b32 s31, -1
	s_cselect_b32 s23, -1, 0
                                        ; implicit-def: $sgpr24
	s_and_b32 s30, s23, vcc_lo
                                        ; implicit-def: $sgpr23
	s_and_saveexec_b32 s29, s30
	s_cbranch_execz .LBB23_149
; %bb.124:                              ;   in Loop: Header=BB23_6 Depth=1
	ds_read_b32 v5, v19 offset:4096
	s_waitcnt lgkmcnt(0)
	s_barrier
	buffer_gl0_inv
	v_readfirstlane_b32 s33, v5
	s_and_saveexec_b32 s23, s15
; %bb.125:                              ;   in Loop: Header=BB23_6 Depth=1
	ds_write_b8 v0, v19 offset:3072
; %bb.126:                              ;   in Loop: Header=BB23_6 Depth=1
	s_or_b32 exec_lo, exec_lo, s23
	s_lshl_b32 s23, 1, s87
	v_or_b32_e32 v3, s18, v3
	v_and_or_b32 v2, v2, s19, s23
	s_mov_b32 s23, -1
	s_mov_b32 s24, 0
	s_cmp_eq_u32 s33, 0
	s_mov_b32 s31, 0
	s_mov_b32 s34, -1
	s_waitcnt lgkmcnt(0)
	s_barrier
	buffer_gl0_inv
                                        ; implicit-def: $vgpr5
	s_cbranch_scc1 .LBB23_137
; %bb.127:                              ;   in Loop: Header=BB23_6 Depth=1
	s_add_i32 s31, s33, s71
	s_mov_b32 s94, exec_lo
	s_mul_hi_u32 s34, s31, s78
                                        ; implicit-def: $vgpr5
	s_mul_i32 s34, s34, s35
	s_sub_i32 s34, s31, s34
	s_sub_i32 s44, s34, s35
	s_cmp_ge_u32 s34, s35
	s_cselect_b32 s34, s44, s34
	s_sub_i32 s44, s34, s35
	s_cmp_ge_u32 s34, s35
	s_cselect_b32 s34, s44, s34
	s_sub_i32 s44, s31, s34
	s_mov_b32 s34, 0
	s_mov_b32 s31, 0
	v_cmpx_gt_u32_e64 s44, v0
	s_cbranch_execz .LBB23_136
; %bb.128:                              ;   in Loop: Header=BB23_6 Depth=1
	v_mov_b32_e32 v5, v0
                                        ; implicit-def: $sgpr45
	s_inst_prefetch 0x1
	s_branch .LBB23_131
	.p2align	6
.LBB23_129:                             ;   in Loop: Header=BB23_131 Depth=2
	s_or_b32 exec_lo, exec_lo, s46
	s_waitcnt lgkmcnt(0)
	s_barrier
	buffer_gl0_inv
	ds_read_u16 v6, v19 offset:3072
	s_mov_b32 s52, -1
	s_waitcnt lgkmcnt(0)
	s_barrier
	buffer_gl0_inv
	v_cmp_ne_u32_sdwa s46, v6, v19 src0_sel:BYTE_0 src1_sel:DWORD
	s_and_b32 vcc_lo, exec_lo, s46
	s_mov_b32 s46, -1
	s_cbranch_vccz .LBB23_134
.LBB23_130:                             ;   in Loop: Header=BB23_131 Depth=2
	s_and_b32 s52, exec_lo, s52
	s_or_b32 s31, s52, s31
	s_andn2_b32 s45, s45, exec_lo
	s_and_b32 s46, s46, exec_lo
	s_or_b32 s45, s45, s46
	s_andn2_b32 exec_lo, exec_lo, s31
	s_cbranch_execz .LBB23_135
.LBB23_131:                             ;   Parent Loop BB23_6 Depth=1
                                        ; =>  This Inner Loop Header: Depth=2
	s_mov_b32 s46, exec_lo
	v_cmpx_gt_u32_e64 s33, v5
	s_cbranch_execz .LBB23_129
; %bb.132:                              ;   in Loop: Header=BB23_131 Depth=2
	ds_read_u8 v6, v5
	s_waitcnt lgkmcnt(0)
	v_add_nc_u32_sdwa v7, sext(v6), v31 dst_sel:DWORD dst_unused:UNUSED_PAD src0_sel:BYTE_0 src1_sel:DWORD
	v_and_b32_e32 v7, v7, v3
	v_cmp_eq_u32_e32 vcc_lo, v7, v2
	s_and_b32 exec_lo, exec_lo, vcc_lo
	s_cbranch_execz .LBB23_129
; %bb.133:                              ;   in Loop: Header=BB23_131 Depth=2
	v_lshlrev_b16 v6, 8, v6
	v_or_b32_e32 v6, 1, v6
	ds_write_b16 v19, v6 offset:3072
	s_branch .LBB23_129
.LBB23_134:                             ;   in Loop: Header=BB23_131 Depth=2
	v_add_nc_u32_e32 v5, s35, v5
	s_mov_b32 s46, 0
	v_cmp_le_u32_e32 vcc_lo, s44, v5
	s_orn2_b32 s52, vcc_lo, exec_lo
	s_branch .LBB23_130
.LBB23_135:                             ;   in Loop: Header=BB23_6 Depth=1
	s_inst_prefetch 0x2
	s_or_b32 exec_lo, exec_lo, s31
	v_lshrrev_b32_sdwa v5, v32, v6 dst_sel:DWORD dst_unused:UNUSED_PAD src0_sel:DWORD src1_sel:WORD_0
	s_and_b32 s31, s45, exec_lo
.LBB23_136:                             ;   in Loop: Header=BB23_6 Depth=1
	s_or_b32 exec_lo, exec_lo, s94
.LBB23_137:                             ;   in Loop: Header=BB23_6 Depth=1
	s_and_b32 vcc_lo, exec_lo, s34
	s_cbranch_vccz .LBB23_148
; %bb.138:                              ;   in Loop: Header=BB23_6 Depth=1
                                        ; implicit-def: $vgpr5
	s_and_saveexec_b32 s23, s13
	s_cbranch_execz .LBB23_147
; %bb.139:                              ;   in Loop: Header=BB23_6 Depth=1
	v_mov_b32_e32 v5, v18
	v_mov_b32_e32 v6, v0
	s_mov_b32 s24, 0
                                        ; implicit-def: $sgpr33
	s_inst_prefetch 0x1
	s_branch .LBB23_142
	.p2align	6
.LBB23_140:                             ;   in Loop: Header=BB23_142 Depth=2
	s_or_b32 exec_lo, exec_lo, s34
	s_waitcnt lgkmcnt(0)
	s_barrier
	buffer_gl0_inv
	ds_read_u16 v7, v19 offset:3072
	s_mov_b32 s34, -1
	s_waitcnt lgkmcnt(0)
	s_barrier
	buffer_gl0_inv
	v_cmp_eq_u32_sdwa s44, v7, v19 src0_sel:BYTE_0 src1_sel:DWORD
	s_and_b32 vcc_lo, exec_lo, s44
	s_mov_b32 s44, -1
	s_cbranch_vccnz .LBB23_145
.LBB23_141:                             ;   in Loop: Header=BB23_142 Depth=2
	s_and_b32 s34, exec_lo, s34
	s_or_b32 s24, s34, s24
	s_andn2_b32 s33, s33, exec_lo
	s_and_b32 s34, s44, exec_lo
	s_or_b32 s33, s33, s34
	s_andn2_b32 exec_lo, exec_lo, s24
	s_cbranch_execz .LBB23_146
.LBB23_142:                             ;   Parent Loop BB23_6 Depth=1
                                        ; =>  This Inner Loop Header: Depth=2
	s_mov_b32 s34, exec_lo
	v_cmpx_gt_u32_e64 s36, v6
	s_cbranch_execz .LBB23_140
; %bb.143:                              ;   in Loop: Header=BB23_142 Depth=2
	global_load_ubyte v7, v5, s[48:49]
	s_waitcnt vmcnt(0)
	v_add_nc_u32_sdwa v8, sext(v7), v31 dst_sel:DWORD dst_unused:UNUSED_PAD src0_sel:BYTE_0 src1_sel:DWORD
	v_and_b32_e32 v8, v8, v3
	v_cmp_eq_u32_e32 vcc_lo, v8, v2
	s_and_b32 exec_lo, exec_lo, vcc_lo
	s_cbranch_execz .LBB23_140
; %bb.144:                              ;   in Loop: Header=BB23_142 Depth=2
	v_lshlrev_b16 v7, 8, v7
	v_or_b32_e32 v7, 1, v7
	ds_write_b16 v19, v7 offset:3072
	s_branch .LBB23_140
.LBB23_145:                             ;   in Loop: Header=BB23_142 Depth=2
	v_add_nc_u32_e32 v6, s35, v6
	v_add_nc_u32_e32 v5, s43, v5
	s_mov_b32 s44, 0
	v_cmp_le_u32_e32 vcc_lo, s80, v6
	s_orn2_b32 s34, vcc_lo, exec_lo
	s_branch .LBB23_141
.LBB23_146:                             ;   in Loop: Header=BB23_6 Depth=1
	s_inst_prefetch 0x2
	s_or_b32 exec_lo, exec_lo, s24
	v_lshrrev_b32_sdwa v5, v32, v7 dst_sel:DWORD dst_unused:UNUSED_PAD src0_sel:DWORD src1_sel:WORD_0
	s_andn2_b32 s24, s31, exec_lo
	s_and_b32 s31, s33, exec_lo
	s_or_b32 s31, s24, s31
.LBB23_147:                             ;   in Loop: Header=BB23_6 Depth=1
	s_or_b32 exec_lo, exec_lo, s23
	s_mov_b32 s23, 0
	s_mov_b32 s24, -1
.LBB23_148:                             ;   in Loop: Header=BB23_6 Depth=1
	s_orn2_b32 s31, s31, exec_lo
.LBB23_149:                             ;   in Loop: Header=BB23_6 Depth=1
	s_or_b32 exec_lo, exec_lo, s29
	s_mov_b32 s33, 0
	s_and_saveexec_b32 s29, s31
	s_cbranch_execz .LBB23_238
; %bb.150:                              ;   in Loop: Header=BB23_6 Depth=1
	v_mov_b32_e32 v6, 1
	v_mov_b32_e32 v1, 1
	s_xor_b32 s31, s30, -1
	s_mov_b32 s44, 0
	s_and_saveexec_b32 s30, s31
	s_cbranch_execz .LBB23_159
; %bb.151:                              ;   in Loop: Header=BB23_6 Depth=1
	s_mov_b32 s31, exec_lo
	v_cmpx_ge_u32_e64 s20, v4
	s_xor_b32 s31, exec_lo, s31
	s_cbranch_execz .LBB23_156
; %bb.152:                              ;   in Loop: Header=BB23_6 Depth=1
	ds_read_b32 v1, v19 offset:4096
	s_lshl_b32 s33, 1, s87
	v_or_b32_e32 v3, s18, v3
	v_and_or_b32 v2, v2, s19, s33
	s_waitcnt lgkmcnt(0)
	v_cmp_ne_u32_e32 vcc_lo, 0, v1
	s_cbranch_vccnz .LBB23_156
; %bb.153:                              ;   in Loop: Header=BB23_6 Depth=1
	s_and_saveexec_b32 s33, s3
; %bb.154:                              ;   in Loop: Header=BB23_6 Depth=1
	v_mov_b32_e32 v1, s20
	ds_write_b32 v19, v1 offset:4100
; %bb.155:                              ;   in Loop: Header=BB23_6 Depth=1
	s_or_b32 exec_lo, exec_lo, s33
	s_waitcnt lgkmcnt(0)
	s_barrier
	buffer_gl0_inv
.LBB23_156:                             ;   in Loop: Header=BB23_6 Depth=1
	s_or_saveexec_b32 s31, s31
	v_mov_b32_e32 v1, 8
	s_mov_b32 s33, 0
	s_xor_b32 exec_lo, exec_lo, s31
; %bb.157:                              ;   in Loop: Header=BB23_6 Depth=1
	v_subrev_nc_u32_e32 v4, s20, v4
	v_mov_b32_e32 v1, 0
	s_mov_b32 s33, exec_lo
; %bb.158:                              ;   in Loop: Header=BB23_6 Depth=1
	s_or_b32 exec_lo, exec_lo, s31
	v_mov_b32_e32 v6, v4
	s_and_b32 s44, s33, exec_lo
.LBB23_159:                             ;   in Loop: Header=BB23_6 Depth=1
	s_or_b32 exec_lo, exec_lo, s30
	s_mov_b32 s34, -1
                                        ; implicit-def: $sgpr31
                                        ; implicit-def: $sgpr33
	s_and_saveexec_b32 s30, s44
	s_cbranch_execz .LBB23_237
; %bb.160:                              ;   in Loop: Header=BB23_6 Depth=1
	v_cmp_eq_u32_e32 vcc_lo, 1, v6
	s_cmp_eq_u32 s21, 1
	s_mov_b32 s44, -1
	s_cselect_b32 s31, -1, 0
                                        ; implicit-def: $sgpr33
	s_and_b32 s94, s31, vcc_lo
                                        ; implicit-def: $sgpr31
	s_and_saveexec_b32 s34, s94
	s_cbranch_execz .LBB23_186
; %bb.161:                              ;   in Loop: Header=BB23_6 Depth=1
	ds_read_b32 v4, v19 offset:4096
	s_waitcnt lgkmcnt(0)
	s_barrier
	buffer_gl0_inv
	v_readfirstlane_b32 s96, v4
	s_and_saveexec_b32 s31, s15
; %bb.162:                              ;   in Loop: Header=BB23_6 Depth=1
	ds_write_b8 v0, v19 offset:3072
; %bb.163:                              ;   in Loop: Header=BB23_6 Depth=1
	s_or_b32 exec_lo, exec_lo, s31
	s_lshl_b32 s31, 2, s87
	v_or_b32_e32 v3, s18, v3
	v_and_or_b32 v2, v2, s19, s31
	s_mov_b32 s31, -1
	s_mov_b32 s33, 0
	s_cmp_eq_u32 s96, 0
	s_mov_b32 s95, 0
	s_mov_b32 s97, -1
	s_waitcnt lgkmcnt(0)
	s_barrier
	buffer_gl0_inv
                                        ; implicit-def: $vgpr5
	s_cbranch_scc1 .LBB23_174
; %bb.164:                              ;   in Loop: Header=BB23_6 Depth=1
	s_add_i32 s44, s96, s71
	s_mov_b32 s97, 0
	s_mul_hi_u32 s45, s44, s78
	s_mov_b32 s98, exec_lo
	s_mul_i32 s45, s45, s35
                                        ; implicit-def: $vgpr5
	s_sub_i32 s45, s44, s45
	s_sub_i32 s46, s45, s35
	s_cmp_ge_u32 s45, s35
	s_cselect_b32 s45, s46, s45
	s_sub_i32 s46, s45, s35
	s_cmp_ge_u32 s45, s35
	s_cselect_b32 s45, s46, s45
	s_sub_i32 s44, s44, s45
	v_cmpx_gt_u32_e64 s44, v0
	s_cbranch_execz .LBB23_173
; %bb.165:                              ;   in Loop: Header=BB23_6 Depth=1
	v_mov_b32_e32 v4, v0
	s_mov_b32 s45, 0
                                        ; implicit-def: $sgpr46
	s_inst_prefetch 0x1
	s_branch .LBB23_168
	.p2align	6
.LBB23_166:                             ;   in Loop: Header=BB23_168 Depth=2
	s_or_b32 exec_lo, exec_lo, s95
	s_waitcnt lgkmcnt(0)
	s_barrier
	buffer_gl0_inv
	ds_read_u16 v5, v19 offset:3072
	s_mov_b32 s53, -1
	s_waitcnt lgkmcnt(0)
	s_barrier
	buffer_gl0_inv
	v_cmp_ne_u32_sdwa s52, v5, v19 src0_sel:BYTE_0 src1_sel:DWORD
	s_and_b32 vcc_lo, exec_lo, s52
	s_mov_b32 s52, -1
	s_cbranch_vccz .LBB23_171
.LBB23_167:                             ;   in Loop: Header=BB23_168 Depth=2
	s_and_b32 s53, exec_lo, s53
	s_or_b32 s45, s53, s45
	s_andn2_b32 s46, s46, exec_lo
	s_and_b32 s52, s52, exec_lo
	s_or_b32 s46, s46, s52
	s_andn2_b32 exec_lo, exec_lo, s45
	s_cbranch_execz .LBB23_172
.LBB23_168:                             ;   Parent Loop BB23_6 Depth=1
                                        ; =>  This Inner Loop Header: Depth=2
	s_mov_b32 s95, exec_lo
	v_cmpx_gt_u32_e64 s96, v4
	s_cbranch_execz .LBB23_166
; %bb.169:                              ;   in Loop: Header=BB23_168 Depth=2
	ds_read_u8 v5, v4
	s_waitcnt lgkmcnt(0)
	v_add_nc_u32_sdwa v7, sext(v5), v31 dst_sel:DWORD dst_unused:UNUSED_PAD src0_sel:BYTE_0 src1_sel:DWORD
	v_and_b32_e32 v7, v7, v3
	v_cmp_eq_u32_e32 vcc_lo, v7, v2
	s_and_b32 exec_lo, exec_lo, vcc_lo
	s_cbranch_execz .LBB23_166
; %bb.170:                              ;   in Loop: Header=BB23_168 Depth=2
	v_lshlrev_b16 v5, 8, v5
	v_or_b32_e32 v5, 1, v5
	ds_write_b16 v19, v5 offset:3072
	s_branch .LBB23_166
.LBB23_171:                             ;   in Loop: Header=BB23_168 Depth=2
	v_add_nc_u32_e32 v4, s35, v4
	s_mov_b32 s52, 0
	v_cmp_le_u32_e32 vcc_lo, s44, v4
	s_orn2_b32 s53, vcc_lo, exec_lo
	s_branch .LBB23_167
.LBB23_172:                             ;   in Loop: Header=BB23_6 Depth=1
	s_inst_prefetch 0x2
	s_or_b32 exec_lo, exec_lo, s45
	v_lshrrev_b32_sdwa v5, v32, v5 dst_sel:DWORD dst_unused:UNUSED_PAD src0_sel:DWORD src1_sel:WORD_0
	s_and_b32 s95, s46, exec_lo
.LBB23_173:                             ;   in Loop: Header=BB23_6 Depth=1
	s_or_b32 exec_lo, exec_lo, s98
.LBB23_174:                             ;   in Loop: Header=BB23_6 Depth=1
	s_and_b32 vcc_lo, exec_lo, s97
	s_cbranch_vccz .LBB23_185
; %bb.175:                              ;   in Loop: Header=BB23_6 Depth=1
                                        ; implicit-def: $vgpr5
	s_and_saveexec_b32 s31, s13
	s_cbranch_execz .LBB23_184
; %bb.176:                              ;   in Loop: Header=BB23_6 Depth=1
	v_mov_b32_e32 v4, v18
	v_mov_b32_e32 v5, v0
	s_mov_b32 s33, 0
                                        ; implicit-def: $sgpr44
	s_inst_prefetch 0x1
	s_branch .LBB23_179
	.p2align	6
.LBB23_177:                             ;   in Loop: Header=BB23_179 Depth=2
	s_or_b32 exec_lo, exec_lo, s45
	s_waitcnt lgkmcnt(0)
	s_barrier
	buffer_gl0_inv
	ds_read_u16 v7, v19 offset:3072
	s_mov_b32 s45, -1
	s_waitcnt lgkmcnt(0)
	s_barrier
	buffer_gl0_inv
	v_cmp_eq_u32_sdwa s46, v7, v19 src0_sel:BYTE_0 src1_sel:DWORD
	s_and_b32 vcc_lo, exec_lo, s46
	s_mov_b32 s46, -1
	s_cbranch_vccnz .LBB23_182
.LBB23_178:                             ;   in Loop: Header=BB23_179 Depth=2
	s_and_b32 s45, exec_lo, s45
	s_or_b32 s33, s45, s33
	s_andn2_b32 s44, s44, exec_lo
	s_and_b32 s45, s46, exec_lo
	s_or_b32 s44, s44, s45
	s_andn2_b32 exec_lo, exec_lo, s33
	s_cbranch_execz .LBB23_183
.LBB23_179:                             ;   Parent Loop BB23_6 Depth=1
                                        ; =>  This Inner Loop Header: Depth=2
	s_mov_b32 s45, exec_lo
	v_cmpx_gt_u32_e64 s36, v5
	s_cbranch_execz .LBB23_177
; %bb.180:                              ;   in Loop: Header=BB23_179 Depth=2
	global_load_ubyte v7, v4, s[48:49]
	s_waitcnt vmcnt(0)
	v_add_nc_u32_sdwa v8, sext(v7), v31 dst_sel:DWORD dst_unused:UNUSED_PAD src0_sel:BYTE_0 src1_sel:DWORD
	v_and_b32_e32 v8, v8, v3
	v_cmp_eq_u32_e32 vcc_lo, v8, v2
	s_and_b32 exec_lo, exec_lo, vcc_lo
	s_cbranch_execz .LBB23_177
; %bb.181:                              ;   in Loop: Header=BB23_179 Depth=2
	v_lshlrev_b16 v7, 8, v7
	v_or_b32_e32 v7, 1, v7
	ds_write_b16 v19, v7 offset:3072
	s_branch .LBB23_177
.LBB23_182:                             ;   in Loop: Header=BB23_179 Depth=2
	v_add_nc_u32_e32 v5, s35, v5
	v_add_nc_u32_e32 v4, s43, v4
	s_mov_b32 s46, 0
	v_cmp_le_u32_e32 vcc_lo, s80, v5
	s_orn2_b32 s45, vcc_lo, exec_lo
	s_branch .LBB23_178
.LBB23_183:                             ;   in Loop: Header=BB23_6 Depth=1
	s_inst_prefetch 0x2
	s_or_b32 exec_lo, exec_lo, s33
	v_lshrrev_b32_sdwa v5, v32, v7 dst_sel:DWORD dst_unused:UNUSED_PAD src0_sel:DWORD src1_sel:WORD_0
	s_andn2_b32 s33, s95, exec_lo
	s_and_b32 s44, s44, exec_lo
	s_or_b32 s95, s33, s44
.LBB23_184:                             ;   in Loop: Header=BB23_6 Depth=1
	s_or_b32 exec_lo, exec_lo, s31
	s_mov_b32 s31, 0
	s_mov_b32 s33, -1
.LBB23_185:                             ;   in Loop: Header=BB23_6 Depth=1
	s_orn2_b32 s44, s95, exec_lo
.LBB23_186:                             ;   in Loop: Header=BB23_6 Depth=1
	s_or_b32 exec_lo, exec_lo, s34
	s_mov_b32 s45, 0
	s_and_saveexec_b32 s34, s44
	s_cbranch_execz .LBB23_236
; %bb.187:                              ;   in Loop: Header=BB23_6 Depth=1
	v_mov_b32_e32 v4, 1
	v_mov_b32_e32 v1, 1
	s_xor_b32 s44, s94, -1
	s_and_saveexec_b32 s94, s44
	s_cbranch_execz .LBB23_196
; %bb.188:                              ;   in Loop: Header=BB23_6 Depth=1
	s_mov_b32 s44, exec_lo
	v_cmpx_ge_u32_e64 s21, v6
	s_xor_b32 s44, exec_lo, s44
	s_cbranch_execz .LBB23_193
; %bb.189:                              ;   in Loop: Header=BB23_6 Depth=1
	ds_read_b32 v1, v19 offset:4096
	s_lshl_b32 s45, 2, s87
	v_or_b32_e32 v3, s18, v3
	v_and_or_b32 v2, v2, s19, s45
	s_waitcnt lgkmcnt(0)
	v_cmp_ne_u32_e32 vcc_lo, 0, v1
	s_cbranch_vccnz .LBB23_193
; %bb.190:                              ;   in Loop: Header=BB23_6 Depth=1
	s_and_saveexec_b32 s45, s3
; %bb.191:                              ;   in Loop: Header=BB23_6 Depth=1
	v_mov_b32_e32 v1, s21
	ds_write_b32 v19, v1 offset:4100
; %bb.192:                              ;   in Loop: Header=BB23_6 Depth=1
	s_or_b32 exec_lo, exec_lo, s45
	s_waitcnt lgkmcnt(0)
	s_barrier
	buffer_gl0_inv
.LBB23_193:                             ;   in Loop: Header=BB23_6 Depth=1
	s_or_saveexec_b32 s44, s44
	v_mov_b32_e32 v1, 8
	s_mov_b32 s45, 0
	s_xor_b32 exec_lo, exec_lo, s44
; %bb.194:                              ;   in Loop: Header=BB23_6 Depth=1
	v_subrev_nc_u32_e32 v6, s21, v6
	v_mov_b32_e32 v1, 0
	s_mov_b32 s45, exec_lo
; %bb.195:                              ;   in Loop: Header=BB23_6 Depth=1
	s_or_b32 exec_lo, exec_lo, s44
	v_mov_b32_e32 v4, v6
	s_and_b32 s45, s45, exec_lo
.LBB23_196:                             ;   in Loop: Header=BB23_6 Depth=1
	s_or_b32 exec_lo, exec_lo, s94
	s_mov_b32 s44, -1
                                        ; implicit-def: $sgpr96
                                        ; implicit-def: $sgpr95
	s_and_saveexec_b32 s94, s45
	s_cbranch_execz .LBB23_235
; %bb.197:                              ;   in Loop: Header=BB23_6 Depth=1
	v_cmp_eq_u32_e32 vcc_lo, 1, v4
	s_cmp_eq_u32 s22, 1
                                        ; implicit-def: $sgpr96
                                        ; implicit-def: $sgpr95
	s_cselect_b32 s44, -1, 0
	s_and_b32 s97, s44, vcc_lo
	s_mov_b32 s44, -1
	s_and_saveexec_b32 s98, s97
	s_cbranch_execz .LBB23_223
; %bb.198:                              ;   in Loop: Header=BB23_6 Depth=1
	ds_read_b32 v5, v19 offset:4096
	s_waitcnt lgkmcnt(0)
	s_barrier
	buffer_gl0_inv
	v_readfirstlane_b32 s104, v5
	s_and_saveexec_b32 s44, s15
; %bb.199:                              ;   in Loop: Header=BB23_6 Depth=1
	ds_write_b8 v0, v19 offset:3072
; %bb.200:                              ;   in Loop: Header=BB23_6 Depth=1
	s_or_b32 exec_lo, exec_lo, s44
	v_or_b32_e32 v2, s18, v2
	v_or_b32_e32 v3, s18, v3
	s_mov_b32 s95, -1
	s_mov_b32 s96, 0
	s_cmp_eq_u32 s104, 0
	s_mov_b32 s99, 0
	s_mov_b32 vcc_hi, -1
	s_waitcnt lgkmcnt(0)
	s_barrier
	buffer_gl0_inv
                                        ; implicit-def: $vgpr5
	s_cbranch_scc1 .LBB23_211
; %bb.201:                              ;   in Loop: Header=BB23_6 Depth=1
	s_add_i32 s44, s104, s71
	s_mov_b32 vcc_hi, 0
	s_mul_hi_u32 s45, s44, s78
                                        ; implicit-def: $vgpr5
	s_mul_i32 s45, s45, s35
	s_sub_i32 s45, s44, s45
	s_sub_i32 s46, s45, s35
	s_cmp_ge_u32 s45, s35
	s_cselect_b32 s45, s46, s45
	s_sub_i32 s46, s45, s35
	s_cmp_ge_u32 s45, s35
	s_cselect_b32 s45, s46, s45
	s_sub_i32 s45, s44, s45
	s_mov_b32 s44, exec_lo
	v_cmpx_gt_u32_e64 s45, v0
	s_cbranch_execz .LBB23_210
; %bb.202:                              ;   in Loop: Header=BB23_6 Depth=1
	v_mov_b32_e32 v5, v0
	s_mov_b32 s46, 0
                                        ; implicit-def: $sgpr99
	s_inst_prefetch 0x1
	s_branch .LBB23_205
	.p2align	6
.LBB23_203:                             ;   in Loop: Header=BB23_205 Depth=2
	s_or_b32 exec_lo, exec_lo, s52
	s_waitcnt lgkmcnt(0)
	s_barrier
	buffer_gl0_inv
	ds_read_u16 v6, v19 offset:3072
	s_mov_b32 s53, -1
	s_waitcnt lgkmcnt(0)
	s_barrier
	buffer_gl0_inv
	v_cmp_ne_u32_sdwa s52, v6, v19 src0_sel:BYTE_0 src1_sel:DWORD
	s_and_b32 vcc_lo, exec_lo, s52
	s_mov_b32 s52, -1
	s_cbranch_vccz .LBB23_208
.LBB23_204:                             ;   in Loop: Header=BB23_205 Depth=2
	s_and_b32 s53, exec_lo, s53
	s_or_b32 s46, s53, s46
	s_andn2_b32 s53, s99, exec_lo
	s_and_b32 s52, s52, exec_lo
	s_or_b32 s99, s53, s52
	s_andn2_b32 exec_lo, exec_lo, s46
	s_cbranch_execz .LBB23_209
.LBB23_205:                             ;   Parent Loop BB23_6 Depth=1
                                        ; =>  This Inner Loop Header: Depth=2
	s_mov_b32 s52, exec_lo
	v_cmpx_gt_u32_e64 s104, v5
	s_cbranch_execz .LBB23_203
; %bb.206:                              ;   in Loop: Header=BB23_205 Depth=2
	ds_read_u8 v6, v5
	s_waitcnt lgkmcnt(0)
	v_add_nc_u32_sdwa v7, sext(v6), v31 dst_sel:DWORD dst_unused:UNUSED_PAD src0_sel:BYTE_0 src1_sel:DWORD
	v_and_b32_e32 v7, v7, v3
	v_cmp_eq_u32_e32 vcc_lo, v7, v2
	s_and_b32 exec_lo, exec_lo, vcc_lo
	s_cbranch_execz .LBB23_203
; %bb.207:                              ;   in Loop: Header=BB23_205 Depth=2
	v_lshlrev_b16 v6, 8, v6
	v_or_b32_e32 v6, 1, v6
	ds_write_b16 v19, v6 offset:3072
	s_branch .LBB23_203
.LBB23_208:                             ;   in Loop: Header=BB23_205 Depth=2
	v_add_nc_u32_e32 v5, s35, v5
	s_mov_b32 s52, 0
	v_cmp_le_u32_e32 vcc_lo, s45, v5
	s_orn2_b32 s53, vcc_lo, exec_lo
	s_branch .LBB23_204
.LBB23_209:                             ;   in Loop: Header=BB23_6 Depth=1
	s_inst_prefetch 0x2
	s_or_b32 exec_lo, exec_lo, s46
	v_lshrrev_b32_sdwa v5, v32, v6 dst_sel:DWORD dst_unused:UNUSED_PAD src0_sel:DWORD src1_sel:WORD_0
	s_and_b32 s99, s99, exec_lo
.LBB23_210:                             ;   in Loop: Header=BB23_6 Depth=1
	s_or_b32 exec_lo, exec_lo, s44
.LBB23_211:                             ;   in Loop: Header=BB23_6 Depth=1
	s_and_b32 vcc_lo, exec_lo, vcc_hi
	s_cbranch_vccz .LBB23_222
; %bb.212:                              ;   in Loop: Header=BB23_6 Depth=1
                                        ; implicit-def: $vgpr5
	s_and_saveexec_b32 s95, s13
	s_cbranch_execz .LBB23_221
; %bb.213:                              ;   in Loop: Header=BB23_6 Depth=1
	v_mov_b32_e32 v5, v18
	v_mov_b32_e32 v6, v0
	s_mov_b32 s44, 0
                                        ; implicit-def: $sgpr45
	s_inst_prefetch 0x1
	s_branch .LBB23_216
	.p2align	6
.LBB23_214:                             ;   in Loop: Header=BB23_216 Depth=2
	s_or_b32 exec_lo, exec_lo, s46
	s_waitcnt lgkmcnt(0)
	s_barrier
	buffer_gl0_inv
	ds_read_u16 v7, v19 offset:3072
	s_mov_b32 s46, -1
	s_waitcnt lgkmcnt(0)
	s_barrier
	buffer_gl0_inv
	v_cmp_eq_u32_sdwa s52, v7, v19 src0_sel:BYTE_0 src1_sel:DWORD
	s_and_b32 vcc_lo, exec_lo, s52
	s_mov_b32 s52, -1
	s_cbranch_vccnz .LBB23_219
.LBB23_215:                             ;   in Loop: Header=BB23_216 Depth=2
	s_and_b32 s46, exec_lo, s46
	s_or_b32 s44, s46, s44
	s_andn2_b32 s45, s45, exec_lo
	s_and_b32 s46, s52, exec_lo
	s_or_b32 s45, s45, s46
	s_andn2_b32 exec_lo, exec_lo, s44
	s_cbranch_execz .LBB23_220
.LBB23_216:                             ;   Parent Loop BB23_6 Depth=1
                                        ; =>  This Inner Loop Header: Depth=2
	s_mov_b32 s46, exec_lo
	v_cmpx_gt_u32_e64 s36, v6
	s_cbranch_execz .LBB23_214
; %bb.217:                              ;   in Loop: Header=BB23_216 Depth=2
	global_load_ubyte v7, v5, s[48:49]
	s_waitcnt vmcnt(0)
	v_add_nc_u32_sdwa v8, sext(v7), v31 dst_sel:DWORD dst_unused:UNUSED_PAD src0_sel:BYTE_0 src1_sel:DWORD
	v_and_b32_e32 v8, v8, v3
	v_cmp_eq_u32_e32 vcc_lo, v8, v2
	s_and_b32 exec_lo, exec_lo, vcc_lo
	s_cbranch_execz .LBB23_214
; %bb.218:                              ;   in Loop: Header=BB23_216 Depth=2
	v_lshlrev_b16 v7, 8, v7
	v_or_b32_e32 v7, 1, v7
	ds_write_b16 v19, v7 offset:3072
	s_branch .LBB23_214
.LBB23_219:                             ;   in Loop: Header=BB23_216 Depth=2
	v_add_nc_u32_e32 v6, s35, v6
	v_add_nc_u32_e32 v5, s43, v5
	s_mov_b32 s52, 0
	v_cmp_le_u32_e32 vcc_lo, s80, v6
	s_orn2_b32 s46, vcc_lo, exec_lo
	s_branch .LBB23_215
.LBB23_220:                             ;   in Loop: Header=BB23_6 Depth=1
	s_inst_prefetch 0x2
	s_or_b32 exec_lo, exec_lo, s44
	v_lshrrev_b32_sdwa v5, v32, v7 dst_sel:DWORD dst_unused:UNUSED_PAD src0_sel:DWORD src1_sel:WORD_0
	s_andn2_b32 s44, s99, exec_lo
	s_and_b32 s45, s45, exec_lo
	s_or_b32 s99, s44, s45
.LBB23_221:                             ;   in Loop: Header=BB23_6 Depth=1
	s_or_b32 exec_lo, exec_lo, s95
	s_mov_b32 s95, 0
	s_mov_b32 s96, -1
.LBB23_222:                             ;   in Loop: Header=BB23_6 Depth=1
	s_orn2_b32 s44, s99, exec_lo
.LBB23_223:                             ;   in Loop: Header=BB23_6 Depth=1
	s_or_b32 exec_lo, exec_lo, s98
	s_mov_b32 s45, 0
	s_and_saveexec_b32 s98, s44
	s_cbranch_execz .LBB23_234
; %bb.224:                              ;   in Loop: Header=BB23_6 Depth=1
	v_mov_b32_e32 v1, 1
	v_mov_b32_e32 v6, 1
	s_xor_b32 s45, s97, -1
	s_and_saveexec_b32 s44, s45
	s_cbranch_execz .LBB23_233
; %bb.225:                              ;   in Loop: Header=BB23_6 Depth=1
	s_mov_b32 s45, exec_lo
	v_cmpx_ge_u32_e64 s22, v4
	s_xor_b32 s45, exec_lo, s45
	s_cbranch_execz .LBB23_230
; %bb.226:                              ;   in Loop: Header=BB23_6 Depth=1
	ds_read_b32 v1, v19 offset:4096
	v_or_b32_e32 v2, s18, v2
	v_or_b32_e32 v3, s18, v3
	s_waitcnt lgkmcnt(0)
	v_cmp_ne_u32_e32 vcc_lo, 0, v1
	s_cbranch_vccnz .LBB23_230
; %bb.227:                              ;   in Loop: Header=BB23_6 Depth=1
	s_and_saveexec_b32 s46, s3
; %bb.228:                              ;   in Loop: Header=BB23_6 Depth=1
	v_mov_b32_e32 v1, s22
	ds_write_b32 v19, v1 offset:4100
; %bb.229:                              ;   in Loop: Header=BB23_6 Depth=1
	s_or_b32 exec_lo, exec_lo, s46
	s_waitcnt lgkmcnt(0)
	s_barrier
	buffer_gl0_inv
.LBB23_230:                             ;   in Loop: Header=BB23_6 Depth=1
	s_andn2_saveexec_b32 s45, s45
; %bb.231:                              ;   in Loop: Header=BB23_6 Depth=1
	v_subrev_nc_u32_e32 v4, s22, v4
; %bb.232:                              ;   in Loop: Header=BB23_6 Depth=1
	s_or_b32 exec_lo, exec_lo, s45
	v_mov_b32_e32 v1, 8
	v_mov_b32_e32 v6, v4
.LBB23_233:                             ;   in Loop: Header=BB23_6 Depth=1
	s_or_b32 exec_lo, exec_lo, s44
	v_mov_b32_e32 v4, v6
	s_mov_b32 s45, exec_lo
.LBB23_234:                             ;   in Loop: Header=BB23_6 Depth=1
	s_or_b32 exec_lo, exec_lo, s98
	s_orn2_b32 s44, s45, exec_lo
.LBB23_235:                             ;   in Loop: Header=BB23_6 Depth=1
	s_or_b32 exec_lo, exec_lo, s94
	v_mov_b32_e32 v6, v4
	s_andn2_b32 s33, s33, exec_lo
	s_and_b32 s45, s96, exec_lo
	s_andn2_b32 s31, s31, exec_lo
	s_and_b32 s46, s95, exec_lo
	s_or_b32 s33, s33, s45
	s_or_b32 s31, s31, s46
	s_and_b32 s45, s44, exec_lo
.LBB23_236:                             ;   in Loop: Header=BB23_6 Depth=1
	s_or_b32 exec_lo, exec_lo, s34
	s_orn2_b32 s34, s45, exec_lo
.LBB23_237:                             ;   in Loop: Header=BB23_6 Depth=1
	s_or_b32 exec_lo, exec_lo, s30
	v_mov_b32_e32 v4, v6
	s_andn2_b32 s24, s24, exec_lo
	s_and_b32 s30, s33, exec_lo
	s_andn2_b32 s23, s23, exec_lo
	s_and_b32 s31, s31, exec_lo
	s_or_b32 s24, s24, s30
	s_or_b32 s23, s23, s31
	s_and_b32 s33, s34, exec_lo
.LBB23_238:                             ;   in Loop: Header=BB23_6 Depth=1
	s_or_b32 exec_lo, exec_lo, s29
	s_orn2_b32 s29, s33, exec_lo
.LBB23_239:                             ;   in Loop: Header=BB23_6 Depth=1
	s_or_b32 exec_lo, exec_lo, s6
	s_mov_b32 s6, 0
	s_mov_b32 s30, 0
	s_and_saveexec_b32 s31, s29
	s_xor_b32 s29, exec_lo, s31
; %bb.240:                              ;   in Loop: Header=BB23_6 Depth=1
	v_cmp_ne_u32_e32 vcc_lo, 8, v1
	v_cmp_eq_u32_e64 s6, 8, v1
	s_and_b32 s30, vcc_lo, exec_lo
	s_and_b32 s6, s6, exec_lo
; %bb.241:                              ;   in Loop: Header=BB23_6 Depth=1
	s_or_b32 exec_lo, exec_lo, s29
	s_andn2_b32 s26, s26, exec_lo
	s_and_b32 s24, s24, exec_lo
	s_andn2_b32 s25, s25, exec_lo
	s_and_b32 s23, s23, exec_lo
	s_or_b32 s26, s26, s24
	s_or_b32 s25, s25, s23
	s_and_b32 s23, s30, exec_lo
	s_and_b32 s24, s6, exec_lo
.LBB23_242:                             ;   in Loop: Header=BB23_6 Depth=1
	s_or_b32 exec_lo, exec_lo, s28
.LBB23_243:                             ;   in Loop: Header=BB23_6 Depth=1
	s_and_b32 vcc_lo, exec_lo, s27
	s_cbranch_vccz .LBB23_256
; %bb.244:                              ;   in Loop: Header=BB23_6 Depth=1
	s_cmp_eq_u32 s22, 1
	s_mov_b32 s26, -1
	s_cselect_b32 s6, -1, 0
                                        ; implicit-def: $sgpr16
	s_and_b32 s6, s6, s14
                                        ; implicit-def: $sgpr14
	s_and_saveexec_b32 s25, s6
	s_cbranch_execz .LBB23_271
; %bb.245:                              ;   in Loop: Header=BB23_6 Depth=1
	ds_read_b32 v1, v19 offset:4096
	s_waitcnt lgkmcnt(0)
	s_barrier
	buffer_gl0_inv
	v_readfirstlane_b32 s27, v1
	s_and_saveexec_b32 s14, s15
; %bb.246:                              ;   in Loop: Header=BB23_6 Depth=1
	ds_write_b8 v0, v19 offset:3072
; %bb.247:                              ;   in Loop: Header=BB23_6 Depth=1
	s_or_b32 exec_lo, exec_lo, s14
	v_or_b32_e32 v14, s18, v14
	v_or_b32_e32 v33, s18, v33
	s_mov_b32 s16, -1
	s_mov_b32 s14, 0
	s_cmp_eq_u32 s27, 0
	s_mov_b32 s26, 0
	s_mov_b32 s28, -1
	s_waitcnt lgkmcnt(0)
	s_barrier
	buffer_gl0_inv
                                        ; implicit-def: $vgpr34
	s_cbranch_scc1 .LBB23_259
; %bb.248:                              ;   in Loop: Header=BB23_6 Depth=1
	s_add_i32 s26, s27, s71
                                        ; implicit-def: $vgpr34
	s_mul_hi_u32 s28, s26, s78
	s_mul_i32 s28, s28, s35
	s_sub_i32 s28, s26, s28
	s_sub_i32 s29, s28, s35
	s_cmp_ge_u32 s28, s35
	s_cselect_b32 s28, s29, s28
	s_sub_i32 s29, s28, s35
	s_cmp_ge_u32 s28, s35
	s_cselect_b32 s28, s29, s28
	s_mov_b32 s29, exec_lo
	s_sub_i32 s30, s26, s28
	s_mov_b32 s28, 0
	s_mov_b32 s26, 0
	v_cmpx_gt_u32_e64 s30, v0
	s_cbranch_execz .LBB23_258
; %bb.249:                              ;   in Loop: Header=BB23_6 Depth=1
	v_mov_b32_e32 v1, v0
                                        ; implicit-def: $sgpr31
	s_inst_prefetch 0x1
	s_branch .LBB23_252
	.p2align	6
.LBB23_250:                             ;   in Loop: Header=BB23_252 Depth=2
	s_or_b32 exec_lo, exec_lo, s33
	s_waitcnt lgkmcnt(0)
	s_barrier
	buffer_gl0_inv
	ds_read_u16 v2, v19 offset:3072
	s_mov_b32 s34, -1
	s_waitcnt lgkmcnt(0)
	s_barrier
	buffer_gl0_inv
	v_cmp_ne_u32_sdwa s33, v2, v19 src0_sel:BYTE_0 src1_sel:DWORD
	s_and_b32 vcc_lo, exec_lo, s33
	s_mov_b32 s33, -1
	s_cbranch_vccz .LBB23_255
.LBB23_251:                             ;   in Loop: Header=BB23_252 Depth=2
	s_and_b32 s34, exec_lo, s34
	s_or_b32 s26, s34, s26
	s_andn2_b32 s31, s31, exec_lo
	s_and_b32 s33, s33, exec_lo
	s_or_b32 s31, s31, s33
	s_andn2_b32 exec_lo, exec_lo, s26
	s_cbranch_execz .LBB23_257
.LBB23_252:                             ;   Parent Loop BB23_6 Depth=1
                                        ; =>  This Inner Loop Header: Depth=2
	s_mov_b32 s33, exec_lo
	v_cmpx_gt_u32_e64 s27, v1
	s_cbranch_execz .LBB23_250
; %bb.253:                              ;   in Loop: Header=BB23_252 Depth=2
	ds_read_u8 v2, v1
	s_waitcnt lgkmcnt(0)
	v_add_nc_u32_sdwa v3, sext(v2), v31 dst_sel:DWORD dst_unused:UNUSED_PAD src0_sel:BYTE_0 src1_sel:DWORD
	v_and_b32_e32 v3, v3, v33
	v_cmp_eq_u32_e32 vcc_lo, v3, v14
	s_and_b32 exec_lo, exec_lo, vcc_lo
	s_cbranch_execz .LBB23_250
; %bb.254:                              ;   in Loop: Header=BB23_252 Depth=2
	v_lshlrev_b16 v2, 8, v2
	v_or_b32_e32 v2, 1, v2
	ds_write_b16 v19, v2 offset:3072
	s_branch .LBB23_250
.LBB23_255:                             ;   in Loop: Header=BB23_252 Depth=2
	v_add_nc_u32_e32 v1, s35, v1
	s_mov_b32 s33, 0
	v_cmp_le_u32_e32 vcc_lo, s30, v1
	s_orn2_b32 s34, vcc_lo, exec_lo
	s_branch .LBB23_251
.LBB23_256:                             ;   in Loop: Header=BB23_6 Depth=1
	v_mov_b32_e32 v14, v2
	v_mov_b32_e32 v33, v3
	;; [unrolled: 1-line block ×3, first 2 shown]
	s_mov_b32 s14, 0
	s_and_saveexec_b32 s6, s24
	s_cbranch_execnz .LBB23_402
	s_branch .LBB23_403
.LBB23_257:                             ;   in Loop: Header=BB23_6 Depth=1
	s_inst_prefetch 0x2
	s_or_b32 exec_lo, exec_lo, s26
	v_lshrrev_b32_sdwa v34, v32, v2 dst_sel:DWORD dst_unused:UNUSED_PAD src0_sel:DWORD src1_sel:WORD_0
	s_and_b32 s26, s31, exec_lo
.LBB23_258:                             ;   in Loop: Header=BB23_6 Depth=1
	s_or_b32 exec_lo, exec_lo, s29
.LBB23_259:                             ;   in Loop: Header=BB23_6 Depth=1
	s_and_b32 vcc_lo, exec_lo, s28
	s_cbranch_vccz .LBB23_270
; %bb.260:                              ;   in Loop: Header=BB23_6 Depth=1
                                        ; implicit-def: $vgpr34
	s_and_saveexec_b32 s14, s13
	s_cbranch_execz .LBB23_269
; %bb.261:                              ;   in Loop: Header=BB23_6 Depth=1
	v_mov_b32_e32 v1, v18
	v_mov_b32_e32 v2, v0
	s_mov_b32 s16, 0
                                        ; implicit-def: $sgpr27
	s_inst_prefetch 0x1
	s_branch .LBB23_264
	.p2align	6
.LBB23_262:                             ;   in Loop: Header=BB23_264 Depth=2
	s_or_b32 exec_lo, exec_lo, s28
	s_waitcnt lgkmcnt(0)
	s_barrier
	buffer_gl0_inv
	ds_read_u16 v3, v19 offset:3072
	s_mov_b32 s28, -1
	s_waitcnt lgkmcnt(0)
	s_barrier
	buffer_gl0_inv
	v_cmp_ne_u32_sdwa s29, v3, v19 src0_sel:BYTE_0 src1_sel:DWORD
	s_and_b32 vcc_lo, exec_lo, s29
	s_mov_b32 s29, -1
	s_cbranch_vccz .LBB23_267
.LBB23_263:                             ;   in Loop: Header=BB23_264 Depth=2
	s_and_b32 s28, exec_lo, s28
	s_or_b32 s16, s28, s16
	s_andn2_b32 s27, s27, exec_lo
	s_and_b32 s28, s29, exec_lo
	s_or_b32 s27, s27, s28
	s_andn2_b32 exec_lo, exec_lo, s16
	s_cbranch_execz .LBB23_268
.LBB23_264:                             ;   Parent Loop BB23_6 Depth=1
                                        ; =>  This Inner Loop Header: Depth=2
	s_mov_b32 s28, exec_lo
	v_cmpx_gt_u32_e64 s36, v2
	s_cbranch_execz .LBB23_262
; %bb.265:                              ;   in Loop: Header=BB23_264 Depth=2
	global_load_ubyte v3, v1, s[48:49]
	s_waitcnt vmcnt(0)
	v_add_nc_u32_sdwa v4, sext(v3), v31 dst_sel:DWORD dst_unused:UNUSED_PAD src0_sel:BYTE_0 src1_sel:DWORD
	v_and_b32_e32 v4, v4, v33
	v_cmp_eq_u32_e32 vcc_lo, v4, v14
	s_and_b32 exec_lo, exec_lo, vcc_lo
	s_cbranch_execz .LBB23_262
; %bb.266:                              ;   in Loop: Header=BB23_264 Depth=2
	v_lshlrev_b16 v3, 8, v3
	v_or_b32_e32 v3, 1, v3
	ds_write_b16 v19, v3 offset:3072
	s_branch .LBB23_262
.LBB23_267:                             ;   in Loop: Header=BB23_264 Depth=2
	v_add_nc_u32_e32 v2, s35, v2
	v_add_nc_u32_e32 v1, s43, v1
	s_mov_b32 s29, 0
	v_cmp_le_u32_e32 vcc_lo, s80, v2
	s_orn2_b32 s28, vcc_lo, exec_lo
	s_branch .LBB23_263
.LBB23_268:                             ;   in Loop: Header=BB23_6 Depth=1
	s_inst_prefetch 0x2
	s_or_b32 exec_lo, exec_lo, s16
	v_lshrrev_b32_sdwa v34, v32, v3 dst_sel:DWORD dst_unused:UNUSED_PAD src0_sel:DWORD src1_sel:WORD_0
	s_andn2_b32 s16, s26, exec_lo
	s_and_b32 s26, s27, exec_lo
	s_or_b32 s26, s16, s26
.LBB23_269:                             ;   in Loop: Header=BB23_6 Depth=1
	s_or_b32 exec_lo, exec_lo, s14
	s_mov_b32 s16, 0
	s_mov_b32 s14, -1
.LBB23_270:                             ;   in Loop: Header=BB23_6 Depth=1
	s_orn2_b32 s26, s26, exec_lo
.LBB23_271:                             ;   in Loop: Header=BB23_6 Depth=1
	s_or_b32 exec_lo, exec_lo, s25
                                        ; implicit-def: $vgpr4
                                        ; implicit-def: $vgpr1
	s_and_saveexec_b32 s25, s26
	s_cbranch_execz .LBB23_401
; %bb.272:                              ;   in Loop: Header=BB23_6 Depth=1
	v_mov_b32_e32 v4, 1
	v_mov_b32_e32 v1, 1
	s_xor_b32 s26, s6, -1
	s_mov_b32 s28, 0
	s_and_saveexec_b32 s6, s26
	s_cbranch_execz .LBB23_281
; %bb.273:                              ;   in Loop: Header=BB23_6 Depth=1
	s_mov_b32 s26, exec_lo
	v_cmpx_ge_u32_e64 s22, v35
	s_xor_b32 s26, exec_lo, s26
	s_cbranch_execz .LBB23_278
; %bb.274:                              ;   in Loop: Header=BB23_6 Depth=1
	ds_read_b32 v1, v19 offset:4096
	v_or_b32_e32 v14, s18, v14
	v_or_b32_e32 v33, s18, v33
	s_waitcnt lgkmcnt(0)
	v_cmp_ne_u32_e32 vcc_lo, 0, v1
	s_cbranch_vccnz .LBB23_278
; %bb.275:                              ;   in Loop: Header=BB23_6 Depth=1
	s_and_saveexec_b32 s27, s3
; %bb.276:                              ;   in Loop: Header=BB23_6 Depth=1
	v_mov_b32_e32 v1, s22
	ds_write_b32 v19, v1 offset:4100
; %bb.277:                              ;   in Loop: Header=BB23_6 Depth=1
	s_or_b32 exec_lo, exec_lo, s27
	s_waitcnt lgkmcnt(0)
	s_barrier
	buffer_gl0_inv
.LBB23_278:                             ;   in Loop: Header=BB23_6 Depth=1
	s_or_saveexec_b32 s26, s26
	v_mov_b32_e32 v1, 5
	s_mov_b32 s27, 0
	s_xor_b32 exec_lo, exec_lo, s26
; %bb.279:                              ;   in Loop: Header=BB23_6 Depth=1
	v_subrev_nc_u32_e32 v35, s22, v35
	v_mov_b32_e32 v1, 0
	s_mov_b32 s27, exec_lo
; %bb.280:                              ;   in Loop: Header=BB23_6 Depth=1
	s_or_b32 exec_lo, exec_lo, s26
	v_mov_b32_e32 v4, v35
	s_and_b32 s28, s27, exec_lo
.LBB23_281:                             ;   in Loop: Header=BB23_6 Depth=1
	s_or_b32 exec_lo, exec_lo, s6
	s_mov_b32 s27, -1
                                        ; implicit-def: $sgpr22
                                        ; implicit-def: $sgpr26
	s_and_saveexec_b32 s6, s28
	s_xor_b32 s6, exec_lo, s6
	s_cbranch_execz .LBB23_398
; %bb.282:                              ;   in Loop: Header=BB23_6 Depth=1
	v_cmp_eq_u32_e32 vcc_lo, 1, v4
	s_cmp_eq_u32 s21, 1
	s_mov_b32 s29, -1
	s_cselect_b32 s22, -1, 0
                                        ; implicit-def: $sgpr26
	s_and_b32 s28, s22, vcc_lo
                                        ; implicit-def: $sgpr22
	s_and_saveexec_b32 s27, s28
	s_cbranch_execz .LBB23_308
; %bb.283:                              ;   in Loop: Header=BB23_6 Depth=1
	ds_read_b32 v2, v19 offset:4096
	s_waitcnt lgkmcnt(0)
	s_barrier
	buffer_gl0_inv
	v_readfirstlane_b32 s30, v2
	s_and_saveexec_b32 s22, s15
; %bb.284:                              ;   in Loop: Header=BB23_6 Depth=1
	ds_write_b8 v0, v19 offset:3072
; %bb.285:                              ;   in Loop: Header=BB23_6 Depth=1
	s_or_b32 exec_lo, exec_lo, s22
	s_lshl_b32 s22, 2, s87
	v_or_b32_e32 v33, s18, v33
	v_and_or_b32 v14, v14, s19, s22
	s_mov_b32 s22, -1
	s_mov_b32 s26, 0
	s_cmp_eq_u32 s30, 0
	s_mov_b32 s29, 0
	s_mov_b32 s31, -1
	s_waitcnt lgkmcnt(0)
	s_barrier
	buffer_gl0_inv
                                        ; implicit-def: $vgpr34
	s_cbranch_scc1 .LBB23_296
; %bb.286:                              ;   in Loop: Header=BB23_6 Depth=1
	s_add_i32 s29, s30, s71
                                        ; implicit-def: $vgpr34
	s_mul_hi_u32 s31, s29, s78
	s_mul_i32 s31, s31, s35
	s_sub_i32 s31, s29, s31
	s_sub_i32 s33, s31, s35
	s_cmp_ge_u32 s31, s35
	s_cselect_b32 s31, s33, s31
	s_sub_i32 s33, s31, s35
	s_cmp_ge_u32 s31, s35
	s_cselect_b32 s31, s33, s31
	s_mov_b32 s33, exec_lo
	s_sub_i32 s34, s29, s31
	s_mov_b32 s31, 0
	s_mov_b32 s29, 0
	v_cmpx_gt_u32_e64 s34, v0
	s_cbranch_execz .LBB23_295
; %bb.287:                              ;   in Loop: Header=BB23_6 Depth=1
	v_mov_b32_e32 v2, v0
                                        ; implicit-def: $sgpr44
	s_inst_prefetch 0x1
	s_branch .LBB23_290
	.p2align	6
.LBB23_288:                             ;   in Loop: Header=BB23_290 Depth=2
	s_or_b32 exec_lo, exec_lo, s45
	s_waitcnt lgkmcnt(0)
	s_barrier
	buffer_gl0_inv
	ds_read_u16 v3, v19 offset:3072
	s_mov_b32 s46, -1
	s_waitcnt lgkmcnt(0)
	s_barrier
	buffer_gl0_inv
	v_cmp_ne_u32_sdwa s45, v3, v19 src0_sel:BYTE_0 src1_sel:DWORD
	s_and_b32 vcc_lo, exec_lo, s45
	s_mov_b32 s45, -1
	s_cbranch_vccz .LBB23_293
.LBB23_289:                             ;   in Loop: Header=BB23_290 Depth=2
	s_and_b32 s46, exec_lo, s46
	s_or_b32 s29, s46, s29
	s_andn2_b32 s44, s44, exec_lo
	s_and_b32 s45, s45, exec_lo
	s_or_b32 s44, s44, s45
	s_andn2_b32 exec_lo, exec_lo, s29
	s_cbranch_execz .LBB23_294
.LBB23_290:                             ;   Parent Loop BB23_6 Depth=1
                                        ; =>  This Inner Loop Header: Depth=2
	s_mov_b32 s45, exec_lo
	v_cmpx_gt_u32_e64 s30, v2
	s_cbranch_execz .LBB23_288
; %bb.291:                              ;   in Loop: Header=BB23_290 Depth=2
	ds_read_u8 v3, v2
	s_waitcnt lgkmcnt(0)
	v_add_nc_u32_sdwa v5, sext(v3), v31 dst_sel:DWORD dst_unused:UNUSED_PAD src0_sel:BYTE_0 src1_sel:DWORD
	v_and_b32_e32 v5, v5, v33
	v_cmp_eq_u32_e32 vcc_lo, v5, v14
	s_and_b32 exec_lo, exec_lo, vcc_lo
	s_cbranch_execz .LBB23_288
; %bb.292:                              ;   in Loop: Header=BB23_290 Depth=2
	v_lshlrev_b16 v3, 8, v3
	v_or_b32_e32 v3, 1, v3
	ds_write_b16 v19, v3 offset:3072
	s_branch .LBB23_288
.LBB23_293:                             ;   in Loop: Header=BB23_290 Depth=2
	v_add_nc_u32_e32 v2, s35, v2
	s_mov_b32 s45, 0
	v_cmp_le_u32_e32 vcc_lo, s34, v2
	s_orn2_b32 s46, vcc_lo, exec_lo
	s_branch .LBB23_289
.LBB23_294:                             ;   in Loop: Header=BB23_6 Depth=1
	s_inst_prefetch 0x2
	s_or_b32 exec_lo, exec_lo, s29
	v_lshrrev_b32_sdwa v34, v32, v3 dst_sel:DWORD dst_unused:UNUSED_PAD src0_sel:DWORD src1_sel:WORD_0
	s_and_b32 s29, s44, exec_lo
.LBB23_295:                             ;   in Loop: Header=BB23_6 Depth=1
	s_or_b32 exec_lo, exec_lo, s33
.LBB23_296:                             ;   in Loop: Header=BB23_6 Depth=1
	s_and_b32 vcc_lo, exec_lo, s31
	s_cbranch_vccz .LBB23_307
; %bb.297:                              ;   in Loop: Header=BB23_6 Depth=1
                                        ; implicit-def: $vgpr34
	s_and_saveexec_b32 s22, s13
	s_cbranch_execz .LBB23_306
; %bb.298:                              ;   in Loop: Header=BB23_6 Depth=1
	v_mov_b32_e32 v2, v18
	v_mov_b32_e32 v3, v0
	s_mov_b32 s26, 0
                                        ; implicit-def: $sgpr30
	s_inst_prefetch 0x1
	s_branch .LBB23_301
	.p2align	6
.LBB23_299:                             ;   in Loop: Header=BB23_301 Depth=2
	s_or_b32 exec_lo, exec_lo, s31
	s_waitcnt lgkmcnt(0)
	s_barrier
	buffer_gl0_inv
	ds_read_u16 v5, v19 offset:3072
	s_mov_b32 s31, -1
	s_waitcnt lgkmcnt(0)
	s_barrier
	buffer_gl0_inv
	v_cmp_eq_u32_sdwa s33, v5, v19 src0_sel:BYTE_0 src1_sel:DWORD
	s_and_b32 vcc_lo, exec_lo, s33
	s_mov_b32 s33, -1
	s_cbranch_vccnz .LBB23_304
.LBB23_300:                             ;   in Loop: Header=BB23_301 Depth=2
	s_and_b32 s31, exec_lo, s31
	s_or_b32 s26, s31, s26
	s_andn2_b32 s30, s30, exec_lo
	s_and_b32 s31, s33, exec_lo
	s_or_b32 s30, s30, s31
	s_andn2_b32 exec_lo, exec_lo, s26
	s_cbranch_execz .LBB23_305
.LBB23_301:                             ;   Parent Loop BB23_6 Depth=1
                                        ; =>  This Inner Loop Header: Depth=2
	s_mov_b32 s31, exec_lo
	v_cmpx_gt_u32_e64 s36, v3
	s_cbranch_execz .LBB23_299
; %bb.302:                              ;   in Loop: Header=BB23_301 Depth=2
	global_load_ubyte v5, v2, s[48:49]
	s_waitcnt vmcnt(0)
	v_add_nc_u32_sdwa v6, sext(v5), v31 dst_sel:DWORD dst_unused:UNUSED_PAD src0_sel:BYTE_0 src1_sel:DWORD
	v_and_b32_e32 v6, v6, v33
	v_cmp_eq_u32_e32 vcc_lo, v6, v14
	s_and_b32 exec_lo, exec_lo, vcc_lo
	s_cbranch_execz .LBB23_299
; %bb.303:                              ;   in Loop: Header=BB23_301 Depth=2
	v_lshlrev_b16 v5, 8, v5
	v_or_b32_e32 v5, 1, v5
	ds_write_b16 v19, v5 offset:3072
	s_branch .LBB23_299
.LBB23_304:                             ;   in Loop: Header=BB23_301 Depth=2
	v_add_nc_u32_e32 v3, s35, v3
	v_add_nc_u32_e32 v2, s43, v2
	s_mov_b32 s33, 0
	v_cmp_le_u32_e32 vcc_lo, s80, v3
	s_orn2_b32 s31, vcc_lo, exec_lo
	s_branch .LBB23_300
.LBB23_305:                             ;   in Loop: Header=BB23_6 Depth=1
	s_inst_prefetch 0x2
	s_or_b32 exec_lo, exec_lo, s26
	v_lshrrev_b32_sdwa v34, v32, v5 dst_sel:DWORD dst_unused:UNUSED_PAD src0_sel:DWORD src1_sel:WORD_0
	s_andn2_b32 s26, s29, exec_lo
	s_and_b32 s29, s30, exec_lo
	s_or_b32 s29, s26, s29
.LBB23_306:                             ;   in Loop: Header=BB23_6 Depth=1
	s_or_b32 exec_lo, exec_lo, s22
	s_mov_b32 s22, 0
	s_mov_b32 s26, -1
.LBB23_307:                             ;   in Loop: Header=BB23_6 Depth=1
	s_orn2_b32 s29, s29, exec_lo
.LBB23_308:                             ;   in Loop: Header=BB23_6 Depth=1
	s_or_b32 exec_lo, exec_lo, s27
	s_mov_b32 s30, 0
	s_and_saveexec_b32 s27, s29
	s_cbranch_execz .LBB23_397
; %bb.309:                              ;   in Loop: Header=BB23_6 Depth=1
	v_mov_b32_e32 v2, 1
	v_mov_b32_e32 v1, 1
	s_xor_b32 s29, s28, -1
	s_mov_b32 s31, 0
	s_and_saveexec_b32 s28, s29
	s_cbranch_execz .LBB23_318
; %bb.310:                              ;   in Loop: Header=BB23_6 Depth=1
	s_mov_b32 s29, exec_lo
	v_cmpx_ge_u32_e64 s21, v4
	s_xor_b32 s29, exec_lo, s29
	s_cbranch_execz .LBB23_315
; %bb.311:                              ;   in Loop: Header=BB23_6 Depth=1
	ds_read_b32 v1, v19 offset:4096
	s_lshl_b32 s30, 2, s87
	v_or_b32_e32 v33, s18, v33
	v_and_or_b32 v14, v14, s19, s30
	s_waitcnt lgkmcnt(0)
	v_cmp_ne_u32_e32 vcc_lo, 0, v1
	s_cbranch_vccnz .LBB23_315
; %bb.312:                              ;   in Loop: Header=BB23_6 Depth=1
	s_and_saveexec_b32 s30, s3
; %bb.313:                              ;   in Loop: Header=BB23_6 Depth=1
	v_mov_b32_e32 v1, s21
	ds_write_b32 v19, v1 offset:4100
; %bb.314:                              ;   in Loop: Header=BB23_6 Depth=1
	s_or_b32 exec_lo, exec_lo, s30
	s_waitcnt lgkmcnt(0)
	s_barrier
	buffer_gl0_inv
.LBB23_315:                             ;   in Loop: Header=BB23_6 Depth=1
	s_or_saveexec_b32 s29, s29
	v_mov_b32_e32 v1, 5
	s_mov_b32 s30, 0
	s_xor_b32 exec_lo, exec_lo, s29
; %bb.316:                              ;   in Loop: Header=BB23_6 Depth=1
	v_subrev_nc_u32_e32 v4, s21, v4
	v_mov_b32_e32 v1, 0
	s_mov_b32 s30, exec_lo
; %bb.317:                              ;   in Loop: Header=BB23_6 Depth=1
	s_or_b32 exec_lo, exec_lo, s29
	v_mov_b32_e32 v2, v4
	s_and_b32 s31, s30, exec_lo
.LBB23_318:                             ;   in Loop: Header=BB23_6 Depth=1
	s_or_b32 exec_lo, exec_lo, s28
	s_mov_b32 s30, -1
                                        ; implicit-def: $sgpr28
                                        ; implicit-def: $sgpr29
	s_and_saveexec_b32 s21, s31
	s_cbranch_execz .LBB23_396
; %bb.319:                              ;   in Loop: Header=BB23_6 Depth=1
	v_cmp_eq_u32_e32 vcc_lo, 1, v2
	s_cmp_eq_u32 s20, 1
	s_mov_b32 s33, -1
	s_cselect_b32 s28, -1, 0
                                        ; implicit-def: $sgpr29
	s_and_b32 s31, s28, vcc_lo
                                        ; implicit-def: $sgpr28
	s_and_saveexec_b32 s30, s31
	s_cbranch_execz .LBB23_345
; %bb.320:                              ;   in Loop: Header=BB23_6 Depth=1
	ds_read_b32 v3, v19 offset:4096
	s_waitcnt lgkmcnt(0)
	s_barrier
	buffer_gl0_inv
	v_readfirstlane_b32 s34, v3
	s_and_saveexec_b32 s28, s15
; %bb.321:                              ;   in Loop: Header=BB23_6 Depth=1
	ds_write_b8 v0, v19 offset:3072
; %bb.322:                              ;   in Loop: Header=BB23_6 Depth=1
	s_or_b32 exec_lo, exec_lo, s28
	s_lshl_b32 s28, 1, s87
	v_or_b32_e32 v33, s18, v33
	v_and_or_b32 v14, v14, s19, s28
	s_mov_b32 s28, -1
	s_mov_b32 s29, 0
	s_cmp_eq_u32 s34, 0
	s_mov_b32 s33, 0
	s_mov_b32 s94, -1
	s_waitcnt lgkmcnt(0)
	s_barrier
	buffer_gl0_inv
                                        ; implicit-def: $vgpr34
	s_cbranch_scc1 .LBB23_333
; %bb.323:                              ;   in Loop: Header=BB23_6 Depth=1
	s_add_i32 s33, s34, s71
	s_mov_b32 s94, 0
	s_mul_hi_u32 s44, s33, s78
	s_mov_b32 s95, exec_lo
	s_mul_i32 s44, s44, s35
                                        ; implicit-def: $vgpr34
	s_sub_i32 s44, s33, s44
	s_sub_i32 s45, s44, s35
	s_cmp_ge_u32 s44, s35
	s_cselect_b32 s44, s45, s44
	s_sub_i32 s45, s44, s35
	s_cmp_ge_u32 s44, s35
	s_cselect_b32 s44, s45, s44
	s_sub_i32 s44, s33, s44
	s_mov_b32 s33, 0
	v_cmpx_gt_u32_e64 s44, v0
	s_cbranch_execz .LBB23_332
; %bb.324:                              ;   in Loop: Header=BB23_6 Depth=1
	v_mov_b32_e32 v3, v0
                                        ; implicit-def: $sgpr45
	s_inst_prefetch 0x1
	s_branch .LBB23_327
	.p2align	6
.LBB23_325:                             ;   in Loop: Header=BB23_327 Depth=2
	s_or_b32 exec_lo, exec_lo, s46
	s_waitcnt lgkmcnt(0)
	s_barrier
	buffer_gl0_inv
	ds_read_u16 v4, v19 offset:3072
	s_mov_b32 s52, -1
	s_waitcnt lgkmcnt(0)
	s_barrier
	buffer_gl0_inv
	v_cmp_ne_u32_sdwa s46, v4, v19 src0_sel:BYTE_0 src1_sel:DWORD
	s_and_b32 vcc_lo, exec_lo, s46
	s_mov_b32 s46, -1
	s_cbranch_vccz .LBB23_330
.LBB23_326:                             ;   in Loop: Header=BB23_327 Depth=2
	s_and_b32 s52, exec_lo, s52
	s_or_b32 s33, s52, s33
	s_andn2_b32 s45, s45, exec_lo
	s_and_b32 s46, s46, exec_lo
	s_or_b32 s45, s45, s46
	s_andn2_b32 exec_lo, exec_lo, s33
	s_cbranch_execz .LBB23_331
.LBB23_327:                             ;   Parent Loop BB23_6 Depth=1
                                        ; =>  This Inner Loop Header: Depth=2
	s_mov_b32 s46, exec_lo
	v_cmpx_gt_u32_e64 s34, v3
	s_cbranch_execz .LBB23_325
; %bb.328:                              ;   in Loop: Header=BB23_327 Depth=2
	ds_read_u8 v4, v3
	s_waitcnt lgkmcnt(0)
	v_add_nc_u32_sdwa v5, sext(v4), v31 dst_sel:DWORD dst_unused:UNUSED_PAD src0_sel:BYTE_0 src1_sel:DWORD
	v_and_b32_e32 v5, v5, v33
	v_cmp_eq_u32_e32 vcc_lo, v5, v14
	s_and_b32 exec_lo, exec_lo, vcc_lo
	s_cbranch_execz .LBB23_325
; %bb.329:                              ;   in Loop: Header=BB23_327 Depth=2
	v_lshlrev_b16 v4, 8, v4
	v_or_b32_e32 v4, 1, v4
	ds_write_b16 v19, v4 offset:3072
	s_branch .LBB23_325
.LBB23_330:                             ;   in Loop: Header=BB23_327 Depth=2
	v_add_nc_u32_e32 v3, s35, v3
	s_mov_b32 s46, 0
	v_cmp_le_u32_e32 vcc_lo, s44, v3
	s_orn2_b32 s52, vcc_lo, exec_lo
	s_branch .LBB23_326
.LBB23_331:                             ;   in Loop: Header=BB23_6 Depth=1
	s_inst_prefetch 0x2
	s_or_b32 exec_lo, exec_lo, s33
	v_lshrrev_b32_sdwa v34, v32, v4 dst_sel:DWORD dst_unused:UNUSED_PAD src0_sel:DWORD src1_sel:WORD_0
	s_and_b32 s33, s45, exec_lo
.LBB23_332:                             ;   in Loop: Header=BB23_6 Depth=1
	s_or_b32 exec_lo, exec_lo, s95
.LBB23_333:                             ;   in Loop: Header=BB23_6 Depth=1
	s_and_b32 vcc_lo, exec_lo, s94
	s_cbranch_vccz .LBB23_344
; %bb.334:                              ;   in Loop: Header=BB23_6 Depth=1
                                        ; implicit-def: $vgpr34
	s_and_saveexec_b32 s28, s13
	s_cbranch_execz .LBB23_343
; %bb.335:                              ;   in Loop: Header=BB23_6 Depth=1
	v_mov_b32_e32 v3, v18
	v_mov_b32_e32 v4, v0
	s_mov_b32 s29, 0
                                        ; implicit-def: $sgpr34
	s_inst_prefetch 0x1
	s_branch .LBB23_338
	.p2align	6
.LBB23_336:                             ;   in Loop: Header=BB23_338 Depth=2
	s_or_b32 exec_lo, exec_lo, s44
	s_waitcnt lgkmcnt(0)
	s_barrier
	buffer_gl0_inv
	ds_read_u16 v5, v19 offset:3072
	s_mov_b32 s44, -1
	s_waitcnt lgkmcnt(0)
	s_barrier
	buffer_gl0_inv
	v_cmp_eq_u32_sdwa s45, v5, v19 src0_sel:BYTE_0 src1_sel:DWORD
	s_and_b32 vcc_lo, exec_lo, s45
	s_mov_b32 s45, -1
	s_cbranch_vccnz .LBB23_341
.LBB23_337:                             ;   in Loop: Header=BB23_338 Depth=2
	s_and_b32 s44, exec_lo, s44
	s_or_b32 s29, s44, s29
	s_andn2_b32 s34, s34, exec_lo
	s_and_b32 s44, s45, exec_lo
	s_or_b32 s34, s34, s44
	s_andn2_b32 exec_lo, exec_lo, s29
	s_cbranch_execz .LBB23_342
.LBB23_338:                             ;   Parent Loop BB23_6 Depth=1
                                        ; =>  This Inner Loop Header: Depth=2
	s_mov_b32 s44, exec_lo
	v_cmpx_gt_u32_e64 s36, v4
	s_cbranch_execz .LBB23_336
; %bb.339:                              ;   in Loop: Header=BB23_338 Depth=2
	global_load_ubyte v5, v3, s[48:49]
	s_waitcnt vmcnt(0)
	v_add_nc_u32_sdwa v6, sext(v5), v31 dst_sel:DWORD dst_unused:UNUSED_PAD src0_sel:BYTE_0 src1_sel:DWORD
	v_and_b32_e32 v6, v6, v33
	v_cmp_eq_u32_e32 vcc_lo, v6, v14
	s_and_b32 exec_lo, exec_lo, vcc_lo
	s_cbranch_execz .LBB23_336
; %bb.340:                              ;   in Loop: Header=BB23_338 Depth=2
	v_lshlrev_b16 v5, 8, v5
	v_or_b32_e32 v5, 1, v5
	ds_write_b16 v19, v5 offset:3072
	s_branch .LBB23_336
.LBB23_341:                             ;   in Loop: Header=BB23_338 Depth=2
	v_add_nc_u32_e32 v4, s35, v4
	v_add_nc_u32_e32 v3, s43, v3
	s_mov_b32 s45, 0
	v_cmp_le_u32_e32 vcc_lo, s80, v4
	s_orn2_b32 s44, vcc_lo, exec_lo
	s_branch .LBB23_337
.LBB23_342:                             ;   in Loop: Header=BB23_6 Depth=1
	s_inst_prefetch 0x2
	s_or_b32 exec_lo, exec_lo, s29
	v_lshrrev_b32_sdwa v34, v32, v5 dst_sel:DWORD dst_unused:UNUSED_PAD src0_sel:DWORD src1_sel:WORD_0
	s_andn2_b32 s29, s33, exec_lo
	s_and_b32 s33, s34, exec_lo
	s_or_b32 s33, s29, s33
.LBB23_343:                             ;   in Loop: Header=BB23_6 Depth=1
	s_or_b32 exec_lo, exec_lo, s28
	s_mov_b32 s28, 0
	s_mov_b32 s29, -1
.LBB23_344:                             ;   in Loop: Header=BB23_6 Depth=1
	s_orn2_b32 s33, s33, exec_lo
.LBB23_345:                             ;   in Loop: Header=BB23_6 Depth=1
	s_or_b32 exec_lo, exec_lo, s30
	s_mov_b32 s34, 0
	s_and_saveexec_b32 s30, s33
	s_cbranch_execz .LBB23_395
; %bb.346:                              ;   in Loop: Header=BB23_6 Depth=1
	v_mov_b32_e32 v3, 1
	v_mov_b32_e32 v1, 1
	s_xor_b32 s33, s31, -1
	s_mov_b32 s44, 0
	s_and_saveexec_b32 s31, s33
	s_cbranch_execz .LBB23_355
; %bb.347:                              ;   in Loop: Header=BB23_6 Depth=1
	s_mov_b32 s33, exec_lo
	v_cmpx_ge_u32_e64 s20, v2
	s_xor_b32 s33, exec_lo, s33
	s_cbranch_execz .LBB23_352
; %bb.348:                              ;   in Loop: Header=BB23_6 Depth=1
	ds_read_b32 v1, v19 offset:4096
	s_lshl_b32 s34, 1, s87
	v_or_b32_e32 v33, s18, v33
	v_and_or_b32 v14, v14, s19, s34
	s_waitcnt lgkmcnt(0)
	v_cmp_ne_u32_e32 vcc_lo, 0, v1
	s_cbranch_vccnz .LBB23_352
; %bb.349:                              ;   in Loop: Header=BB23_6 Depth=1
	s_and_saveexec_b32 s34, s3
; %bb.350:                              ;   in Loop: Header=BB23_6 Depth=1
	v_mov_b32_e32 v1, s20
	ds_write_b32 v19, v1 offset:4100
; %bb.351:                              ;   in Loop: Header=BB23_6 Depth=1
	s_or_b32 exec_lo, exec_lo, s34
	s_waitcnt lgkmcnt(0)
	s_barrier
	buffer_gl0_inv
.LBB23_352:                             ;   in Loop: Header=BB23_6 Depth=1
	s_or_saveexec_b32 s33, s33
	v_mov_b32_e32 v1, 5
	s_mov_b32 s34, 0
	s_xor_b32 exec_lo, exec_lo, s33
; %bb.353:                              ;   in Loop: Header=BB23_6 Depth=1
	v_subrev_nc_u32_e32 v2, s20, v2
	v_mov_b32_e32 v1, 0
	s_mov_b32 s34, exec_lo
; %bb.354:                              ;   in Loop: Header=BB23_6 Depth=1
	s_or_b32 exec_lo, exec_lo, s33
	v_mov_b32_e32 v3, v2
	s_and_b32 s44, s34, exec_lo
.LBB23_355:                             ;   in Loop: Header=BB23_6 Depth=1
	s_or_b32 exec_lo, exec_lo, s31
	s_mov_b32 s34, -1
                                        ; implicit-def: $sgpr33
                                        ; implicit-def: $sgpr31
	s_and_saveexec_b32 s20, s44
	s_cbranch_execz .LBB23_394
; %bb.356:                              ;   in Loop: Header=BB23_6 Depth=1
	v_cmp_eq_u32_e32 vcc_lo, 1, v3
	s_cmp_eq_u32 s17, 1
	s_mov_b32 s44, -1
	s_cselect_b32 s31, -1, 0
                                        ; implicit-def: $sgpr33
	s_and_b32 s34, s31, vcc_lo
                                        ; implicit-def: $sgpr31
	s_and_saveexec_b32 s94, s34
	s_cbranch_execz .LBB23_382
; %bb.357:                              ;   in Loop: Header=BB23_6 Depth=1
	ds_read_b32 v2, v19 offset:4096
	s_waitcnt lgkmcnt(0)
	s_barrier
	buffer_gl0_inv
	v_readfirstlane_b32 s96, v2
	s_and_saveexec_b32 s31, s15
; %bb.358:                              ;   in Loop: Header=BB23_6 Depth=1
	ds_write_b8 v0, v19 offset:3072
; %bb.359:                              ;   in Loop: Header=BB23_6 Depth=1
	s_or_b32 exec_lo, exec_lo, s31
	v_and_b32_e32 v14, s19, v14
	v_or_b32_e32 v33, s18, v33
	s_mov_b32 s31, -1
	s_mov_b32 s33, 0
	s_cmp_eq_u32 s96, 0
	s_mov_b32 s95, 0
	s_mov_b32 s97, -1
	s_waitcnt lgkmcnt(0)
	s_barrier
	buffer_gl0_inv
                                        ; implicit-def: $vgpr34
	s_cbranch_scc1 .LBB23_370
; %bb.360:                              ;   in Loop: Header=BB23_6 Depth=1
	s_add_i32 s44, s96, s71
	s_mov_b32 s97, 0
	s_mul_hi_u32 s45, s44, s78
	s_mov_b32 s98, exec_lo
	s_mul_i32 s45, s45, s35
                                        ; implicit-def: $vgpr34
	s_sub_i32 s45, s44, s45
	s_sub_i32 s46, s45, s35
	s_cmp_ge_u32 s45, s35
	s_cselect_b32 s45, s46, s45
	s_sub_i32 s46, s45, s35
	s_cmp_ge_u32 s45, s35
	s_cselect_b32 s45, s46, s45
	s_sub_i32 s44, s44, s45
	v_cmpx_gt_u32_e64 s44, v0
	s_cbranch_execz .LBB23_369
; %bb.361:                              ;   in Loop: Header=BB23_6 Depth=1
	v_mov_b32_e32 v2, v0
	s_mov_b32 s45, 0
                                        ; implicit-def: $sgpr46
	s_inst_prefetch 0x1
	s_branch .LBB23_364
	.p2align	6
.LBB23_362:                             ;   in Loop: Header=BB23_364 Depth=2
	s_or_b32 exec_lo, exec_lo, s95
	s_waitcnt lgkmcnt(0)
	s_barrier
	buffer_gl0_inv
	ds_read_u16 v4, v19 offset:3072
	s_mov_b32 s53, -1
	s_waitcnt lgkmcnt(0)
	s_barrier
	buffer_gl0_inv
	v_cmp_ne_u32_sdwa s52, v4, v19 src0_sel:BYTE_0 src1_sel:DWORD
	s_and_b32 vcc_lo, exec_lo, s52
	s_mov_b32 s52, -1
	s_cbranch_vccz .LBB23_367
.LBB23_363:                             ;   in Loop: Header=BB23_364 Depth=2
	s_and_b32 s53, exec_lo, s53
	s_or_b32 s45, s53, s45
	s_andn2_b32 s46, s46, exec_lo
	s_and_b32 s52, s52, exec_lo
	s_or_b32 s46, s46, s52
	s_andn2_b32 exec_lo, exec_lo, s45
	s_cbranch_execz .LBB23_368
.LBB23_364:                             ;   Parent Loop BB23_6 Depth=1
                                        ; =>  This Inner Loop Header: Depth=2
	s_mov_b32 s95, exec_lo
	v_cmpx_gt_u32_e64 s96, v2
	s_cbranch_execz .LBB23_362
; %bb.365:                              ;   in Loop: Header=BB23_364 Depth=2
	ds_read_u8 v4, v2
	s_waitcnt lgkmcnt(0)
	v_add_nc_u32_sdwa v5, sext(v4), v31 dst_sel:DWORD dst_unused:UNUSED_PAD src0_sel:BYTE_0 src1_sel:DWORD
	v_and_b32_e32 v5, v5, v33
	v_cmp_eq_u32_e32 vcc_lo, v5, v14
	s_and_b32 exec_lo, exec_lo, vcc_lo
	s_cbranch_execz .LBB23_362
; %bb.366:                              ;   in Loop: Header=BB23_364 Depth=2
	v_lshlrev_b16 v4, 8, v4
	v_or_b32_e32 v4, 1, v4
	ds_write_b16 v19, v4 offset:3072
	s_branch .LBB23_362
.LBB23_367:                             ;   in Loop: Header=BB23_364 Depth=2
	v_add_nc_u32_e32 v2, s35, v2
	s_mov_b32 s52, 0
	v_cmp_le_u32_e32 vcc_lo, s44, v2
	s_orn2_b32 s53, vcc_lo, exec_lo
	s_branch .LBB23_363
.LBB23_368:                             ;   in Loop: Header=BB23_6 Depth=1
	s_inst_prefetch 0x2
	s_or_b32 exec_lo, exec_lo, s45
	v_lshrrev_b32_sdwa v34, v32, v4 dst_sel:DWORD dst_unused:UNUSED_PAD src0_sel:DWORD src1_sel:WORD_0
	s_and_b32 s95, s46, exec_lo
.LBB23_369:                             ;   in Loop: Header=BB23_6 Depth=1
	s_or_b32 exec_lo, exec_lo, s98
.LBB23_370:                             ;   in Loop: Header=BB23_6 Depth=1
	s_and_b32 vcc_lo, exec_lo, s97
	s_cbranch_vccz .LBB23_381
; %bb.371:                              ;   in Loop: Header=BB23_6 Depth=1
                                        ; implicit-def: $vgpr34
	s_and_saveexec_b32 s31, s13
	s_cbranch_execz .LBB23_380
; %bb.372:                              ;   in Loop: Header=BB23_6 Depth=1
	v_mov_b32_e32 v2, v18
	v_mov_b32_e32 v4, v0
	s_mov_b32 s33, 0
                                        ; implicit-def: $sgpr44
	s_inst_prefetch 0x1
	s_branch .LBB23_375
	.p2align	6
.LBB23_373:                             ;   in Loop: Header=BB23_375 Depth=2
	s_or_b32 exec_lo, exec_lo, s45
	s_waitcnt lgkmcnt(0)
	s_barrier
	buffer_gl0_inv
	ds_read_u16 v5, v19 offset:3072
	s_mov_b32 s45, -1
	s_waitcnt lgkmcnt(0)
	s_barrier
	buffer_gl0_inv
	v_cmp_eq_u32_sdwa s46, v5, v19 src0_sel:BYTE_0 src1_sel:DWORD
	s_and_b32 vcc_lo, exec_lo, s46
	s_mov_b32 s46, -1
	s_cbranch_vccnz .LBB23_378
.LBB23_374:                             ;   in Loop: Header=BB23_375 Depth=2
	s_and_b32 s45, exec_lo, s45
	s_or_b32 s33, s45, s33
	s_andn2_b32 s44, s44, exec_lo
	s_and_b32 s45, s46, exec_lo
	s_or_b32 s44, s44, s45
	s_andn2_b32 exec_lo, exec_lo, s33
	s_cbranch_execz .LBB23_379
.LBB23_375:                             ;   Parent Loop BB23_6 Depth=1
                                        ; =>  This Inner Loop Header: Depth=2
	s_mov_b32 s45, exec_lo
	v_cmpx_gt_u32_e64 s36, v4
	s_cbranch_execz .LBB23_373
; %bb.376:                              ;   in Loop: Header=BB23_375 Depth=2
	global_load_ubyte v5, v2, s[48:49]
	s_waitcnt vmcnt(0)
	v_add_nc_u32_sdwa v6, sext(v5), v31 dst_sel:DWORD dst_unused:UNUSED_PAD src0_sel:BYTE_0 src1_sel:DWORD
	v_and_b32_e32 v6, v6, v33
	v_cmp_eq_u32_e32 vcc_lo, v6, v14
	s_and_b32 exec_lo, exec_lo, vcc_lo
	s_cbranch_execz .LBB23_373
; %bb.377:                              ;   in Loop: Header=BB23_375 Depth=2
	v_lshlrev_b16 v5, 8, v5
	v_or_b32_e32 v5, 1, v5
	ds_write_b16 v19, v5 offset:3072
	s_branch .LBB23_373
.LBB23_378:                             ;   in Loop: Header=BB23_375 Depth=2
	v_add_nc_u32_e32 v4, s35, v4
	v_add_nc_u32_e32 v2, s43, v2
	s_mov_b32 s46, 0
	v_cmp_le_u32_e32 vcc_lo, s80, v4
	s_orn2_b32 s45, vcc_lo, exec_lo
	s_branch .LBB23_374
.LBB23_379:                             ;   in Loop: Header=BB23_6 Depth=1
	s_inst_prefetch 0x2
	s_or_b32 exec_lo, exec_lo, s33
	v_lshrrev_b32_sdwa v34, v32, v5 dst_sel:DWORD dst_unused:UNUSED_PAD src0_sel:DWORD src1_sel:WORD_0
	s_andn2_b32 s33, s95, exec_lo
	s_and_b32 s44, s44, exec_lo
	s_or_b32 s95, s33, s44
.LBB23_380:                             ;   in Loop: Header=BB23_6 Depth=1
	s_or_b32 exec_lo, exec_lo, s31
	s_mov_b32 s31, 0
	s_mov_b32 s33, -1
.LBB23_381:                             ;   in Loop: Header=BB23_6 Depth=1
	s_orn2_b32 s44, s95, exec_lo
.LBB23_382:                             ;   in Loop: Header=BB23_6 Depth=1
	s_or_b32 exec_lo, exec_lo, s94
	s_mov_b32 s45, 0
	s_and_saveexec_b32 s94, s44
	s_cbranch_execz .LBB23_393
; %bb.383:                              ;   in Loop: Header=BB23_6 Depth=1
	v_mov_b32_e32 v1, 1
	v_mov_b32_e32 v2, 1
	s_xor_b32 s44, s34, -1
	s_and_saveexec_b32 s34, s44
	s_cbranch_execz .LBB23_392
; %bb.384:                              ;   in Loop: Header=BB23_6 Depth=1
	s_mov_b32 s44, exec_lo
	v_cmpx_ge_u32_e64 s17, v3
	s_xor_b32 s44, exec_lo, s44
	s_cbranch_execz .LBB23_389
; %bb.385:                              ;   in Loop: Header=BB23_6 Depth=1
	ds_read_b32 v1, v19 offset:4096
	v_and_b32_e32 v14, s19, v14
	v_or_b32_e32 v33, s18, v33
	s_waitcnt lgkmcnt(0)
	v_cmp_ne_u32_e32 vcc_lo, 0, v1
	s_cbranch_vccnz .LBB23_389
; %bb.386:                              ;   in Loop: Header=BB23_6 Depth=1
	s_and_saveexec_b32 s18, s3
; %bb.387:                              ;   in Loop: Header=BB23_6 Depth=1
	v_mov_b32_e32 v1, s17
	ds_write_b32 v19, v1 offset:4100
; %bb.388:                              ;   in Loop: Header=BB23_6 Depth=1
	s_or_b32 exec_lo, exec_lo, s18
	s_waitcnt lgkmcnt(0)
	s_barrier
	buffer_gl0_inv
.LBB23_389:                             ;   in Loop: Header=BB23_6 Depth=1
	s_andn2_saveexec_b32 s18, s44
; %bb.390:                              ;   in Loop: Header=BB23_6 Depth=1
	v_subrev_nc_u32_e32 v3, s17, v3
; %bb.391:                              ;   in Loop: Header=BB23_6 Depth=1
	s_or_b32 exec_lo, exec_lo, s18
	v_mov_b32_e32 v1, 5
	v_mov_b32_e32 v2, v3
.LBB23_392:                             ;   in Loop: Header=BB23_6 Depth=1
	s_or_b32 exec_lo, exec_lo, s34
	v_mov_b32_e32 v3, v2
	s_mov_b32 s45, exec_lo
.LBB23_393:                             ;   in Loop: Header=BB23_6 Depth=1
	s_or_b32 exec_lo, exec_lo, s94
	s_orn2_b32 s34, s45, exec_lo
.LBB23_394:                             ;   in Loop: Header=BB23_6 Depth=1
	s_or_b32 exec_lo, exec_lo, s20
	v_mov_b32_e32 v2, v3
	s_andn2_b32 s17, s29, exec_lo
	s_and_b32 s18, s33, exec_lo
	s_andn2_b32 s19, s28, exec_lo
	s_and_b32 s20, s31, exec_lo
	s_or_b32 s29, s17, s18
	s_or_b32 s28, s19, s20
	s_and_b32 s34, s34, exec_lo
.LBB23_395:                             ;   in Loop: Header=BB23_6 Depth=1
	s_or_b32 exec_lo, exec_lo, s30
	s_orn2_b32 s30, s34, exec_lo
.LBB23_396:                             ;   in Loop: Header=BB23_6 Depth=1
	s_or_b32 exec_lo, exec_lo, s21
	v_mov_b32_e32 v4, v2
	s_andn2_b32 s17, s26, exec_lo
	s_and_b32 s18, s29, exec_lo
	s_andn2_b32 s19, s22, exec_lo
	s_and_b32 s20, s28, exec_lo
	s_or_b32 s26, s17, s18
	s_or_b32 s22, s19, s20
	s_and_b32 s30, s30, exec_lo
.LBB23_397:                             ;   in Loop: Header=BB23_6 Depth=1
	s_or_b32 exec_lo, exec_lo, s27
	s_orn2_b32 s27, s30, exec_lo
.LBB23_398:                             ;   in Loop: Header=BB23_6 Depth=1
	s_or_b32 exec_lo, exec_lo, s6
	s_mov_b32 s6, s24
	s_mov_b32 s17, s23
	s_and_saveexec_b32 s18, s27
; %bb.399:                              ;   in Loop: Header=BB23_6 Depth=1
	v_cmp_ne_u32_e32 vcc_lo, 5, v1
	v_cmp_eq_u32_e64 s6, 5, v1
	s_andn2_b32 s17, s23, exec_lo
	s_andn2_b32 s19, s24, exec_lo
	s_and_b32 s20, vcc_lo, exec_lo
	s_and_b32 s6, s6, exec_lo
	s_or_b32 s17, s17, s20
	s_or_b32 s6, s19, s6
; %bb.400:                              ;   in Loop: Header=BB23_6 Depth=1
	s_or_b32 exec_lo, exec_lo, s18
	s_andn2_b32 s14, s14, exec_lo
	s_and_b32 s18, s26, exec_lo
	s_andn2_b32 s16, s16, exec_lo
	s_and_b32 s19, s22, exec_lo
	s_or_b32 s14, s14, s18
	s_or_b32 s16, s16, s19
	s_andn2_b32 s18, s23, exec_lo
	s_and_b32 s17, s17, exec_lo
	s_andn2_b32 s19, s24, exec_lo
	s_and_b32 s6, s6, exec_lo
	s_or_b32 s23, s18, s17
	s_or_b32 s24, s19, s6
.LBB23_401:                             ;   in Loop: Header=BB23_6 Depth=1
	s_or_b32 exec_lo, exec_lo, s25
	s_mov_b32 s25, 0
	s_mov_b32 s26, 0
	s_and_saveexec_b32 s6, s24
.LBB23_402:                             ;   in Loop: Header=BB23_6 Depth=1
	v_mov_b32_e32 v1, 0
	s_or_b32 s23, s23, exec_lo
.LBB23_403:                             ;   in Loop: Header=BB23_6 Depth=1
	s_or_b32 exec_lo, exec_lo, s6
	s_andn2_b32 s6, s91, exec_lo
	s_and_b32 s14, s14, exec_lo
	s_andn2_b32 s18, s89, exec_lo
	s_and_b32 s16, s16, exec_lo
	v_mov_b32_e32 v35, v4
	s_or_b32 s91, s6, s14
	s_or_b32 s89, s18, s16
	s_andn2_b32 s6, s93, exec_lo
	s_and_b32 s14, s26, exec_lo
	s_andn2_b32 s16, s92, exec_lo
	s_and_b32 s18, s25, exec_lo
	s_mov_b32 s17, -1
	s_andn2_b32 s90, s90, exec_lo
	s_or_b32 s93, s6, s14
	s_or_b32 s92, s16, s18
	s_and_saveexec_b32 s6, s23
	s_xor_b32 s6, exec_lo, s6
	s_cbranch_execz .LBB23_5
; %bb.404:                              ;   in Loop: Header=BB23_6 Depth=1
	s_mov_b32 s14, -1
	s_mov_b32 s16, -1
	s_mov_b32 s17, exec_lo
	v_cmpx_eq_u32_e32 0, v1
	s_cbranch_execz .LBB23_4
; %bb.405:                              ;   in Loop: Header=BB23_6 Depth=1
	s_xor_b32 s83, s83, 1
	s_add_i32 s18, s87, -2
	s_cmp_eq_u32 s87, 0
	s_mov_b32 s87, s18
	s_cselect_b32 s14, -1, 0
	s_xor_b32 s16, exec_lo, -1
	s_orn2_b32 s14, s14, exec_lo
	s_branch .LBB23_4
.LBB23_406:
	s_or_b32 exec_lo, exec_lo, s64
	s_xor_b32 s7, s88, -1
	s_xor_b32 s12, s85, -1
	;; [unrolled: 1-line block ×5, first 2 shown]
	s_mov_b32 s9, 0
	s_and_saveexec_b32 s10, s8
	s_xor_b32 s8, exec_lo, s10
	s_cbranch_execnz .LBB23_411
; %bb.407:
	s_andn2_saveexec_b32 s0, s8
	s_cbranch_execnz .LBB23_430
.LBB23_408:
	s_or_b32 exec_lo, exec_lo, s0
	s_and_saveexec_b32 s0, s9
.LBB23_409:
	; divergent unreachable
.LBB23_410:
	s_endpgm
.LBB23_411:
	s_mov_b32 s10, 0
	s_and_saveexec_b32 s9, s11
	s_xor_b32 s9, exec_lo, s9
	s_cbranch_execz .LBB23_428
; %bb.412:
	s_mov_b32 s11, 0
	s_and_saveexec_b32 s10, s12
	s_xor_b32 s10, exec_lo, s10
	s_cbranch_execz .LBB23_426
; %bb.413:
	;; [unrolled: 5-line block ×3, first 2 shown]
	s_and_saveexec_b32 s7, s6
	s_xor_b32 s6, exec_lo, s7
; %bb.415:
	v_xor_b32_e32 v34, 0xffffff80, v14
; %bb.416:
	s_or_b32 exec_lo, exec_lo, s6
	s_and_saveexec_b32 s6, s3
; %bb.417:
	v_mov_b32_e32 v1, 0
	ds_write_b32 v1, v1 offset:4108
; %bb.418:
	s_or_b32 exec_lo, exec_lo, s6
	v_mov_b32_e32 v3, 0
	s_waitcnt lgkmcnt(0)
	s_barrier
	buffer_gl0_inv
	s_and_saveexec_b32 s3, s1
	s_cbranch_execz .LBB23_420
; %bb.419:
	global_load_ubyte v3, v[9:10], off
.LBB23_420:
	s_or_b32 exec_lo, exec_lo, s3
	s_load_dwordx4 s[16:19], s[4:5], 0x15c
	s_mul_i32 s6, s63, s58
	s_add_i32 s12, s36, 31
	s_mul_i32 s3, s61, s59
	s_sub_i32 s6, s61, s6
	s_andn2_b32 s12, s12, 31
	s_sub_i32 s3, s60, s3
	s_add_i32 s7, s63, 1
	s_sub_i32 s13, s6, s58
	s_cmp_ge_u32 s6, s58
	v_cmp_gt_u32_e32 vcc_lo, s12, v0
	s_cselect_b32 s7, s7, s63
	s_cselect_b32 s6, s13, s6
	s_add_i32 s13, s7, 1
	s_cmp_ge_u32 s6, s58
	s_cselect_b32 s6, s13, s7
	s_mul_i32 s13, s47, s57
	s_mul_i32 s7, s6, s58
	s_sub_i32 s7, s61, s7
	s_waitcnt lgkmcnt(0)
	s_mul_i32 s3, s3, s18
	s_mul_i32 s7, s7, s17
	;; [unrolled: 1-line block ×3, first 2 shown]
	s_add_i32 s3, s7, s3
	s_mul_i32 s7, s62, s56
	s_add_i32 s3, s3, s6
	s_sub_i32 s7, s47, s7
	s_sub_i32 s6, s60, s13
	s_add_i32 s13, s62, 1
	s_sub_i32 s14, s7, s56
	s_cmp_ge_u32 s7, s56
	s_mul_i32 s6, s6, s42
	s_cselect_b32 s13, s13, s62
	s_cselect_b32 s7, s14, s7
	s_add_i32 s14, s13, 1
	s_cmp_ge_u32 s7, s56
	v_readlane_b32 s18, v69, 0
	s_cselect_b32 s7, s14, s13
	s_clause 0x1
	s_load_dword s13, s[4:5], 0x1c8
	s_load_dword s14, s[4:5], 0x2a8
	s_mul_i32 s15, s7, s56
	s_mul_i32 s7, s7, s40
	s_sub_i32 s4, s47, s15
	s_mov_b32 s5, 0
	s_mul_i32 s4, s4, s41
	v_readlane_b32 s19, v69, 1
	s_add_i32 s4, s4, s6
	s_add_i32 s4, s4, s7
	s_add_u32 s6, s54, s3
	s_addc_u32 s7, s55, 0
	s_lshl_b64 s[16:17], s[4:5], 3
	s_mov_b32 s4, -1
	s_add_u32 s15, s18, s16
	s_addc_u32 s16, s19, s17
	s_mov_b32 s3, 0
	s_and_saveexec_b32 s17, vcc_lo
	s_cbranch_execnz .LBB23_431
; %bb.421:
	s_or_b32 exec_lo, exec_lo, s17
	s_and_saveexec_b32 s2, s4
	s_cbranch_execnz .LBB23_446
.LBB23_422:
	s_or_b32 exec_lo, exec_lo, s2
	s_and_saveexec_b32 s0, s3
	s_xor_b32 s0, exec_lo, s0
	s_cbranch_execnz .LBB23_469
.LBB23_423:
	s_or_b32 exec_lo, exec_lo, s0
	s_and_b32 s12, s5, exec_lo
.LBB23_424:
	s_andn2_saveexec_b32 s0, s11
	s_cbranch_execnz .LBB23_471
.LBB23_425:
	s_or_b32 exec_lo, exec_lo, s0
	s_and_b32 s11, s12, exec_lo
.LBB23_426:
	s_andn2_saveexec_b32 s0, s10
	s_cbranch_execnz .LBB23_470
.LBB23_427:
	s_or_b32 exec_lo, exec_lo, s0
	s_and_b32 s10, s11, exec_lo
.LBB23_428:
	s_andn2_saveexec_b32 s0, s9
	s_cbranch_execnz .LBB23_465
.LBB23_429:
	s_or_b32 exec_lo, exec_lo, s0
	s_and_b32 s9, s10, exec_lo
	s_andn2_saveexec_b32 s0, s8
	s_cbranch_execz .LBB23_408
.LBB23_430:
	s_or_b32 s9, s9, exec_lo
	s_trap 2
	s_or_b32 exec_lo, exec_lo, s0
	s_and_saveexec_b32 s0, s9
	s_cbranch_execnz .LBB23_409
	s_branch .LBB23_410
.LBB23_431:
	v_add_nc_u32_e32 v1, s35, v0
	v_mov_b32_e32 v4, 0x80
	v_mov_b32_e32 v2, 0
	s_mov_b32 s18, 0
                                        ; implicit-def: $sgpr19
                                        ; implicit-def: $vgpr11
	v_mul_lo_u32 v5, s50, v1
	v_add_nc_u32_sdwa v6, sext(v34), v4 dst_sel:DWORD dst_unused:UNUSED_PAD src0_sel:BYTE_0 src1_sel:DWORD
	v_mov_b32_e32 v1, v0
	s_branch .LBB23_433
.LBB23_432:                             ;   in Loop: Header=BB23_433 Depth=1
	s_or_b32 exec_lo, exec_lo, s21
	s_xor_b32 s3, s20, -1
	s_and_b32 s4, exec_lo, s4
	v_mov_b32_e32 v3, v8
	s_or_b32 s18, s4, s18
	v_mov_b32_e32 v1, v7
	s_andn2_b32 s4, s19, exec_lo
	s_and_b32 s3, s3, exec_lo
	s_or_b32 s19, s4, s3
	s_andn2_b32 exec_lo, exec_lo, s18
	s_cbranch_execz .LBB23_445
.LBB23_433:                             ; =>This Inner Loop Header: Depth=1
	v_add_nc_u32_e32 v7, s35, v1
	v_mov_b32_e32 v8, 0
	s_mov_b32 s4, exec_lo
	v_cmpx_gt_u32_e64 s36, v7
	s_cbranch_execz .LBB23_435
; %bb.434:                              ;   in Loop: Header=BB23_433 Depth=1
	global_load_ubyte v8, v5, s[48:49]
.LBB23_435:                             ;   in Loop: Header=BB23_433 Depth=1
	s_or_b32 exec_lo, exec_lo, s4
	s_waitcnt vmcnt(0)
	v_add_nc_u32_sdwa v12, sext(v3), v4 dst_sel:DWORD dst_unused:UNUSED_PAD src0_sel:BYTE_0 src1_sel:DWORD
	v_cmp_gt_u32_e64 s3, v12, v6
	v_cndmask_b32_e64 v13, 0, 1, s3
	v_cmp_lt_u32_e64 s3, v12, v6
	v_cndmask_b32_e64 v12, 0, 1, s3
	v_cmp_gt_u32_e64 s3, s36, v1
	v_cndmask_b32_e64 v12, v12, v13, s2
	v_and_b32_e32 v12, 1, v12
	v_cmp_eq_u32_e64 s4, 1, v12
	s_and_b32 s20, s3, s4
	v_cndmask_b32_e64 v12, 0, 1, s20
	v_cmp_ne_u32_e64 s3, 0, v12
	s_cmp_lg_u32 s3, 0
	s_cselect_b32 s4, -1, 0
	s_and_b32 s4, s0, s4
	s_and_saveexec_b32 s21, s4
	s_cbranch_execz .LBB23_439
; %bb.436:                              ;   in Loop: Header=BB23_433 Depth=1
	s_mov_b32 s24, exec_lo
	s_bcnt1_i32_b32 s22, s3
	s_waitcnt lgkmcnt(0)
	v_mbcnt_lo_u32_b32 v11, s24, 0
	s_mov_b32 s23, exec_lo
                                        ; implicit-def: $vgpr12
	v_cmpx_eq_u32_e32 0, v11
; %bb.437:                              ;   in Loop: Header=BB23_433 Depth=1
	s_bcnt1_i32_b32 s4, s24
	s_mul_i32 s4, s22, s4
	v_mov_b32_e32 v12, s4
	ds_add_rtn_u32 v12, v2, v12 offset:4108
; %bb.438:                              ;   in Loop: Header=BB23_433 Depth=1
	s_or_b32 exec_lo, exec_lo, s23
	s_waitcnt lgkmcnt(0)
	v_readfirstlane_b32 s4, v12
	v_mad_u32_u24 v11, s22, v11, s4
.LBB23_439:                             ;   in Loop: Header=BB23_433 Depth=1
	s_or_b32 exec_lo, exec_lo, s21
	s_waitcnt lgkmcnt(0)
	ds_bpermute_b32 v11, v2, v11
	s_mov_b32 s4, -1
	s_mov_b32 s22, -1
	s_and_saveexec_b32 s21, s20
	s_cbranch_execz .LBB23_443
; %bb.440:                              ;   in Loop: Header=BB23_433 Depth=1
	v_and_b32_e32 v12, s3, v15
	s_mov_b32 s20, 0
	s_mov_b32 s22, exec_lo
	s_waitcnt lgkmcnt(0)
	v_bcnt_u32_b32 v12, v12, v11
	v_cmpx_gt_u32_e64 s37, v12
; %bb.441:                              ;   in Loop: Header=BB23_433 Depth=1
	v_mul_lo_u32 v13, v12, s14
	v_mov_b32_e32 v14, v2
	v_mul_lo_u32 v16, v12, s13
	s_mov_b32 s20, exec_lo
	v_lshlrev_b64 v[13:14], 3, v[13:14]
	v_add_co_u32 v12, s3, s15, v13
	v_add_co_ci_u32_e64 v13, null, s16, v14, s3
	global_store_byte v16, v3, s[6:7]
	global_store_dwordx2 v[12:13], v[1:2], off
; %bb.442:                              ;   in Loop: Header=BB23_433 Depth=1
	s_or_b32 exec_lo, exec_lo, s22
	s_orn2_b32 s22, s20, exec_lo
.LBB23_443:                             ;   in Loop: Header=BB23_433 Depth=1
	s_or_b32 exec_lo, exec_lo, s21
	s_mov_b32 s20, -1
	s_and_saveexec_b32 s21, s22
	s_cbranch_execz .LBB23_432
; %bb.444:                              ;   in Loop: Header=BB23_433 Depth=1
	v_cmp_le_u32_e64 s3, s12, v7
	v_add_nc_u32_e32 v5, s43, v5
	s_xor_b32 s20, exec_lo, -1
	s_orn2_b32 s4, s3, exec_lo
	s_branch .LBB23_432
.LBB23_445:
	s_or_b32 exec_lo, exec_lo, s18
	s_mov_b32 s3, exec_lo
	s_orn2_b32 s4, s19, exec_lo
	s_or_b32 exec_lo, exec_lo, s17
	s_and_saveexec_b32 s2, s4
	s_cbranch_execz .LBB23_422
.LBB23_446:
	v_mov_b32_e32 v6, 0
	s_waitcnt vmcnt(0) lgkmcnt(0)
	s_waitcnt_vscnt null, 0x0
	s_barrier
	buffer_gl0_inv
	s_and_saveexec_b32 s4, s1
	s_cbranch_execz .LBB23_448
; %bb.447:
	global_load_ubyte v6, v[9:10], off
.LBB23_448:
	s_or_b32 exec_lo, exec_lo, s4
	s_mov_b32 s1, 0
	s_and_saveexec_b32 s4, vcc_lo
	s_cbranch_execz .LBB23_468
; %bb.449:
	v_add_nc_u32_e32 v1, s35, v0
	s_mov_b32 s5, 0
                                        ; implicit-def: $sgpr17
                                        ; implicit-def: $vgpr5
	v_mul_lo_u32 v2, s50, v1
	v_mov_b32_e32 v1, 0
	s_branch .LBB23_452
.LBB23_450:                             ;   in Loop: Header=BB23_452 Depth=1
	s_or_b32 exec_lo, exec_lo, s18
	s_orn2_b32 s20, s20, exec_lo
	s_orn2_b32 s19, s19, exec_lo
.LBB23_451:                             ;   in Loop: Header=BB23_452 Depth=1
	s_or_b32 exec_lo, exec_lo, s1
	s_xor_b32 s1, s20, -1
	s_and_b32 s18, exec_lo, s19
	v_mov_b32_e32 v0, v3
	s_or_b32 s5, s18, s5
	v_mov_b32_e32 v6, v4
	s_andn2_b32 s17, s17, exec_lo
	s_and_b32 s1, s1, exec_lo
	s_or_b32 s17, s17, s1
	s_andn2_b32 exec_lo, exec_lo, s5
	s_cbranch_execz .LBB23_466
.LBB23_452:                             ; =>This Inner Loop Header: Depth=1
	v_add_nc_u32_e32 v3, s35, v0
	v_mov_b32_e32 v4, 0
	s_mov_b32 s1, exec_lo
	v_cmpx_gt_u32_e64 s36, v3
	s_cbranch_execz .LBB23_454
; %bb.453:                              ;   in Loop: Header=BB23_452 Depth=1
	global_load_ubyte v4, v2, s[48:49]
.LBB23_454:                             ;   in Loop: Header=BB23_452 Depth=1
	s_or_b32 exec_lo, exec_lo, s1
	v_cmp_gt_u32_e32 vcc_lo, s36, v0
	s_waitcnt vmcnt(0)
	v_cmp_eq_u16_sdwa s1, v6, v34 src0_sel:BYTE_0 src1_sel:BYTE_0
	s_and_b32 s18, vcc_lo, s1
	v_cndmask_b32_e64 v6, 0, 1, s18
	v_cmp_ne_u32_e32 vcc_lo, 0, v6
	s_cmp_lg_u32 vcc_lo, 0
	s_cselect_b32 s1, -1, 0
	s_and_b32 s1, s0, s1
	s_and_saveexec_b32 s19, s1
	s_cbranch_execz .LBB23_458
; %bb.455:                              ;   in Loop: Header=BB23_452 Depth=1
	s_mov_b32 s22, exec_lo
	s_bcnt1_i32_b32 s20, vcc_lo
	v_mbcnt_lo_u32_b32 v5, s22, 0
	s_mov_b32 s21, exec_lo
                                        ; implicit-def: $vgpr6
	v_cmpx_eq_u32_e32 0, v5
; %bb.456:                              ;   in Loop: Header=BB23_452 Depth=1
	s_bcnt1_i32_b32 s1, s22
	s_mul_i32 s1, s20, s1
	v_mov_b32_e32 v6, s1
	ds_add_rtn_u32 v6, v1, v6 offset:4108
; %bb.457:                              ;   in Loop: Header=BB23_452 Depth=1
	s_or_b32 exec_lo, exec_lo, s21
	s_waitcnt lgkmcnt(0)
	v_readfirstlane_b32 s1, v6
	v_mad_u32_u24 v5, s20, v5, s1
.LBB23_458:                             ;   in Loop: Header=BB23_452 Depth=1
	s_or_b32 exec_lo, exec_lo, s19
	ds_bpermute_b32 v5, v1, v5
	s_cmp_eq_u32 vcc_lo, 0
	s_mov_b32 s19, -1
	s_cselect_b32 s20, -1, 0
	s_waitcnt lgkmcnt(0)
	v_cmp_gt_u32_e64 s1, s37, v5
	s_or_b32 s21, s20, s1
	s_mov_b32 s20, -1
	s_and_saveexec_b32 s1, s21
	s_cbranch_execz .LBB23_451
; %bb.459:                              ;   in Loop: Header=BB23_452 Depth=1
	v_and_b32_e32 v6, vcc_lo, v15
	v_sub_nc_u32_e32 v7, s37, v5
	s_mov_b32 s21, -1
	v_bcnt_u32_b32 v6, v6, 0
	v_bcnt_u32_b32 v6, 0, v6
	v_cmp_gt_u32_e32 vcc_lo, v7, v6
	s_and_b32 s22, s18, vcc_lo
	s_and_saveexec_b32 s18, s22
	s_cbranch_execz .LBB23_463
; %bb.460:                              ;   in Loop: Header=BB23_452 Depth=1
	v_add_nc_u32_e32 v6, v5, v6
	s_mov_b32 s21, 0
	s_mov_b32 s20, exec_lo
	v_cmpx_gt_u32_e64 s37, v6
; %bb.461:                              ;   in Loop: Header=BB23_452 Depth=1
	v_mul_lo_u32 v7, v6, s14
	v_mov_b32_e32 v8, v1
	v_mul_lo_u32 v9, v6, s13
	s_mov_b32 s21, exec_lo
	v_lshlrev_b64 v[7:8], 3, v[7:8]
	v_add_co_u32 v6, vcc_lo, s15, v7
	v_add_co_ci_u32_e64 v7, null, s16, v8, vcc_lo
	global_store_byte v9, v34, s[6:7]
	global_store_dwordx2 v[6:7], v[0:1], off
; %bb.462:                              ;   in Loop: Header=BB23_452 Depth=1
	s_or_b32 exec_lo, exec_lo, s20
	s_xor_b32 s20, exec_lo, -1
	s_orn2_b32 s21, s21, exec_lo
.LBB23_463:                             ;   in Loop: Header=BB23_452 Depth=1
	s_or_b32 exec_lo, exec_lo, s18
	s_and_saveexec_b32 s18, s21
	s_cbranch_execz .LBB23_450
; %bb.464:                              ;   in Loop: Header=BB23_452 Depth=1
	v_cmp_le_u32_e32 vcc_lo, s12, v3
	v_add_nc_u32_e32 v2, s43, v2
	s_or_b32 s20, s20, exec_lo
	s_orn2_b32 s19, vcc_lo, exec_lo
	s_branch .LBB23_450
.LBB23_465:
	s_or_b32 s10, s10, exec_lo
	s_trap 2
	s_branch .LBB23_429
.LBB23_466:
	s_or_b32 exec_lo, exec_lo, s5
	s_mov_b32 s0, 0
	s_and_saveexec_b32 s1, s17
	s_xor_b32 s1, exec_lo, s1
	s_cbranch_execnz .LBB23_472
.LBB23_467:
	s_or_b32 exec_lo, exec_lo, s1
	s_and_b32 s1, s0, exec_lo
.LBB23_468:
	s_or_b32 exec_lo, exec_lo, s4
	s_and_b32 s5, s1, exec_lo
	s_andn2_b32 s3, s3, exec_lo
	s_or_b32 exec_lo, exec_lo, s2
	s_and_saveexec_b32 s0, s3
	s_xor_b32 s0, exec_lo, s0
	s_cbranch_execz .LBB23_423
.LBB23_469:
	s_or_b32 s5, s5, exec_lo
	s_trap 2
	s_branch .LBB23_423
.LBB23_470:
	s_or_b32 s11, s11, exec_lo
	s_trap 2
	s_branch .LBB23_427
.LBB23_471:
	s_or_b32 s12, s12, exec_lo
	s_trap 2
	s_branch .LBB23_425
.LBB23_472:
	s_mov_b32 s0, exec_lo
	s_trap 2
	s_branch .LBB23_467
	.section	.rodata,"a",@progbits
	.p2align	6, 0x0
	.amdhsa_kernel _ZN2at6native6sbtopk10gatherTopKIajLi3ELb0EEEvNS_4cuda6detail10TensorInfoIKT_T0_EES8_S8_bS8_S8_NS5_IS6_S8_EES8_NS5_IlS8_EES8_PS6_
		.amdhsa_group_segment_fixed_size 4112
		.amdhsa_private_segment_fixed_size 0
		.amdhsa_kernarg_size 952
		.amdhsa_user_sgpr_count 6
		.amdhsa_user_sgpr_private_segment_buffer 1
		.amdhsa_user_sgpr_dispatch_ptr 0
		.amdhsa_user_sgpr_queue_ptr 0
		.amdhsa_user_sgpr_kernarg_segment_ptr 1
		.amdhsa_user_sgpr_dispatch_id 0
		.amdhsa_user_sgpr_flat_scratch_init 0
		.amdhsa_user_sgpr_private_segment_size 0
		.amdhsa_wavefront_size32 1
		.amdhsa_uses_dynamic_stack 0
		.amdhsa_system_sgpr_private_segment_wavefront_offset 0
		.amdhsa_system_sgpr_workgroup_id_x 1
		.amdhsa_system_sgpr_workgroup_id_y 1
		.amdhsa_system_sgpr_workgroup_id_z 1
		.amdhsa_system_sgpr_workgroup_info 0
		.amdhsa_system_vgpr_workitem_id 0
		.amdhsa_next_free_vgpr 70
		.amdhsa_next_free_sgpr 105
		.amdhsa_reserve_vcc 1
		.amdhsa_reserve_flat_scratch 0
		.amdhsa_float_round_mode_32 0
		.amdhsa_float_round_mode_16_64 0
		.amdhsa_float_denorm_mode_32 3
		.amdhsa_float_denorm_mode_16_64 3
		.amdhsa_dx10_clamp 1
		.amdhsa_ieee_mode 1
		.amdhsa_fp16_overflow 0
		.amdhsa_workgroup_processor_mode 1
		.amdhsa_memory_ordered 1
		.amdhsa_forward_progress 1
		.amdhsa_shared_vgpr_count 0
		.amdhsa_exception_fp_ieee_invalid_op 0
		.amdhsa_exception_fp_denorm_src 0
		.amdhsa_exception_fp_ieee_div_zero 0
		.amdhsa_exception_fp_ieee_overflow 0
		.amdhsa_exception_fp_ieee_underflow 0
		.amdhsa_exception_fp_ieee_inexact 0
		.amdhsa_exception_int_div_zero 0
	.end_amdhsa_kernel
	.section	.text._ZN2at6native6sbtopk10gatherTopKIajLi3ELb0EEEvNS_4cuda6detail10TensorInfoIKT_T0_EES8_S8_bS8_S8_NS5_IS6_S8_EES8_NS5_IlS8_EES8_PS6_,"axG",@progbits,_ZN2at6native6sbtopk10gatherTopKIajLi3ELb0EEEvNS_4cuda6detail10TensorInfoIKT_T0_EES8_S8_bS8_S8_NS5_IS6_S8_EES8_NS5_IlS8_EES8_PS6_,comdat
.Lfunc_end23:
	.size	_ZN2at6native6sbtopk10gatherTopKIajLi3ELb0EEEvNS_4cuda6detail10TensorInfoIKT_T0_EES8_S8_bS8_S8_NS5_IS6_S8_EES8_NS5_IlS8_EES8_PS6_, .Lfunc_end23-_ZN2at6native6sbtopk10gatherTopKIajLi3ELb0EEEvNS_4cuda6detail10TensorInfoIKT_T0_EES8_S8_bS8_S8_NS5_IS6_S8_EES8_NS5_IlS8_EES8_PS6_
                                        ; -- End function
	.set _ZN2at6native6sbtopk10gatherTopKIajLi3ELb0EEEvNS_4cuda6detail10TensorInfoIKT_T0_EES8_S8_bS8_S8_NS5_IS6_S8_EES8_NS5_IlS8_EES8_PS6_.num_vgpr, 70
	.set _ZN2at6native6sbtopk10gatherTopKIajLi3ELb0EEEvNS_4cuda6detail10TensorInfoIKT_T0_EES8_S8_bS8_S8_NS5_IS6_S8_EES8_NS5_IlS8_EES8_PS6_.num_agpr, 0
	.set _ZN2at6native6sbtopk10gatherTopKIajLi3ELb0EEEvNS_4cuda6detail10TensorInfoIKT_T0_EES8_S8_bS8_S8_NS5_IS6_S8_EES8_NS5_IlS8_EES8_PS6_.numbered_sgpr, 105
	.set _ZN2at6native6sbtopk10gatherTopKIajLi3ELb0EEEvNS_4cuda6detail10TensorInfoIKT_T0_EES8_S8_bS8_S8_NS5_IS6_S8_EES8_NS5_IlS8_EES8_PS6_.num_named_barrier, 0
	.set _ZN2at6native6sbtopk10gatherTopKIajLi3ELb0EEEvNS_4cuda6detail10TensorInfoIKT_T0_EES8_S8_bS8_S8_NS5_IS6_S8_EES8_NS5_IlS8_EES8_PS6_.private_seg_size, 0
	.set _ZN2at6native6sbtopk10gatherTopKIajLi3ELb0EEEvNS_4cuda6detail10TensorInfoIKT_T0_EES8_S8_bS8_S8_NS5_IS6_S8_EES8_NS5_IlS8_EES8_PS6_.uses_vcc, 1
	.set _ZN2at6native6sbtopk10gatherTopKIajLi3ELb0EEEvNS_4cuda6detail10TensorInfoIKT_T0_EES8_S8_bS8_S8_NS5_IS6_S8_EES8_NS5_IlS8_EES8_PS6_.uses_flat_scratch, 0
	.set _ZN2at6native6sbtopk10gatherTopKIajLi3ELb0EEEvNS_4cuda6detail10TensorInfoIKT_T0_EES8_S8_bS8_S8_NS5_IS6_S8_EES8_NS5_IlS8_EES8_PS6_.has_dyn_sized_stack, 0
	.set _ZN2at6native6sbtopk10gatherTopKIajLi3ELb0EEEvNS_4cuda6detail10TensorInfoIKT_T0_EES8_S8_bS8_S8_NS5_IS6_S8_EES8_NS5_IlS8_EES8_PS6_.has_recursion, 0
	.set _ZN2at6native6sbtopk10gatherTopKIajLi3ELb0EEEvNS_4cuda6detail10TensorInfoIKT_T0_EES8_S8_bS8_S8_NS5_IS6_S8_EES8_NS5_IlS8_EES8_PS6_.has_indirect_call, 0
	.section	.AMDGPU.csdata,"",@progbits
; Kernel info:
; codeLenInByte = 15808
; TotalNumSgprs: 107
; NumVgprs: 70
; ScratchSize: 0
; MemoryBound: 0
; FloatMode: 240
; IeeeMode: 1
; LDSByteSize: 4112 bytes/workgroup (compile time only)
; SGPRBlocks: 0
; VGPRBlocks: 8
; NumSGPRsForWavesPerEU: 107
; NumVGPRsForWavesPerEU: 70
; Occupancy: 12
; WaveLimiterHint : 1
; COMPUTE_PGM_RSRC2:SCRATCH_EN: 0
; COMPUTE_PGM_RSRC2:USER_SGPR: 6
; COMPUTE_PGM_RSRC2:TRAP_HANDLER: 0
; COMPUTE_PGM_RSRC2:TGID_X_EN: 1
; COMPUTE_PGM_RSRC2:TGID_Y_EN: 1
; COMPUTE_PGM_RSRC2:TGID_Z_EN: 1
; COMPUTE_PGM_RSRC2:TIDIG_COMP_CNT: 0
	.section	.text._ZN2at6native6mbtopk23computeBlockDigitCountsIajjLin1EEEvNS_4cuda6detail10TensorInfoIKT_T0_EEjPjjS8_iijT1_PSB_Ps,"axG",@progbits,_ZN2at6native6mbtopk23computeBlockDigitCountsIajjLin1EEEvNS_4cuda6detail10TensorInfoIKT_T0_EEjPjjS8_iijT1_PSB_Ps,comdat
	.protected	_ZN2at6native6mbtopk23computeBlockDigitCountsIajjLin1EEEvNS_4cuda6detail10TensorInfoIKT_T0_EEjPjjS8_iijT1_PSB_Ps ; -- Begin function _ZN2at6native6mbtopk23computeBlockDigitCountsIajjLin1EEEvNS_4cuda6detail10TensorInfoIKT_T0_EEjPjjS8_iijT1_PSB_Ps
	.globl	_ZN2at6native6mbtopk23computeBlockDigitCountsIajjLin1EEEvNS_4cuda6detail10TensorInfoIKT_T0_EEjPjjS8_iijT1_PSB_Ps
	.p2align	8
	.type	_ZN2at6native6mbtopk23computeBlockDigitCountsIajjLin1EEEvNS_4cuda6detail10TensorInfoIKT_T0_EEjPjjS8_iijT1_PSB_Ps,@function
_ZN2at6native6mbtopk23computeBlockDigitCountsIajjLin1EEEvNS_4cuda6detail10TensorInfoIKT_T0_EEjPjjS8_iijT1_PSB_Ps: ; @_ZN2at6native6mbtopk23computeBlockDigitCountsIajjLin1EEEvNS_4cuda6detail10TensorInfoIKT_T0_EEjPjjS8_iijT1_PSB_Ps
; %bb.0:
	s_clause 0x2
	s_load_dwordx2 s[10:11], s[4:5], 0xf8
	s_load_dwordx4 s[12:15], s[4:5], 0xe8
	s_load_dwordx2 s[0:1], s[4:5], 0x110
	s_waitcnt lgkmcnt(0)
	v_cvt_f32_u32_e32 v1, s10
	s_sub_i32 s3, 0, s10
	s_mul_i32 s1, s1, s8
	s_add_i32 s1, s1, s7
	v_rcp_iflag_f32_e32 v1, v1
	s_mul_i32 s16, s1, s0
	s_mov_b32 s7, 0
	s_add_i32 s16, s16, s6
	v_mul_f32_e32 v1, 0x4f7ffffe, v1
	v_cvt_u32_f32_e32 v1, v1
	v_readfirstlane_b32 s2, v1
	s_mul_i32 s3, s3, s2
	s_mul_hi_u32 s0, s2, s3
	s_add_i32 s2, s2, s0
	s_mul_hi_u32 s0, s16, s2
	s_mul_i32 s1, s0, s10
	s_add_i32 s2, s0, 1
	s_sub_i32 s1, s16, s1
	s_sub_i32 s3, s1, s10
	s_cmp_ge_u32 s1, s10
	s_cselect_b32 s0, s2, s0
	s_cselect_b32 s1, s3, s1
	s_add_i32 s2, s0, 1
	s_cmp_ge_u32 s1, s10
	s_cselect_b32 s6, s2, s0
	s_cmp_ge_u32 s6, s12
	s_cbranch_scc1 .LBB24_30
; %bb.1:
	s_clause 0x1
	s_load_dwordx4 s[0:3], s[4:5], 0x100
	s_load_dword s8, s[4:5], 0xd0
	s_lshl_b64 s[18:19], s[6:7], 2
	s_mov_b32 s17, s6
	s_waitcnt lgkmcnt(0)
	s_add_u32 s0, s0, s18
	s_addc_u32 s1, s1, s19
	s_cmp_lt_i32 s8, 2
	s_cbranch_scc1 .LBB24_4
; %bb.2:
	s_add_i32 s18, s8, -1
	s_mov_b32 s19, 0
	s_add_i32 s12, s8, 1
	s_lshl_b64 s[20:21], s[18:19], 2
	s_mov_b32 s17, s6
	s_add_u32 s7, s4, s20
	s_addc_u32 s9, s5, s21
	s_add_u32 s8, s7, 8
	s_addc_u32 s9, s9, 0
	s_mov_b32 s7, s19
	s_inst_prefetch 0x1
	.p2align	6
.LBB24_3:                               ; =>This Inner Loop Header: Depth=1
	s_clause 0x1
	s_load_dword s18, s[8:9], 0x0
	s_load_dword s19, s[8:9], 0x64
	s_mov_b32 s22, s17
	s_waitcnt lgkmcnt(0)
	v_cvt_f32_u32_e32 v1, s18
	s_sub_i32 s21, 0, s18
	v_rcp_iflag_f32_e32 v1, v1
	v_mul_f32_e32 v1, 0x4f7ffffe, v1
	v_cvt_u32_f32_e32 v1, v1
	v_readfirstlane_b32 s20, v1
	s_mul_i32 s21, s21, s20
	s_mul_hi_u32 s21, s20, s21
	s_add_i32 s20, s20, s21
	s_mul_hi_u32 s17, s17, s20
	s_mul_i32 s20, s17, s18
	s_add_i32 s21, s17, 1
	s_sub_i32 s20, s22, s20
	s_sub_i32 s23, s20, s18
	s_cmp_ge_u32 s20, s18
	s_cselect_b32 s17, s21, s17
	s_cselect_b32 s20, s23, s20
	s_add_i32 s21, s17, 1
	s_cmp_ge_u32 s20, s18
	s_cselect_b32 s17, s21, s17
	s_add_i32 s12, s12, -1
	s_mul_i32 s18, s17, s18
	s_sub_i32 s18, s22, s18
	s_mul_i32 s18, s19, s18
	s_add_i32 s7, s18, s7
	s_add_u32 s8, s8, -4
	s_addc_u32 s9, s9, -1
	s_cmp_gt_u32 s12, 2
	s_cbranch_scc1 .LBB24_3
.LBB24_4:
	s_inst_prefetch 0x2
	s_load_dword s1, s[0:1], 0x0
	v_cmp_gt_u32_e32 vcc_lo, 0x100, v0
	v_lshlrev_b32_e32 v1, 2, v0
	s_and_saveexec_b32 s0, vcc_lo
; %bb.5:
	v_mov_b32_e32 v2, 0
	ds_write_b32 v1, v2
; %bb.6:
	s_or_b32 exec_lo, exec_lo, s0
	s_load_dword s8, s[4:5], 0xd8
	s_mul_i32 s0, s6, s10
	s_mov_b32 s12, 0
	s_sub_i32 s0, s16, s0
	s_waitcnt lgkmcnt(0)
	s_mul_i32 s6, s15, s0
	s_add_i32 s0, s0, 1
	s_lshl_b32 s9, s6, 8
	s_barrier
	buffer_gl0_inv
	s_sub_i32 s6, s8, s9
	s_add_u32 s18, s6, 0xff
	s_addc_u32 s19, 0, 0
	s_lshr_b64 s[18:19], s[18:19], 8
	s_cmp_lt_u32 s0, s10
	s_cselect_b32 s10, s15, s18
	s_cmp_lt_i32 s10, 1
	s_cbranch_scc1 .LBB24_28
; %bb.7:
	s_clause 0x1
	s_load_dword s0, s[4:5], 0x6c
	s_load_dwordx2 s[4:5], s[4:5], 0x0
	s_waitcnt lgkmcnt(0)
	s_mul_i32 s0, s0, s17
	s_add_i32 s0, s0, s7
	s_add_u32 s4, s4, s0
	s_addc_u32 s5, s5, 0
	s_and_b32 s6, s14, 0xff
	s_cmp_lt_u32 s10, 4
	s_cbranch_scc1 .LBB24_22
; %bb.8:
	v_add_nc_u32_e32 v6, s9, v0
	v_mov_b32_e32 v7, 1
	s_and_b32 s12, s10, 0x7ffffffc
	s_lshl_b32 s7, s13, 10
	s_mov_b32 s14, 0
	v_add_nc_u32_e32 v2, 0x300, v6
	v_add_nc_u32_e32 v4, 0x200, v6
	;; [unrolled: 1-line block ×3, first 2 shown]
	v_mul_lo_u32 v6, s13, v6
	s_mov_b32 s15, 0
	v_mul_lo_u32 v3, s13, v2
	v_mul_lo_u32 v4, s13, v4
	;; [unrolled: 1-line block ×3, first 2 shown]
	s_branch .LBB24_10
.LBB24_9:                               ;   in Loop: Header=BB24_10 Depth=1
	s_or_b32 exec_lo, exec_lo, s17
	v_add_nc_u32_e32 v2, 0x400, v2
	s_add_i32 s15, s15, 4
	s_add_i32 s14, s14, s7
	s_cmp_eq_u32 s12, s15
	s_cbranch_scc1 .LBB24_22
.LBB24_10:                              ; =>This Inner Loop Header: Depth=1
	v_add_nc_u32_e32 v8, 0xfffffd00, v2
	s_mov_b32 s17, exec_lo
	v_cmpx_gt_u32_e64 s8, v8
	s_cbranch_execz .LBB24_13
; %bb.11:                               ;   in Loop: Header=BB24_10 Depth=1
	v_add_nc_u32_e32 v8, s14, v6
	global_load_sbyte v8, v8, s[4:5]
	s_waitcnt vmcnt(0)
	v_add_nc_u32_e32 v8, 0x80, v8
	v_xor_b32_e32 v9, s1, v8
	v_and_b32_e32 v9, s11, v9
	v_cmp_eq_u32_e64 s0, 0, v9
	s_and_b32 exec_lo, exec_lo, s0
; %bb.12:                               ;   in Loop: Header=BB24_10 Depth=1
	v_lshrrev_b32_e32 v8, s6, v8
	v_lshlrev_b32_e32 v8, 2, v8
	ds_add_u32 v8, v7
.LBB24_13:                              ;   in Loop: Header=BB24_10 Depth=1
	s_or_b32 exec_lo, exec_lo, s17
	v_add_nc_u32_e32 v8, 0xfffffe00, v2
	s_mov_b32 s17, exec_lo
	v_cmpx_gt_u32_e64 s8, v8
	s_cbranch_execz .LBB24_16
; %bb.14:                               ;   in Loop: Header=BB24_10 Depth=1
	v_add_nc_u32_e32 v8, s14, v5
	global_load_sbyte v8, v8, s[4:5]
	s_waitcnt vmcnt(0)
	v_add_nc_u32_e32 v8, 0x80, v8
	v_xor_b32_e32 v9, s1, v8
	v_and_b32_e32 v9, s11, v9
	v_cmp_eq_u32_e64 s0, 0, v9
	s_and_b32 exec_lo, exec_lo, s0
; %bb.15:                               ;   in Loop: Header=BB24_10 Depth=1
	v_lshrrev_b32_e32 v8, s6, v8
	v_lshlrev_b32_e32 v8, 2, v8
	ds_add_u32 v8, v7
.LBB24_16:                              ;   in Loop: Header=BB24_10 Depth=1
	s_or_b32 exec_lo, exec_lo, s17
	;; [unrolled: 19-line block ×3, first 2 shown]
	s_mov_b32 s17, exec_lo
	v_cmpx_gt_u32_e64 s8, v2
	s_cbranch_execz .LBB24_9
; %bb.20:                               ;   in Loop: Header=BB24_10 Depth=1
	v_add_nc_u32_e32 v8, s14, v3
	global_load_sbyte v8, v8, s[4:5]
	s_waitcnt vmcnt(0)
	v_add_nc_u32_e32 v8, 0x80, v8
	v_xor_b32_e32 v9, s1, v8
	v_and_b32_e32 v9, s11, v9
	v_cmp_eq_u32_e64 s0, 0, v9
	s_and_b32 exec_lo, exec_lo, s0
	s_cbranch_execz .LBB24_9
; %bb.21:                               ;   in Loop: Header=BB24_10 Depth=1
	v_lshrrev_b32_e32 v8, s6, v8
	v_lshlrev_b32_e32 v8, 2, v8
	ds_add_u32 v8, v7
	s_branch .LBB24_9
.LBB24_22:
	s_and_b32 s7, s10, 3
	s_cmp_eq_u32 s7, 0
	s_cbranch_scc1 .LBB24_28
; %bb.23:
	s_lshl_b32 s0, s12, 8
	v_mov_b32_e32 v4, 1
	v_add3_u32 v2, s0, s9, v0
	s_lshl_b32 s9, s13, 8
	v_mul_lo_u32 v3, s13, v2
	s_inst_prefetch 0x1
	s_branch .LBB24_25
	.p2align	6
.LBB24_24:                              ;   in Loop: Header=BB24_25 Depth=1
	s_or_b32 exec_lo, exec_lo, s10
	v_add_nc_u32_e32 v3, s9, v3
	v_add_nc_u32_e32 v2, 0x100, v2
	s_add_i32 s7, s7, -1
	s_cmp_lg_u32 s7, 0
	s_cbranch_scc0 .LBB24_28
.LBB24_25:                              ; =>This Inner Loop Header: Depth=1
	s_mov_b32 s10, exec_lo
	v_cmpx_gt_u32_e64 s8, v2
	s_cbranch_execz .LBB24_24
; %bb.26:                               ;   in Loop: Header=BB24_25 Depth=1
	global_load_sbyte v5, v3, s[4:5]
	s_waitcnt vmcnt(0)
	v_add_nc_u32_e32 v5, 0x80, v5
	v_xor_b32_e32 v6, s1, v5
	v_and_b32_e32 v6, s11, v6
	v_cmp_eq_u32_e64 s0, 0, v6
	s_and_b32 exec_lo, exec_lo, s0
	s_cbranch_execz .LBB24_24
; %bb.27:                               ;   in Loop: Header=BB24_25 Depth=1
	v_lshrrev_b32_e32 v5, s6, v5
	v_lshlrev_b32_e32 v5, 2, v5
	ds_add_u32 v5, v4
	s_branch .LBB24_24
.LBB24_28:
	s_inst_prefetch 0x2
	s_waitcnt lgkmcnt(0)
	s_barrier
	buffer_gl0_inv
	s_and_saveexec_b32 s0, vcc_lo
	s_cbranch_execz .LBB24_30
; %bb.29:
	ds_read_b32 v2, v1
	v_lshl_or_b32 v0, s16, 8, v0
	v_mov_b32_e32 v1, 0
	v_lshlrev_b64 v[0:1], 1, v[0:1]
	v_add_co_u32 v0, vcc_lo, s2, v0
	v_add_co_ci_u32_e64 v1, null, s3, v1, vcc_lo
	s_waitcnt lgkmcnt(0)
	global_store_short v[0:1], v2, off
.LBB24_30:
	s_endpgm
	.section	.rodata,"a",@progbits
	.p2align	6, 0x0
	.amdhsa_kernel _ZN2at6native6mbtopk23computeBlockDigitCountsIajjLin1EEEvNS_4cuda6detail10TensorInfoIKT_T0_EEjPjjS8_iijT1_PSB_Ps
		.amdhsa_group_segment_fixed_size 1024
		.amdhsa_private_segment_fixed_size 0
		.amdhsa_kernarg_size 528
		.amdhsa_user_sgpr_count 6
		.amdhsa_user_sgpr_private_segment_buffer 1
		.amdhsa_user_sgpr_dispatch_ptr 0
		.amdhsa_user_sgpr_queue_ptr 0
		.amdhsa_user_sgpr_kernarg_segment_ptr 1
		.amdhsa_user_sgpr_dispatch_id 0
		.amdhsa_user_sgpr_flat_scratch_init 0
		.amdhsa_user_sgpr_private_segment_size 0
		.amdhsa_wavefront_size32 1
		.amdhsa_uses_dynamic_stack 0
		.amdhsa_system_sgpr_private_segment_wavefront_offset 0
		.amdhsa_system_sgpr_workgroup_id_x 1
		.amdhsa_system_sgpr_workgroup_id_y 1
		.amdhsa_system_sgpr_workgroup_id_z 1
		.amdhsa_system_sgpr_workgroup_info 0
		.amdhsa_system_vgpr_workitem_id 0
		.amdhsa_next_free_vgpr 10
		.amdhsa_next_free_sgpr 24
		.amdhsa_reserve_vcc 1
		.amdhsa_reserve_flat_scratch 0
		.amdhsa_float_round_mode_32 0
		.amdhsa_float_round_mode_16_64 0
		.amdhsa_float_denorm_mode_32 3
		.amdhsa_float_denorm_mode_16_64 3
		.amdhsa_dx10_clamp 1
		.amdhsa_ieee_mode 1
		.amdhsa_fp16_overflow 0
		.amdhsa_workgroup_processor_mode 1
		.amdhsa_memory_ordered 1
		.amdhsa_forward_progress 1
		.amdhsa_shared_vgpr_count 0
		.amdhsa_exception_fp_ieee_invalid_op 0
		.amdhsa_exception_fp_denorm_src 0
		.amdhsa_exception_fp_ieee_div_zero 0
		.amdhsa_exception_fp_ieee_overflow 0
		.amdhsa_exception_fp_ieee_underflow 0
		.amdhsa_exception_fp_ieee_inexact 0
		.amdhsa_exception_int_div_zero 0
	.end_amdhsa_kernel
	.section	.text._ZN2at6native6mbtopk23computeBlockDigitCountsIajjLin1EEEvNS_4cuda6detail10TensorInfoIKT_T0_EEjPjjS8_iijT1_PSB_Ps,"axG",@progbits,_ZN2at6native6mbtopk23computeBlockDigitCountsIajjLin1EEEvNS_4cuda6detail10TensorInfoIKT_T0_EEjPjjS8_iijT1_PSB_Ps,comdat
.Lfunc_end24:
	.size	_ZN2at6native6mbtopk23computeBlockDigitCountsIajjLin1EEEvNS_4cuda6detail10TensorInfoIKT_T0_EEjPjjS8_iijT1_PSB_Ps, .Lfunc_end24-_ZN2at6native6mbtopk23computeBlockDigitCountsIajjLin1EEEvNS_4cuda6detail10TensorInfoIKT_T0_EEjPjjS8_iijT1_PSB_Ps
                                        ; -- End function
	.set _ZN2at6native6mbtopk23computeBlockDigitCountsIajjLin1EEEvNS_4cuda6detail10TensorInfoIKT_T0_EEjPjjS8_iijT1_PSB_Ps.num_vgpr, 10
	.set _ZN2at6native6mbtopk23computeBlockDigitCountsIajjLin1EEEvNS_4cuda6detail10TensorInfoIKT_T0_EEjPjjS8_iijT1_PSB_Ps.num_agpr, 0
	.set _ZN2at6native6mbtopk23computeBlockDigitCountsIajjLin1EEEvNS_4cuda6detail10TensorInfoIKT_T0_EEjPjjS8_iijT1_PSB_Ps.numbered_sgpr, 24
	.set _ZN2at6native6mbtopk23computeBlockDigitCountsIajjLin1EEEvNS_4cuda6detail10TensorInfoIKT_T0_EEjPjjS8_iijT1_PSB_Ps.num_named_barrier, 0
	.set _ZN2at6native6mbtopk23computeBlockDigitCountsIajjLin1EEEvNS_4cuda6detail10TensorInfoIKT_T0_EEjPjjS8_iijT1_PSB_Ps.private_seg_size, 0
	.set _ZN2at6native6mbtopk23computeBlockDigitCountsIajjLin1EEEvNS_4cuda6detail10TensorInfoIKT_T0_EEjPjjS8_iijT1_PSB_Ps.uses_vcc, 1
	.set _ZN2at6native6mbtopk23computeBlockDigitCountsIajjLin1EEEvNS_4cuda6detail10TensorInfoIKT_T0_EEjPjjS8_iijT1_PSB_Ps.uses_flat_scratch, 0
	.set _ZN2at6native6mbtopk23computeBlockDigitCountsIajjLin1EEEvNS_4cuda6detail10TensorInfoIKT_T0_EEjPjjS8_iijT1_PSB_Ps.has_dyn_sized_stack, 0
	.set _ZN2at6native6mbtopk23computeBlockDigitCountsIajjLin1EEEvNS_4cuda6detail10TensorInfoIKT_T0_EEjPjjS8_iijT1_PSB_Ps.has_recursion, 0
	.set _ZN2at6native6mbtopk23computeBlockDigitCountsIajjLin1EEEvNS_4cuda6detail10TensorInfoIKT_T0_EEjPjjS8_iijT1_PSB_Ps.has_indirect_call, 0
	.section	.AMDGPU.csdata,"",@progbits
; Kernel info:
; codeLenInByte = 1348
; TotalNumSgprs: 26
; NumVgprs: 10
; ScratchSize: 0
; MemoryBound: 0
; FloatMode: 240
; IeeeMode: 1
; LDSByteSize: 1024 bytes/workgroup (compile time only)
; SGPRBlocks: 0
; VGPRBlocks: 1
; NumSGPRsForWavesPerEU: 26
; NumVGPRsForWavesPerEU: 10
; Occupancy: 16
; WaveLimiterHint : 1
; COMPUTE_PGM_RSRC2:SCRATCH_EN: 0
; COMPUTE_PGM_RSRC2:USER_SGPR: 6
; COMPUTE_PGM_RSRC2:TRAP_HANDLER: 0
; COMPUTE_PGM_RSRC2:TGID_X_EN: 1
; COMPUTE_PGM_RSRC2:TGID_Y_EN: 1
; COMPUTE_PGM_RSRC2:TGID_Z_EN: 1
; COMPUTE_PGM_RSRC2:TIDIG_COMP_CNT: 0
	.section	.text._ZN2at6native6mbtopk10gatherTopKIajLin1EEEvNS_4cuda6detail10TensorInfoIKT_T0_EES8_S8_bjS8_NS5_IS6_S8_EES8_NS5_IlS8_EES8_jjPS6_PjSD_j,"axG",@progbits,_ZN2at6native6mbtopk10gatherTopKIajLin1EEEvNS_4cuda6detail10TensorInfoIKT_T0_EES8_S8_bjS8_NS5_IS6_S8_EES8_NS5_IlS8_EES8_jjPS6_PjSD_j,comdat
	.protected	_ZN2at6native6mbtopk10gatherTopKIajLin1EEEvNS_4cuda6detail10TensorInfoIKT_T0_EES8_S8_bjS8_NS5_IS6_S8_EES8_NS5_IlS8_EES8_jjPS6_PjSD_j ; -- Begin function _ZN2at6native6mbtopk10gatherTopKIajLin1EEEvNS_4cuda6detail10TensorInfoIKT_T0_EES8_S8_bjS8_NS5_IS6_S8_EES8_NS5_IlS8_EES8_jjPS6_PjSD_j
	.globl	_ZN2at6native6mbtopk10gatherTopKIajLin1EEEvNS_4cuda6detail10TensorInfoIKT_T0_EES8_S8_bjS8_NS5_IS6_S8_EES8_NS5_IlS8_EES8_jjPS6_PjSD_j
	.p2align	8
	.type	_ZN2at6native6mbtopk10gatherTopKIajLin1EEEvNS_4cuda6detail10TensorInfoIKT_T0_EES8_S8_bjS8_NS5_IS6_S8_EES8_NS5_IlS8_EES8_jjPS6_PjSD_j,@function
_ZN2at6native6mbtopk10gatherTopKIajLin1EEEvNS_4cuda6detail10TensorInfoIKT_T0_EES8_S8_bjS8_NS5_IS6_S8_EES8_NS5_IlS8_EES8_jjPS6_PjSD_j: ; @_ZN2at6native6mbtopk10gatherTopKIajLin1EEEvNS_4cuda6detail10TensorInfoIKT_T0_EES8_S8_bjS8_NS5_IS6_S8_EES8_NS5_IlS8_EES8_jjPS6_PjSD_j
; %bb.0:
	s_clause 0x1
	s_load_dwordx2 s[0:1], s[4:5], 0x2d8
	s_load_dword s2, s[4:5], 0x2d0
	s_waitcnt lgkmcnt(0)
	s_mul_i32 s1, s1, s8
	s_add_i32 s1, s1, s7
	s_mul_i32 s12, s1, s0
	s_add_i32 s12, s12, s6
	s_cmp_ge_u32 s12, s2
	s_cbranch_scc1 .LBB25_49
; %bb.1:
	s_clause 0x1
	s_load_dwordx4 s[8:11], s[4:5], 0x2a8
	s_load_dword s0, s[4:5], 0xd0
	s_mov_b32 s7, 0
	s_waitcnt lgkmcnt(0)
	v_cvt_f32_u32_e32 v1, s10
	s_sub_i32 s2, 0, s10
	v_rcp_iflag_f32_e32 v1, v1
	v_mul_f32_e32 v1, 0x4f7ffffe, v1
	v_cvt_u32_f32_e32 v1, v1
	v_readfirstlane_b32 s1, v1
	s_mul_i32 s2, s2, s1
	s_mul_hi_u32 s2, s1, s2
	s_add_i32 s1, s1, s2
	s_mul_hi_u32 s1, s12, s1
	s_mul_i32 s2, s1, s10
	s_add_i32 s3, s1, 1
	s_sub_i32 s2, s12, s2
	s_sub_i32 s6, s2, s10
	s_cmp_ge_u32 s2, s10
	s_cselect_b32 s1, s3, s1
	s_cselect_b32 s2, s6, s2
	s_add_i32 s3, s1, 1
	s_cmp_ge_u32 s2, s10
	s_cselect_b32 s13, s3, s1
	s_cmp_lt_i32 s0, 2
	s_mov_b32 s6, s13
	s_cbranch_scc1 .LBB25_4
; %bb.2:
	s_add_i32 s6, s0, -1
	s_add_i32 s2, s0, 1
	s_lshl_b64 s[14:15], s[6:7], 2
	s_mov_b32 s6, s13
	s_add_u32 s0, s4, s14
	s_addc_u32 s1, s5, s15
	s_add_u32 s0, s0, 8
	s_addc_u32 s1, s1, 0
	s_inst_prefetch 0x1
	.p2align	6
.LBB25_3:                               ; =>This Inner Loop Header: Depth=1
	s_clause 0x1
	s_load_dword s3, s[0:1], 0x0
	s_load_dword s11, s[0:1], 0x64
	s_mov_b32 s16, s6
	s_waitcnt lgkmcnt(0)
	v_cvt_f32_u32_e32 v1, s3
	s_sub_i32 s15, 0, s3
	v_rcp_iflag_f32_e32 v1, v1
	v_mul_f32_e32 v1, 0x4f7ffffe, v1
	v_cvt_u32_f32_e32 v1, v1
	v_readfirstlane_b32 s14, v1
	s_mul_i32 s15, s15, s14
	s_mul_hi_u32 s15, s14, s15
	s_add_i32 s14, s14, s15
	s_mul_hi_u32 s6, s6, s14
	s_mul_i32 s14, s6, s3
	s_add_i32 s15, s6, 1
	s_sub_i32 s14, s16, s14
	s_sub_i32 s17, s14, s3
	s_cmp_ge_u32 s14, s3
	s_cselect_b32 s6, s15, s6
	s_cselect_b32 s14, s17, s14
	s_add_i32 s15, s6, 1
	s_cmp_ge_u32 s14, s3
	s_cselect_b32 s6, s15, s6
	s_add_i32 s2, s2, -1
	s_mul_i32 s3, s6, s3
	s_sub_i32 s3, s16, s3
	s_mul_i32 s3, s11, s3
	s_add_i32 s7, s3, s7
	s_add_u32 s0, s0, -4
	s_addc_u32 s1, s1, -1
	s_cmp_gt_u32 s2, 2
	s_cbranch_scc1 .LBB25_3
.LBB25_4:
	s_inst_prefetch 0x2
	s_load_dword s2, s[4:5], 0x1c0
	s_add_u32 s0, s4, 0xf0
	s_addc_u32 s1, s5, 0
	s_mov_b32 s17, 0
	s_mov_b32 s11, s13
	s_waitcnt lgkmcnt(0)
	s_cmp_lt_i32 s2, 2
	s_cbranch_scc1 .LBB25_7
; %bb.5:
	s_add_i32 s16, s2, -1
	s_add_i32 s14, s2, 1
	s_lshl_b64 s[18:19], s[16:17], 2
	s_mov_b32 s11, s13
	s_add_u32 s2, s0, s18
	s_addc_u32 s3, s1, s19
	s_add_u32 s2, s2, 8
	s_addc_u32 s3, s3, 0
	s_inst_prefetch 0x1
	.p2align	6
.LBB25_6:                               ; =>This Inner Loop Header: Depth=1
	s_clause 0x1
	s_load_dword s15, s[2:3], 0x0
	s_load_dword s16, s[2:3], 0x64
	s_mov_b32 s20, s11
	s_waitcnt lgkmcnt(0)
	v_cvt_f32_u32_e32 v1, s15
	s_sub_i32 s19, 0, s15
	v_rcp_iflag_f32_e32 v1, v1
	v_mul_f32_e32 v1, 0x4f7ffffe, v1
	v_cvt_u32_f32_e32 v1, v1
	v_readfirstlane_b32 s18, v1
	s_mul_i32 s19, s19, s18
	s_mul_hi_u32 s19, s18, s19
	s_add_i32 s18, s18, s19
	s_mul_hi_u32 s11, s11, s18
	s_mul_i32 s18, s11, s15
	s_add_i32 s19, s11, 1
	s_sub_i32 s18, s20, s18
	s_sub_i32 s21, s18, s15
	s_cmp_ge_u32 s18, s15
	s_cselect_b32 s11, s19, s11
	s_cselect_b32 s18, s21, s18
	s_add_i32 s19, s11, 1
	s_cmp_ge_u32 s18, s15
	s_cselect_b32 s11, s19, s11
	s_add_i32 s14, s14, -1
	s_mul_i32 s15, s11, s15
	s_sub_i32 s15, s20, s15
	s_mul_i32 s15, s16, s15
	s_add_i32 s17, s15, s17
	s_add_u32 s2, s2, -4
	s_addc_u32 s3, s3, -1
	s_cmp_gt_u32 s14, 2
	s_cbranch_scc1 .LBB25_6
.LBB25_7:
	s_inst_prefetch 0x2
	s_clause 0x1
	s_load_dword s16, s[4:5], 0x6c
	s_load_dword s2, s[4:5], 0x2a0
	s_add_u32 s3, s4, 0x1d0
	s_addc_u32 s15, s5, 0
	s_mov_b32 s19, 0
	s_mov_b32 s18, s13
	s_waitcnt lgkmcnt(0)
	s_cmp_lt_i32 s2, 2
	s_cbranch_scc1 .LBB25_10
; %bb.8:
	s_add_i32 s18, s2, -1
	s_add_i32 s14, s2, 1
	s_lshl_b64 s[20:21], s[18:19], 2
	s_mov_b32 s18, s13
	s_add_u32 s2, s3, s20
	s_addc_u32 s3, s15, s21
	s_add_u32 s2, s2, 8
	s_addc_u32 s3, s3, 0
	s_inst_prefetch 0x1
	.p2align	6
.LBB25_9:                               ; =>This Inner Loop Header: Depth=1
	s_clause 0x1
	s_load_dword s15, s[2:3], 0x0
	s_load_dword s20, s[2:3], 0x64
	s_mov_b32 s23, s18
	s_waitcnt lgkmcnt(0)
	v_cvt_f32_u32_e32 v1, s15
	s_sub_i32 s22, 0, s15
	v_rcp_iflag_f32_e32 v1, v1
	v_mul_f32_e32 v1, 0x4f7ffffe, v1
	v_cvt_u32_f32_e32 v1, v1
	v_readfirstlane_b32 s21, v1
	s_mul_i32 s22, s22, s21
	s_mul_hi_u32 s22, s21, s22
	s_add_i32 s21, s21, s22
	s_mul_hi_u32 s18, s18, s21
	s_mul_i32 s21, s18, s15
	s_add_i32 s22, s18, 1
	s_sub_i32 s21, s23, s21
	s_sub_i32 s24, s21, s15
	s_cmp_ge_u32 s21, s15
	s_cselect_b32 s18, s22, s18
	s_cselect_b32 s21, s24, s21
	s_add_i32 s22, s18, 1
	s_cmp_ge_u32 s21, s15
	s_cselect_b32 s18, s22, s18
	s_add_i32 s14, s14, -1
	s_mul_i32 s15, s18, s15
	s_sub_i32 s15, s23, s15
	s_mul_i32 s15, s20, s15
	s_add_i32 s19, s15, s19
	s_add_u32 s2, s2, -4
	s_addc_u32 s3, s3, -1
	s_cmp_gt_u32 s14, 2
	s_cbranch_scc1 .LBB25_9
.LBB25_10:
	s_inst_prefetch 0x2
	s_clause 0x1
	s_load_dword s33, s[0:1], 0x6c
	s_load_dwordx4 s[0:3], s[4:5], 0x2b8
	v_mov_b32_e32 v1, s13
	s_mul_i32 s26, s13, s10
	s_mov_b32 s27, 0
	s_sub_i32 s36, s12, s26
	s_waitcnt lgkmcnt(0)
	global_load_ubyte v6, v1, s[0:1]
	s_clause 0x2
	s_load_dwordx2 s[24:25], s[4:5], 0x0
	s_load_dwordx2 s[22:23], s[4:5], 0xf0
	;; [unrolled: 1-line block ×3, first 2 shown]
	v_cmp_ne_u32_e64 s0, 0, v0
	v_cmp_eq_u32_e64 s1, 0, v0
	s_and_saveexec_b32 s37, s1
	s_cbranch_execz .LBB25_26
; %bb.11:
	s_load_dwordx2 s[28:29], s[4:5], 0x2c8
	s_lshl_b64 s[30:31], s[26:27], 2
	s_mov_b32 s26, 0
	s_add_u32 s12, s2, s30
	s_addc_u32 s13, s3, s31
	s_mov_b32 s38, 0
	s_waitcnt lgkmcnt(0)
	s_add_u32 s14, s28, s30
	s_addc_u32 s15, s29, s31
	s_cmp_lt_u32 s10, 4
	s_cbranch_scc1 .LBB25_23
; %bb.12:
	s_mov_b32 s39, 0
.LBB25_13:                              ; =>This Inner Loop Header: Depth=1
	s_add_u32 s12, s2, s30
	s_addc_u32 s13, s3, s31
	s_add_u32 s34, s28, s30
	s_load_dwordx4 s[12:15], s[12:13], 0x0
	s_addc_u32 s35, s29, s31
	s_cmp_ge_u32 s39, s36
	s_cbranch_scc0 .LBB25_20
; %bb.14:                               ;   in Loop: Header=BB25_13 Depth=1
	s_add_i32 s40, s39, 1
	s_cmp_ge_u32 s40, s36
	s_cbranch_scc0 .LBB25_21
.LBB25_15:                              ;   in Loop: Header=BB25_13 Depth=1
	s_add_i32 s40, s40, 1
	s_cmp_ge_u32 s40, s36
	s_cbranch_scc0 .LBB25_22
.LBB25_16:                              ;   in Loop: Header=BB25_13 Depth=1
	s_add_i32 s40, s40, 1
	s_cmp_ge_u32 s40, s36
	s_cbranch_scc1 .LBB25_18
.LBB25_17:                              ;   in Loop: Header=BB25_13 Depth=1
	s_load_dword s34, s[34:35], 0xc
	s_waitcnt lgkmcnt(0)
	s_add_i32 s27, s27, s15
	s_add_i32 s26, s34, s26
.LBB25_18:                              ;   in Loop: Header=BB25_13 Depth=1
	s_waitcnt lgkmcnt(0)
	s_add_i32 s12, s12, s38
	s_add_i32 s12, s12, s13
	;; [unrolled: 1-line block ×4, first 2 shown]
	s_add_u32 s2, s2, 16
	s_addc_u32 s3, s3, 0
	s_add_u32 s28, s28, 16
	s_addc_u32 s29, s29, 0
	s_add_i32 s35, s40, 4
	s_add_u32 s14, s28, s30
	s_addc_u32 s15, s29, s31
	s_add_u32 s12, s2, s30
	s_addc_u32 s13, s3, s31
	s_add_i32 s34, s40, 1
	s_cmp_ge_u32 s35, s10
	s_cbranch_scc1 .LBB25_24
; %bb.19:                               ;   in Loop: Header=BB25_13 Depth=1
	s_mov_b32 s39, s34
	s_branch .LBB25_13
.LBB25_20:                              ;   in Loop: Header=BB25_13 Depth=1
	s_load_dword s40, s[34:35], 0x0
	s_waitcnt lgkmcnt(0)
	s_add_i32 s27, s12, s27
	s_add_i32 s26, s40, s26
	;; [unrolled: 1-line block ×3, first 2 shown]
	s_cmp_ge_u32 s40, s36
	s_cbranch_scc1 .LBB25_15
.LBB25_21:                              ;   in Loop: Header=BB25_13 Depth=1
	s_load_dword s41, s[34:35], 0x4
	s_waitcnt lgkmcnt(0)
	s_add_i32 s27, s27, s13
	s_add_i32 s26, s41, s26
	;; [unrolled: 1-line block ×3, first 2 shown]
	s_cmp_ge_u32 s40, s36
	s_cbranch_scc1 .LBB25_16
.LBB25_22:                              ;   in Loop: Header=BB25_13 Depth=1
	s_load_dword s41, s[34:35], 0x8
	s_waitcnt lgkmcnt(0)
	s_add_i32 s27, s27, s14
	s_add_i32 s26, s41, s26
	;; [unrolled: 1-line block ×3, first 2 shown]
	s_cmp_ge_u32 s40, s36
	s_cbranch_scc0 .LBB25_17
	s_branch .LBB25_18
.LBB25_23:
	s_mov_b32 s2, 0
	s_cmp_ge_u32 s2, s10
	s_cbranch_scc0 .LBB25_47
	s_branch .LBB25_25
.LBB25_24:
	s_add_i32 s2, s39, 4
	s_cmp_ge_u32 s2, s10
	s_cbranch_scc0 .LBB25_47
.LBB25_25:
	v_mov_b32_e32 v1, s26
	v_mov_b32_e32 v2, s38
	;; [unrolled: 1-line block ×4, first 2 shown]
	ds_write_b96 v4, v[1:3] offset:1056
.LBB25_26:
	s_or_b32 exec_lo, exec_lo, s37
	s_clause 0x1
	s_load_dword s2, s[4:5], 0x23c
	s_load_dwordx4 s[12:15], s[4:5], 0xd8
	s_mul_i32 s3, s9, s36
	s_add_i32 s36, s36, 1
	s_lshl_b32 s26, s3, 8
	s_waitcnt vmcnt(0) lgkmcnt(0)
	s_barrier
	buffer_gl0_inv
	s_sub_i32 s3, s12, s26
	s_add_u32 s28, s3, 0xff
	s_addc_u32 s29, 0, 0
	s_mov_b32 s3, 0
	s_lshr_b64 s[28:29], s[28:29], 8
	s_cmp_lt_u32 s36, s10
	s_cselect_b32 s9, s9, s28
	s_cmp_eq_u32 s9, 0
	s_cbranch_scc1 .LBB25_49
; %bb.27:
	v_mov_b32_e32 v5, 0
	s_mul_i32 s6, s16, s6
	v_lshrrev_b32_e32 v4, 3, v0
	v_add_nc_u32_e32 v10, -1, v0
	s_mul_i32 s11, s33, s11
	ds_read_b96 v[1:3], v5 offset:1056
	s_clause 0x1
	s_load_dword s16, s[4:5], 0xe8
	s_load_dword s10, s[4:5], 0x1c8
	v_and_b32_e32 v4, 28, v4
	v_lshrrev_b32_e32 v11, 3, v10
	s_mul_i32 s2, s2, s18
	s_add_i32 s6, s6, s7
	s_add_i32 s11, s11, s17
	;; [unrolled: 1-line block ×3, first 2 shown]
	s_add_u32 s4, s24, s6
	v_lshl_add_u32 v9, v0, 2, v4
	v_and_b32_e32 v11, 0x1ffffffc, v11
	v_add_nc_u32_e32 v4, s26, v0
	s_addc_u32 s5, s25, 0
	s_add_u32 s6, s22, s11
	v_mov_b32_e32 v7, 0x80
	s_addc_u32 s7, s23, 0
	s_lshl_b64 s[2:3], s[2:3], 3
	v_and_b32_e32 v12, 0xfc, v0
	v_lshlrev_b32_e32 v13, 5, v0
	s_add_u32 s11, s20, s2
	s_waitcnt lgkmcnt(0)
	v_add_nc_u32_e32 v1, v1, v2
	v_mbcnt_lo_u32_b32 v2, -1, 0
	v_cmp_gt_u32_e64 s2, 32, v0
	v_lshl_add_u32 v0, v10, 2, v11
	v_mul_lo_u32 v10, s16, v4
	v_add_nc_u32_sdwa v8, sext(v6), v7 dst_sel:DWORD dst_unused:UNUSED_PAD src0_sel:BYTE_0 src1_sel:DWORD
	s_addc_u32 s15, s21, s3
	v_add_nc_u32_e32 v11, v12, v13
	v_and_b32_e32 v12, 15, v2
	v_bfe_i32 v13, v2, 4, 1
	v_add_nc_u32_e32 v14, -1, v2
	s_bitcmp1_b32 s14, 0
                                        ; implicit-def: $vgpr15
	s_cselect_b32 s3, -1, 0
	s_lshl_b32 s14, s16, 8
	s_branch .LBB25_30
.LBB25_28:                              ;   in Loop: Header=BB25_30 Depth=1
	s_or_b32 exec_lo, exec_lo, s16
	v_add_nc_u32_e32 v1, v18, v1
.LBB25_29:                              ;   in Loop: Header=BB25_30 Depth=1
	v_add_nc_u32_e32 v3, v17, v3
	v_add_nc_u32_e32 v10, s14, v10
	;; [unrolled: 1-line block ×3, first 2 shown]
	s_add_i32 s9, s9, -1
	s_cmp_lg_u32 s9, 0
	s_cbranch_scc0 .LBB25_49
.LBB25_30:                              ; =>This Inner Loop Header: Depth=1
	v_mov_b32_e32 v18, 0
	v_mov_b32_e32 v16, 0
	s_mov_b32 s16, exec_lo
	v_cmpx_gt_u32_e64 s12, v4
	s_cbranch_execz .LBB25_32
; %bb.31:                               ;   in Loop: Header=BB25_30 Depth=1
	global_load_ubyte v15, v10, s[4:5]
	s_waitcnt vmcnt(0)
	v_add_nc_u32_sdwa v16, sext(v15), v7 dst_sel:DWORD dst_unused:UNUSED_PAD src0_sel:BYTE_0 src1_sel:DWORD
	v_cmp_eq_u16_sdwa s17, v15, v6 src0_sel:DWORD src1_sel:BYTE_0
	v_cmp_gt_u32_e32 vcc_lo, v16, v8
	v_cndmask_b32_e64 v17, 0, 1, vcc_lo
	v_cmp_lt_u32_e32 vcc_lo, v16, v8
	v_cndmask_b32_e64 v16, 0, 1, vcc_lo
	v_cndmask_b32_e64 v16, v16, v17, s3
	v_and_b32_e32 v18, 1, v16
	v_cndmask_b32_e64 v16, 0, 1, s17
.LBB25_32:                              ;   in Loop: Header=BB25_30 Depth=1
	s_or_b32 exec_lo, exec_lo, s16
	ds_write_b32 v9, v18
	s_waitcnt lgkmcnt(0)
	s_barrier
	buffer_gl0_inv
	s_and_saveexec_b32 s16, s2
	s_cbranch_execz .LBB25_34
; %bb.33:                               ;   in Loop: Header=BB25_30 Depth=1
	ds_read2_b32 v[19:20], v11 offset1:1
	ds_read2_b32 v[21:22], v11 offset0:2 offset1:3
	ds_read2_b32 v[23:24], v11 offset0:4 offset1:5
	;; [unrolled: 1-line block ×3, first 2 shown]
	v_cmp_ne_u32_e32 vcc_lo, 0, v12
	; wave barrier
	s_waitcnt lgkmcnt(3)
	v_add_nc_u32_e32 v17, v20, v19
	s_waitcnt lgkmcnt(2)
	v_add3_u32 v17, v17, v21, v22
	s_waitcnt lgkmcnt(1)
	v_add3_u32 v17, v17, v23, v24
	;; [unrolled: 2-line block ×3, first 2 shown]
	v_mov_b32_dpp v20, v17 row_shr:1 row_mask:0xf bank_mask:0xf
	v_cndmask_b32_e32 v20, 0, v20, vcc_lo
	v_cmp_lt_u32_e32 vcc_lo, 1, v12
	v_add_nc_u32_e32 v17, v20, v17
	v_mov_b32_dpp v20, v17 row_shr:2 row_mask:0xf bank_mask:0xf
	v_cndmask_b32_e32 v20, 0, v20, vcc_lo
	v_cmp_lt_u32_e32 vcc_lo, 3, v12
	v_add_nc_u32_e32 v17, v17, v20
	;; [unrolled: 4-line block ×3, first 2 shown]
	v_mov_b32_dpp v20, v17 row_shr:8 row_mask:0xf bank_mask:0xf
	v_cndmask_b32_e32 v20, 0, v20, vcc_lo
	v_cmp_gt_i32_e32 vcc_lo, 0, v14
	v_add_nc_u32_e32 v17, v17, v20
	v_cndmask_b32_e32 v21, v14, v2, vcc_lo
	ds_swizzle_b32 v20, v17 offset:swizzle(BROADCAST,32,15)
	v_lshlrev_b32_e32 v21, 2, v21
	s_waitcnt lgkmcnt(0)
	v_and_b32_e32 v20, v13, v20
	v_add_nc_u32_e32 v17, v17, v20
	ds_bpermute_b32 v17, v21, v17
	s_waitcnt lgkmcnt(0)
	v_add_nc_u32_e32 v17, v17, v19
	v_cndmask_b32_e64 v17, v17, v18, s1
	ds_write_b32 v11, v17
	; wave barrier
	ds_read2_b32 v[19:20], v11 offset0:1 offset1:2
	ds_read2_b32 v[21:22], v11 offset0:3 offset1:4
	;; [unrolled: 1-line block ×3, first 2 shown]
	ds_read_b32 v25, v11 offset:28
	s_waitcnt lgkmcnt(3)
	v_add_nc_u32_e32 v17, v19, v17
	v_add_nc_u32_e32 v19, v20, v17
	s_waitcnt lgkmcnt(2)
	v_add_nc_u32_e32 v20, v21, v19
	v_add_nc_u32_e32 v21, v22, v20
	;; [unrolled: 3-line block ×3, first 2 shown]
	s_waitcnt lgkmcnt(0)
	v_add_nc_u32_e32 v24, v25, v23
	ds_write2_b32 v11, v17, v19 offset0:1 offset1:2
	ds_write2_b32 v11, v20, v21 offset0:3 offset1:4
	;; [unrolled: 1-line block ×3, first 2 shown]
	ds_write_b32 v11, v24 offset:28
.LBB25_34:                              ;   in Loop: Header=BB25_30 Depth=1
	s_or_b32 exec_lo, exec_lo, s16
	v_mov_b32_e32 v19, 0
	s_waitcnt lgkmcnt(0)
	s_barrier
	buffer_gl0_inv
	s_and_saveexec_b32 s16, s0
; %bb.35:                               ;   in Loop: Header=BB25_30 Depth=1
	ds_read_b32 v19, v0
; %bb.36:                               ;   in Loop: Header=BB25_30 Depth=1
	s_or_b32 exec_lo, exec_lo, s16
	ds_read_b32 v17, v5 offset:1048
	s_mov_b32 s16, exec_lo
	s_waitcnt lgkmcnt(0)
	s_barrier
	buffer_gl0_inv
	v_cmpx_ne_u32_e32 0, v18
	s_cbranch_execz .LBB25_38
; %bb.37:                               ;   in Loop: Header=BB25_30 Depth=1
	v_add_nc_u32_e32 v20, v19, v3
	v_mov_b32_e32 v19, v5
	v_mul_lo_u32 v18, v20, s8
	v_mul_lo_u32 v20, v20, s10
	v_lshlrev_b64 v[18:19], 3, v[18:19]
	v_add_co_u32 v18, vcc_lo, s11, v18
	v_add_co_ci_u32_e64 v19, null, s15, v19, vcc_lo
	global_store_byte v20, v15, s[6:7]
	global_store_dwordx2 v[18:19], v[4:5], off
.LBB25_38:                              ;   in Loop: Header=BB25_30 Depth=1
	s_or_b32 exec_lo, exec_lo, s16
	v_cmp_le_u32_e32 vcc_lo, s13, v1
	s_cbranch_vccnz .LBB25_29
; %bb.39:                               ;   in Loop: Header=BB25_30 Depth=1
	ds_write_b32 v9, v16
	s_waitcnt lgkmcnt(0)
	s_waitcnt_vscnt null, 0x0
	s_barrier
	buffer_gl0_inv
	s_and_saveexec_b32 s16, s2
	s_cbranch_execz .LBB25_41
; %bb.40:                               ;   in Loop: Header=BB25_30 Depth=1
	ds_read2_b32 v[18:19], v11 offset1:1
	ds_read2_b32 v[20:21], v11 offset0:2 offset1:3
	ds_read2_b32 v[22:23], v11 offset0:4 offset1:5
	;; [unrolled: 1-line block ×3, first 2 shown]
	v_cmp_ne_u32_e32 vcc_lo, 0, v12
	; wave barrier
	s_waitcnt lgkmcnt(3)
	v_add_nc_u32_e32 v19, v19, v18
	s_waitcnt lgkmcnt(2)
	v_add3_u32 v19, v19, v20, v21
	s_waitcnt lgkmcnt(1)
	v_add3_u32 v19, v19, v22, v23
	;; [unrolled: 2-line block ×3, first 2 shown]
	v_mov_b32_dpp v20, v19 row_shr:1 row_mask:0xf bank_mask:0xf
	v_cndmask_b32_e32 v20, 0, v20, vcc_lo
	v_cmp_lt_u32_e32 vcc_lo, 1, v12
	v_add_nc_u32_e32 v19, v20, v19
	v_mov_b32_dpp v20, v19 row_shr:2 row_mask:0xf bank_mask:0xf
	v_cndmask_b32_e32 v20, 0, v20, vcc_lo
	v_cmp_lt_u32_e32 vcc_lo, 3, v12
	v_add_nc_u32_e32 v19, v19, v20
	;; [unrolled: 4-line block ×3, first 2 shown]
	v_mov_b32_dpp v20, v19 row_shr:8 row_mask:0xf bank_mask:0xf
	v_cndmask_b32_e32 v20, 0, v20, vcc_lo
	v_cmp_gt_i32_e32 vcc_lo, 0, v14
	v_add_nc_u32_e32 v19, v19, v20
	v_cndmask_b32_e32 v21, v14, v2, vcc_lo
	ds_swizzle_b32 v20, v19 offset:swizzle(BROADCAST,32,15)
	v_lshlrev_b32_e32 v21, 2, v21
	s_waitcnt lgkmcnt(0)
	v_and_b32_e32 v20, v13, v20
	v_add_nc_u32_e32 v19, v19, v20
	ds_bpermute_b32 v19, v21, v19
	s_waitcnt lgkmcnt(0)
	v_add_nc_u32_e32 v18, v19, v18
	v_cndmask_b32_e64 v24, v18, v16, s1
	ds_write_b32 v11, v24
	; wave barrier
	ds_read2_b32 v[18:19], v11 offset0:1 offset1:2
	ds_read2_b32 v[20:21], v11 offset0:3 offset1:4
	;; [unrolled: 1-line block ×3, first 2 shown]
	ds_read_b32 v25, v11 offset:28
	s_waitcnt lgkmcnt(3)
	v_add_nc_u32_e32 v18, v18, v24
	v_add_nc_u32_e32 v19, v19, v18
	s_waitcnt lgkmcnt(2)
	v_add_nc_u32_e32 v20, v20, v19
	v_add_nc_u32_e32 v21, v21, v20
	;; [unrolled: 3-line block ×3, first 2 shown]
	s_waitcnt lgkmcnt(0)
	v_add_nc_u32_e32 v24, v25, v23
	ds_write2_b32 v11, v18, v19 offset0:1 offset1:2
	ds_write2_b32 v11, v20, v21 offset0:3 offset1:4
	;; [unrolled: 1-line block ×3, first 2 shown]
	ds_write_b32 v11, v24 offset:28
.LBB25_41:                              ;   in Loop: Header=BB25_30 Depth=1
	s_or_b32 exec_lo, exec_lo, s16
	v_mov_b32_e32 v19, 0
	s_waitcnt lgkmcnt(0)
	s_barrier
	buffer_gl0_inv
	s_and_saveexec_b32 s16, s0
; %bb.42:                               ;   in Loop: Header=BB25_30 Depth=1
	ds_read_b32 v19, v0
; %bb.43:                               ;   in Loop: Header=BB25_30 Depth=1
	s_or_b32 exec_lo, exec_lo, s16
	ds_read_b32 v18, v5 offset:1048
	s_mov_b32 s16, exec_lo
	s_waitcnt lgkmcnt(0)
	s_barrier
	buffer_gl0_inv
	v_cmpx_ne_u32_e32 0, v16
	s_cbranch_execz .LBB25_28
; %bb.44:                               ;   in Loop: Header=BB25_30 Depth=1
	v_add_nc_u32_e32 v16, v19, v1
	v_cmp_gt_u32_e32 vcc_lo, s13, v16
	s_and_b32 exec_lo, exec_lo, vcc_lo
	s_cbranch_execz .LBB25_28
; %bb.45:                               ;   in Loop: Header=BB25_30 Depth=1
	v_mul_lo_u32 v19, v16, s8
	v_mov_b32_e32 v20, v5
	v_mul_lo_u32 v16, v16, s10
	v_lshlrev_b64 v[19:20], 3, v[19:20]
	v_add_co_u32 v19, vcc_lo, s11, v19
	v_add_co_ci_u32_e64 v20, null, s15, v20, vcc_lo
	global_store_byte v16, v15, s[6:7]
	global_store_dwordx2 v[19:20], v[4:5], off
	s_branch .LBB25_28
	.p2align	6
.LBB25_46:                              ;   in Loop: Header=BB25_47 Depth=1
	s_add_u32 s12, s12, 4
	s_addc_u32 s13, s13, 0
	s_waitcnt lgkmcnt(0)
	s_add_i32 s38, s3, s38
	s_add_u32 s14, s14, 4
	s_addc_u32 s15, s15, 0
	s_add_i32 s2, s2, 1
	s_cmp_lt_u32 s2, s10
	s_cbranch_scc0 .LBB25_25
.LBB25_47:                              ; =>This Inner Loop Header: Depth=1
	s_load_dword s3, s[12:13], 0x0
	s_cmp_ge_u32 s2, s36
	s_cbranch_scc1 .LBB25_46
; %bb.48:                               ;   in Loop: Header=BB25_47 Depth=1
	s_load_dword s28, s[14:15], 0x0
	s_waitcnt lgkmcnt(0)
	s_add_i32 s27, s3, s27
	s_add_i32 s26, s28, s26
	s_branch .LBB25_46
.LBB25_49:
	s_endpgm
	.section	.rodata,"a",@progbits
	.p2align	6, 0x0
	.amdhsa_kernel _ZN2at6native6mbtopk10gatherTopKIajLin1EEEvNS_4cuda6detail10TensorInfoIKT_T0_EES8_S8_bjS8_NS5_IS6_S8_EES8_NS5_IlS8_EES8_jjPS6_PjSD_j
		.amdhsa_group_segment_fixed_size 1068
		.amdhsa_private_segment_fixed_size 0
		.amdhsa_kernarg_size 984
		.amdhsa_user_sgpr_count 6
		.amdhsa_user_sgpr_private_segment_buffer 1
		.amdhsa_user_sgpr_dispatch_ptr 0
		.amdhsa_user_sgpr_queue_ptr 0
		.amdhsa_user_sgpr_kernarg_segment_ptr 1
		.amdhsa_user_sgpr_dispatch_id 0
		.amdhsa_user_sgpr_flat_scratch_init 0
		.amdhsa_user_sgpr_private_segment_size 0
		.amdhsa_wavefront_size32 1
		.amdhsa_uses_dynamic_stack 0
		.amdhsa_system_sgpr_private_segment_wavefront_offset 0
		.amdhsa_system_sgpr_workgroup_id_x 1
		.amdhsa_system_sgpr_workgroup_id_y 1
		.amdhsa_system_sgpr_workgroup_id_z 1
		.amdhsa_system_sgpr_workgroup_info 0
		.amdhsa_system_vgpr_workitem_id 0
		.amdhsa_next_free_vgpr 27
		.amdhsa_next_free_sgpr 42
		.amdhsa_reserve_vcc 1
		.amdhsa_reserve_flat_scratch 0
		.amdhsa_float_round_mode_32 0
		.amdhsa_float_round_mode_16_64 0
		.amdhsa_float_denorm_mode_32 3
		.amdhsa_float_denorm_mode_16_64 3
		.amdhsa_dx10_clamp 1
		.amdhsa_ieee_mode 1
		.amdhsa_fp16_overflow 0
		.amdhsa_workgroup_processor_mode 1
		.amdhsa_memory_ordered 1
		.amdhsa_forward_progress 1
		.amdhsa_shared_vgpr_count 0
		.amdhsa_exception_fp_ieee_invalid_op 0
		.amdhsa_exception_fp_denorm_src 0
		.amdhsa_exception_fp_ieee_div_zero 0
		.amdhsa_exception_fp_ieee_overflow 0
		.amdhsa_exception_fp_ieee_underflow 0
		.amdhsa_exception_fp_ieee_inexact 0
		.amdhsa_exception_int_div_zero 0
	.end_amdhsa_kernel
	.section	.text._ZN2at6native6mbtopk10gatherTopKIajLin1EEEvNS_4cuda6detail10TensorInfoIKT_T0_EES8_S8_bjS8_NS5_IS6_S8_EES8_NS5_IlS8_EES8_jjPS6_PjSD_j,"axG",@progbits,_ZN2at6native6mbtopk10gatherTopKIajLin1EEEvNS_4cuda6detail10TensorInfoIKT_T0_EES8_S8_bjS8_NS5_IS6_S8_EES8_NS5_IlS8_EES8_jjPS6_PjSD_j,comdat
.Lfunc_end25:
	.size	_ZN2at6native6mbtopk10gatherTopKIajLin1EEEvNS_4cuda6detail10TensorInfoIKT_T0_EES8_S8_bjS8_NS5_IS6_S8_EES8_NS5_IlS8_EES8_jjPS6_PjSD_j, .Lfunc_end25-_ZN2at6native6mbtopk10gatherTopKIajLin1EEEvNS_4cuda6detail10TensorInfoIKT_T0_EES8_S8_bjS8_NS5_IS6_S8_EES8_NS5_IlS8_EES8_jjPS6_PjSD_j
                                        ; -- End function
	.set _ZN2at6native6mbtopk10gatherTopKIajLin1EEEvNS_4cuda6detail10TensorInfoIKT_T0_EES8_S8_bjS8_NS5_IS6_S8_EES8_NS5_IlS8_EES8_jjPS6_PjSD_j.num_vgpr, 27
	.set _ZN2at6native6mbtopk10gatherTopKIajLin1EEEvNS_4cuda6detail10TensorInfoIKT_T0_EES8_S8_bjS8_NS5_IS6_S8_EES8_NS5_IlS8_EES8_jjPS6_PjSD_j.num_agpr, 0
	.set _ZN2at6native6mbtopk10gatherTopKIajLin1EEEvNS_4cuda6detail10TensorInfoIKT_T0_EES8_S8_bjS8_NS5_IS6_S8_EES8_NS5_IlS8_EES8_jjPS6_PjSD_j.numbered_sgpr, 42
	.set _ZN2at6native6mbtopk10gatherTopKIajLin1EEEvNS_4cuda6detail10TensorInfoIKT_T0_EES8_S8_bjS8_NS5_IS6_S8_EES8_NS5_IlS8_EES8_jjPS6_PjSD_j.num_named_barrier, 0
	.set _ZN2at6native6mbtopk10gatherTopKIajLin1EEEvNS_4cuda6detail10TensorInfoIKT_T0_EES8_S8_bjS8_NS5_IS6_S8_EES8_NS5_IlS8_EES8_jjPS6_PjSD_j.private_seg_size, 0
	.set _ZN2at6native6mbtopk10gatherTopKIajLin1EEEvNS_4cuda6detail10TensorInfoIKT_T0_EES8_S8_bjS8_NS5_IS6_S8_EES8_NS5_IlS8_EES8_jjPS6_PjSD_j.uses_vcc, 1
	.set _ZN2at6native6mbtopk10gatherTopKIajLin1EEEvNS_4cuda6detail10TensorInfoIKT_T0_EES8_S8_bjS8_NS5_IS6_S8_EES8_NS5_IlS8_EES8_jjPS6_PjSD_j.uses_flat_scratch, 0
	.set _ZN2at6native6mbtopk10gatherTopKIajLin1EEEvNS_4cuda6detail10TensorInfoIKT_T0_EES8_S8_bjS8_NS5_IS6_S8_EES8_NS5_IlS8_EES8_jjPS6_PjSD_j.has_dyn_sized_stack, 0
	.set _ZN2at6native6mbtopk10gatherTopKIajLin1EEEvNS_4cuda6detail10TensorInfoIKT_T0_EES8_S8_bjS8_NS5_IS6_S8_EES8_NS5_IlS8_EES8_jjPS6_PjSD_j.has_recursion, 0
	.set _ZN2at6native6mbtopk10gatherTopKIajLin1EEEvNS_4cuda6detail10TensorInfoIKT_T0_EES8_S8_bjS8_NS5_IS6_S8_EES8_NS5_IlS8_EES8_jjPS6_PjSD_j.has_indirect_call, 0
	.section	.AMDGPU.csdata,"",@progbits
; Kernel info:
; codeLenInByte = 2960
; TotalNumSgprs: 44
; NumVgprs: 27
; ScratchSize: 0
; MemoryBound: 0
; FloatMode: 240
; IeeeMode: 1
; LDSByteSize: 1068 bytes/workgroup (compile time only)
; SGPRBlocks: 0
; VGPRBlocks: 3
; NumSGPRsForWavesPerEU: 44
; NumVGPRsForWavesPerEU: 27
; Occupancy: 16
; WaveLimiterHint : 1
; COMPUTE_PGM_RSRC2:SCRATCH_EN: 0
; COMPUTE_PGM_RSRC2:USER_SGPR: 6
; COMPUTE_PGM_RSRC2:TRAP_HANDLER: 0
; COMPUTE_PGM_RSRC2:TGID_X_EN: 1
; COMPUTE_PGM_RSRC2:TGID_Y_EN: 1
; COMPUTE_PGM_RSRC2:TGID_Z_EN: 1
; COMPUTE_PGM_RSRC2:TIDIG_COMP_CNT: 0
	.section	.text._ZN2at6native6sbtopk10gatherTopKIajLin1ELb0EEEvNS_4cuda6detail10TensorInfoIKT_T0_EES8_S8_bS8_S8_NS5_IS6_S8_EES8_NS5_IlS8_EES8_PS6_,"axG",@progbits,_ZN2at6native6sbtopk10gatherTopKIajLin1ELb0EEEvNS_4cuda6detail10TensorInfoIKT_T0_EES8_S8_bS8_S8_NS5_IS6_S8_EES8_NS5_IlS8_EES8_PS6_,comdat
	.protected	_ZN2at6native6sbtopk10gatherTopKIajLin1ELb0EEEvNS_4cuda6detail10TensorInfoIKT_T0_EES8_S8_bS8_S8_NS5_IS6_S8_EES8_NS5_IlS8_EES8_PS6_ ; -- Begin function _ZN2at6native6sbtopk10gatherTopKIajLin1ELb0EEEvNS_4cuda6detail10TensorInfoIKT_T0_EES8_S8_bS8_S8_NS5_IS6_S8_EES8_NS5_IlS8_EES8_PS6_
	.globl	_ZN2at6native6sbtopk10gatherTopKIajLin1ELb0EEEvNS_4cuda6detail10TensorInfoIKT_T0_EES8_S8_bS8_S8_NS5_IS6_S8_EES8_NS5_IlS8_EES8_PS6_
	.p2align	8
	.type	_ZN2at6native6sbtopk10gatherTopKIajLin1ELb0EEEvNS_4cuda6detail10TensorInfoIKT_T0_EES8_S8_bS8_S8_NS5_IS6_S8_EES8_NS5_IlS8_EES8_PS6_,@function
_ZN2at6native6sbtopk10gatherTopKIajLin1ELb0EEEvNS_4cuda6detail10TensorInfoIKT_T0_EES8_S8_bS8_S8_NS5_IS6_S8_EES8_NS5_IlS8_EES8_PS6_: ; @_ZN2at6native6sbtopk10gatherTopKIajLin1ELb0EEEvNS_4cuda6detail10TensorInfoIKT_T0_EES8_S8_bS8_S8_NS5_IS6_S8_EES8_NS5_IlS8_EES8_PS6_
; %bb.0:
	s_clause 0x1
	s_load_dwordx2 s[12:13], s[4:5], 0x2b8
	s_load_dwordx4 s[36:39], s[4:5], 0xd8
	s_add_u32 s10, s4, 0x2b8
	s_addc_u32 s11, s5, 0
	s_waitcnt lgkmcnt(0)
	s_mul_i32 s0, s13, s8
	s_add_i32 s0, s0, s7
	s_mul_i32 s0, s0, s12
	s_add_i32 s50, s0, s6
	s_cmp_ge_u32 s50, s39
	s_cbranch_scc1 .LBB26_419
; %bb.1:
	s_clause 0x1
	s_load_dword s2, s[4:5], 0xd0
	s_load_dword s40, s[4:5], 0xe8
	s_mov_b32 s1, 0
	s_mov_b32 s0, s50
	s_waitcnt lgkmcnt(0)
	s_cmp_lt_i32 s2, 2
	s_cbranch_scc1 .LBB26_4
; %bb.2:
	s_add_i32 s0, s2, -1
	s_add_i32 s7, s2, 1
	s_lshl_b64 s[8:9], s[0:1], 2
	s_add_u32 s0, s4, s8
	s_addc_u32 s3, s5, s9
	s_add_u32 s2, s0, 8
	s_addc_u32 s3, s3, 0
	s_mov_b32 s0, s50
	s_inst_prefetch 0x1
	.p2align	6
.LBB26_3:                               ; =>This Inner Loop Header: Depth=1
	s_clause 0x1
	s_load_dword s8, s[2:3], 0x0
	s_load_dword s9, s[2:3], 0x64
	s_mov_b32 s15, s0
	s_waitcnt lgkmcnt(0)
	v_cvt_f32_u32_e32 v1, s8
	s_sub_i32 s14, 0, s8
	v_rcp_iflag_f32_e32 v1, v1
	v_mul_f32_e32 v1, 0x4f7ffffe, v1
	v_cvt_u32_f32_e32 v1, v1
	v_readfirstlane_b32 s13, v1
	s_mul_i32 s14, s14, s13
	s_mul_hi_u32 s14, s13, s14
	s_add_i32 s13, s13, s14
	s_mul_hi_u32 s0, s0, s13
	s_mul_i32 s13, s0, s8
	s_add_i32 s14, s0, 1
	s_sub_i32 s13, s15, s13
	s_sub_i32 s16, s13, s8
	s_cmp_ge_u32 s13, s8
	s_cselect_b32 s0, s14, s0
	s_cselect_b32 s13, s16, s13
	s_add_i32 s14, s0, 1
	s_cmp_ge_u32 s13, s8
	s_cselect_b32 s0, s14, s0
	s_add_i32 s7, s7, -1
	s_mul_i32 s8, s0, s8
	s_sub_i32 s8, s15, s8
	s_mul_i32 s8, s9, s8
	s_add_i32 s1, s8, s1
	s_add_u32 s2, s2, -4
	s_addc_u32 s3, s3, -1
	s_cmp_gt_u32 s7, 2
	s_cbranch_scc1 .LBB26_3
.LBB26_4:
	s_inst_prefetch 0x2
	s_load_dword s7, s[4:5], 0x1c0
	s_add_u32 s2, s4, 0xf0
	s_addc_u32 s3, s5, 0
	s_mov_b32 s35, 0
	s_mov_b32 s52, s50
	s_waitcnt lgkmcnt(0)
	s_cmp_lt_i32 s7, 2
	s_cbranch_scc1 .LBB26_7
; %bb.5:
	s_add_i32 s34, s7, -1
	s_add_i32 s7, s7, 1
	s_lshl_b64 s[8:9], s[34:35], 2
	s_mov_b32 s52, s50
	s_add_u32 s8, s2, s8
	s_addc_u32 s9, s3, s9
	s_add_u32 s8, s8, 8
	s_addc_u32 s9, s9, 0
	s_inst_prefetch 0x1
	.p2align	6
.LBB26_6:                               ; =>This Inner Loop Header: Depth=1
	s_clause 0x1
	s_load_dword s13, s[8:9], 0x0
	s_load_dword s14, s[8:9], 0x64
	s_mov_b32 s17, s52
	s_waitcnt lgkmcnt(0)
	v_cvt_f32_u32_e32 v1, s13
	s_sub_i32 s16, 0, s13
	v_rcp_iflag_f32_e32 v1, v1
	v_mul_f32_e32 v1, 0x4f7ffffe, v1
	v_cvt_u32_f32_e32 v1, v1
	v_readfirstlane_b32 s15, v1
	s_mul_i32 s16, s16, s15
	s_mul_hi_u32 s16, s15, s16
	s_add_i32 s15, s15, s16
	s_mul_hi_u32 s15, s52, s15
	s_mul_i32 s16, s15, s13
	s_add_i32 s18, s15, 1
	s_sub_i32 s16, s52, s16
	s_sub_i32 s19, s16, s13
	s_cmp_ge_u32 s16, s13
	s_cselect_b32 s15, s18, s15
	s_cselect_b32 s16, s19, s16
	s_add_i32 s18, s15, 1
	s_cmp_ge_u32 s16, s13
	s_cselect_b32 s52, s18, s15
	s_add_i32 s7, s7, -1
	s_mul_i32 s13, s52, s13
	s_sub_i32 s13, s17, s13
	s_mul_i32 s13, s14, s13
	s_add_i32 s35, s13, s35
	s_add_u32 s8, s8, -4
	s_addc_u32 s9, s9, -1
	s_cmp_gt_u32 s7, 2
	s_cbranch_scc1 .LBB26_6
.LBB26_7:
	s_inst_prefetch 0x2
	s_clause 0x1
	s_load_dword s7, s[4:5], 0x6c
	s_load_dword s8, s[4:5], 0x2a0
	s_add_u32 s9, s4, 0x1d0
	s_addc_u32 s14, s5, 0
	s_mov_b32 s45, 0
	s_waitcnt lgkmcnt(0)
	s_cmp_lt_i32 s8, 2
	s_cbranch_scc1 .LBB26_10
; %bb.8:
	s_add_i32 s44, s8, -1
	s_add_i32 s13, s8, 1
	s_lshl_b64 s[16:17], s[44:45], 2
	s_add_u32 s8, s9, s16
	s_addc_u32 s9, s14, s17
	s_add_u32 s8, s8, 8
	s_addc_u32 s9, s9, 0
	s_inst_prefetch 0x1
	.p2align	6
.LBB26_9:                               ; =>This Inner Loop Header: Depth=1
	s_clause 0x1
	s_load_dword s14, s[8:9], 0x0
	s_load_dword s15, s[8:9], 0x64
	s_mov_b32 s18, s50
	s_waitcnt lgkmcnt(0)
	v_cvt_f32_u32_e32 v1, s14
	s_sub_i32 s17, 0, s14
	v_rcp_iflag_f32_e32 v1, v1
	v_mul_f32_e32 v1, 0x4f7ffffe, v1
	v_cvt_u32_f32_e32 v1, v1
	v_readfirstlane_b32 s16, v1
	s_mul_i32 s17, s17, s16
	s_mul_hi_u32 s17, s16, s17
	s_add_i32 s16, s16, s17
	s_mul_hi_u32 s16, s50, s16
	s_mul_i32 s17, s16, s14
	s_add_i32 s19, s16, 1
	s_sub_i32 s17, s50, s17
	s_sub_i32 s20, s17, s14
	s_cmp_ge_u32 s17, s14
	s_cselect_b32 s16, s19, s16
	s_cselect_b32 s17, s20, s17
	s_add_i32 s19, s16, 1
	s_cmp_ge_u32 s17, s14
	s_cselect_b32 s50, s19, s16
	s_add_i32 s13, s13, -1
	s_mul_i32 s14, s50, s14
	s_sub_i32 s14, s18, s14
	s_mul_i32 s14, s15, s14
	s_add_i32 s45, s14, s45
	s_add_u32 s8, s8, -4
	s_addc_u32 s9, s9, -1
	s_cmp_gt_u32 s13, 2
	s_cbranch_scc1 .LBB26_9
.LBB26_10:
	s_inst_prefetch 0x2
	s_clause 0x3
	s_load_dword s53, s[2:3], 0x6c
	s_load_dwordx2 s[8:9], s[4:5], 0x0
	s_load_dwordx2 s[48:49], s[4:5], 0xf0
	;; [unrolled: 1-line block ×3, first 2 shown]
	v_cmp_eq_u32_e64 s3, 0, v0
	s_mov_b32 s55, 0
	s_and_saveexec_b32 s2, s3
	s_cbranch_execz .LBB26_12
; %bb.11:
	v_mov_b32_e32 v1, 0
	v_mov_b32_e32 v2, s36
	;; [unrolled: 1-line block ×3, first 2 shown]
	ds_write_b96 v1, v[1:3] offset:4096
.LBB26_12:
	s_or_b32 exec_lo, exec_lo, s2
	s_waitcnt lgkmcnt(0)
	s_barrier
	buffer_gl0_inv
	s_load_dword s13, s[10:11], 0xc
	s_load_dword s54, s[4:5], 0x23c
	s_mul_i32 s0, s7, s0
	v_mbcnt_lo_u32_b32 v17, -1, 0
	s_add_i32 s0, s0, s1
	v_cmp_gt_u32_e32 vcc_lo, 32, v0
	s_add_u32 s42, s8, s0
	s_addc_u32 s43, s9, 0
	s_bitcmp1_b32 s38, 0
	v_lshlrev_b64 v[1:2], v17, -1
	s_cselect_b32 s2, -1, 0
	v_cmp_gt_i32_e64 s0, 4, v17
	s_xor_b32 s56, s2, -1
	v_lshrrev_b32_e32 v3, 1, v0
	v_lshlrev_b32_e32 v16, 2, v0
	v_not_b32_e32 v15, v1
	s_and_b32 s57, vcc_lo, s0
	v_mul_lo_u32 v18, s40, v0
	s_mov_b32 s41, s40
	v_mov_b32_e32 v19, 0
	s_waitcnt lgkmcnt(0)
	s_and_b32 s44, s13, 0xffff
	s_bfe_u32 s7, s13, 0xb0005
	s_lshl_b32 s58, s44, 2
	s_bfe_u32 s0, s44, 0x80008
	v_cvt_f32_u32_e32 v2, s58
	s_lshl_b32 s59, s0, 3
	s_cmpk_gt_u32 s36, 0xc00
	v_cvt_f32_u32_e32 v5, s44
	s_cselect_b32 s60, -1, 0
	v_rcp_iflag_f32_e32 v1, v2
	s_cmp_gt_u32 s44, 31
	v_add_nc_u32_e32 v2, 2, v0
	s_cselect_b32 s61, -1, 0
	s_add_i32 s62, s44, -1
	v_rcp_iflag_f32_e32 v5, v5
	s_add_i32 s13, s62, s36
	s_cmp_lt_u32 s6, s12
	s_movk_i32 s6, 0x1f0
	s_cselect_b32 s8, 12, 18
	v_mul_f32_e32 v1, 0x4f7ffffe, v1
	s_add_u32 s38, s10, s8
	s_addc_u32 s39, s11, 0
	s_add_i32 s7, s7, -1
	s_bfe_u32 s63, s44, 0x30005
	v_cvt_u32_f32_e32 v1, v1
	s_and_b32 s7, s7, 0xffff
	v_and_or_b32 v20, v3, s6, 0xc00
	s_cmp_gt_u32 s7, 6
	v_mul_f32_e32 v3, 0x4f7ffffe, v5
	v_readfirstlane_b32 s7, v1
	s_cselect_b32 s64, -1, 0
	s_cmp_lg_u32 s63, 0
	v_max_u32_e32 v2, s36, v2
	s_cselect_b32 s65, -1, 0
	s_sub_i32 s8, 0, s58
	v_cvt_u32_f32_e32 v3, v3
	s_mul_i32 s8, s8, s7
	v_xad_u32 v2, v0, -1, v2
	s_mul_hi_u32 s6, s7, s8
	v_mad_u64_u32 v[13:14], null, s40, v16, s[40:41]
	s_add_i32 s66, s7, s6
	v_readfirstlane_b32 s9, v3
	s_mul_hi_u32 s6, s36, s66
	v_add_nc_u32_e32 v4, -4, v2
	s_mul_i32 s6, s6, s58
	v_and_b32_e32 v21, -4, v2
	s_sub_i32 s6, s36, s6
	v_cmp_lt_u32_e64 s7, 31, v2
	s_sub_i32 s8, s6, s58
	s_cmp_ge_u32 s6, s58
	v_lshrrev_b32_e32 v1, 2, v4
	s_cselect_b32 s6, s8, s6
	v_add_co_u32 v9, s1, s42, v18
	s_sub_i32 s8, s6, s58
	s_cmp_ge_u32 s6, s58
	v_add_nc_u32_e32 v1, 1, v1
	s_cselect_b32 s6, s8, s6
	s_sub_i32 s8, 0, s44
	s_sub_i32 s70, s36, s6
	s_mul_i32 s8, s8, s9
	v_add_nc_u32_e32 v24, s70, v0
	s_mul_hi_u32 s10, s9, s8
	v_and_b32_e32 v3, 3, v1
	s_add_i32 s69, s9, s10
	v_and_b32_e32 v23, 0x7ffffffc, v1
	s_mul_hi_u32 s10, s13, s69
	v_mul_lo_u32 v1, v24, s40
	s_mul_i32 s10, s10, s44
	v_cmp_ne_u32_e64 s9, 0, v3
	s_sub_i32 s11, s13, s10
	v_cmp_ne_u32_e64 s10, v2, v21
	s_sub_i32 s12, s11, s44
	s_cmp_ge_u32 s11, s44
	v_lshlrev_b32_e32 v25, 2, v3
	s_cselect_b32 s12, s12, s11
	v_or_b32_e32 v2, 2, v16
	s_sub_i32 s14, s12, s44
	s_cmp_ge_u32 s12, s44
	v_or_b32_e32 v3, 3, v16
	s_cselect_b32 s14, s14, s12
	v_mul_lo_u32 v26, s40, v2
	s_sub_i32 s71, s13, s14
	v_add_co_u32 v11, s13, s42, v1
	v_add3_u32 v1, s44, s36, v0
	v_mul_lo_u32 v27, s40, v3
	v_cmp_eq_u32_e64 s0, 0, v17
	v_add_co_ci_u32_e64 v10, null, s43, 0, s1
	v_subrev_nc_u32_e32 v1, s6, v1
	v_cmp_gt_u32_e64 s1, s36, v0
	v_cmp_gt_u32_e64 s15, 2, v0
	v_add_nc_u32_e32 v22, v0, v21
	v_cmp_lt_u32_e64 s8, 11, v4
	v_mul_lo_u32 v29, s40, v1
	v_cmp_gt_u32_e64 s11, s70, v16
	v_cmp_gt_u32_e64 s12, s36, v24
	v_add_co_ci_u32_e64 v12, null, s43, 0, s13
	v_cmp_gt_u32_e64 s13, s71, v0
	v_lshlrev_b32_e32 v28, 2, v18
	v_lshl_or_b32 v30, v17, 2, 0xc00
	v_mov_b32_e32 v35, s37
	v_mov_b32_e32 v31, 0x80
	;; [unrolled: 1-line block ×6, first 2 shown]
	s_mul_i32 s51, s40, s44
	s_mov_b32 s67, s40
	s_mov_b32 s68, s40
	;; [unrolled: 1-line block ×3, first 2 shown]
	s_lshl_b32 s73, s51, 2
	s_mov_b32 s74, 0
                                        ; implicit-def: $sgpr72
                                        ; implicit-def: $sgpr77
                                        ; implicit-def: $sgpr76
                                        ; implicit-def: $sgpr79
                                        ; implicit-def: $sgpr75
                                        ; implicit-def: $sgpr83
                                        ; implicit-def: $sgpr84
                                        ; implicit-def: $sgpr80
                                        ; implicit-def: $sgpr82
                                        ; implicit-def: $sgpr81
	s_branch .LBB26_15
.LBB26_13:                              ;   in Loop: Header=BB26_15 Depth=1
	s_or_b32 exec_lo, exec_lo, s17
	v_mov_b32_e32 v35, v4
	s_andn2_b32 s17, s81, exec_lo
	s_and_b32 s16, s16, exec_lo
	s_andn2_b32 s82, s82, exec_lo
	s_or_b32 s81, s17, s16
	s_andn2_b32 s80, s80, exec_lo
	s_andn2_b32 s84, s84, exec_lo
	;; [unrolled: 1-line block ×3, first 2 shown]
	s_orn2_b32 s17, s14, exec_lo
.LBB26_14:                              ;   in Loop: Header=BB26_15 Depth=1
	s_or_b32 exec_lo, exec_lo, s6
	s_and_b32 s6, exec_lo, s17
	s_or_b32 s55, s6, s55
	s_andn2_b32 s6, s75, exec_lo
	s_and_b32 s14, s81, exec_lo
	s_andn2_b32 s16, s79, exec_lo
	s_or_b32 s75, s6, s14
	s_and_b32 s6, s82, exec_lo
	s_andn2_b32 s14, s76, exec_lo
	s_and_b32 s17, s80, exec_lo
	s_or_b32 s79, s16, s6
	s_or_b32 s76, s14, s17
	s_andn2_b32 s6, s77, exec_lo
	s_and_b32 s14, s84, exec_lo
	s_andn2_b32 s16, s72, exec_lo
	s_and_b32 s17, s83, exec_lo
	s_or_b32 s77, s6, s14
	s_or_b32 s72, s16, s17
	s_andn2_b32 exec_lo, exec_lo, s55
	s_cbranch_execz .LBB26_415
.LBB26_15:                              ; =>This Loop Header: Depth=1
                                        ;     Child Loop BB26_20 Depth 2
                                        ;     Child Loop BB26_41 Depth 2
	;; [unrolled: 1-line block ×26, first 2 shown]
	ds_read_b64 v[1:2], v19 offset:4096
	s_waitcnt lgkmcnt(0)
	v_readfirstlane_b32 s85, v1
	s_cmp_lg_u32 s85, 0
	s_cbranch_scc1 .LBB26_60
; %bb.16:                               ;   in Loop: Header=BB26_15 Depth=1
	s_and_b32 vcc_lo, exec_lo, s60
	s_cbranch_vccz .LBB26_28
; %bb.17:                               ;   in Loop: Header=BB26_15 Depth=1
	v_cmp_gt_u32_e32 vcc_lo, 0xc01, v2
	s_mov_b32 s16, 0
	s_mov_b32 s6, 0
	s_cbranch_vccz .LBB26_29
; %bb.18:                               ;   in Loop: Header=BB26_15 Depth=1
	global_load_ushort v1, v19, s[38:39]
	global_load_ubyte v4, v[9:10], off
	v_mov_b32_e32 v5, v0
	s_mov_b32 s17, 0
	s_waitcnt vmcnt(1)
	v_add_nc_u32_e32 v2, v0, v1
	v_mul_lo_u32 v3, s40, v1
	v_mul_lo_u32 v2, s40, v2
	s_branch .LBB26_20
.LBB26_19:                              ;   in Loop: Header=BB26_20 Depth=2
	s_or_b32 exec_lo, exec_lo, s14
	v_add_nc_u32_e32 v2, v2, v3
	v_mov_b32_e32 v4, v6
	s_andn2_b32 exec_lo, exec_lo, s17
	s_cbranch_execz .LBB26_35
.LBB26_20:                              ;   Parent Loop BB26_15 Depth=1
                                        ; =>  This Inner Loop Header: Depth=2
	v_add_nc_u32_e32 v5, v5, v1
	s_waitcnt lgkmcnt(0)
	v_mov_b32_e32 v7, 0
	v_mov_b32_e32 v6, 0
	s_mov_b32 s14, exec_lo
	v_cmp_le_u32_e32 vcc_lo, s36, v5
	v_cmpx_gt_u32_e64 s36, v5
	s_cbranch_execz .LBB26_22
; %bb.21:                               ;   in Loop: Header=BB26_20 Depth=2
	global_load_ubyte v6, v2, s[42:43]
.LBB26_22:                              ;   in Loop: Header=BB26_20 Depth=2
	s_or_b32 exec_lo, exec_lo, s14
	s_waitcnt vmcnt(0)
	v_add_nc_u32_sdwa v8, sext(v4), v31 dst_sel:DWORD dst_unused:UNUSED_PAD src0_sel:BYTE_0 src1_sel:DWORD
	v_and_b32_e32 v8, v8, v33
	v_cmp_eq_u32_e64 s6, v8, v14
	s_cmp_lg_u32 s6, 0
	s_cselect_b32 s14, -1, 0
	s_and_b32 s14, s0, s14
	s_and_saveexec_b32 s18, s14
	s_cbranch_execz .LBB26_26
; %bb.23:                               ;   in Loop: Header=BB26_20 Depth=2
	s_mov_b32 s21, exec_lo
	s_bcnt1_i32_b32 s19, s6
	v_mbcnt_lo_u32_b32 v7, s21, 0
	s_mov_b32 s20, exec_lo
                                        ; implicit-def: $vgpr8
	v_cmpx_eq_u32_e32 0, v7
; %bb.24:                               ;   in Loop: Header=BB26_20 Depth=2
	s_bcnt1_i32_b32 s14, s21
	s_mul_i32 s14, s19, s14
	v_mov_b32_e32 v8, s14
	ds_add_rtn_u32 v8, v19, v8 offset:4104
; %bb.25:                               ;   in Loop: Header=BB26_20 Depth=2
	s_or_b32 exec_lo, exec_lo, s20
	s_waitcnt lgkmcnt(0)
	v_readfirstlane_b32 s14, v8
	v_mad_u32_u24 v7, s19, v7, s14
.LBB26_26:                              ;   in Loop: Header=BB26_20 Depth=2
	s_or_b32 exec_lo, exec_lo, s18
	ds_bpermute_b32 v7, v19, v7
	s_and_b32 s14, exec_lo, vcc_lo
	s_or_b32 s17, s14, s17
	s_and_saveexec_b32 s14, s6
	s_cbranch_execz .LBB26_19
; %bb.27:                               ;   in Loop: Header=BB26_20 Depth=2
	v_and_b32_e32 v8, s6, v15
	s_waitcnt lgkmcnt(0)
	v_bcnt_u32_b32 v7, v8, v7
	ds_write_b8 v7, v4
	s_branch .LBB26_19
.LBB26_28:                              ;   in Loop: Header=BB26_15 Depth=1
	s_mov_b32 s16, -1
	s_mov_b32 s6, 0
.LBB26_29:                              ;   in Loop: Header=BB26_15 Depth=1
	s_and_b32 vcc_lo, exec_lo, s16
	s_cbranch_vccz .LBB26_58
.LBB26_30:                              ;   in Loop: Header=BB26_15 Depth=1
	s_and_saveexec_b32 s14, s1
	s_cbranch_execz .LBB26_55
; %bb.31:                               ;   in Loop: Header=BB26_15 Depth=1
	global_load_ushort v2, v19, s[38:39]
	global_load_ubyte v36, v[9:10], off
	s_mov_b32 s16, exec_lo
	s_waitcnt vmcnt(1)
	v_add_nc_u32_e32 v1, v0, v2
	v_readfirstlane_b32 s17, v2
	v_mov_b32_e32 v2, v0
	v_cmpx_gt_u32_e64 s36, v1
	s_cbranch_execz .LBB26_54
; %bb.32:                               ;   in Loop: Header=BB26_15 Depth=1
	s_mov_b32 s6, 0
	s_mul_i32 s18, s40, s17
                                        ; implicit-def: $vgpr2
                                        ; implicit-def: $vgpr5
                                        ; implicit-def: $vgpr3
                                        ; implicit-def: $vgpr4
	s_and_saveexec_b32 s19, s7
	s_xor_b32 s19, exec_lo, s19
	s_cbranch_execnz .LBB26_38
; %bb.33:                               ;   in Loop: Header=BB26_15 Depth=1
	s_andn2_saveexec_b32 s19, s19
	s_cbranch_execnz .LBB26_49
.LBB26_34:                              ;   in Loop: Header=BB26_15 Depth=1
	s_or_b32 exec_lo, exec_lo, s19
	s_and_saveexec_b32 s18, s6
	s_cbranch_execnz .LBB26_50
	s_branch .LBB26_53
.LBB26_35:                              ;   in Loop: Header=BB26_15 Depth=1
	s_or_b32 exec_lo, exec_lo, s17
	s_waitcnt lgkmcnt(0)
	s_barrier
	buffer_gl0_inv
	s_and_saveexec_b32 s6, s3
	s_cbranch_execz .LBB26_37
; %bb.36:                               ;   in Loop: Header=BB26_15 Depth=1
	ds_read_b32 v1, v19 offset:4104
	s_waitcnt lgkmcnt(0)
	ds_write_b32 v19, v1 offset:4096
.LBB26_37:                              ;   in Loop: Header=BB26_15 Depth=1
	s_or_b32 exec_lo, exec_lo, s6
	s_waitcnt lgkmcnt(0)
	s_mov_b32 s6, -1
	s_barrier
	s_and_b32 vcc_lo, exec_lo, s16
	s_cbranch_vccnz .LBB26_30
	s_branch .LBB26_58
.LBB26_38:                              ;   in Loop: Header=BB26_15 Depth=1
	v_cvt_f32_u32_e32 v2, s17
	v_add_nc_u32_e32 v3, s17, v1
	s_sub_i32 s6, 0, s17
	s_not_b32 s20, s18
	v_rcp_iflag_f32_e32 v2, v2
	v_max_u32_e32 v3, s36, v3
	v_sub_nc_u32_e32 v3, v3, v0
	v_mul_f32_e32 v2, 0x4f7ffffe, v2
	v_cvt_u32_f32_e32 v2, v2
	v_mul_lo_u32 v4, s6, v2
	s_lshl_b32 s6, s17, 1
	v_cmp_ne_u32_e32 vcc_lo, s6, v3
	v_cndmask_b32_e64 v5, 0, 1, vcc_lo
	v_mul_hi_u32 v4, v2, v4
	v_or_b32_e32 v5, s6, v5
	v_add_nc_u32_e32 v2, v2, v4
	v_sub_nc_u32_e32 v3, v3, v5
	v_mul_hi_u32 v2, v3, v2
	v_mul_lo_u32 v4, v2, s17
	v_sub_nc_u32_e32 v3, v3, v4
	v_add_nc_u32_e32 v4, 1, v2
	v_subrev_nc_u32_e32 v5, s17, v3
	v_cmp_le_u32_e64 s6, s17, v3
	v_cndmask_b32_e64 v2, v2, v4, s6
	v_cndmask_b32_e64 v3, v3, v5, s6
	v_add_nc_u32_e32 v4, 1, v2
	v_cmp_le_u32_e64 s6, s17, v3
	v_mul_lo_u32 v3, s40, v1
	v_cndmask_b32_e64 v2, v2, v4, s6
	s_abs_i32 s6, s18
	v_add_co_ci_u32_e64 v2, null, 0, v2, vcc_lo
	v_mul_hi_u32 v4, s6, v2
	v_mul_lo_u32 v2, s6, v2
	s_ashr_i32 s6, s20, 31
	s_cmp_eq_u32 s17, 1
	v_xor_b32_e32 v3, s6, v3
	s_cselect_b32 s20, -1, 0
	v_cmp_eq_u32_e32 vcc_lo, 0, v4
	v_cmp_le_u32_e64 s6, v2, v3
	v_mov_b32_e32 v3, v0
                                        ; implicit-def: $vgpr2
	s_and_b32 s20, vcc_lo, s20
	s_and_b32 s21, s20, s6
	s_mov_b32 s20, -1
	s_and_saveexec_b32 s6, s21
	s_cbranch_execz .LBB26_48
; %bb.39:                               ;   in Loop: Header=BB26_15 Depth=1
	v_add_nc_u32_e32 v4, 3, v1
	v_add_nc_u32_e32 v3, 2, v1
	;; [unrolled: 1-line block ×3, first 2 shown]
	s_waitcnt vmcnt(0)
	v_lshlrev_b32_e32 v37, 24, v36
	v_mov_b32_e32 v39, 0
	v_mov_b32_e32 v8, v4
	;; [unrolled: 1-line block ×5, first 2 shown]
                                        ; implicit-def: $vgpr36
	s_and_saveexec_b32 s20, s8
	s_cbranch_execz .LBB26_43
; %bb.40:                               ;   in Loop: Header=BB26_15 Depth=1
	v_mov_b32_e32 v8, v4
	v_mov_b32_e32 v38, v23
	;; [unrolled: 1-line block ×5, first 2 shown]
	s_mov_b32 s21, 0
	s_mov_b32 s22, 0
.LBB26_41:                              ;   Parent Loop BB26_15 Depth=1
                                        ; =>  This Inner Loop Header: Depth=2
	v_mul_lo_u32 v2, v5, s40
	v_mul_lo_u32 v39, v6, s41
	v_add_nc_u32_e32 v3, 4, v5
	v_mul_lo_u32 v36, v7, s67
	v_add_nc_u32_e32 v40, 4, v6
	;; [unrolled: 2-line block ×3, first 2 shown]
	v_mul_lo_u32 v54, v3, s40
	v_add_co_u32 v2, s23, s42, v2
	v_add_nc_u32_e32 v42, 4, v8
	v_add_nc_u32_e32 v43, 8, v5
	v_mul_lo_u32 v53, v40, s41
	v_add_co_ci_u32_e64 v3, null, s43, 0, s23
	v_add_co_u32 v39, s23, s42, v39
	v_add_nc_u32_e32 v44, 8, v6
	v_add_nc_u32_e32 v45, 8, v7
	v_mul_lo_u32 v52, v41, s67
	v_add_co_ci_u32_e64 v40, null, s43, 0, s23
	v_add_co_u32 v41, s23, s42, v36
	v_add_nc_u32_e32 v46, 8, v8
	v_add_nc_u32_e32 v47, 12, v5
	v_mul_lo_u32 v51, v42, s68
	v_mul_lo_u32 v56, v43, s40
	v_add_co_ci_u32_e64 v42, null, s43, 0, s23
	v_add_co_u32 v43, s23, s42, v4
	v_add_nc_u32_e32 v48, 12, v6
	v_add_nc_u32_e32 v49, 12, v7
	v_mul_lo_u32 v57, v45, s67
	v_mul_lo_u32 v55, v44, s41
	v_add_co_ci_u32_e64 v44, null, s43, 0, s23
	v_add_co_u32 v45, s23, s42, v54
	v_add_nc_u32_e32 v50, 12, v8
	v_mul_lo_u32 v59, v46, s68
	v_mul_lo_u32 v61, v47, s40
	v_add_co_ci_u32_e64 v46, null, s43, 0, s23
	v_add_co_u32 v47, s23, s42, v53
	v_mul_lo_u32 v65, v49, s67
	v_mul_lo_u32 v63, v48, s41
	v_add_co_ci_u32_e64 v48, null, s43, 0, s23
	v_add_co_u32 v49, s23, s42, v52
	v_mul_lo_u32 v67, v50, s68
	v_add_co_ci_u32_e64 v50, null, s43, 0, s23
	v_add_co_u32 v51, s23, s42, v51
	v_add_co_ci_u32_e64 v52, null, s43, 0, s23
	v_add_co_u32 v53, s23, s42, v56
	;; [unrolled: 2-line block ×9, first 2 shown]
	v_add_co_ci_u32_e64 v68, null, s43, 0, s23
	s_clause 0xf
	global_load_ubyte v4, v[41:42], off
	global_load_ubyte v41, v[43:44], off
	;; [unrolled: 1-line block ×16, first 2 shown]
	v_add_nc_u32_e32 v38, -4, v38
	v_add_nc_u32_e32 v52, s22, v0
	s_add_i32 s22, s22, 16
	v_add_nc_u32_e32 v8, 16, v8
	v_add_nc_u32_e32 v7, 16, v7
	v_cmp_eq_u32_e32 vcc_lo, 0, v38
	v_add_nc_u32_e32 v6, 16, v6
	v_add_nc_u32_e32 v5, 16, v5
	v_mov_b32_e32 v39, s22
	s_or_b32 s21, vcc_lo, s21
	s_waitcnt vmcnt(9)
	v_perm_b32 v4, v40, v4, 0xc0c0004
	s_waitcnt vmcnt(8)
	v_perm_b32 v2, v37, v2, 0xc0c0007
	v_perm_b32 v37, v41, v42, 0xc0c0004
	;; [unrolled: 1-line block ×3, first 2 shown]
	s_waitcnt vmcnt(7)
	v_perm_b32 v3, v44, v3, 0xc0c0004
	s_waitcnt vmcnt(4)
	v_perm_b32 v42, v48, v46, 0xc0c0004
	v_lshl_or_b32 v40, v4, 16, v2
	s_waitcnt vmcnt(2)
	v_perm_b32 v45, v49, v50, 0xc0c0004
	s_waitcnt vmcnt(1)
	v_perm_b32 v44, v51, v49, 0xc0c0004
	v_perm_b32 v43, v47, v51, 0xc0c0004
	s_waitcnt vmcnt(0)
	v_perm_b32 v46, v50, v36, 0xc0c0004
	v_lshl_or_b32 v41, v41, 16, v37
	v_lshl_or_b32 v42, v42, 16, v3
	;; [unrolled: 1-line block ×4, first 2 shown]
	ds_write_b128 v52, v[40:43]
	s_andn2_b32 exec_lo, exec_lo, s21
	s_cbranch_execnz .LBB26_41
; %bb.42:                               ;   in Loop: Header=BB26_15 Depth=1
	s_or_b32 exec_lo, exec_lo, s21
.LBB26_43:                              ;   in Loop: Header=BB26_15 Depth=1
	s_or_b32 exec_lo, exec_lo, s20
	s_and_saveexec_b32 s20, s9
	s_cbranch_execz .LBB26_47
; %bb.44:                               ;   in Loop: Header=BB26_15 Depth=1
	v_add_nc_u32_e32 v2, v0, v39
	v_mov_b32_e32 v3, v25
	s_mov_b32 s21, 0
.LBB26_45:                              ;   Parent Loop BB26_15 Depth=1
                                        ; =>  This Inner Loop Header: Depth=2
	v_mul_lo_u32 v4, v5, s40
	v_mul_lo_u32 v36, v6, s41
	;; [unrolled: 1-line block ×4, first 2 shown]
	v_add_nc_u32_e32 v3, -4, v3
	v_add_nc_u32_e32 v8, 4, v8
	v_add_nc_u32_e32 v7, 4, v7
	;; [unrolled: 1-line block ×3, first 2 shown]
	v_add_co_u32 v38, s22, s42, v4
	v_add_co_ci_u32_e64 v39, null, s43, 0, s22
	v_add_co_u32 v40, s22, s42, v36
	v_add_co_ci_u32_e64 v41, null, s43, 0, s22
	;; [unrolled: 2-line block ×4, first 2 shown]
	s_clause 0x3
	global_load_ubyte v4, v[40:41], off
	global_load_ubyte v40, v[42:43], off
	;; [unrolled: 1-line block ×4, first 2 shown]
	v_cmp_eq_u32_e32 vcc_lo, 0, v3
	v_add_nc_u32_e32 v5, 4, v5
	s_or_b32 s21, vcc_lo, s21
	s_waitcnt vmcnt(2)
	v_perm_b32 v39, v4, v40, 0xc0c0004
	s_waitcnt vmcnt(1)
	v_perm_b32 v37, v37, v38, 0xc0c0007
	v_perm_b32 v4, v38, v4, 0xc0c0004
	s_waitcnt vmcnt(0)
	v_perm_b32 v38, v40, v36, 0xc0c0004
	v_lshl_or_b32 v37, v39, 16, v37
	v_lshl_or_b32 v4, v38, 16, v4
	ds_write_b32 v2, v37
	v_add_nc_u32_e32 v2, 4, v2
	v_mov_b32_e32 v37, v4
	s_andn2_b32 exec_lo, exec_lo, s21
	s_cbranch_execnz .LBB26_45
; %bb.46:                               ;   in Loop: Header=BB26_15 Depth=1
	s_or_b32 exec_lo, exec_lo, s21
.LBB26_47:                              ;   in Loop: Header=BB26_15 Depth=1
	s_or_b32 exec_lo, exec_lo, s20
	v_add_nc_u32_e32 v1, v1, v21
	v_mov_b32_e32 v3, v22
	s_orn2_b32 s20, s10, exec_lo
	v_add_nc_u32_e32 v2, -1, v1
.LBB26_48:                              ;   in Loop: Header=BB26_15 Depth=1
	s_or_b32 exec_lo, exec_lo, s6
	v_mov_b32_e32 v4, s18
	s_waitcnt vmcnt(0)
	v_mov_b32_e32 v5, v36
	s_and_b32 s6, s20, exec_lo
	s_andn2_saveexec_b32 s19, s19
	s_cbranch_execz .LBB26_34
.LBB26_49:                              ;   in Loop: Header=BB26_15 Depth=1
	v_mov_b32_e32 v4, s18
	s_waitcnt vmcnt(0)
	v_mov_b32_e32 v5, v36
	v_mov_b32_e32 v3, v0
	s_or_b32 s6, s6, exec_lo
	s_or_b32 exec_lo, exec_lo, s19
	s_and_saveexec_b32 s18, s6
	s_cbranch_execz .LBB26_53
.LBB26_50:                              ;   in Loop: Header=BB26_15 Depth=1
	v_mul_lo_u32 v2, s40, v1
	s_mov_b32 s19, 0
	s_sub_i32 s6, 0, s17
.LBB26_51:                              ;   Parent Loop BB26_15 Depth=1
                                        ; =>  This Inner Loop Header: Depth=2
	global_load_ubyte v36, v2, s[42:43]
	v_mov_b32_e32 v6, v1
	ds_write_b8 v3, v5
	v_add_nc_u32_e32 v2, v2, v4
	v_add_nc_u32_e32 v1, s17, v6
	v_mov_b32_e32 v3, v6
	v_cmp_le_u32_e32 vcc_lo, s36, v1
	s_or_b32 s19, vcc_lo, s19
	s_waitcnt vmcnt(0)
	v_mov_b32_e32 v5, v36
	s_andn2_b32 exec_lo, exec_lo, s19
	s_cbranch_execnz .LBB26_51
; %bb.52:                               ;   in Loop: Header=BB26_15 Depth=1
	s_or_b32 exec_lo, exec_lo, s19
	v_add_nc_u32_e32 v2, s6, v1
.LBB26_53:                              ;   in Loop: Header=BB26_15 Depth=1
	s_or_b32 exec_lo, exec_lo, s18
.LBB26_54:                              ;   in Loop: Header=BB26_15 Depth=1
	s_or_b32 exec_lo, exec_lo, s16
	s_waitcnt vmcnt(0)
	ds_write_b8 v2, v36
.LBB26_55:                              ;   in Loop: Header=BB26_15 Depth=1
	s_or_b32 exec_lo, exec_lo, s14
	s_waitcnt lgkmcnt(0)
	s_barrier
	buffer_gl0_inv
	s_and_saveexec_b32 s6, s3
; %bb.56:                               ;   in Loop: Header=BB26_15 Depth=1
	v_mov_b32_e32 v1, s36
	ds_write_b32 v19, v1 offset:4096
; %bb.57:                               ;   in Loop: Header=BB26_15 Depth=1
	s_or_b32 exec_lo, exec_lo, s6
	s_mov_b32 s6, -1
	s_waitcnt lgkmcnt(0)
	s_barrier
.LBB26_58:                              ;   in Loop: Header=BB26_15 Depth=1
	s_and_b32 vcc_lo, exec_lo, s6
	s_mov_b32 s85, 0
	s_cbranch_vccz .LBB26_60
; %bb.59:                               ;   in Loop: Header=BB26_15 Depth=1
	buffer_gl0_inv
	ds_read_b32 v1, v19 offset:4096
	s_waitcnt lgkmcnt(0)
	v_readfirstlane_b32 s85, v1
.LBB26_60:                              ;   in Loop: Header=BB26_15 Depth=1
	s_cmp_lt_i32 s85, 1
	s_mov_b32 s6, -1
                                        ; implicit-def: $vgpr4
	s_cbranch_scc1 .LBB26_70
; %bb.61:                               ;   in Loop: Header=BB26_15 Depth=1
	s_and_b32 vcc_lo, exec_lo, s6
	s_cbranch_vccnz .LBB26_81
.LBB26_62:                              ;   in Loop: Header=BB26_15 Depth=1
	s_lshl_b32 s6, s74, 7
	s_and_saveexec_b32 s14, s0
.LBB26_63:                              ;   in Loop: Header=BB26_15 Depth=1
	v_lshl_add_u32 v5, s6, 2, v20
	ds_write_b128 v5, v[1:4]
.LBB26_64:                              ;   in Loop: Header=BB26_15 Depth=1
	s_or_b32 exec_lo, exec_lo, s14
	s_waitcnt lgkmcnt(0)
	s_barrier
	buffer_gl0_inv
	s_and_saveexec_b32 s14, s57
	s_cbranch_execz .LBB26_94
; %bb.65:                               ;   in Loop: Header=BB26_15 Depth=1
	v_mov_b32_e32 v1, 0
	s_andn2_b32 vcc_lo, exec_lo, s61
	s_cbranch_vccnz .LBB26_93
; %bb.66:                               ;   in Loop: Header=BB26_15 Depth=1
	s_andn2_b32 vcc_lo, exec_lo, s64
	s_cbranch_vccnz .LBB26_90
; %bb.67:                               ;   in Loop: Header=BB26_15 Depth=1
	v_lshl_add_u32 v2, s74, 9, v30
	v_mov_b32_e32 v1, 0
	s_mov_b32 s16, 0
	.p2align	6
.LBB26_68:                              ;   Parent Loop BB26_15 Depth=1
                                        ; =>  This Inner Loop Header: Depth=2
	ds_read2_b32 v[3:4], v2 offset1:4
	ds_read2_b32 v[5:6], v2 offset0:8 offset1:12
	ds_read2_b32 v[7:8], v2 offset0:16 offset1:20
	;; [unrolled: 1-line block ×3, first 2 shown]
	v_add_nc_u32_e32 v2, 0x80, v2
	s_add_i32 s16, s16, 8
	s_cmp_eq_u32 s59, s16
	s_waitcnt lgkmcnt(3)
	v_add3_u32 v1, v3, v1, v4
	s_waitcnt lgkmcnt(2)
	v_add3_u32 v1, v5, v1, v6
	;; [unrolled: 2-line block ×4, first 2 shown]
	s_cbranch_scc0 .LBB26_68
; %bb.69:                               ;   in Loop: Header=BB26_15 Depth=1
	s_mov_b32 s16, s59
	s_andn2_b32 vcc_lo, exec_lo, s65
	s_cbranch_vccz .LBB26_91
	s_branch .LBB26_93
.LBB26_70:                              ;   in Loop: Header=BB26_15 Depth=1
	v_mov_b32_e32 v1, 0
	v_mov_b32_e32 v2, 0
	;; [unrolled: 1-line block ×4, first 2 shown]
	s_and_saveexec_b32 s86, s11
	s_cbranch_execz .LBB26_74
; %bb.71:                               ;   in Loop: Header=BB26_15 Depth=1
	v_mov_b32_e32 v5, v16
	s_mov_b32 s87, 0
	s_mov_b32 s88, 0
	;; [unrolled: 1-line block ×6, first 2 shown]
.LBB26_72:                              ;   Parent Loop BB26_15 Depth=1
                                        ; =>  This Inner Loop Header: Depth=2
	v_add_nc_u32_e32 v1, s88, v28
	v_add_nc_u32_e32 v2, s88, v13
	;; [unrolled: 1-line block ×5, first 2 shown]
	s_clause 0x3
	global_load_sbyte v1, v1, s[42:43]
	global_load_sbyte v2, v2, s[42:43]
	;; [unrolled: 1-line block ×4, first 2 shown]
	s_add_i32 s88, s88, s73
	v_cmp_le_u32_e32 vcc_lo, s70, v5
	s_waitcnt vmcnt(3)
	v_add_nc_u32_e32 v1, 0x80, v1
	s_waitcnt vmcnt(2)
	v_add_nc_u32_e32 v2, 0x80, v2
	;; [unrolled: 2-line block ×4, first 2 shown]
	v_and_b32_e32 v6, v1, v33
	v_bfe_u32 v1, v1, s78, 2
	v_and_b32_e32 v7, v2, v33
	v_bfe_u32 v2, v2, s78, 2
	v_and_b32_e32 v8, v3, v33
	v_bfe_u32 v3, v3, s78, 2
	v_cmp_eq_u32_e64 s6, v6, v14
	v_cmp_eq_u32_e64 s18, 0, v1
	v_and_b32_e32 v36, v4, v33
	v_bfe_u32 v4, v4, s78, 2
	v_cmp_eq_u32_e64 s14, v7, v14
	v_cmp_eq_u32_e64 s19, 0, v2
	;; [unrolled: 1-line block ×4, first 2 shown]
	s_and_b32 s18, s6, s18
	v_cmp_eq_u32_e64 s17, v36, v14
	v_cmp_eq_u32_e64 s21, 0, v4
	;; [unrolled: 1-line block ×5, first 2 shown]
	v_cndmask_b32_e64 v1, 0, 1, s18
	s_and_b32 s18, s14, s19
	v_cmp_eq_u32_e64 s23, 1, v2
	v_cmp_eq_u32_e64 s27, 2, v2
	v_cmp_eq_u32_e64 s31, 3, v2
	v_cndmask_b32_e64 v2, 0, 1, s18
	s_and_b32 s18, s16, s20
	v_cmp_eq_u32_e64 s24, 1, v3
	v_cmp_eq_u32_e64 s28, 2, v3
	v_cmp_eq_u32_e64 s33, 3, v3
	;; [unrolled: 5-line block ×3, first 2 shown]
	v_cndmask_b32_e64 v4, 0, 1, s18
	s_and_b32 s18, s6, s22
	v_cndmask_b32_e64 v6, 0, 1, s18
	s_and_b32 s18, s14, s23
	v_cndmask_b32_e64 v7, 0, 1, s18
	s_and_b32 s18, s16, s24
	v_cndmask_b32_e64 v8, 0, 1, s18
	s_and_b32 s18, s17, s25
	v_cmp_ne_u32_e64 s19, 0, v7
	v_cndmask_b32_e64 v36, 0, 1, s18
	s_and_b32 s18, s6, s26
	s_and_b32 s6, s6, s30
	v_cndmask_b32_e64 v37, 0, 1, s18
	s_and_b32 s18, s14, s27
	v_cndmask_b32_e64 v41, 0, 1, s6
	;; [unrolled: 2-line block ×7, first 2 shown]
	v_cndmask_b32_e64 v44, 0, 1, s6
	v_cmp_ne_u32_e64 s6, 0, v1
	v_cmp_ne_u32_e64 s18, 0, v6
	;; [unrolled: 1-line block ×11, first 2 shown]
	s_bcnt1_i32_b32 s6, s6
	s_bcnt1_i32_b32 s18, s18
	;; [unrolled: 1-line block ×4, first 2 shown]
	v_cmp_ne_u32_e64 s17, 0, v4
	v_cmp_ne_u32_e64 s21, 0, v36
	;; [unrolled: 1-line block ×4, first 2 shown]
	s_bcnt1_i32_b32 s14, s14
	s_bcnt1_i32_b32 s19, s19
	s_bcnt1_i32_b32 s23, s23
	s_bcnt1_i32_b32 s27, s27
	s_add_i32 s6, s6, s92
	s_add_i32 s18, s18, s91
	s_add_i32 s22, s22, s90
	s_add_i32 s26, s26, s89
	s_bcnt1_i32_b32 s16, s16
	s_bcnt1_i32_b32 s20, s20
	s_bcnt1_i32_b32 s24, s24
	s_bcnt1_i32_b32 s28, s28
	s_add_i32 s6, s6, s14
	s_add_i32 s14, s18, s19
	s_add_i32 s18, s22, s23
	s_add_i32 s19, s26, s27
	s_bcnt1_i32_b32 s17, s17
	s_bcnt1_i32_b32 s21, s21
	s_bcnt1_i32_b32 s25, s25
	s_bcnt1_i32_b32 s29, s29
	s_add_i32 s6, s6, s16
	s_add_i32 s14, s14, s20
	s_add_i32 s16, s18, s24
	s_add_i32 s18, s19, s28
	s_add_i32 s92, s6, s17
	s_add_i32 s91, s14, s21
	;; [unrolled: 1-line block ×4, first 2 shown]
	v_mov_b32_e32 v1, s92
	v_mov_b32_e32 v2, s91
	;; [unrolled: 1-line block ×4, first 2 shown]
	s_or_b32 s87, vcc_lo, s87
	s_andn2_b32 exec_lo, exec_lo, s87
	s_cbranch_execnz .LBB26_72
; %bb.73:                               ;   in Loop: Header=BB26_15 Depth=1
	s_or_b32 exec_lo, exec_lo, s87
.LBB26_74:                              ;   in Loop: Header=BB26_15 Depth=1
	s_or_b32 exec_lo, exec_lo, s86
	s_and_saveexec_b32 s18, s12
	s_cbranch_execz .LBB26_80
; %bb.75:                               ;   in Loop: Header=BB26_15 Depth=1
	global_load_ubyte v8, v[11:12], off
	v_mov_b32_e32 v5, v29
	v_mov_b32_e32 v6, v24
	s_mov_b32 s19, 0
	s_branch .LBB26_77
.LBB26_76:                              ;   in Loop: Header=BB26_77 Depth=2
	s_or_b32 exec_lo, exec_lo, s14
	s_waitcnt vmcnt(0)
	v_add_nc_u32_sdwa v8, sext(v8), v31 dst_sel:DWORD dst_unused:UNUSED_PAD src0_sel:BYTE_0 src1_sel:DWORD
	s_and_b32 s14, exec_lo, vcc_lo
	v_add_nc_u32_e32 v5, s51, v5
	s_or_b32 s19, s14, s19
	v_and_b32_e32 v36, v8, v33
	v_bfe_u32 v8, v8, s78, 2
	v_cmp_eq_u32_e32 vcc_lo, v36, v14
	v_cmp_eq_u32_e64 s6, 0, v8
	v_cmp_eq_u32_e64 s14, 1, v8
	;; [unrolled: 1-line block ×4, first 2 shown]
	s_and_b32 s6, vcc_lo, s6
	v_cndmask_b32_e64 v8, 0, 1, s6
	s_and_b32 s6, vcc_lo, s14
	v_cndmask_b32_e64 v36, 0, 1, s6
	;; [unrolled: 2-line block ×3, first 2 shown]
	s_and_b32 s6, vcc_lo, s17
	v_cmp_ne_u32_e32 vcc_lo, 0, v8
	v_cndmask_b32_e64 v38, 0, 1, s6
	v_cmp_ne_u32_e64 s6, 0, v36
	v_cmp_ne_u32_e64 s14, 0, v37
	v_mov_b32_e32 v8, v7
	s_bcnt1_i32_b32 s17, vcc_lo
	v_cmp_ne_u32_e64 s16, 0, v38
	s_bcnt1_i32_b32 s6, s6
	s_bcnt1_i32_b32 s14, s14
	v_add_nc_u32_e32 v1, s17, v1
	v_add_nc_u32_e32 v2, s6, v2
	s_bcnt1_i32_b32 s16, s16
	v_add_nc_u32_e32 v3, s14, v3
	v_add_nc_u32_e32 v4, s16, v4
	s_andn2_b32 exec_lo, exec_lo, s19
	s_cbranch_execz .LBB26_79
.LBB26_77:                              ;   Parent Loop BB26_15 Depth=1
                                        ; =>  This Inner Loop Header: Depth=2
	v_add_nc_u32_e32 v6, s44, v6
	v_mov_b32_e32 v7, 0
	s_mov_b32 s14, exec_lo
	v_cmp_le_u32_e32 vcc_lo, s36, v6
	v_cmpx_gt_u32_e64 s36, v6
	s_cbranch_execz .LBB26_76
; %bb.78:                               ;   in Loop: Header=BB26_77 Depth=2
	global_load_ubyte v7, v5, s[42:43]
	s_branch .LBB26_76
.LBB26_79:                              ;   in Loop: Header=BB26_15 Depth=1
	s_or_b32 exec_lo, exec_lo, s19
.LBB26_80:                              ;   in Loop: Header=BB26_15 Depth=1
	s_or_b32 exec_lo, exec_lo, s18
	s_branch .LBB26_62
.LBB26_81:                              ;   in Loop: Header=BB26_15 Depth=1
	s_mul_hi_u32 s6, s85, s66
	v_mov_b32_e32 v1, 0
	s_mul_i32 s6, s6, s58
	v_mov_b32_e32 v2, 0
	s_sub_i32 s6, s85, s6
	v_mov_b32_e32 v3, 0
	s_sub_i32 s14, s6, s58
	s_cmp_ge_u32 s6, s58
	v_mov_b32_e32 v4, 0
	s_cselect_b32 s6, s14, s6
	s_mov_b32 s87, exec_lo
	s_sub_i32 s14, s6, s58
	s_cmp_ge_u32 s6, s58
	s_cselect_b32 s6, s14, s6
	s_sub_i32 s86, s85, s6
	v_cmpx_gt_u32_e64 s86, v16
	s_cbranch_execz .LBB26_85
; %bb.82:                               ;   in Loop: Header=BB26_15 Depth=1
	v_mov_b32_e32 v5, v16
	s_mov_b32 s88, 0
	s_mov_b32 s89, 0
	;; [unrolled: 1-line block ×5, first 2 shown]
.LBB26_83:                              ;   Parent Loop BB26_15 Depth=1
                                        ; =>  This Inner Loop Header: Depth=2
	ds_read_b32 v1, v5
	v_add_nc_u32_e32 v5, s58, v5
	v_cmp_le_u32_e32 vcc_lo, s86, v5
	s_waitcnt lgkmcnt(0)
	v_add_nc_u32_sdwa v2, sext(v1), v31 dst_sel:DWORD dst_unused:UNUSED_PAD src0_sel:BYTE_0 src1_sel:DWORD
	v_add_nc_u32_sdwa v3, sext(v1), v31 dst_sel:DWORD dst_unused:UNUSED_PAD src0_sel:BYTE_1 src1_sel:DWORD
	v_add_nc_u32_sdwa v4, sext(v1), v31 dst_sel:DWORD dst_unused:UNUSED_PAD src0_sel:BYTE_2 src1_sel:DWORD
	v_add_nc_u32_sdwa v1, sext(v1), v31 dst_sel:DWORD dst_unused:UNUSED_PAD src0_sel:BYTE_3 src1_sel:DWORD
	v_and_b32_e32 v6, v2, v33
	v_bfe_u32 v2, v2, s78, 2
	v_and_b32_e32 v7, v3, v33
	v_bfe_u32 v3, v3, s78, 2
	;; [unrolled: 2-line block ×3, first 2 shown]
	v_cmp_eq_u32_e64 s6, v6, v14
	v_cmp_eq_u32_e64 s18, 0, v2
	v_and_b32_e32 v36, v1, v33
	v_bfe_u32 v1, v1, s78, 2
	v_cmp_eq_u32_e64 s14, v7, v14
	v_cmp_eq_u32_e64 s19, 0, v3
	;; [unrolled: 1-line block ×4, first 2 shown]
	s_and_b32 s18, s6, s18
	v_cmp_eq_u32_e64 s17, v36, v14
	v_cmp_eq_u32_e64 s21, 0, v1
	;; [unrolled: 1-line block ×5, first 2 shown]
	v_cndmask_b32_e64 v1, 0, 1, s18
	s_and_b32 s18, s14, s19
	v_cmp_eq_u32_e64 s22, 1, v2
	v_cmp_eq_u32_e64 s26, 2, v2
	v_cmp_eq_u32_e64 s30, 3, v2
	v_cndmask_b32_e64 v2, 0, 1, s18
	s_and_b32 s18, s16, s20
	v_cmp_eq_u32_e64 s23, 1, v3
	v_cmp_eq_u32_e64 s27, 2, v3
	v_cmp_eq_u32_e64 s31, 3, v3
	;; [unrolled: 5-line block ×3, first 2 shown]
	v_cndmask_b32_e64 v4, 0, 1, s18
	s_and_b32 s18, s6, s22
	v_cndmask_b32_e64 v6, 0, 1, s18
	s_and_b32 s18, s14, s23
	;; [unrolled: 2-line block ×4, first 2 shown]
	v_cmp_ne_u32_e64 s19, 0, v7
	v_cndmask_b32_e64 v36, 0, 1, s18
	s_and_b32 s18, s6, s26
	s_and_b32 s6, s6, s30
	v_cndmask_b32_e64 v37, 0, 1, s18
	s_and_b32 s18, s14, s27
	v_cndmask_b32_e64 v41, 0, 1, s6
	;; [unrolled: 2-line block ×7, first 2 shown]
	v_cndmask_b32_e64 v44, 0, 1, s6
	v_cmp_ne_u32_e64 s6, 0, v1
	v_cmp_ne_u32_e64 s18, 0, v6
	;; [unrolled: 1-line block ×11, first 2 shown]
	s_bcnt1_i32_b32 s6, s6
	s_bcnt1_i32_b32 s18, s18
	;; [unrolled: 1-line block ×4, first 2 shown]
	v_cmp_ne_u32_e64 s17, 0, v4
	v_cmp_ne_u32_e64 s21, 0, v36
	;; [unrolled: 1-line block ×4, first 2 shown]
	s_bcnt1_i32_b32 s14, s14
	s_bcnt1_i32_b32 s19, s19
	s_bcnt1_i32_b32 s23, s23
	s_bcnt1_i32_b32 s27, s27
	s_add_i32 s6, s6, s92
	s_add_i32 s18, s18, s91
	s_add_i32 s22, s22, s90
	s_add_i32 s26, s26, s89
	s_bcnt1_i32_b32 s16, s16
	s_bcnt1_i32_b32 s20, s20
	s_bcnt1_i32_b32 s24, s24
	s_bcnt1_i32_b32 s28, s28
	s_add_i32 s6, s6, s14
	s_add_i32 s14, s18, s19
	s_add_i32 s18, s22, s23
	s_add_i32 s19, s26, s27
	;; [unrolled: 8-line block ×3, first 2 shown]
	s_add_i32 s92, s6, s17
	s_add_i32 s91, s14, s21
	;; [unrolled: 1-line block ×4, first 2 shown]
	v_mov_b32_e32 v1, s92
	v_mov_b32_e32 v2, s91
	v_mov_b32_e32 v3, s90
	v_mov_b32_e32 v4, s89
	s_or_b32 s88, vcc_lo, s88
	s_andn2_b32 exec_lo, exec_lo, s88
	s_cbranch_execnz .LBB26_83
; %bb.84:                               ;   in Loop: Header=BB26_15 Depth=1
	s_or_b32 exec_lo, exec_lo, s88
.LBB26_85:                              ;   in Loop: Header=BB26_15 Depth=1
	s_or_b32 exec_lo, exec_lo, s87
	v_add_nc_u32_e32 v5, s86, v0
	s_mov_b32 s19, exec_lo
	v_cmpx_gt_u32_e64 s85, v5
	s_cbranch_execz .LBB26_89
; %bb.86:                               ;   in Loop: Header=BB26_15 Depth=1
	s_mov_b32 s20, 0
.LBB26_87:                              ;   Parent Loop BB26_15 Depth=1
                                        ; =>  This Inner Loop Header: Depth=2
	ds_read_i8 v6, v5
	v_add_nc_u32_e32 v5, s44, v5
	v_cmp_le_u32_e32 vcc_lo, s85, v5
	s_waitcnt lgkmcnt(0)
	v_add_nc_u32_e32 v6, 0x80, v6
	v_and_b32_e32 v7, v6, v33
	v_bfe_u32 v6, v6, s78, 2
	v_cmp_eq_u32_e64 s6, v7, v14
	v_cmp_eq_u32_e64 s14, 0, v6
	;; [unrolled: 1-line block ×5, first 2 shown]
	s_and_b32 s14, s6, s14
	v_cndmask_b32_e64 v6, 0, 1, s14
	s_and_b32 s14, s6, s16
	v_cndmask_b32_e64 v7, 0, 1, s14
	s_and_b32 s14, s6, s17
	s_and_b32 s6, s6, s18
	v_cndmask_b32_e64 v8, 0, 1, s14
	v_cndmask_b32_e64 v36, 0, 1, s6
	v_cmp_ne_u32_e64 s6, 0, v6
	v_cmp_ne_u32_e64 s14, 0, v7
	;; [unrolled: 1-line block ×4, first 2 shown]
	s_bcnt1_i32_b32 s6, s6
	s_bcnt1_i32_b32 s14, s14
	v_add_nc_u32_e32 v1, s6, v1
	s_bcnt1_i32_b32 s16, s16
	s_bcnt1_i32_b32 s17, s17
	v_add_nc_u32_e32 v2, s14, v2
	v_add_nc_u32_e32 v3, s16, v3
	;; [unrolled: 1-line block ×3, first 2 shown]
	s_or_b32 s20, vcc_lo, s20
	s_andn2_b32 exec_lo, exec_lo, s20
	s_cbranch_execnz .LBB26_87
; %bb.88:                               ;   in Loop: Header=BB26_15 Depth=1
	s_or_b32 exec_lo, exec_lo, s20
.LBB26_89:                              ;   in Loop: Header=BB26_15 Depth=1
	s_or_b32 exec_lo, exec_lo, s19
	s_lshl_b32 s6, s74, 7
	s_and_saveexec_b32 s14, s0
	s_cbranch_execnz .LBB26_63
	s_branch .LBB26_64
.LBB26_90:                              ;   in Loop: Header=BB26_15 Depth=1
	v_mov_b32_e32 v1, 0
	s_mov_b32 s16, 0
	s_andn2_b32 vcc_lo, exec_lo, s65
	s_cbranch_vccnz .LBB26_93
.LBB26_91:                              ;   in Loop: Header=BB26_15 Depth=1
	s_lshl_b32 s17, s74, 9
	s_lshl_b32 s16, s16, 4
	v_add3_u32 v2, s17, s16, v30
	s_mov_b32 s16, s63
.LBB26_92:                              ;   Parent Loop BB26_15 Depth=1
                                        ; =>  This Inner Loop Header: Depth=2
	ds_read_b32 v3, v2
	v_add_nc_u32_e32 v2, 16, v2
	s_add_i32 s16, s16, -1
	s_cmp_lg_u32 s16, 0
	s_waitcnt lgkmcnt(0)
	v_add_nc_u32_e32 v1, v3, v1
	s_cbranch_scc1 .LBB26_92
.LBB26_93:                              ;   in Loop: Header=BB26_15 Depth=1
	v_add_lshl_u32 v2, s6, v17, 2
	ds_write_b32 v2, v1 offset:3072
.LBB26_94:                              ;   in Loop: Header=BB26_15 Depth=1
	s_or_b32 exec_lo, exec_lo, s14
	s_lshl_b32 s6, s6, 2
	s_waitcnt lgkmcnt(0)
	v_mov_b32_e32 v1, s6
	s_barrier
	buffer_gl0_inv
	v_cmp_eq_u32_e64 s14, 1, v35
	s_lshl_b32 s18, 3, s78
	ds_read_b128 v[1:4], v1 offset:3072
	s_mov_b32 s27, -1
	s_not_b32 s19, s18
	s_mov_b32 s16, 0
	s_andn2_b32 vcc_lo, exec_lo, s56
	s_mov_b32 s24, 0
	s_mov_b32 s23, 0
                                        ; implicit-def: $sgpr25
                                        ; implicit-def: $sgpr26
                                        ; implicit-def: $vgpr5
	s_waitcnt lgkmcnt(0)
	v_readfirstlane_b32 s17, v1
	v_readfirstlane_b32 s20, v2
	v_readfirstlane_b32 s21, v3
	v_readfirstlane_b32 s22, v4
                                        ; implicit-def: $vgpr4
                                        ; implicit-def: $vgpr1
                                        ; implicit-def: $vgpr2
                                        ; implicit-def: $vgpr3
	s_cbranch_vccnz .LBB26_252
; %bb.95:                               ;   in Loop: Header=BB26_15 Depth=1
	s_cmp_eq_u32 s17, 1
	v_mov_b32_e32 v2, v14
	v_mov_b32_e32 v3, v33
	;; [unrolled: 1-line block ×3, first 2 shown]
	s_cselect_b32 s6, -1, 0
	s_mov_b32 s29, -1
	s_and_b32 s6, s6, s14
                                        ; implicit-def: $sgpr26
                                        ; implicit-def: $sgpr25
	s_and_saveexec_b32 s23, s6
	s_cbranch_execz .LBB26_121
; %bb.96:                               ;   in Loop: Header=BB26_15 Depth=1
	ds_read_b32 v1, v19 offset:4096
	s_waitcnt lgkmcnt(0)
	s_barrier
	buffer_gl0_inv
	v_readfirstlane_b32 s27, v1
	s_and_saveexec_b32 s24, s15
; %bb.97:                               ;   in Loop: Header=BB26_15 Depth=1
	ds_write_b8 v0, v19 offset:3072
; %bb.98:                               ;   in Loop: Header=BB26_15 Depth=1
	s_or_b32 exec_lo, exec_lo, s24
	v_and_b32_e32 v2, s19, v14
	v_or_b32_e32 v3, s18, v33
	s_mov_b32 s25, -1
	s_mov_b32 s26, 0
	s_cmp_eq_u32 s27, 0
	s_mov_b32 s24, 0
	s_mov_b32 s28, -1
	s_waitcnt lgkmcnt(0)
	s_barrier
	buffer_gl0_inv
                                        ; implicit-def: $vgpr5
	s_cbranch_scc1 .LBB26_109
; %bb.99:                               ;   in Loop: Header=BB26_15 Depth=1
	s_add_i32 s24, s27, s62
                                        ; implicit-def: $vgpr5
	s_mul_hi_u32 s28, s24, s69
	s_mul_i32 s28, s28, s44
	s_sub_i32 s28, s24, s28
	s_sub_i32 s29, s28, s44
	s_cmp_ge_u32 s28, s44
	s_cselect_b32 s28, s29, s28
	s_sub_i32 s29, s28, s44
	s_cmp_ge_u32 s28, s44
	s_cselect_b32 s28, s29, s28
	s_mov_b32 s29, exec_lo
	s_sub_i32 s30, s24, s28
	s_mov_b32 s28, 0
	s_mov_b32 s24, 0
	v_cmpx_gt_u32_e64 s30, v0
	s_cbranch_execz .LBB26_108
; %bb.100:                              ;   in Loop: Header=BB26_15 Depth=1
	v_mov_b32_e32 v1, v0
                                        ; implicit-def: $sgpr31
	s_inst_prefetch 0x1
	s_branch .LBB26_103
	.p2align	6
.LBB26_101:                             ;   in Loop: Header=BB26_103 Depth=2
	s_or_b32 exec_lo, exec_lo, s33
	s_waitcnt lgkmcnt(0)
	s_barrier
	buffer_gl0_inv
	ds_read_u16 v4, v19 offset:3072
	s_mov_b32 s34, -1
	s_waitcnt lgkmcnt(0)
	s_barrier
	buffer_gl0_inv
	v_cmp_ne_u32_sdwa s33, v4, v19 src0_sel:BYTE_0 src1_sel:DWORD
	s_and_b32 vcc_lo, exec_lo, s33
	s_mov_b32 s33, -1
	s_cbranch_vccz .LBB26_106
.LBB26_102:                             ;   in Loop: Header=BB26_103 Depth=2
	s_and_b32 s34, exec_lo, s34
	s_or_b32 s24, s34, s24
	s_andn2_b32 s31, s31, exec_lo
	s_and_b32 s33, s33, exec_lo
	s_or_b32 s31, s31, s33
	s_andn2_b32 exec_lo, exec_lo, s24
	s_cbranch_execz .LBB26_107
.LBB26_103:                             ;   Parent Loop BB26_15 Depth=1
                                        ; =>  This Inner Loop Header: Depth=2
	s_mov_b32 s33, exec_lo
	v_cmpx_gt_u32_e64 s27, v1
	s_cbranch_execz .LBB26_101
; %bb.104:                              ;   in Loop: Header=BB26_103 Depth=2
	ds_read_u8 v4, v1
	s_waitcnt lgkmcnt(0)
	v_add_nc_u32_sdwa v5, sext(v4), v31 dst_sel:DWORD dst_unused:UNUSED_PAD src0_sel:BYTE_0 src1_sel:DWORD
	v_and_b32_e32 v5, v5, v3
	v_cmp_eq_u32_e32 vcc_lo, v5, v2
	s_and_b32 exec_lo, exec_lo, vcc_lo
	s_cbranch_execz .LBB26_101
; %bb.105:                              ;   in Loop: Header=BB26_103 Depth=2
	v_lshlrev_b16 v4, 8, v4
	v_or_b32_e32 v4, 1, v4
	ds_write_b16 v19, v4 offset:3072
	s_branch .LBB26_101
.LBB26_106:                             ;   in Loop: Header=BB26_103 Depth=2
	v_add_nc_u32_e32 v1, s44, v1
	s_mov_b32 s33, 0
	v_cmp_le_u32_e32 vcc_lo, s30, v1
	s_orn2_b32 s34, vcc_lo, exec_lo
	s_branch .LBB26_102
.LBB26_107:                             ;   in Loop: Header=BB26_15 Depth=1
	s_inst_prefetch 0x2
	s_or_b32 exec_lo, exec_lo, s24
	v_lshrrev_b32_sdwa v5, v32, v4 dst_sel:DWORD dst_unused:UNUSED_PAD src0_sel:DWORD src1_sel:WORD_0
	s_and_b32 s24, s31, exec_lo
.LBB26_108:                             ;   in Loop: Header=BB26_15 Depth=1
	s_or_b32 exec_lo, exec_lo, s29
.LBB26_109:                             ;   in Loop: Header=BB26_15 Depth=1
	s_and_b32 vcc_lo, exec_lo, s28
	s_cbranch_vccz .LBB26_120
; %bb.110:                              ;   in Loop: Header=BB26_15 Depth=1
                                        ; implicit-def: $vgpr5
	s_and_saveexec_b32 s25, s13
	s_cbranch_execz .LBB26_119
; %bb.111:                              ;   in Loop: Header=BB26_15 Depth=1
	v_mov_b32_e32 v1, v18
	v_mov_b32_e32 v4, v0
	s_mov_b32 s26, 0
                                        ; implicit-def: $sgpr27
	s_inst_prefetch 0x1
	s_branch .LBB26_114
	.p2align	6
.LBB26_112:                             ;   in Loop: Header=BB26_114 Depth=2
	s_or_b32 exec_lo, exec_lo, s28
	s_waitcnt lgkmcnt(0)
	s_barrier
	buffer_gl0_inv
	ds_read_u16 v5, v19 offset:3072
	s_mov_b32 s28, -1
	s_waitcnt lgkmcnt(0)
	s_barrier
	buffer_gl0_inv
	v_cmp_ne_u32_sdwa s29, v5, v19 src0_sel:BYTE_0 src1_sel:DWORD
	s_and_b32 vcc_lo, exec_lo, s29
	s_mov_b32 s29, -1
	s_cbranch_vccz .LBB26_117
.LBB26_113:                             ;   in Loop: Header=BB26_114 Depth=2
	s_and_b32 s28, exec_lo, s28
	s_or_b32 s26, s28, s26
	s_andn2_b32 s27, s27, exec_lo
	s_and_b32 s28, s29, exec_lo
	s_or_b32 s27, s27, s28
	s_andn2_b32 exec_lo, exec_lo, s26
	s_cbranch_execz .LBB26_118
.LBB26_114:                             ;   Parent Loop BB26_15 Depth=1
                                        ; =>  This Inner Loop Header: Depth=2
	s_mov_b32 s28, exec_lo
	v_cmpx_gt_u32_e64 s36, v4
	s_cbranch_execz .LBB26_112
; %bb.115:                              ;   in Loop: Header=BB26_114 Depth=2
	global_load_ubyte v5, v1, s[42:43]
	s_waitcnt vmcnt(0)
	v_add_nc_u32_sdwa v6, sext(v5), v31 dst_sel:DWORD dst_unused:UNUSED_PAD src0_sel:BYTE_0 src1_sel:DWORD
	v_and_b32_e32 v6, v6, v3
	v_cmp_eq_u32_e32 vcc_lo, v6, v2
	s_and_b32 exec_lo, exec_lo, vcc_lo
	s_cbranch_execz .LBB26_112
; %bb.116:                              ;   in Loop: Header=BB26_114 Depth=2
	v_lshlrev_b16 v5, 8, v5
	v_or_b32_e32 v5, 1, v5
	ds_write_b16 v19, v5 offset:3072
	s_branch .LBB26_112
.LBB26_117:                             ;   in Loop: Header=BB26_114 Depth=2
	v_add_nc_u32_e32 v4, s44, v4
	v_add_nc_u32_e32 v1, s51, v1
	s_mov_b32 s29, 0
	v_cmp_le_u32_e32 vcc_lo, s71, v4
	s_orn2_b32 s28, vcc_lo, exec_lo
	s_branch .LBB26_113
.LBB26_118:                             ;   in Loop: Header=BB26_15 Depth=1
	s_inst_prefetch 0x2
	s_or_b32 exec_lo, exec_lo, s26
	v_lshrrev_b32_sdwa v5, v32, v5 dst_sel:DWORD dst_unused:UNUSED_PAD src0_sel:DWORD src1_sel:WORD_0
	s_andn2_b32 s24, s24, exec_lo
	s_and_b32 s26, s27, exec_lo
	s_or_b32 s24, s24, s26
.LBB26_119:                             ;   in Loop: Header=BB26_15 Depth=1
	s_or_b32 exec_lo, exec_lo, s25
	s_mov_b32 s25, 0
	s_mov_b32 s26, -1
.LBB26_120:                             ;   in Loop: Header=BB26_15 Depth=1
	s_orn2_b32 s29, s24, exec_lo
.LBB26_121:                             ;   in Loop: Header=BB26_15 Depth=1
	s_or_b32 exec_lo, exec_lo, s23
	s_mov_b32 s27, 0
	s_mov_b32 s24, 0
	;; [unrolled: 1-line block ×3, first 2 shown]
                                        ; implicit-def: $vgpr4
                                        ; implicit-def: $vgpr1
	s_and_saveexec_b32 s28, s29
	s_cbranch_execz .LBB26_251
; %bb.122:                              ;   in Loop: Header=BB26_15 Depth=1
	v_mov_b32_e32 v4, 1
	v_mov_b32_e32 v1, 1
	s_xor_b32 s23, s6, -1
	s_mov_b32 s30, 0
	s_and_saveexec_b32 s6, s23
	s_cbranch_execz .LBB26_131
; %bb.123:                              ;   in Loop: Header=BB26_15 Depth=1
	s_mov_b32 s23, exec_lo
	v_cmpx_ge_u32_e64 s17, v35
	s_xor_b32 s23, exec_lo, s23
	s_cbranch_execz .LBB26_128
; %bb.124:                              ;   in Loop: Header=BB26_15 Depth=1
	ds_read_b32 v1, v19 offset:4096
	v_and_b32_e32 v2, s19, v2
	v_or_b32_e32 v3, s18, v3
	s_waitcnt lgkmcnt(0)
	v_cmp_ne_u32_e32 vcc_lo, 0, v1
	s_cbranch_vccnz .LBB26_128
; %bb.125:                              ;   in Loop: Header=BB26_15 Depth=1
	s_and_saveexec_b32 s24, s3
; %bb.126:                              ;   in Loop: Header=BB26_15 Depth=1
	v_mov_b32_e32 v1, s17
	ds_write_b32 v19, v1 offset:4100
; %bb.127:                              ;   in Loop: Header=BB26_15 Depth=1
	s_or_b32 exec_lo, exec_lo, s24
	s_waitcnt lgkmcnt(0)
	s_barrier
	buffer_gl0_inv
.LBB26_128:                             ;   in Loop: Header=BB26_15 Depth=1
	s_or_saveexec_b32 s23, s23
	v_mov_b32_e32 v1, 8
	v_mov_b32_e32 v4, v35
	s_mov_b32 s24, 0
	s_xor_b32 exec_lo, exec_lo, s23
; %bb.129:                              ;   in Loop: Header=BB26_15 Depth=1
	v_subrev_nc_u32_e32 v4, s17, v35
	v_mov_b32_e32 v1, 0
	s_mov_b32 s24, exec_lo
; %bb.130:                              ;   in Loop: Header=BB26_15 Depth=1
	s_or_b32 exec_lo, exec_lo, s23
	s_and_b32 s30, s24, exec_lo
.LBB26_131:                             ;   in Loop: Header=BB26_15 Depth=1
	s_or_b32 exec_lo, exec_lo, s6
	s_mov_b32 s29, -1
                                        ; implicit-def: $sgpr23
                                        ; implicit-def: $sgpr24
	s_and_saveexec_b32 s6, s30
	s_xor_b32 s6, exec_lo, s6
	s_cbranch_execz .LBB26_248
; %bb.132:                              ;   in Loop: Header=BB26_15 Depth=1
	v_cmp_eq_u32_e32 vcc_lo, 1, v4
	s_cmp_eq_u32 s20, 1
	s_mov_b32 s31, -1
	s_cselect_b32 s23, -1, 0
                                        ; implicit-def: $sgpr24
	s_and_b32 s30, s23, vcc_lo
                                        ; implicit-def: $sgpr23
	s_and_saveexec_b32 s29, s30
	s_cbranch_execz .LBB26_158
; %bb.133:                              ;   in Loop: Header=BB26_15 Depth=1
	ds_read_b32 v5, v19 offset:4096
	s_waitcnt lgkmcnt(0)
	s_barrier
	buffer_gl0_inv
	v_readfirstlane_b32 s33, v5
	s_and_saveexec_b32 s23, s15
; %bb.134:                              ;   in Loop: Header=BB26_15 Depth=1
	ds_write_b8 v0, v19 offset:3072
; %bb.135:                              ;   in Loop: Header=BB26_15 Depth=1
	s_or_b32 exec_lo, exec_lo, s23
	s_lshl_b32 s23, 1, s78
	v_or_b32_e32 v3, s18, v3
	v_and_or_b32 v2, v2, s19, s23
	s_mov_b32 s23, -1
	s_mov_b32 s24, 0
	s_cmp_eq_u32 s33, 0
	s_mov_b32 s31, 0
	s_mov_b32 s34, -1
	s_waitcnt lgkmcnt(0)
	s_barrier
	buffer_gl0_inv
                                        ; implicit-def: $vgpr5
	s_cbranch_scc1 .LBB26_146
; %bb.136:                              ;   in Loop: Header=BB26_15 Depth=1
	s_add_i32 s31, s33, s62
                                        ; implicit-def: $vgpr5
	s_mul_hi_u32 s34, s31, s69
	s_mul_i32 s34, s34, s44
	s_sub_i32 s34, s31, s34
	s_sub_i32 s85, s34, s44
	s_cmp_ge_u32 s34, s44
	s_cselect_b32 s34, s85, s34
	s_sub_i32 s85, s34, s44
	s_cmp_ge_u32 s34, s44
	s_cselect_b32 s34, s85, s34
	s_mov_b32 s85, exec_lo
	s_sub_i32 s86, s31, s34
	s_mov_b32 s34, 0
	s_mov_b32 s31, 0
	v_cmpx_gt_u32_e64 s86, v0
	s_cbranch_execz .LBB26_145
; %bb.137:                              ;   in Loop: Header=BB26_15 Depth=1
	v_mov_b32_e32 v5, v0
                                        ; implicit-def: $sgpr87
	s_inst_prefetch 0x1
	s_branch .LBB26_140
	.p2align	6
.LBB26_138:                             ;   in Loop: Header=BB26_140 Depth=2
	s_or_b32 exec_lo, exec_lo, s88
	s_waitcnt lgkmcnt(0)
	s_barrier
	buffer_gl0_inv
	ds_read_u16 v6, v19 offset:3072
	s_mov_b32 s89, -1
	s_waitcnt lgkmcnt(0)
	s_barrier
	buffer_gl0_inv
	v_cmp_ne_u32_sdwa s88, v6, v19 src0_sel:BYTE_0 src1_sel:DWORD
	s_and_b32 vcc_lo, exec_lo, s88
	s_mov_b32 s88, -1
	s_cbranch_vccz .LBB26_143
.LBB26_139:                             ;   in Loop: Header=BB26_140 Depth=2
	s_and_b32 s89, exec_lo, s89
	s_or_b32 s31, s89, s31
	s_andn2_b32 s87, s87, exec_lo
	s_and_b32 s88, s88, exec_lo
	s_or_b32 s87, s87, s88
	s_andn2_b32 exec_lo, exec_lo, s31
	s_cbranch_execz .LBB26_144
.LBB26_140:                             ;   Parent Loop BB26_15 Depth=1
                                        ; =>  This Inner Loop Header: Depth=2
	s_mov_b32 s88, exec_lo
	v_cmpx_gt_u32_e64 s33, v5
	s_cbranch_execz .LBB26_138
; %bb.141:                              ;   in Loop: Header=BB26_140 Depth=2
	ds_read_u8 v6, v5
	s_waitcnt lgkmcnt(0)
	v_add_nc_u32_sdwa v7, sext(v6), v31 dst_sel:DWORD dst_unused:UNUSED_PAD src0_sel:BYTE_0 src1_sel:DWORD
	v_and_b32_e32 v7, v7, v3
	v_cmp_eq_u32_e32 vcc_lo, v7, v2
	s_and_b32 exec_lo, exec_lo, vcc_lo
	s_cbranch_execz .LBB26_138
; %bb.142:                              ;   in Loop: Header=BB26_140 Depth=2
	v_lshlrev_b16 v6, 8, v6
	v_or_b32_e32 v6, 1, v6
	ds_write_b16 v19, v6 offset:3072
	s_branch .LBB26_138
.LBB26_143:                             ;   in Loop: Header=BB26_140 Depth=2
	v_add_nc_u32_e32 v5, s44, v5
	s_mov_b32 s88, 0
	v_cmp_le_u32_e32 vcc_lo, s86, v5
	s_orn2_b32 s89, vcc_lo, exec_lo
	s_branch .LBB26_139
.LBB26_144:                             ;   in Loop: Header=BB26_15 Depth=1
	s_inst_prefetch 0x2
	s_or_b32 exec_lo, exec_lo, s31
	v_lshrrev_b32_sdwa v5, v32, v6 dst_sel:DWORD dst_unused:UNUSED_PAD src0_sel:DWORD src1_sel:WORD_0
	s_and_b32 s31, s87, exec_lo
.LBB26_145:                             ;   in Loop: Header=BB26_15 Depth=1
	s_or_b32 exec_lo, exec_lo, s85
.LBB26_146:                             ;   in Loop: Header=BB26_15 Depth=1
	s_and_b32 vcc_lo, exec_lo, s34
	s_cbranch_vccz .LBB26_157
; %bb.147:                              ;   in Loop: Header=BB26_15 Depth=1
                                        ; implicit-def: $vgpr5
	s_and_saveexec_b32 s23, s13
	s_cbranch_execz .LBB26_156
; %bb.148:                              ;   in Loop: Header=BB26_15 Depth=1
	v_mov_b32_e32 v5, v18
	v_mov_b32_e32 v6, v0
	s_mov_b32 s24, 0
                                        ; implicit-def: $sgpr33
	s_inst_prefetch 0x1
	s_branch .LBB26_151
	.p2align	6
.LBB26_149:                             ;   in Loop: Header=BB26_151 Depth=2
	s_or_b32 exec_lo, exec_lo, s34
	s_waitcnt lgkmcnt(0)
	s_barrier
	buffer_gl0_inv
	ds_read_u16 v7, v19 offset:3072
	s_mov_b32 s34, -1
	s_waitcnt lgkmcnt(0)
	s_barrier
	buffer_gl0_inv
	v_cmp_eq_u32_sdwa s85, v7, v19 src0_sel:BYTE_0 src1_sel:DWORD
	s_and_b32 vcc_lo, exec_lo, s85
	s_mov_b32 s85, -1
	s_cbranch_vccnz .LBB26_154
.LBB26_150:                             ;   in Loop: Header=BB26_151 Depth=2
	s_and_b32 s34, exec_lo, s34
	s_or_b32 s24, s34, s24
	s_andn2_b32 s33, s33, exec_lo
	s_and_b32 s34, s85, exec_lo
	s_or_b32 s33, s33, s34
	s_andn2_b32 exec_lo, exec_lo, s24
	s_cbranch_execz .LBB26_155
.LBB26_151:                             ;   Parent Loop BB26_15 Depth=1
                                        ; =>  This Inner Loop Header: Depth=2
	s_mov_b32 s34, exec_lo
	v_cmpx_gt_u32_e64 s36, v6
	s_cbranch_execz .LBB26_149
; %bb.152:                              ;   in Loop: Header=BB26_151 Depth=2
	global_load_ubyte v7, v5, s[42:43]
	s_waitcnt vmcnt(0)
	v_add_nc_u32_sdwa v8, sext(v7), v31 dst_sel:DWORD dst_unused:UNUSED_PAD src0_sel:BYTE_0 src1_sel:DWORD
	v_and_b32_e32 v8, v8, v3
	v_cmp_eq_u32_e32 vcc_lo, v8, v2
	s_and_b32 exec_lo, exec_lo, vcc_lo
	s_cbranch_execz .LBB26_149
; %bb.153:                              ;   in Loop: Header=BB26_151 Depth=2
	v_lshlrev_b16 v7, 8, v7
	v_or_b32_e32 v7, 1, v7
	ds_write_b16 v19, v7 offset:3072
	s_branch .LBB26_149
.LBB26_154:                             ;   in Loop: Header=BB26_151 Depth=2
	v_add_nc_u32_e32 v6, s44, v6
	v_add_nc_u32_e32 v5, s51, v5
	s_mov_b32 s85, 0
	v_cmp_le_u32_e32 vcc_lo, s71, v6
	s_orn2_b32 s34, vcc_lo, exec_lo
	s_branch .LBB26_150
.LBB26_155:                             ;   in Loop: Header=BB26_15 Depth=1
	s_inst_prefetch 0x2
	s_or_b32 exec_lo, exec_lo, s24
	v_lshrrev_b32_sdwa v5, v32, v7 dst_sel:DWORD dst_unused:UNUSED_PAD src0_sel:DWORD src1_sel:WORD_0
	s_andn2_b32 s24, s31, exec_lo
	s_and_b32 s31, s33, exec_lo
	s_or_b32 s31, s24, s31
.LBB26_156:                             ;   in Loop: Header=BB26_15 Depth=1
	s_or_b32 exec_lo, exec_lo, s23
	s_mov_b32 s23, 0
	s_mov_b32 s24, -1
.LBB26_157:                             ;   in Loop: Header=BB26_15 Depth=1
	s_orn2_b32 s31, s31, exec_lo
.LBB26_158:                             ;   in Loop: Header=BB26_15 Depth=1
	s_or_b32 exec_lo, exec_lo, s29
	s_mov_b32 s33, 0
	s_and_saveexec_b32 s29, s31
	s_cbranch_execz .LBB26_247
; %bb.159:                              ;   in Loop: Header=BB26_15 Depth=1
	v_mov_b32_e32 v6, 1
	v_mov_b32_e32 v1, 1
	s_xor_b32 s31, s30, -1
	s_mov_b32 s85, 0
	s_and_saveexec_b32 s30, s31
	s_cbranch_execz .LBB26_168
; %bb.160:                              ;   in Loop: Header=BB26_15 Depth=1
	s_mov_b32 s31, exec_lo
	v_cmpx_ge_u32_e64 s20, v4
	s_xor_b32 s31, exec_lo, s31
	s_cbranch_execz .LBB26_165
; %bb.161:                              ;   in Loop: Header=BB26_15 Depth=1
	ds_read_b32 v1, v19 offset:4096
	s_lshl_b32 s33, 1, s78
	v_or_b32_e32 v3, s18, v3
	v_and_or_b32 v2, v2, s19, s33
	s_waitcnt lgkmcnt(0)
	v_cmp_ne_u32_e32 vcc_lo, 0, v1
	s_cbranch_vccnz .LBB26_165
; %bb.162:                              ;   in Loop: Header=BB26_15 Depth=1
	s_and_saveexec_b32 s33, s3
; %bb.163:                              ;   in Loop: Header=BB26_15 Depth=1
	v_mov_b32_e32 v1, s20
	ds_write_b32 v19, v1 offset:4100
; %bb.164:                              ;   in Loop: Header=BB26_15 Depth=1
	s_or_b32 exec_lo, exec_lo, s33
	s_waitcnt lgkmcnt(0)
	s_barrier
	buffer_gl0_inv
.LBB26_165:                             ;   in Loop: Header=BB26_15 Depth=1
	s_or_saveexec_b32 s31, s31
	v_mov_b32_e32 v1, 8
	s_mov_b32 s33, 0
	s_xor_b32 exec_lo, exec_lo, s31
; %bb.166:                              ;   in Loop: Header=BB26_15 Depth=1
	v_subrev_nc_u32_e32 v4, s20, v4
	v_mov_b32_e32 v1, 0
	s_mov_b32 s33, exec_lo
; %bb.167:                              ;   in Loop: Header=BB26_15 Depth=1
	s_or_b32 exec_lo, exec_lo, s31
	v_mov_b32_e32 v6, v4
	s_and_b32 s85, s33, exec_lo
.LBB26_168:                             ;   in Loop: Header=BB26_15 Depth=1
	s_or_b32 exec_lo, exec_lo, s30
	s_mov_b32 s34, -1
                                        ; implicit-def: $sgpr31
                                        ; implicit-def: $sgpr33
	s_and_saveexec_b32 s30, s85
	s_cbranch_execz .LBB26_246
; %bb.169:                              ;   in Loop: Header=BB26_15 Depth=1
	v_cmp_eq_u32_e32 vcc_lo, 1, v6
	s_cmp_eq_u32 s21, 1
	s_mov_b32 s86, -1
	s_cselect_b32 s31, -1, 0
                                        ; implicit-def: $sgpr33
	s_and_b32 s85, s31, vcc_lo
                                        ; implicit-def: $sgpr31
	s_and_saveexec_b32 s34, s85
	s_cbranch_execz .LBB26_195
; %bb.170:                              ;   in Loop: Header=BB26_15 Depth=1
	ds_read_b32 v4, v19 offset:4096
	s_waitcnt lgkmcnt(0)
	s_barrier
	buffer_gl0_inv
	v_readfirstlane_b32 s87, v4
	s_and_saveexec_b32 s31, s15
; %bb.171:                              ;   in Loop: Header=BB26_15 Depth=1
	ds_write_b8 v0, v19 offset:3072
; %bb.172:                              ;   in Loop: Header=BB26_15 Depth=1
	s_or_b32 exec_lo, exec_lo, s31
	s_lshl_b32 s31, 2, s78
	v_or_b32_e32 v3, s18, v3
	v_and_or_b32 v2, v2, s19, s31
	s_mov_b32 s31, -1
	s_mov_b32 s33, 0
	s_cmp_eq_u32 s87, 0
	s_mov_b32 s86, 0
	s_mov_b32 s88, -1
	s_waitcnt lgkmcnt(0)
	s_barrier
	buffer_gl0_inv
                                        ; implicit-def: $vgpr5
	s_cbranch_scc1 .LBB26_183
; %bb.173:                              ;   in Loop: Header=BB26_15 Depth=1
	s_add_i32 s86, s87, s62
                                        ; implicit-def: $vgpr5
	s_mul_hi_u32 s88, s86, s69
	s_mul_i32 s88, s88, s44
	s_sub_i32 s88, s86, s88
	s_sub_i32 s89, s88, s44
	s_cmp_ge_u32 s88, s44
	s_cselect_b32 s88, s89, s88
	s_sub_i32 s89, s88, s44
	s_cmp_ge_u32 s88, s44
	s_cselect_b32 s88, s89, s88
	s_mov_b32 s89, exec_lo
	s_sub_i32 s90, s86, s88
	s_mov_b32 s88, 0
	s_mov_b32 s86, 0
	v_cmpx_gt_u32_e64 s90, v0
	s_cbranch_execz .LBB26_182
; %bb.174:                              ;   in Loop: Header=BB26_15 Depth=1
	v_mov_b32_e32 v4, v0
                                        ; implicit-def: $sgpr91
	s_inst_prefetch 0x1
	s_branch .LBB26_177
	.p2align	6
.LBB26_175:                             ;   in Loop: Header=BB26_177 Depth=2
	s_or_b32 exec_lo, exec_lo, s92
	s_waitcnt lgkmcnt(0)
	s_barrier
	buffer_gl0_inv
	ds_read_u16 v5, v19 offset:3072
	s_mov_b32 s93, -1
	s_waitcnt lgkmcnt(0)
	s_barrier
	buffer_gl0_inv
	v_cmp_ne_u32_sdwa s92, v5, v19 src0_sel:BYTE_0 src1_sel:DWORD
	s_and_b32 vcc_lo, exec_lo, s92
	s_mov_b32 s92, -1
	s_cbranch_vccz .LBB26_180
.LBB26_176:                             ;   in Loop: Header=BB26_177 Depth=2
	s_and_b32 s93, exec_lo, s93
	s_or_b32 s86, s93, s86
	s_andn2_b32 s91, s91, exec_lo
	s_and_b32 s92, s92, exec_lo
	s_or_b32 s91, s91, s92
	s_andn2_b32 exec_lo, exec_lo, s86
	s_cbranch_execz .LBB26_181
.LBB26_177:                             ;   Parent Loop BB26_15 Depth=1
                                        ; =>  This Inner Loop Header: Depth=2
	s_mov_b32 s92, exec_lo
	v_cmpx_gt_u32_e64 s87, v4
	s_cbranch_execz .LBB26_175
; %bb.178:                              ;   in Loop: Header=BB26_177 Depth=2
	ds_read_u8 v5, v4
	s_waitcnt lgkmcnt(0)
	v_add_nc_u32_sdwa v7, sext(v5), v31 dst_sel:DWORD dst_unused:UNUSED_PAD src0_sel:BYTE_0 src1_sel:DWORD
	v_and_b32_e32 v7, v7, v3
	v_cmp_eq_u32_e32 vcc_lo, v7, v2
	s_and_b32 exec_lo, exec_lo, vcc_lo
	s_cbranch_execz .LBB26_175
; %bb.179:                              ;   in Loop: Header=BB26_177 Depth=2
	v_lshlrev_b16 v5, 8, v5
	v_or_b32_e32 v5, 1, v5
	ds_write_b16 v19, v5 offset:3072
	s_branch .LBB26_175
.LBB26_180:                             ;   in Loop: Header=BB26_177 Depth=2
	v_add_nc_u32_e32 v4, s44, v4
	s_mov_b32 s92, 0
	v_cmp_le_u32_e32 vcc_lo, s90, v4
	s_orn2_b32 s93, vcc_lo, exec_lo
	s_branch .LBB26_176
.LBB26_181:                             ;   in Loop: Header=BB26_15 Depth=1
	s_inst_prefetch 0x2
	s_or_b32 exec_lo, exec_lo, s86
	v_lshrrev_b32_sdwa v5, v32, v5 dst_sel:DWORD dst_unused:UNUSED_PAD src0_sel:DWORD src1_sel:WORD_0
	s_and_b32 s86, s91, exec_lo
.LBB26_182:                             ;   in Loop: Header=BB26_15 Depth=1
	s_or_b32 exec_lo, exec_lo, s89
.LBB26_183:                             ;   in Loop: Header=BB26_15 Depth=1
	s_and_b32 vcc_lo, exec_lo, s88
	s_cbranch_vccz .LBB26_194
; %bb.184:                              ;   in Loop: Header=BB26_15 Depth=1
                                        ; implicit-def: $vgpr5
	s_and_saveexec_b32 s31, s13
	s_cbranch_execz .LBB26_193
; %bb.185:                              ;   in Loop: Header=BB26_15 Depth=1
	v_mov_b32_e32 v4, v18
	v_mov_b32_e32 v5, v0
	s_mov_b32 s33, 0
                                        ; implicit-def: $sgpr87
	s_inst_prefetch 0x1
	s_branch .LBB26_188
	.p2align	6
.LBB26_186:                             ;   in Loop: Header=BB26_188 Depth=2
	s_or_b32 exec_lo, exec_lo, s88
	s_waitcnt lgkmcnt(0)
	s_barrier
	buffer_gl0_inv
	ds_read_u16 v7, v19 offset:3072
	s_mov_b32 s88, -1
	s_waitcnt lgkmcnt(0)
	s_barrier
	buffer_gl0_inv
	v_cmp_eq_u32_sdwa s89, v7, v19 src0_sel:BYTE_0 src1_sel:DWORD
	s_and_b32 vcc_lo, exec_lo, s89
	s_mov_b32 s89, -1
	s_cbranch_vccnz .LBB26_191
.LBB26_187:                             ;   in Loop: Header=BB26_188 Depth=2
	s_and_b32 s88, exec_lo, s88
	s_or_b32 s33, s88, s33
	s_andn2_b32 s87, s87, exec_lo
	s_and_b32 s88, s89, exec_lo
	s_or_b32 s87, s87, s88
	s_andn2_b32 exec_lo, exec_lo, s33
	s_cbranch_execz .LBB26_192
.LBB26_188:                             ;   Parent Loop BB26_15 Depth=1
                                        ; =>  This Inner Loop Header: Depth=2
	s_mov_b32 s88, exec_lo
	v_cmpx_gt_u32_e64 s36, v5
	s_cbranch_execz .LBB26_186
; %bb.189:                              ;   in Loop: Header=BB26_188 Depth=2
	global_load_ubyte v7, v4, s[42:43]
	s_waitcnt vmcnt(0)
	v_add_nc_u32_sdwa v8, sext(v7), v31 dst_sel:DWORD dst_unused:UNUSED_PAD src0_sel:BYTE_0 src1_sel:DWORD
	v_and_b32_e32 v8, v8, v3
	v_cmp_eq_u32_e32 vcc_lo, v8, v2
	s_and_b32 exec_lo, exec_lo, vcc_lo
	s_cbranch_execz .LBB26_186
; %bb.190:                              ;   in Loop: Header=BB26_188 Depth=2
	v_lshlrev_b16 v7, 8, v7
	v_or_b32_e32 v7, 1, v7
	ds_write_b16 v19, v7 offset:3072
	s_branch .LBB26_186
.LBB26_191:                             ;   in Loop: Header=BB26_188 Depth=2
	v_add_nc_u32_e32 v5, s44, v5
	v_add_nc_u32_e32 v4, s51, v4
	s_mov_b32 s89, 0
	v_cmp_le_u32_e32 vcc_lo, s71, v5
	s_orn2_b32 s88, vcc_lo, exec_lo
	s_branch .LBB26_187
.LBB26_192:                             ;   in Loop: Header=BB26_15 Depth=1
	s_inst_prefetch 0x2
	s_or_b32 exec_lo, exec_lo, s33
	v_lshrrev_b32_sdwa v5, v32, v7 dst_sel:DWORD dst_unused:UNUSED_PAD src0_sel:DWORD src1_sel:WORD_0
	s_andn2_b32 s33, s86, exec_lo
	s_and_b32 s86, s87, exec_lo
	s_or_b32 s86, s33, s86
.LBB26_193:                             ;   in Loop: Header=BB26_15 Depth=1
	s_or_b32 exec_lo, exec_lo, s31
	s_mov_b32 s31, 0
	s_mov_b32 s33, -1
.LBB26_194:                             ;   in Loop: Header=BB26_15 Depth=1
	s_orn2_b32 s86, s86, exec_lo
.LBB26_195:                             ;   in Loop: Header=BB26_15 Depth=1
	s_or_b32 exec_lo, exec_lo, s34
	s_mov_b32 s87, 0
	s_and_saveexec_b32 s34, s86
	s_cbranch_execz .LBB26_245
; %bb.196:                              ;   in Loop: Header=BB26_15 Depth=1
	v_mov_b32_e32 v4, 1
	v_mov_b32_e32 v1, 1
	s_xor_b32 s86, s85, -1
	s_mov_b32 s89, 0
	s_and_saveexec_b32 s85, s86
	s_cbranch_execz .LBB26_205
; %bb.197:                              ;   in Loop: Header=BB26_15 Depth=1
	s_mov_b32 s86, exec_lo
	v_cmpx_ge_u32_e64 s21, v6
	s_xor_b32 s86, exec_lo, s86
	s_cbranch_execz .LBB26_202
; %bb.198:                              ;   in Loop: Header=BB26_15 Depth=1
	ds_read_b32 v1, v19 offset:4096
	s_lshl_b32 s87, 2, s78
	v_or_b32_e32 v3, s18, v3
	v_and_or_b32 v2, v2, s19, s87
	s_waitcnt lgkmcnt(0)
	v_cmp_ne_u32_e32 vcc_lo, 0, v1
	s_cbranch_vccnz .LBB26_202
; %bb.199:                              ;   in Loop: Header=BB26_15 Depth=1
	s_and_saveexec_b32 s87, s3
; %bb.200:                              ;   in Loop: Header=BB26_15 Depth=1
	v_mov_b32_e32 v1, s21
	ds_write_b32 v19, v1 offset:4100
; %bb.201:                              ;   in Loop: Header=BB26_15 Depth=1
	s_or_b32 exec_lo, exec_lo, s87
	s_waitcnt lgkmcnt(0)
	s_barrier
	buffer_gl0_inv
.LBB26_202:                             ;   in Loop: Header=BB26_15 Depth=1
	s_or_saveexec_b32 s86, s86
	v_mov_b32_e32 v1, 8
	s_mov_b32 s87, 0
	s_xor_b32 exec_lo, exec_lo, s86
; %bb.203:                              ;   in Loop: Header=BB26_15 Depth=1
	v_subrev_nc_u32_e32 v6, s21, v6
	v_mov_b32_e32 v1, 0
	s_mov_b32 s87, exec_lo
; %bb.204:                              ;   in Loop: Header=BB26_15 Depth=1
	s_or_b32 exec_lo, exec_lo, s86
	v_mov_b32_e32 v4, v6
	s_and_b32 s89, s87, exec_lo
.LBB26_205:                             ;   in Loop: Header=BB26_15 Depth=1
	s_or_b32 exec_lo, exec_lo, s85
	s_mov_b32 s88, -1
                                        ; implicit-def: $sgpr87
                                        ; implicit-def: $sgpr86
	s_and_saveexec_b32 s85, s89
	s_cbranch_execz .LBB26_244
; %bb.206:                              ;   in Loop: Header=BB26_15 Depth=1
	v_cmp_eq_u32_e32 vcc_lo, 1, v4
	s_cmp_eq_u32 s22, 1
	s_mov_b32 s90, -1
	s_cselect_b32 s86, -1, 0
                                        ; implicit-def: $sgpr87
	s_and_b32 s88, s86, vcc_lo
                                        ; implicit-def: $sgpr86
	s_and_saveexec_b32 s89, s88
	s_cbranch_execz .LBB26_232
; %bb.207:                              ;   in Loop: Header=BB26_15 Depth=1
	ds_read_b32 v5, v19 offset:4096
	s_waitcnt lgkmcnt(0)
	s_barrier
	buffer_gl0_inv
	v_readfirstlane_b32 s91, v5
	s_and_saveexec_b32 s86, s15
; %bb.208:                              ;   in Loop: Header=BB26_15 Depth=1
	ds_write_b8 v0, v19 offset:3072
; %bb.209:                              ;   in Loop: Header=BB26_15 Depth=1
	s_or_b32 exec_lo, exec_lo, s86
	v_or_b32_e32 v2, s18, v2
	v_or_b32_e32 v3, s18, v3
	s_mov_b32 s86, -1
	s_mov_b32 s87, 0
	s_cmp_eq_u32 s91, 0
	s_mov_b32 s90, 0
	s_mov_b32 s92, -1
	s_waitcnt lgkmcnt(0)
	s_barrier
	buffer_gl0_inv
                                        ; implicit-def: $vgpr5
	s_cbranch_scc1 .LBB26_220
; %bb.210:                              ;   in Loop: Header=BB26_15 Depth=1
	s_add_i32 s90, s91, s62
                                        ; implicit-def: $vgpr5
	s_mul_hi_u32 s92, s90, s69
	s_mul_i32 s92, s92, s44
	s_sub_i32 s92, s90, s92
	s_sub_i32 s93, s92, s44
	s_cmp_ge_u32 s92, s44
	s_cselect_b32 s92, s93, s92
	s_sub_i32 s93, s92, s44
	s_cmp_ge_u32 s92, s44
	s_cselect_b32 s92, s93, s92
	s_mov_b32 s93, exec_lo
	s_sub_i32 s94, s90, s92
	s_mov_b32 s92, 0
	s_mov_b32 s90, 0
	v_cmpx_gt_u32_e64 s94, v0
	s_cbranch_execz .LBB26_219
; %bb.211:                              ;   in Loop: Header=BB26_15 Depth=1
	v_mov_b32_e32 v5, v0
                                        ; implicit-def: $sgpr95
	s_inst_prefetch 0x1
	s_branch .LBB26_214
	.p2align	6
.LBB26_212:                             ;   in Loop: Header=BB26_214 Depth=2
	s_or_b32 exec_lo, exec_lo, s96
	s_waitcnt lgkmcnt(0)
	s_barrier
	buffer_gl0_inv
	ds_read_u16 v6, v19 offset:3072
	s_mov_b32 s97, -1
	s_waitcnt lgkmcnt(0)
	s_barrier
	buffer_gl0_inv
	v_cmp_ne_u32_sdwa s96, v6, v19 src0_sel:BYTE_0 src1_sel:DWORD
	s_and_b32 vcc_lo, exec_lo, s96
	s_mov_b32 s96, -1
	s_cbranch_vccz .LBB26_217
.LBB26_213:                             ;   in Loop: Header=BB26_214 Depth=2
	s_and_b32 s97, exec_lo, s97
	s_or_b32 s90, s97, s90
	s_andn2_b32 s95, s95, exec_lo
	s_and_b32 s96, s96, exec_lo
	s_or_b32 s95, s95, s96
	s_andn2_b32 exec_lo, exec_lo, s90
	s_cbranch_execz .LBB26_218
.LBB26_214:                             ;   Parent Loop BB26_15 Depth=1
                                        ; =>  This Inner Loop Header: Depth=2
	s_mov_b32 s96, exec_lo
	v_cmpx_gt_u32_e64 s91, v5
	s_cbranch_execz .LBB26_212
; %bb.215:                              ;   in Loop: Header=BB26_214 Depth=2
	ds_read_u8 v6, v5
	s_waitcnt lgkmcnt(0)
	v_add_nc_u32_sdwa v7, sext(v6), v31 dst_sel:DWORD dst_unused:UNUSED_PAD src0_sel:BYTE_0 src1_sel:DWORD
	v_and_b32_e32 v7, v7, v3
	v_cmp_eq_u32_e32 vcc_lo, v7, v2
	s_and_b32 exec_lo, exec_lo, vcc_lo
	s_cbranch_execz .LBB26_212
; %bb.216:                              ;   in Loop: Header=BB26_214 Depth=2
	v_lshlrev_b16 v6, 8, v6
	v_or_b32_e32 v6, 1, v6
	ds_write_b16 v19, v6 offset:3072
	s_branch .LBB26_212
.LBB26_217:                             ;   in Loop: Header=BB26_214 Depth=2
	v_add_nc_u32_e32 v5, s44, v5
	s_mov_b32 s96, 0
	v_cmp_le_u32_e32 vcc_lo, s94, v5
	s_orn2_b32 s97, vcc_lo, exec_lo
	s_branch .LBB26_213
.LBB26_218:                             ;   in Loop: Header=BB26_15 Depth=1
	s_inst_prefetch 0x2
	s_or_b32 exec_lo, exec_lo, s90
	v_lshrrev_b32_sdwa v5, v32, v6 dst_sel:DWORD dst_unused:UNUSED_PAD src0_sel:DWORD src1_sel:WORD_0
	s_and_b32 s90, s95, exec_lo
.LBB26_219:                             ;   in Loop: Header=BB26_15 Depth=1
	s_or_b32 exec_lo, exec_lo, s93
.LBB26_220:                             ;   in Loop: Header=BB26_15 Depth=1
	s_and_b32 vcc_lo, exec_lo, s92
	s_cbranch_vccz .LBB26_231
; %bb.221:                              ;   in Loop: Header=BB26_15 Depth=1
                                        ; implicit-def: $vgpr5
	s_and_saveexec_b32 s86, s13
	s_cbranch_execz .LBB26_230
; %bb.222:                              ;   in Loop: Header=BB26_15 Depth=1
	v_mov_b32_e32 v5, v18
	v_mov_b32_e32 v6, v0
	s_mov_b32 s87, 0
                                        ; implicit-def: $sgpr91
	s_inst_prefetch 0x1
	s_branch .LBB26_225
	.p2align	6
.LBB26_223:                             ;   in Loop: Header=BB26_225 Depth=2
	s_or_b32 exec_lo, exec_lo, s92
	s_waitcnt lgkmcnt(0)
	s_barrier
	buffer_gl0_inv
	ds_read_u16 v7, v19 offset:3072
	s_mov_b32 s92, -1
	s_waitcnt lgkmcnt(0)
	s_barrier
	buffer_gl0_inv
	v_cmp_eq_u32_sdwa s93, v7, v19 src0_sel:BYTE_0 src1_sel:DWORD
	s_and_b32 vcc_lo, exec_lo, s93
	s_mov_b32 s93, -1
	s_cbranch_vccnz .LBB26_228
.LBB26_224:                             ;   in Loop: Header=BB26_225 Depth=2
	s_and_b32 s92, exec_lo, s92
	s_or_b32 s87, s92, s87
	s_andn2_b32 s91, s91, exec_lo
	s_and_b32 s92, s93, exec_lo
	s_or_b32 s91, s91, s92
	s_andn2_b32 exec_lo, exec_lo, s87
	s_cbranch_execz .LBB26_229
.LBB26_225:                             ;   Parent Loop BB26_15 Depth=1
                                        ; =>  This Inner Loop Header: Depth=2
	s_mov_b32 s92, exec_lo
	v_cmpx_gt_u32_e64 s36, v6
	s_cbranch_execz .LBB26_223
; %bb.226:                              ;   in Loop: Header=BB26_225 Depth=2
	global_load_ubyte v7, v5, s[42:43]
	s_waitcnt vmcnt(0)
	v_add_nc_u32_sdwa v8, sext(v7), v31 dst_sel:DWORD dst_unused:UNUSED_PAD src0_sel:BYTE_0 src1_sel:DWORD
	v_and_b32_e32 v8, v8, v3
	v_cmp_eq_u32_e32 vcc_lo, v8, v2
	s_and_b32 exec_lo, exec_lo, vcc_lo
	s_cbranch_execz .LBB26_223
; %bb.227:                              ;   in Loop: Header=BB26_225 Depth=2
	v_lshlrev_b16 v7, 8, v7
	v_or_b32_e32 v7, 1, v7
	ds_write_b16 v19, v7 offset:3072
	s_branch .LBB26_223
.LBB26_228:                             ;   in Loop: Header=BB26_225 Depth=2
	v_add_nc_u32_e32 v6, s44, v6
	v_add_nc_u32_e32 v5, s51, v5
	s_mov_b32 s93, 0
	v_cmp_le_u32_e32 vcc_lo, s71, v6
	s_orn2_b32 s92, vcc_lo, exec_lo
	s_branch .LBB26_224
.LBB26_229:                             ;   in Loop: Header=BB26_15 Depth=1
	s_inst_prefetch 0x2
	s_or_b32 exec_lo, exec_lo, s87
	v_lshrrev_b32_sdwa v5, v32, v7 dst_sel:DWORD dst_unused:UNUSED_PAD src0_sel:DWORD src1_sel:WORD_0
	s_andn2_b32 s87, s90, exec_lo
	s_and_b32 s90, s91, exec_lo
	s_or_b32 s90, s87, s90
.LBB26_230:                             ;   in Loop: Header=BB26_15 Depth=1
	s_or_b32 exec_lo, exec_lo, s86
	s_mov_b32 s86, 0
	s_mov_b32 s87, -1
.LBB26_231:                             ;   in Loop: Header=BB26_15 Depth=1
	s_orn2_b32 s90, s90, exec_lo
.LBB26_232:                             ;   in Loop: Header=BB26_15 Depth=1
	s_or_b32 exec_lo, exec_lo, s89
	s_mov_b32 s91, 0
	s_and_saveexec_b32 s89, s90
	s_cbranch_execz .LBB26_243
; %bb.233:                              ;   in Loop: Header=BB26_15 Depth=1
	v_mov_b32_e32 v1, 1
	v_mov_b32_e32 v6, 1
	s_xor_b32 s90, s88, -1
	s_and_saveexec_b32 s88, s90
	s_cbranch_execz .LBB26_242
; %bb.234:                              ;   in Loop: Header=BB26_15 Depth=1
	s_mov_b32 s90, exec_lo
	v_cmpx_ge_u32_e64 s22, v4
	s_xor_b32 s90, exec_lo, s90
	s_cbranch_execz .LBB26_239
; %bb.235:                              ;   in Loop: Header=BB26_15 Depth=1
	ds_read_b32 v1, v19 offset:4096
	v_or_b32_e32 v2, s18, v2
	v_or_b32_e32 v3, s18, v3
	s_waitcnt lgkmcnt(0)
	v_cmp_ne_u32_e32 vcc_lo, 0, v1
	s_cbranch_vccnz .LBB26_239
; %bb.236:                              ;   in Loop: Header=BB26_15 Depth=1
	s_and_saveexec_b32 s91, s3
; %bb.237:                              ;   in Loop: Header=BB26_15 Depth=1
	v_mov_b32_e32 v1, s22
	ds_write_b32 v19, v1 offset:4100
; %bb.238:                              ;   in Loop: Header=BB26_15 Depth=1
	s_or_b32 exec_lo, exec_lo, s91
	s_waitcnt lgkmcnt(0)
	s_barrier
	buffer_gl0_inv
.LBB26_239:                             ;   in Loop: Header=BB26_15 Depth=1
	s_andn2_saveexec_b32 s90, s90
; %bb.240:                              ;   in Loop: Header=BB26_15 Depth=1
	v_subrev_nc_u32_e32 v4, s22, v4
; %bb.241:                              ;   in Loop: Header=BB26_15 Depth=1
	s_or_b32 exec_lo, exec_lo, s90
	v_mov_b32_e32 v1, 8
	v_mov_b32_e32 v6, v4
.LBB26_242:                             ;   in Loop: Header=BB26_15 Depth=1
	s_or_b32 exec_lo, exec_lo, s88
	v_mov_b32_e32 v4, v6
	s_mov_b32 s91, exec_lo
.LBB26_243:                             ;   in Loop: Header=BB26_15 Depth=1
	s_or_b32 exec_lo, exec_lo, s89
	s_orn2_b32 s88, s91, exec_lo
.LBB26_244:                             ;   in Loop: Header=BB26_15 Depth=1
	s_or_b32 exec_lo, exec_lo, s85
	v_mov_b32_e32 v6, v4
	s_andn2_b32 s33, s33, exec_lo
	s_and_b32 s85, s87, exec_lo
	s_andn2_b32 s31, s31, exec_lo
	s_and_b32 s86, s86, exec_lo
	s_or_b32 s33, s33, s85
	s_or_b32 s31, s31, s86
	s_and_b32 s87, s88, exec_lo
.LBB26_245:                             ;   in Loop: Header=BB26_15 Depth=1
	s_or_b32 exec_lo, exec_lo, s34
	s_orn2_b32 s34, s87, exec_lo
.LBB26_246:                             ;   in Loop: Header=BB26_15 Depth=1
	s_or_b32 exec_lo, exec_lo, s30
	v_mov_b32_e32 v4, v6
	s_andn2_b32 s24, s24, exec_lo
	s_and_b32 s30, s33, exec_lo
	s_andn2_b32 s23, s23, exec_lo
	s_and_b32 s31, s31, exec_lo
	s_or_b32 s24, s24, s30
	s_or_b32 s23, s23, s31
	s_and_b32 s33, s34, exec_lo
.LBB26_247:                             ;   in Loop: Header=BB26_15 Depth=1
	s_or_b32 exec_lo, exec_lo, s29
	s_orn2_b32 s29, s33, exec_lo
.LBB26_248:                             ;   in Loop: Header=BB26_15 Depth=1
	s_or_b32 exec_lo, exec_lo, s6
	s_mov_b32 s6, 0
	s_mov_b32 s30, 0
	s_and_saveexec_b32 s31, s29
	s_xor_b32 s29, exec_lo, s31
; %bb.249:                              ;   in Loop: Header=BB26_15 Depth=1
	v_cmp_ne_u32_e32 vcc_lo, 8, v1
	v_cmp_eq_u32_e64 s6, 8, v1
	s_and_b32 s30, vcc_lo, exec_lo
	s_and_b32 s6, s6, exec_lo
; %bb.250:                              ;   in Loop: Header=BB26_15 Depth=1
	s_or_b32 exec_lo, exec_lo, s29
	s_andn2_b32 s26, s26, exec_lo
	s_and_b32 s24, s24, exec_lo
	s_andn2_b32 s25, s25, exec_lo
	s_and_b32 s23, s23, exec_lo
	s_or_b32 s26, s26, s24
	s_or_b32 s25, s25, s23
	s_and_b32 s23, s30, exec_lo
	s_and_b32 s24, s6, exec_lo
.LBB26_251:                             ;   in Loop: Header=BB26_15 Depth=1
	s_or_b32 exec_lo, exec_lo, s28
.LBB26_252:                             ;   in Loop: Header=BB26_15 Depth=1
	s_and_b32 vcc_lo, exec_lo, s27
	s_cbranch_vccz .LBB26_265
; %bb.253:                              ;   in Loop: Header=BB26_15 Depth=1
	s_cmp_eq_u32 s22, 1
	s_mov_b32 s26, -1
	s_cselect_b32 s6, -1, 0
                                        ; implicit-def: $sgpr16
	s_and_b32 s6, s6, s14
                                        ; implicit-def: $sgpr14
	s_and_saveexec_b32 s25, s6
	s_cbranch_execz .LBB26_280
; %bb.254:                              ;   in Loop: Header=BB26_15 Depth=1
	ds_read_b32 v1, v19 offset:4096
	s_waitcnt lgkmcnt(0)
	s_barrier
	buffer_gl0_inv
	v_readfirstlane_b32 s27, v1
	s_and_saveexec_b32 s14, s15
; %bb.255:                              ;   in Loop: Header=BB26_15 Depth=1
	ds_write_b8 v0, v19 offset:3072
; %bb.256:                              ;   in Loop: Header=BB26_15 Depth=1
	s_or_b32 exec_lo, exec_lo, s14
	v_or_b32_e32 v14, s18, v14
	v_or_b32_e32 v33, s18, v33
	s_mov_b32 s16, -1
	s_mov_b32 s14, 0
	s_cmp_eq_u32 s27, 0
	s_mov_b32 s26, 0
	s_mov_b32 s28, -1
	s_waitcnt lgkmcnt(0)
	s_barrier
	buffer_gl0_inv
                                        ; implicit-def: $vgpr34
	s_cbranch_scc1 .LBB26_268
; %bb.257:                              ;   in Loop: Header=BB26_15 Depth=1
	s_add_i32 s26, s27, s62
                                        ; implicit-def: $vgpr34
	s_mul_hi_u32 s28, s26, s69
	s_mul_i32 s28, s28, s44
	s_sub_i32 s28, s26, s28
	s_sub_i32 s29, s28, s44
	s_cmp_ge_u32 s28, s44
	s_cselect_b32 s28, s29, s28
	s_sub_i32 s29, s28, s44
	s_cmp_ge_u32 s28, s44
	s_cselect_b32 s28, s29, s28
	s_mov_b32 s29, exec_lo
	s_sub_i32 s30, s26, s28
	s_mov_b32 s28, 0
	s_mov_b32 s26, 0
	v_cmpx_gt_u32_e64 s30, v0
	s_cbranch_execz .LBB26_267
; %bb.258:                              ;   in Loop: Header=BB26_15 Depth=1
	v_mov_b32_e32 v1, v0
                                        ; implicit-def: $sgpr31
	s_inst_prefetch 0x1
	s_branch .LBB26_261
	.p2align	6
.LBB26_259:                             ;   in Loop: Header=BB26_261 Depth=2
	s_or_b32 exec_lo, exec_lo, s33
	s_waitcnt lgkmcnt(0)
	s_barrier
	buffer_gl0_inv
	ds_read_u16 v2, v19 offset:3072
	s_mov_b32 s34, -1
	s_waitcnt lgkmcnt(0)
	s_barrier
	buffer_gl0_inv
	v_cmp_ne_u32_sdwa s33, v2, v19 src0_sel:BYTE_0 src1_sel:DWORD
	s_and_b32 vcc_lo, exec_lo, s33
	s_mov_b32 s33, -1
	s_cbranch_vccz .LBB26_264
.LBB26_260:                             ;   in Loop: Header=BB26_261 Depth=2
	s_and_b32 s34, exec_lo, s34
	s_or_b32 s26, s34, s26
	s_andn2_b32 s31, s31, exec_lo
	s_and_b32 s33, s33, exec_lo
	s_or_b32 s31, s31, s33
	s_andn2_b32 exec_lo, exec_lo, s26
	s_cbranch_execz .LBB26_266
.LBB26_261:                             ;   Parent Loop BB26_15 Depth=1
                                        ; =>  This Inner Loop Header: Depth=2
	s_mov_b32 s33, exec_lo
	v_cmpx_gt_u32_e64 s27, v1
	s_cbranch_execz .LBB26_259
; %bb.262:                              ;   in Loop: Header=BB26_261 Depth=2
	ds_read_u8 v2, v1
	s_waitcnt lgkmcnt(0)
	v_add_nc_u32_sdwa v3, sext(v2), v31 dst_sel:DWORD dst_unused:UNUSED_PAD src0_sel:BYTE_0 src1_sel:DWORD
	v_and_b32_e32 v3, v3, v33
	v_cmp_eq_u32_e32 vcc_lo, v3, v14
	s_and_b32 exec_lo, exec_lo, vcc_lo
	s_cbranch_execz .LBB26_259
; %bb.263:                              ;   in Loop: Header=BB26_261 Depth=2
	v_lshlrev_b16 v2, 8, v2
	v_or_b32_e32 v2, 1, v2
	ds_write_b16 v19, v2 offset:3072
	s_branch .LBB26_259
.LBB26_264:                             ;   in Loop: Header=BB26_261 Depth=2
	v_add_nc_u32_e32 v1, s44, v1
	s_mov_b32 s33, 0
	v_cmp_le_u32_e32 vcc_lo, s30, v1
	s_orn2_b32 s34, vcc_lo, exec_lo
	s_branch .LBB26_260
.LBB26_265:                             ;   in Loop: Header=BB26_15 Depth=1
	v_mov_b32_e32 v14, v2
	v_mov_b32_e32 v33, v3
	;; [unrolled: 1-line block ×3, first 2 shown]
	s_mov_b32 s14, 0
	s_and_saveexec_b32 s6, s24
	s_cbranch_execnz .LBB26_411
	s_branch .LBB26_412
.LBB26_266:                             ;   in Loop: Header=BB26_15 Depth=1
	s_inst_prefetch 0x2
	s_or_b32 exec_lo, exec_lo, s26
	v_lshrrev_b32_sdwa v34, v32, v2 dst_sel:DWORD dst_unused:UNUSED_PAD src0_sel:DWORD src1_sel:WORD_0
	s_and_b32 s26, s31, exec_lo
.LBB26_267:                             ;   in Loop: Header=BB26_15 Depth=1
	s_or_b32 exec_lo, exec_lo, s29
.LBB26_268:                             ;   in Loop: Header=BB26_15 Depth=1
	s_and_b32 vcc_lo, exec_lo, s28
	s_cbranch_vccz .LBB26_279
; %bb.269:                              ;   in Loop: Header=BB26_15 Depth=1
                                        ; implicit-def: $vgpr34
	s_and_saveexec_b32 s14, s13
	s_cbranch_execz .LBB26_278
; %bb.270:                              ;   in Loop: Header=BB26_15 Depth=1
	v_mov_b32_e32 v1, v18
	v_mov_b32_e32 v2, v0
	s_mov_b32 s16, 0
                                        ; implicit-def: $sgpr27
	s_inst_prefetch 0x1
	s_branch .LBB26_273
	.p2align	6
.LBB26_271:                             ;   in Loop: Header=BB26_273 Depth=2
	s_or_b32 exec_lo, exec_lo, s28
	s_waitcnt lgkmcnt(0)
	s_barrier
	buffer_gl0_inv
	ds_read_u16 v3, v19 offset:3072
	s_mov_b32 s28, -1
	s_waitcnt lgkmcnt(0)
	s_barrier
	buffer_gl0_inv
	v_cmp_ne_u32_sdwa s29, v3, v19 src0_sel:BYTE_0 src1_sel:DWORD
	s_and_b32 vcc_lo, exec_lo, s29
	s_mov_b32 s29, -1
	s_cbranch_vccz .LBB26_276
.LBB26_272:                             ;   in Loop: Header=BB26_273 Depth=2
	s_and_b32 s28, exec_lo, s28
	s_or_b32 s16, s28, s16
	s_andn2_b32 s27, s27, exec_lo
	s_and_b32 s28, s29, exec_lo
	s_or_b32 s27, s27, s28
	s_andn2_b32 exec_lo, exec_lo, s16
	s_cbranch_execz .LBB26_277
.LBB26_273:                             ;   Parent Loop BB26_15 Depth=1
                                        ; =>  This Inner Loop Header: Depth=2
	s_mov_b32 s28, exec_lo
	v_cmpx_gt_u32_e64 s36, v2
	s_cbranch_execz .LBB26_271
; %bb.274:                              ;   in Loop: Header=BB26_273 Depth=2
	global_load_ubyte v3, v1, s[42:43]
	s_waitcnt vmcnt(0)
	v_add_nc_u32_sdwa v4, sext(v3), v31 dst_sel:DWORD dst_unused:UNUSED_PAD src0_sel:BYTE_0 src1_sel:DWORD
	v_and_b32_e32 v4, v4, v33
	v_cmp_eq_u32_e32 vcc_lo, v4, v14
	s_and_b32 exec_lo, exec_lo, vcc_lo
	s_cbranch_execz .LBB26_271
; %bb.275:                              ;   in Loop: Header=BB26_273 Depth=2
	v_lshlrev_b16 v3, 8, v3
	v_or_b32_e32 v3, 1, v3
	ds_write_b16 v19, v3 offset:3072
	s_branch .LBB26_271
.LBB26_276:                             ;   in Loop: Header=BB26_273 Depth=2
	v_add_nc_u32_e32 v2, s44, v2
	v_add_nc_u32_e32 v1, s51, v1
	s_mov_b32 s29, 0
	v_cmp_le_u32_e32 vcc_lo, s71, v2
	s_orn2_b32 s28, vcc_lo, exec_lo
	s_branch .LBB26_272
.LBB26_277:                             ;   in Loop: Header=BB26_15 Depth=1
	s_inst_prefetch 0x2
	s_or_b32 exec_lo, exec_lo, s16
	v_lshrrev_b32_sdwa v34, v32, v3 dst_sel:DWORD dst_unused:UNUSED_PAD src0_sel:DWORD src1_sel:WORD_0
	s_andn2_b32 s16, s26, exec_lo
	s_and_b32 s26, s27, exec_lo
	s_or_b32 s26, s16, s26
.LBB26_278:                             ;   in Loop: Header=BB26_15 Depth=1
	s_or_b32 exec_lo, exec_lo, s14
	s_mov_b32 s16, 0
	s_mov_b32 s14, -1
.LBB26_279:                             ;   in Loop: Header=BB26_15 Depth=1
	s_orn2_b32 s26, s26, exec_lo
.LBB26_280:                             ;   in Loop: Header=BB26_15 Depth=1
	s_or_b32 exec_lo, exec_lo, s25
                                        ; implicit-def: $vgpr4
                                        ; implicit-def: $vgpr1
	s_and_saveexec_b32 s25, s26
	s_cbranch_execz .LBB26_410
; %bb.281:                              ;   in Loop: Header=BB26_15 Depth=1
	v_mov_b32_e32 v4, 1
	v_mov_b32_e32 v1, 1
	s_xor_b32 s26, s6, -1
	s_mov_b32 s28, 0
	s_and_saveexec_b32 s6, s26
	s_cbranch_execz .LBB26_290
; %bb.282:                              ;   in Loop: Header=BB26_15 Depth=1
	s_mov_b32 s26, exec_lo
	v_cmpx_ge_u32_e64 s22, v35
	s_xor_b32 s26, exec_lo, s26
	s_cbranch_execz .LBB26_287
; %bb.283:                              ;   in Loop: Header=BB26_15 Depth=1
	ds_read_b32 v1, v19 offset:4096
	v_or_b32_e32 v14, s18, v14
	v_or_b32_e32 v33, s18, v33
	s_waitcnt lgkmcnt(0)
	v_cmp_ne_u32_e32 vcc_lo, 0, v1
	s_cbranch_vccnz .LBB26_287
; %bb.284:                              ;   in Loop: Header=BB26_15 Depth=1
	s_and_saveexec_b32 s27, s3
; %bb.285:                              ;   in Loop: Header=BB26_15 Depth=1
	v_mov_b32_e32 v1, s22
	ds_write_b32 v19, v1 offset:4100
; %bb.286:                              ;   in Loop: Header=BB26_15 Depth=1
	s_or_b32 exec_lo, exec_lo, s27
	s_waitcnt lgkmcnt(0)
	s_barrier
	buffer_gl0_inv
.LBB26_287:                             ;   in Loop: Header=BB26_15 Depth=1
	s_or_saveexec_b32 s26, s26
	v_mov_b32_e32 v1, 5
	s_mov_b32 s27, 0
	s_xor_b32 exec_lo, exec_lo, s26
; %bb.288:                              ;   in Loop: Header=BB26_15 Depth=1
	v_subrev_nc_u32_e32 v35, s22, v35
	v_mov_b32_e32 v1, 0
	s_mov_b32 s27, exec_lo
; %bb.289:                              ;   in Loop: Header=BB26_15 Depth=1
	s_or_b32 exec_lo, exec_lo, s26
	v_mov_b32_e32 v4, v35
	s_and_b32 s28, s27, exec_lo
.LBB26_290:                             ;   in Loop: Header=BB26_15 Depth=1
	s_or_b32 exec_lo, exec_lo, s6
	s_mov_b32 s27, -1
                                        ; implicit-def: $sgpr22
                                        ; implicit-def: $sgpr26
	s_and_saveexec_b32 s6, s28
	s_xor_b32 s6, exec_lo, s6
	s_cbranch_execz .LBB26_407
; %bb.291:                              ;   in Loop: Header=BB26_15 Depth=1
	v_cmp_eq_u32_e32 vcc_lo, 1, v4
	s_cmp_eq_u32 s21, 1
	s_mov_b32 s29, -1
	s_cselect_b32 s22, -1, 0
                                        ; implicit-def: $sgpr26
	s_and_b32 s28, s22, vcc_lo
                                        ; implicit-def: $sgpr22
	s_and_saveexec_b32 s27, s28
	s_cbranch_execz .LBB26_317
; %bb.292:                              ;   in Loop: Header=BB26_15 Depth=1
	ds_read_b32 v2, v19 offset:4096
	s_waitcnt lgkmcnt(0)
	s_barrier
	buffer_gl0_inv
	v_readfirstlane_b32 s30, v2
	s_and_saveexec_b32 s22, s15
; %bb.293:                              ;   in Loop: Header=BB26_15 Depth=1
	ds_write_b8 v0, v19 offset:3072
; %bb.294:                              ;   in Loop: Header=BB26_15 Depth=1
	s_or_b32 exec_lo, exec_lo, s22
	s_lshl_b32 s22, 2, s78
	v_or_b32_e32 v33, s18, v33
	v_and_or_b32 v14, v14, s19, s22
	s_mov_b32 s22, -1
	s_mov_b32 s26, 0
	s_cmp_eq_u32 s30, 0
	s_mov_b32 s29, 0
	s_mov_b32 s31, -1
	s_waitcnt lgkmcnt(0)
	s_barrier
	buffer_gl0_inv
                                        ; implicit-def: $vgpr34
	s_cbranch_scc1 .LBB26_305
; %bb.295:                              ;   in Loop: Header=BB26_15 Depth=1
	s_add_i32 s29, s30, s62
                                        ; implicit-def: $vgpr34
	s_mul_hi_u32 s31, s29, s69
	s_mul_i32 s31, s31, s44
	s_sub_i32 s31, s29, s31
	s_sub_i32 s33, s31, s44
	s_cmp_ge_u32 s31, s44
	s_cselect_b32 s31, s33, s31
	s_sub_i32 s33, s31, s44
	s_cmp_ge_u32 s31, s44
	s_cselect_b32 s31, s33, s31
	s_mov_b32 s33, exec_lo
	s_sub_i32 s34, s29, s31
	s_mov_b32 s31, 0
	s_mov_b32 s29, 0
	v_cmpx_gt_u32_e64 s34, v0
	s_cbranch_execz .LBB26_304
; %bb.296:                              ;   in Loop: Header=BB26_15 Depth=1
	v_mov_b32_e32 v2, v0
                                        ; implicit-def: $sgpr85
	s_inst_prefetch 0x1
	s_branch .LBB26_299
	.p2align	6
.LBB26_297:                             ;   in Loop: Header=BB26_299 Depth=2
	s_or_b32 exec_lo, exec_lo, s86
	s_waitcnt lgkmcnt(0)
	s_barrier
	buffer_gl0_inv
	ds_read_u16 v3, v19 offset:3072
	s_mov_b32 s87, -1
	s_waitcnt lgkmcnt(0)
	s_barrier
	buffer_gl0_inv
	v_cmp_ne_u32_sdwa s86, v3, v19 src0_sel:BYTE_0 src1_sel:DWORD
	s_and_b32 vcc_lo, exec_lo, s86
	s_mov_b32 s86, -1
	s_cbranch_vccz .LBB26_302
.LBB26_298:                             ;   in Loop: Header=BB26_299 Depth=2
	s_and_b32 s87, exec_lo, s87
	s_or_b32 s29, s87, s29
	s_andn2_b32 s85, s85, exec_lo
	s_and_b32 s86, s86, exec_lo
	s_or_b32 s85, s85, s86
	s_andn2_b32 exec_lo, exec_lo, s29
	s_cbranch_execz .LBB26_303
.LBB26_299:                             ;   Parent Loop BB26_15 Depth=1
                                        ; =>  This Inner Loop Header: Depth=2
	s_mov_b32 s86, exec_lo
	v_cmpx_gt_u32_e64 s30, v2
	s_cbranch_execz .LBB26_297
; %bb.300:                              ;   in Loop: Header=BB26_299 Depth=2
	ds_read_u8 v3, v2
	s_waitcnt lgkmcnt(0)
	v_add_nc_u32_sdwa v5, sext(v3), v31 dst_sel:DWORD dst_unused:UNUSED_PAD src0_sel:BYTE_0 src1_sel:DWORD
	v_and_b32_e32 v5, v5, v33
	v_cmp_eq_u32_e32 vcc_lo, v5, v14
	s_and_b32 exec_lo, exec_lo, vcc_lo
	s_cbranch_execz .LBB26_297
; %bb.301:                              ;   in Loop: Header=BB26_299 Depth=2
	v_lshlrev_b16 v3, 8, v3
	v_or_b32_e32 v3, 1, v3
	ds_write_b16 v19, v3 offset:3072
	s_branch .LBB26_297
.LBB26_302:                             ;   in Loop: Header=BB26_299 Depth=2
	v_add_nc_u32_e32 v2, s44, v2
	s_mov_b32 s86, 0
	v_cmp_le_u32_e32 vcc_lo, s34, v2
	s_orn2_b32 s87, vcc_lo, exec_lo
	s_branch .LBB26_298
.LBB26_303:                             ;   in Loop: Header=BB26_15 Depth=1
	s_inst_prefetch 0x2
	s_or_b32 exec_lo, exec_lo, s29
	v_lshrrev_b32_sdwa v34, v32, v3 dst_sel:DWORD dst_unused:UNUSED_PAD src0_sel:DWORD src1_sel:WORD_0
	s_and_b32 s29, s85, exec_lo
.LBB26_304:                             ;   in Loop: Header=BB26_15 Depth=1
	s_or_b32 exec_lo, exec_lo, s33
.LBB26_305:                             ;   in Loop: Header=BB26_15 Depth=1
	s_and_b32 vcc_lo, exec_lo, s31
	s_cbranch_vccz .LBB26_316
; %bb.306:                              ;   in Loop: Header=BB26_15 Depth=1
                                        ; implicit-def: $vgpr34
	s_and_saveexec_b32 s22, s13
	s_cbranch_execz .LBB26_315
; %bb.307:                              ;   in Loop: Header=BB26_15 Depth=1
	v_mov_b32_e32 v2, v18
	v_mov_b32_e32 v3, v0
	s_mov_b32 s26, 0
                                        ; implicit-def: $sgpr30
	s_inst_prefetch 0x1
	s_branch .LBB26_310
	.p2align	6
.LBB26_308:                             ;   in Loop: Header=BB26_310 Depth=2
	s_or_b32 exec_lo, exec_lo, s31
	s_waitcnt lgkmcnt(0)
	s_barrier
	buffer_gl0_inv
	ds_read_u16 v5, v19 offset:3072
	s_mov_b32 s31, -1
	s_waitcnt lgkmcnt(0)
	s_barrier
	buffer_gl0_inv
	v_cmp_eq_u32_sdwa s33, v5, v19 src0_sel:BYTE_0 src1_sel:DWORD
	s_and_b32 vcc_lo, exec_lo, s33
	s_mov_b32 s33, -1
	s_cbranch_vccnz .LBB26_313
.LBB26_309:                             ;   in Loop: Header=BB26_310 Depth=2
	s_and_b32 s31, exec_lo, s31
	s_or_b32 s26, s31, s26
	s_andn2_b32 s30, s30, exec_lo
	s_and_b32 s31, s33, exec_lo
	s_or_b32 s30, s30, s31
	s_andn2_b32 exec_lo, exec_lo, s26
	s_cbranch_execz .LBB26_314
.LBB26_310:                             ;   Parent Loop BB26_15 Depth=1
                                        ; =>  This Inner Loop Header: Depth=2
	s_mov_b32 s31, exec_lo
	v_cmpx_gt_u32_e64 s36, v3
	s_cbranch_execz .LBB26_308
; %bb.311:                              ;   in Loop: Header=BB26_310 Depth=2
	global_load_ubyte v5, v2, s[42:43]
	s_waitcnt vmcnt(0)
	v_add_nc_u32_sdwa v6, sext(v5), v31 dst_sel:DWORD dst_unused:UNUSED_PAD src0_sel:BYTE_0 src1_sel:DWORD
	v_and_b32_e32 v6, v6, v33
	v_cmp_eq_u32_e32 vcc_lo, v6, v14
	s_and_b32 exec_lo, exec_lo, vcc_lo
	s_cbranch_execz .LBB26_308
; %bb.312:                              ;   in Loop: Header=BB26_310 Depth=2
	v_lshlrev_b16 v5, 8, v5
	v_or_b32_e32 v5, 1, v5
	ds_write_b16 v19, v5 offset:3072
	s_branch .LBB26_308
.LBB26_313:                             ;   in Loop: Header=BB26_310 Depth=2
	v_add_nc_u32_e32 v3, s44, v3
	v_add_nc_u32_e32 v2, s51, v2
	s_mov_b32 s33, 0
	v_cmp_le_u32_e32 vcc_lo, s71, v3
	s_orn2_b32 s31, vcc_lo, exec_lo
	s_branch .LBB26_309
.LBB26_314:                             ;   in Loop: Header=BB26_15 Depth=1
	s_inst_prefetch 0x2
	s_or_b32 exec_lo, exec_lo, s26
	v_lshrrev_b32_sdwa v34, v32, v5 dst_sel:DWORD dst_unused:UNUSED_PAD src0_sel:DWORD src1_sel:WORD_0
	s_andn2_b32 s26, s29, exec_lo
	s_and_b32 s29, s30, exec_lo
	s_or_b32 s29, s26, s29
.LBB26_315:                             ;   in Loop: Header=BB26_15 Depth=1
	s_or_b32 exec_lo, exec_lo, s22
	s_mov_b32 s22, 0
	s_mov_b32 s26, -1
.LBB26_316:                             ;   in Loop: Header=BB26_15 Depth=1
	s_orn2_b32 s29, s29, exec_lo
.LBB26_317:                             ;   in Loop: Header=BB26_15 Depth=1
	s_or_b32 exec_lo, exec_lo, s27
	s_mov_b32 s30, 0
	s_and_saveexec_b32 s27, s29
	s_cbranch_execz .LBB26_406
; %bb.318:                              ;   in Loop: Header=BB26_15 Depth=1
	v_mov_b32_e32 v2, 1
	v_mov_b32_e32 v1, 1
	s_xor_b32 s29, s28, -1
	s_mov_b32 s31, 0
	s_and_saveexec_b32 s28, s29
	s_cbranch_execz .LBB26_327
; %bb.319:                              ;   in Loop: Header=BB26_15 Depth=1
	s_mov_b32 s29, exec_lo
	v_cmpx_ge_u32_e64 s21, v4
	s_xor_b32 s29, exec_lo, s29
	s_cbranch_execz .LBB26_324
; %bb.320:                              ;   in Loop: Header=BB26_15 Depth=1
	ds_read_b32 v1, v19 offset:4096
	s_lshl_b32 s30, 2, s78
	v_or_b32_e32 v33, s18, v33
	v_and_or_b32 v14, v14, s19, s30
	s_waitcnt lgkmcnt(0)
	v_cmp_ne_u32_e32 vcc_lo, 0, v1
	s_cbranch_vccnz .LBB26_324
; %bb.321:                              ;   in Loop: Header=BB26_15 Depth=1
	s_and_saveexec_b32 s30, s3
; %bb.322:                              ;   in Loop: Header=BB26_15 Depth=1
	v_mov_b32_e32 v1, s21
	ds_write_b32 v19, v1 offset:4100
; %bb.323:                              ;   in Loop: Header=BB26_15 Depth=1
	s_or_b32 exec_lo, exec_lo, s30
	s_waitcnt lgkmcnt(0)
	s_barrier
	buffer_gl0_inv
.LBB26_324:                             ;   in Loop: Header=BB26_15 Depth=1
	s_or_saveexec_b32 s29, s29
	v_mov_b32_e32 v1, 5
	s_mov_b32 s30, 0
	s_xor_b32 exec_lo, exec_lo, s29
; %bb.325:                              ;   in Loop: Header=BB26_15 Depth=1
	v_subrev_nc_u32_e32 v4, s21, v4
	v_mov_b32_e32 v1, 0
	s_mov_b32 s30, exec_lo
; %bb.326:                              ;   in Loop: Header=BB26_15 Depth=1
	s_or_b32 exec_lo, exec_lo, s29
	v_mov_b32_e32 v2, v4
	s_and_b32 s31, s30, exec_lo
.LBB26_327:                             ;   in Loop: Header=BB26_15 Depth=1
	s_or_b32 exec_lo, exec_lo, s28
	s_mov_b32 s30, -1
                                        ; implicit-def: $sgpr28
                                        ; implicit-def: $sgpr29
	s_and_saveexec_b32 s21, s31
	s_cbranch_execz .LBB26_405
; %bb.328:                              ;   in Loop: Header=BB26_15 Depth=1
	v_cmp_eq_u32_e32 vcc_lo, 1, v2
	s_cmp_eq_u32 s20, 1
	s_mov_b32 s33, -1
	s_cselect_b32 s28, -1, 0
                                        ; implicit-def: $sgpr29
	s_and_b32 s31, s28, vcc_lo
                                        ; implicit-def: $sgpr28
	s_and_saveexec_b32 s30, s31
	s_cbranch_execz .LBB26_354
; %bb.329:                              ;   in Loop: Header=BB26_15 Depth=1
	ds_read_b32 v3, v19 offset:4096
	s_waitcnt lgkmcnt(0)
	s_barrier
	buffer_gl0_inv
	v_readfirstlane_b32 s34, v3
	s_and_saveexec_b32 s28, s15
; %bb.330:                              ;   in Loop: Header=BB26_15 Depth=1
	ds_write_b8 v0, v19 offset:3072
; %bb.331:                              ;   in Loop: Header=BB26_15 Depth=1
	s_or_b32 exec_lo, exec_lo, s28
	s_lshl_b32 s28, 1, s78
	v_or_b32_e32 v33, s18, v33
	v_and_or_b32 v14, v14, s19, s28
	s_mov_b32 s28, -1
	s_mov_b32 s29, 0
	s_cmp_eq_u32 s34, 0
	s_mov_b32 s33, 0
	s_mov_b32 s85, -1
	s_waitcnt lgkmcnt(0)
	s_barrier
	buffer_gl0_inv
                                        ; implicit-def: $vgpr34
	s_cbranch_scc1 .LBB26_342
; %bb.332:                              ;   in Loop: Header=BB26_15 Depth=1
	s_add_i32 s33, s34, s62
                                        ; implicit-def: $vgpr34
	s_mul_hi_u32 s85, s33, s69
	s_mul_i32 s85, s85, s44
	s_sub_i32 s85, s33, s85
	s_sub_i32 s86, s85, s44
	s_cmp_ge_u32 s85, s44
	s_cselect_b32 s85, s86, s85
	s_sub_i32 s86, s85, s44
	s_cmp_ge_u32 s85, s44
	s_cselect_b32 s85, s86, s85
	s_mov_b32 s86, exec_lo
	s_sub_i32 s87, s33, s85
	s_mov_b32 s85, 0
	s_mov_b32 s33, 0
	v_cmpx_gt_u32_e64 s87, v0
	s_cbranch_execz .LBB26_341
; %bb.333:                              ;   in Loop: Header=BB26_15 Depth=1
	v_mov_b32_e32 v3, v0
                                        ; implicit-def: $sgpr88
	s_inst_prefetch 0x1
	s_branch .LBB26_336
	.p2align	6
.LBB26_334:                             ;   in Loop: Header=BB26_336 Depth=2
	s_or_b32 exec_lo, exec_lo, s89
	s_waitcnt lgkmcnt(0)
	s_barrier
	buffer_gl0_inv
	ds_read_u16 v4, v19 offset:3072
	s_mov_b32 s90, -1
	s_waitcnt lgkmcnt(0)
	s_barrier
	buffer_gl0_inv
	v_cmp_ne_u32_sdwa s89, v4, v19 src0_sel:BYTE_0 src1_sel:DWORD
	s_and_b32 vcc_lo, exec_lo, s89
	s_mov_b32 s89, -1
	s_cbranch_vccz .LBB26_339
.LBB26_335:                             ;   in Loop: Header=BB26_336 Depth=2
	s_and_b32 s90, exec_lo, s90
	s_or_b32 s33, s90, s33
	s_andn2_b32 s88, s88, exec_lo
	s_and_b32 s89, s89, exec_lo
	s_or_b32 s88, s88, s89
	s_andn2_b32 exec_lo, exec_lo, s33
	s_cbranch_execz .LBB26_340
.LBB26_336:                             ;   Parent Loop BB26_15 Depth=1
                                        ; =>  This Inner Loop Header: Depth=2
	s_mov_b32 s89, exec_lo
	v_cmpx_gt_u32_e64 s34, v3
	s_cbranch_execz .LBB26_334
; %bb.337:                              ;   in Loop: Header=BB26_336 Depth=2
	ds_read_u8 v4, v3
	s_waitcnt lgkmcnt(0)
	v_add_nc_u32_sdwa v5, sext(v4), v31 dst_sel:DWORD dst_unused:UNUSED_PAD src0_sel:BYTE_0 src1_sel:DWORD
	v_and_b32_e32 v5, v5, v33
	v_cmp_eq_u32_e32 vcc_lo, v5, v14
	s_and_b32 exec_lo, exec_lo, vcc_lo
	s_cbranch_execz .LBB26_334
; %bb.338:                              ;   in Loop: Header=BB26_336 Depth=2
	v_lshlrev_b16 v4, 8, v4
	v_or_b32_e32 v4, 1, v4
	ds_write_b16 v19, v4 offset:3072
	s_branch .LBB26_334
.LBB26_339:                             ;   in Loop: Header=BB26_336 Depth=2
	v_add_nc_u32_e32 v3, s44, v3
	s_mov_b32 s89, 0
	v_cmp_le_u32_e32 vcc_lo, s87, v3
	s_orn2_b32 s90, vcc_lo, exec_lo
	s_branch .LBB26_335
.LBB26_340:                             ;   in Loop: Header=BB26_15 Depth=1
	s_inst_prefetch 0x2
	s_or_b32 exec_lo, exec_lo, s33
	v_lshrrev_b32_sdwa v34, v32, v4 dst_sel:DWORD dst_unused:UNUSED_PAD src0_sel:DWORD src1_sel:WORD_0
	s_and_b32 s33, s88, exec_lo
.LBB26_341:                             ;   in Loop: Header=BB26_15 Depth=1
	s_or_b32 exec_lo, exec_lo, s86
.LBB26_342:                             ;   in Loop: Header=BB26_15 Depth=1
	s_and_b32 vcc_lo, exec_lo, s85
	s_cbranch_vccz .LBB26_353
; %bb.343:                              ;   in Loop: Header=BB26_15 Depth=1
                                        ; implicit-def: $vgpr34
	s_and_saveexec_b32 s28, s13
	s_cbranch_execz .LBB26_352
; %bb.344:                              ;   in Loop: Header=BB26_15 Depth=1
	v_mov_b32_e32 v3, v18
	v_mov_b32_e32 v4, v0
	s_mov_b32 s29, 0
                                        ; implicit-def: $sgpr34
	s_inst_prefetch 0x1
	s_branch .LBB26_347
	.p2align	6
.LBB26_345:                             ;   in Loop: Header=BB26_347 Depth=2
	s_or_b32 exec_lo, exec_lo, s85
	s_waitcnt lgkmcnt(0)
	s_barrier
	buffer_gl0_inv
	ds_read_u16 v5, v19 offset:3072
	s_mov_b32 s85, -1
	s_waitcnt lgkmcnt(0)
	s_barrier
	buffer_gl0_inv
	v_cmp_eq_u32_sdwa s86, v5, v19 src0_sel:BYTE_0 src1_sel:DWORD
	s_and_b32 vcc_lo, exec_lo, s86
	s_mov_b32 s86, -1
	s_cbranch_vccnz .LBB26_350
.LBB26_346:                             ;   in Loop: Header=BB26_347 Depth=2
	s_and_b32 s85, exec_lo, s85
	s_or_b32 s29, s85, s29
	s_andn2_b32 s34, s34, exec_lo
	s_and_b32 s85, s86, exec_lo
	s_or_b32 s34, s34, s85
	s_andn2_b32 exec_lo, exec_lo, s29
	s_cbranch_execz .LBB26_351
.LBB26_347:                             ;   Parent Loop BB26_15 Depth=1
                                        ; =>  This Inner Loop Header: Depth=2
	s_mov_b32 s85, exec_lo
	v_cmpx_gt_u32_e64 s36, v4
	s_cbranch_execz .LBB26_345
; %bb.348:                              ;   in Loop: Header=BB26_347 Depth=2
	global_load_ubyte v5, v3, s[42:43]
	s_waitcnt vmcnt(0)
	v_add_nc_u32_sdwa v6, sext(v5), v31 dst_sel:DWORD dst_unused:UNUSED_PAD src0_sel:BYTE_0 src1_sel:DWORD
	v_and_b32_e32 v6, v6, v33
	v_cmp_eq_u32_e32 vcc_lo, v6, v14
	s_and_b32 exec_lo, exec_lo, vcc_lo
	s_cbranch_execz .LBB26_345
; %bb.349:                              ;   in Loop: Header=BB26_347 Depth=2
	v_lshlrev_b16 v5, 8, v5
	v_or_b32_e32 v5, 1, v5
	ds_write_b16 v19, v5 offset:3072
	s_branch .LBB26_345
.LBB26_350:                             ;   in Loop: Header=BB26_347 Depth=2
	v_add_nc_u32_e32 v4, s44, v4
	v_add_nc_u32_e32 v3, s51, v3
	s_mov_b32 s86, 0
	v_cmp_le_u32_e32 vcc_lo, s71, v4
	s_orn2_b32 s85, vcc_lo, exec_lo
	s_branch .LBB26_346
.LBB26_351:                             ;   in Loop: Header=BB26_15 Depth=1
	s_inst_prefetch 0x2
	s_or_b32 exec_lo, exec_lo, s29
	v_lshrrev_b32_sdwa v34, v32, v5 dst_sel:DWORD dst_unused:UNUSED_PAD src0_sel:DWORD src1_sel:WORD_0
	s_andn2_b32 s29, s33, exec_lo
	s_and_b32 s33, s34, exec_lo
	s_or_b32 s33, s29, s33
.LBB26_352:                             ;   in Loop: Header=BB26_15 Depth=1
	s_or_b32 exec_lo, exec_lo, s28
	s_mov_b32 s28, 0
	s_mov_b32 s29, -1
.LBB26_353:                             ;   in Loop: Header=BB26_15 Depth=1
	s_orn2_b32 s33, s33, exec_lo
.LBB26_354:                             ;   in Loop: Header=BB26_15 Depth=1
	s_or_b32 exec_lo, exec_lo, s30
	s_mov_b32 s34, 0
	s_and_saveexec_b32 s30, s33
	s_cbranch_execz .LBB26_404
; %bb.355:                              ;   in Loop: Header=BB26_15 Depth=1
	v_mov_b32_e32 v3, 1
	v_mov_b32_e32 v1, 1
	s_xor_b32 s33, s31, -1
	s_mov_b32 s85, 0
	s_and_saveexec_b32 s31, s33
	s_cbranch_execz .LBB26_364
; %bb.356:                              ;   in Loop: Header=BB26_15 Depth=1
	s_mov_b32 s33, exec_lo
	v_cmpx_ge_u32_e64 s20, v2
	s_xor_b32 s33, exec_lo, s33
	s_cbranch_execz .LBB26_361
; %bb.357:                              ;   in Loop: Header=BB26_15 Depth=1
	ds_read_b32 v1, v19 offset:4096
	s_lshl_b32 s34, 1, s78
	v_or_b32_e32 v33, s18, v33
	v_and_or_b32 v14, v14, s19, s34
	s_waitcnt lgkmcnt(0)
	v_cmp_ne_u32_e32 vcc_lo, 0, v1
	s_cbranch_vccnz .LBB26_361
; %bb.358:                              ;   in Loop: Header=BB26_15 Depth=1
	s_and_saveexec_b32 s34, s3
; %bb.359:                              ;   in Loop: Header=BB26_15 Depth=1
	v_mov_b32_e32 v1, s20
	ds_write_b32 v19, v1 offset:4100
; %bb.360:                              ;   in Loop: Header=BB26_15 Depth=1
	s_or_b32 exec_lo, exec_lo, s34
	s_waitcnt lgkmcnt(0)
	s_barrier
	buffer_gl0_inv
.LBB26_361:                             ;   in Loop: Header=BB26_15 Depth=1
	s_or_saveexec_b32 s33, s33
	v_mov_b32_e32 v1, 5
	s_mov_b32 s34, 0
	s_xor_b32 exec_lo, exec_lo, s33
; %bb.362:                              ;   in Loop: Header=BB26_15 Depth=1
	v_subrev_nc_u32_e32 v2, s20, v2
	v_mov_b32_e32 v1, 0
	s_mov_b32 s34, exec_lo
; %bb.363:                              ;   in Loop: Header=BB26_15 Depth=1
	s_or_b32 exec_lo, exec_lo, s33
	v_mov_b32_e32 v3, v2
	s_and_b32 s85, s34, exec_lo
.LBB26_364:                             ;   in Loop: Header=BB26_15 Depth=1
	s_or_b32 exec_lo, exec_lo, s31
	s_mov_b32 s34, -1
                                        ; implicit-def: $sgpr33
                                        ; implicit-def: $sgpr31
	s_and_saveexec_b32 s20, s85
	s_cbranch_execz .LBB26_403
; %bb.365:                              ;   in Loop: Header=BB26_15 Depth=1
	v_cmp_eq_u32_e32 vcc_lo, 1, v3
	s_cmp_eq_u32 s17, 1
	s_mov_b32 s86, -1
	s_cselect_b32 s31, -1, 0
                                        ; implicit-def: $sgpr33
	s_and_b32 s34, s31, vcc_lo
                                        ; implicit-def: $sgpr31
	s_and_saveexec_b32 s85, s34
	s_cbranch_execz .LBB26_391
; %bb.366:                              ;   in Loop: Header=BB26_15 Depth=1
	ds_read_b32 v2, v19 offset:4096
	s_waitcnt lgkmcnt(0)
	s_barrier
	buffer_gl0_inv
	v_readfirstlane_b32 s87, v2
	s_and_saveexec_b32 s31, s15
; %bb.367:                              ;   in Loop: Header=BB26_15 Depth=1
	ds_write_b8 v0, v19 offset:3072
; %bb.368:                              ;   in Loop: Header=BB26_15 Depth=1
	s_or_b32 exec_lo, exec_lo, s31
	v_and_b32_e32 v14, s19, v14
	v_or_b32_e32 v33, s18, v33
	s_mov_b32 s31, -1
	s_mov_b32 s33, 0
	s_cmp_eq_u32 s87, 0
	s_mov_b32 s86, 0
	s_mov_b32 s88, -1
	s_waitcnt lgkmcnt(0)
	s_barrier
	buffer_gl0_inv
                                        ; implicit-def: $vgpr34
	s_cbranch_scc1 .LBB26_379
; %bb.369:                              ;   in Loop: Header=BB26_15 Depth=1
	s_add_i32 s86, s87, s62
                                        ; implicit-def: $vgpr34
	s_mul_hi_u32 s88, s86, s69
	s_mul_i32 s88, s88, s44
	s_sub_i32 s88, s86, s88
	s_sub_i32 s89, s88, s44
	s_cmp_ge_u32 s88, s44
	s_cselect_b32 s88, s89, s88
	s_sub_i32 s89, s88, s44
	s_cmp_ge_u32 s88, s44
	s_cselect_b32 s88, s89, s88
	s_mov_b32 s89, exec_lo
	s_sub_i32 s90, s86, s88
	s_mov_b32 s88, 0
	s_mov_b32 s86, 0
	v_cmpx_gt_u32_e64 s90, v0
	s_cbranch_execz .LBB26_378
; %bb.370:                              ;   in Loop: Header=BB26_15 Depth=1
	v_mov_b32_e32 v2, v0
                                        ; implicit-def: $sgpr91
	s_inst_prefetch 0x1
	s_branch .LBB26_373
	.p2align	6
.LBB26_371:                             ;   in Loop: Header=BB26_373 Depth=2
	s_or_b32 exec_lo, exec_lo, s92
	s_waitcnt lgkmcnt(0)
	s_barrier
	buffer_gl0_inv
	ds_read_u16 v4, v19 offset:3072
	s_mov_b32 s93, -1
	s_waitcnt lgkmcnt(0)
	s_barrier
	buffer_gl0_inv
	v_cmp_ne_u32_sdwa s92, v4, v19 src0_sel:BYTE_0 src1_sel:DWORD
	s_and_b32 vcc_lo, exec_lo, s92
	s_mov_b32 s92, -1
	s_cbranch_vccz .LBB26_376
.LBB26_372:                             ;   in Loop: Header=BB26_373 Depth=2
	s_and_b32 s93, exec_lo, s93
	s_or_b32 s86, s93, s86
	s_andn2_b32 s91, s91, exec_lo
	s_and_b32 s92, s92, exec_lo
	s_or_b32 s91, s91, s92
	s_andn2_b32 exec_lo, exec_lo, s86
	s_cbranch_execz .LBB26_377
.LBB26_373:                             ;   Parent Loop BB26_15 Depth=1
                                        ; =>  This Inner Loop Header: Depth=2
	s_mov_b32 s92, exec_lo
	v_cmpx_gt_u32_e64 s87, v2
	s_cbranch_execz .LBB26_371
; %bb.374:                              ;   in Loop: Header=BB26_373 Depth=2
	ds_read_u8 v4, v2
	s_waitcnt lgkmcnt(0)
	v_add_nc_u32_sdwa v5, sext(v4), v31 dst_sel:DWORD dst_unused:UNUSED_PAD src0_sel:BYTE_0 src1_sel:DWORD
	v_and_b32_e32 v5, v5, v33
	v_cmp_eq_u32_e32 vcc_lo, v5, v14
	s_and_b32 exec_lo, exec_lo, vcc_lo
	s_cbranch_execz .LBB26_371
; %bb.375:                              ;   in Loop: Header=BB26_373 Depth=2
	v_lshlrev_b16 v4, 8, v4
	v_or_b32_e32 v4, 1, v4
	ds_write_b16 v19, v4 offset:3072
	s_branch .LBB26_371
.LBB26_376:                             ;   in Loop: Header=BB26_373 Depth=2
	v_add_nc_u32_e32 v2, s44, v2
	s_mov_b32 s92, 0
	v_cmp_le_u32_e32 vcc_lo, s90, v2
	s_orn2_b32 s93, vcc_lo, exec_lo
	s_branch .LBB26_372
.LBB26_377:                             ;   in Loop: Header=BB26_15 Depth=1
	s_inst_prefetch 0x2
	s_or_b32 exec_lo, exec_lo, s86
	v_lshrrev_b32_sdwa v34, v32, v4 dst_sel:DWORD dst_unused:UNUSED_PAD src0_sel:DWORD src1_sel:WORD_0
	s_and_b32 s86, s91, exec_lo
.LBB26_378:                             ;   in Loop: Header=BB26_15 Depth=1
	s_or_b32 exec_lo, exec_lo, s89
.LBB26_379:                             ;   in Loop: Header=BB26_15 Depth=1
	s_and_b32 vcc_lo, exec_lo, s88
	s_cbranch_vccz .LBB26_390
; %bb.380:                              ;   in Loop: Header=BB26_15 Depth=1
                                        ; implicit-def: $vgpr34
	s_and_saveexec_b32 s31, s13
	s_cbranch_execz .LBB26_389
; %bb.381:                              ;   in Loop: Header=BB26_15 Depth=1
	v_mov_b32_e32 v2, v18
	v_mov_b32_e32 v4, v0
	s_mov_b32 s33, 0
                                        ; implicit-def: $sgpr87
	s_inst_prefetch 0x1
	s_branch .LBB26_384
	.p2align	6
.LBB26_382:                             ;   in Loop: Header=BB26_384 Depth=2
	s_or_b32 exec_lo, exec_lo, s88
	s_waitcnt lgkmcnt(0)
	s_barrier
	buffer_gl0_inv
	ds_read_u16 v5, v19 offset:3072
	s_mov_b32 s88, -1
	s_waitcnt lgkmcnt(0)
	s_barrier
	buffer_gl0_inv
	v_cmp_eq_u32_sdwa s89, v5, v19 src0_sel:BYTE_0 src1_sel:DWORD
	s_and_b32 vcc_lo, exec_lo, s89
	s_mov_b32 s89, -1
	s_cbranch_vccnz .LBB26_387
.LBB26_383:                             ;   in Loop: Header=BB26_384 Depth=2
	s_and_b32 s88, exec_lo, s88
	s_or_b32 s33, s88, s33
	s_andn2_b32 s87, s87, exec_lo
	s_and_b32 s88, s89, exec_lo
	s_or_b32 s87, s87, s88
	s_andn2_b32 exec_lo, exec_lo, s33
	s_cbranch_execz .LBB26_388
.LBB26_384:                             ;   Parent Loop BB26_15 Depth=1
                                        ; =>  This Inner Loop Header: Depth=2
	s_mov_b32 s88, exec_lo
	v_cmpx_gt_u32_e64 s36, v4
	s_cbranch_execz .LBB26_382
; %bb.385:                              ;   in Loop: Header=BB26_384 Depth=2
	global_load_ubyte v5, v2, s[42:43]
	s_waitcnt vmcnt(0)
	v_add_nc_u32_sdwa v6, sext(v5), v31 dst_sel:DWORD dst_unused:UNUSED_PAD src0_sel:BYTE_0 src1_sel:DWORD
	v_and_b32_e32 v6, v6, v33
	v_cmp_eq_u32_e32 vcc_lo, v6, v14
	s_and_b32 exec_lo, exec_lo, vcc_lo
	s_cbranch_execz .LBB26_382
; %bb.386:                              ;   in Loop: Header=BB26_384 Depth=2
	v_lshlrev_b16 v5, 8, v5
	v_or_b32_e32 v5, 1, v5
	ds_write_b16 v19, v5 offset:3072
	s_branch .LBB26_382
.LBB26_387:                             ;   in Loop: Header=BB26_384 Depth=2
	v_add_nc_u32_e32 v4, s44, v4
	v_add_nc_u32_e32 v2, s51, v2
	s_mov_b32 s89, 0
	v_cmp_le_u32_e32 vcc_lo, s71, v4
	s_orn2_b32 s88, vcc_lo, exec_lo
	s_branch .LBB26_383
.LBB26_388:                             ;   in Loop: Header=BB26_15 Depth=1
	s_inst_prefetch 0x2
	s_or_b32 exec_lo, exec_lo, s33
	v_lshrrev_b32_sdwa v34, v32, v5 dst_sel:DWORD dst_unused:UNUSED_PAD src0_sel:DWORD src1_sel:WORD_0
	s_andn2_b32 s33, s86, exec_lo
	s_and_b32 s86, s87, exec_lo
	s_or_b32 s86, s33, s86
.LBB26_389:                             ;   in Loop: Header=BB26_15 Depth=1
	s_or_b32 exec_lo, exec_lo, s31
	s_mov_b32 s31, 0
	s_mov_b32 s33, -1
.LBB26_390:                             ;   in Loop: Header=BB26_15 Depth=1
	s_orn2_b32 s86, s86, exec_lo
.LBB26_391:                             ;   in Loop: Header=BB26_15 Depth=1
	s_or_b32 exec_lo, exec_lo, s85
	s_mov_b32 s87, 0
	s_and_saveexec_b32 s85, s86
	s_cbranch_execz .LBB26_402
; %bb.392:                              ;   in Loop: Header=BB26_15 Depth=1
	v_mov_b32_e32 v1, 1
	v_mov_b32_e32 v2, 1
	s_xor_b32 s86, s34, -1
	s_and_saveexec_b32 s34, s86
	s_cbranch_execz .LBB26_401
; %bb.393:                              ;   in Loop: Header=BB26_15 Depth=1
	s_mov_b32 s86, exec_lo
	v_cmpx_ge_u32_e64 s17, v3
	s_xor_b32 s86, exec_lo, s86
	s_cbranch_execz .LBB26_398
; %bb.394:                              ;   in Loop: Header=BB26_15 Depth=1
	ds_read_b32 v1, v19 offset:4096
	v_and_b32_e32 v14, s19, v14
	v_or_b32_e32 v33, s18, v33
	s_waitcnt lgkmcnt(0)
	v_cmp_ne_u32_e32 vcc_lo, 0, v1
	s_cbranch_vccnz .LBB26_398
; %bb.395:                              ;   in Loop: Header=BB26_15 Depth=1
	s_and_saveexec_b32 s18, s3
; %bb.396:                              ;   in Loop: Header=BB26_15 Depth=1
	v_mov_b32_e32 v1, s17
	ds_write_b32 v19, v1 offset:4100
; %bb.397:                              ;   in Loop: Header=BB26_15 Depth=1
	s_or_b32 exec_lo, exec_lo, s18
	s_waitcnt lgkmcnt(0)
	s_barrier
	buffer_gl0_inv
.LBB26_398:                             ;   in Loop: Header=BB26_15 Depth=1
	s_andn2_saveexec_b32 s18, s86
; %bb.399:                              ;   in Loop: Header=BB26_15 Depth=1
	v_subrev_nc_u32_e32 v3, s17, v3
; %bb.400:                              ;   in Loop: Header=BB26_15 Depth=1
	s_or_b32 exec_lo, exec_lo, s18
	v_mov_b32_e32 v1, 5
	v_mov_b32_e32 v2, v3
.LBB26_401:                             ;   in Loop: Header=BB26_15 Depth=1
	s_or_b32 exec_lo, exec_lo, s34
	v_mov_b32_e32 v3, v2
	s_mov_b32 s87, exec_lo
.LBB26_402:                             ;   in Loop: Header=BB26_15 Depth=1
	s_or_b32 exec_lo, exec_lo, s85
	s_orn2_b32 s34, s87, exec_lo
.LBB26_403:                             ;   in Loop: Header=BB26_15 Depth=1
	s_or_b32 exec_lo, exec_lo, s20
	v_mov_b32_e32 v2, v3
	s_andn2_b32 s17, s29, exec_lo
	s_and_b32 s18, s33, exec_lo
	s_andn2_b32 s19, s28, exec_lo
	s_and_b32 s20, s31, exec_lo
	s_or_b32 s29, s17, s18
	s_or_b32 s28, s19, s20
	s_and_b32 s34, s34, exec_lo
.LBB26_404:                             ;   in Loop: Header=BB26_15 Depth=1
	s_or_b32 exec_lo, exec_lo, s30
	s_orn2_b32 s30, s34, exec_lo
.LBB26_405:                             ;   in Loop: Header=BB26_15 Depth=1
	s_or_b32 exec_lo, exec_lo, s21
	v_mov_b32_e32 v4, v2
	s_andn2_b32 s17, s26, exec_lo
	s_and_b32 s18, s29, exec_lo
	s_andn2_b32 s19, s22, exec_lo
	s_and_b32 s20, s28, exec_lo
	s_or_b32 s26, s17, s18
	s_or_b32 s22, s19, s20
	s_and_b32 s30, s30, exec_lo
.LBB26_406:                             ;   in Loop: Header=BB26_15 Depth=1
	s_or_b32 exec_lo, exec_lo, s27
	s_orn2_b32 s27, s30, exec_lo
.LBB26_407:                             ;   in Loop: Header=BB26_15 Depth=1
	s_or_b32 exec_lo, exec_lo, s6
	s_mov_b32 s6, s24
	s_mov_b32 s17, s23
	s_and_saveexec_b32 s18, s27
; %bb.408:                              ;   in Loop: Header=BB26_15 Depth=1
	v_cmp_ne_u32_e32 vcc_lo, 5, v1
	v_cmp_eq_u32_e64 s6, 5, v1
	s_andn2_b32 s17, s23, exec_lo
	s_andn2_b32 s19, s24, exec_lo
	s_and_b32 s20, vcc_lo, exec_lo
	s_and_b32 s6, s6, exec_lo
	s_or_b32 s17, s17, s20
	s_or_b32 s6, s19, s6
; %bb.409:                              ;   in Loop: Header=BB26_15 Depth=1
	s_or_b32 exec_lo, exec_lo, s18
	s_andn2_b32 s14, s14, exec_lo
	s_and_b32 s18, s26, exec_lo
	s_andn2_b32 s16, s16, exec_lo
	s_and_b32 s19, s22, exec_lo
	s_or_b32 s14, s14, s18
	s_or_b32 s16, s16, s19
	s_andn2_b32 s18, s23, exec_lo
	s_and_b32 s17, s17, exec_lo
	s_andn2_b32 s19, s24, exec_lo
	s_and_b32 s6, s6, exec_lo
	s_or_b32 s23, s18, s17
	s_or_b32 s24, s19, s6
.LBB26_410:                             ;   in Loop: Header=BB26_15 Depth=1
	s_or_b32 exec_lo, exec_lo, s25
	s_mov_b32 s25, 0
	s_mov_b32 s26, 0
	s_and_saveexec_b32 s6, s24
.LBB26_411:                             ;   in Loop: Header=BB26_15 Depth=1
	v_mov_b32_e32 v1, 0
	s_or_b32 s23, s23, exec_lo
.LBB26_412:                             ;   in Loop: Header=BB26_15 Depth=1
	s_or_b32 exec_lo, exec_lo, s6
	s_andn2_b32 s6, s82, exec_lo
	s_and_b32 s14, s14, exec_lo
	s_andn2_b32 s18, s80, exec_lo
	s_and_b32 s16, s16, exec_lo
	v_mov_b32_e32 v35, v4
	s_or_b32 s82, s6, s14
	s_or_b32 s80, s18, s16
	s_andn2_b32 s6, s84, exec_lo
	s_and_b32 s14, s26, exec_lo
	s_andn2_b32 s16, s83, exec_lo
	s_and_b32 s18, s25, exec_lo
	s_mov_b32 s17, -1
	s_andn2_b32 s81, s81, exec_lo
	s_or_b32 s84, s6, s14
	s_or_b32 s83, s16, s18
	s_and_saveexec_b32 s6, s23
	s_xor_b32 s6, exec_lo, s6
	s_cbranch_execz .LBB26_14
; %bb.413:                              ;   in Loop: Header=BB26_15 Depth=1
	s_mov_b32 s14, -1
	s_mov_b32 s16, -1
	s_mov_b32 s17, exec_lo
	v_cmpx_eq_u32_e32 0, v1
	s_cbranch_execz .LBB26_13
; %bb.414:                              ;   in Loop: Header=BB26_15 Depth=1
	s_xor_b32 s74, s74, 1
	s_add_i32 s18, s78, -2
	s_cmp_eq_u32 s78, 0
	s_mov_b32 s78, s18
	s_cselect_b32 s14, -1, 0
	s_xor_b32 s16, exec_lo, -1
	s_orn2_b32 s14, s14, exec_lo
	s_branch .LBB26_13
.LBB26_415:
	s_or_b32 exec_lo, exec_lo, s55
	s_xor_b32 s7, s79, -1
	s_xor_b32 s12, s76, -1
	;; [unrolled: 1-line block ×5, first 2 shown]
	s_mov_b32 s9, 0
	s_and_saveexec_b32 s10, s8
	s_xor_b32 s8, exec_lo, s10
	s_cbranch_execnz .LBB26_420
; %bb.416:
	s_andn2_saveexec_b32 s0, s8
	s_cbranch_execnz .LBB26_439
.LBB26_417:
	s_or_b32 exec_lo, exec_lo, s0
	s_and_saveexec_b32 s0, s9
.LBB26_418:
	; divergent unreachable
.LBB26_419:
	s_endpgm
.LBB26_420:
	s_mov_b32 s10, 0
	s_and_saveexec_b32 s9, s11
	s_xor_b32 s9, exec_lo, s9
	s_cbranch_execz .LBB26_437
; %bb.421:
	s_mov_b32 s11, 0
	s_and_saveexec_b32 s10, s12
	s_xor_b32 s10, exec_lo, s10
	s_cbranch_execz .LBB26_435
; %bb.422:
	s_mov_b32 s12, 0
	s_and_saveexec_b32 s11, s7
	s_xor_b32 s11, exec_lo, s11
	s_cbranch_execz .LBB26_433
; %bb.423:
	s_and_saveexec_b32 s7, s6
	s_xor_b32 s6, exec_lo, s7
; %bb.424:
	v_xor_b32_e32 v34, 0xffffff80, v14
; %bb.425:
	s_or_b32 exec_lo, exec_lo, s6
	s_and_saveexec_b32 s6, s3
; %bb.426:
	v_mov_b32_e32 v1, 0
	ds_write_b32 v1, v1 offset:4108
; %bb.427:
	s_or_b32 exec_lo, exec_lo, s6
	v_mov_b32_e32 v3, 0
	s_waitcnt lgkmcnt(0)
	s_barrier
	buffer_gl0_inv
	s_and_saveexec_b32 s3, s1
	s_cbranch_execz .LBB26_429
; %bb.428:
	global_load_ubyte v3, v[9:10], off
.LBB26_429:
	s_or_b32 exec_lo, exec_lo, s3
	s_clause 0x1
	s_load_dword s12, s[4:5], 0x1c8
	s_load_dword s13, s[4:5], 0x2a8
	s_mul_i32 s3, s53, s52
	s_add_i32 s14, s36, 31
	s_mul_i32 s4, s54, s50
	s_add_i32 s3, s3, s35
	s_andn2_b32 s14, s14, 31
	s_add_i32 s4, s4, s45
	s_mov_b32 s5, 0
	s_add_u32 s6, s48, s3
	s_addc_u32 s7, s49, 0
	s_lshl_b64 s[16:17], s[4:5], 3
	v_cmp_gt_u32_e32 vcc_lo, s14, v0
	s_add_u32 s15, s46, s16
	s_addc_u32 s16, s47, s17
	s_mov_b32 s4, -1
	s_mov_b32 s3, 0
	s_and_saveexec_b32 s17, vcc_lo
	s_cbranch_execnz .LBB26_440
; %bb.430:
	s_or_b32 exec_lo, exec_lo, s17
	s_and_saveexec_b32 s2, s4
	s_cbranch_execnz .LBB26_455
.LBB26_431:
	s_or_b32 exec_lo, exec_lo, s2
	s_and_saveexec_b32 s0, s3
	s_xor_b32 s0, exec_lo, s0
	s_cbranch_execnz .LBB26_478
.LBB26_432:
	s_or_b32 exec_lo, exec_lo, s0
	s_waitcnt lgkmcnt(0)
	s_and_b32 s12, s5, exec_lo
.LBB26_433:
	s_andn2_saveexec_b32 s0, s11
	s_cbranch_execnz .LBB26_480
.LBB26_434:
	s_or_b32 exec_lo, exec_lo, s0
	s_and_b32 s11, s12, exec_lo
.LBB26_435:
	s_andn2_saveexec_b32 s0, s10
	s_cbranch_execnz .LBB26_479
.LBB26_436:
	s_or_b32 exec_lo, exec_lo, s0
	s_and_b32 s10, s11, exec_lo
.LBB26_437:
	s_andn2_saveexec_b32 s0, s9
	s_cbranch_execnz .LBB26_474
.LBB26_438:
	s_or_b32 exec_lo, exec_lo, s0
	s_and_b32 s9, s10, exec_lo
	s_andn2_saveexec_b32 s0, s8
	s_cbranch_execz .LBB26_417
.LBB26_439:
	s_or_b32 s9, s9, exec_lo
	s_trap 2
	s_or_b32 exec_lo, exec_lo, s0
	s_and_saveexec_b32 s0, s9
	s_cbranch_execnz .LBB26_418
	s_branch .LBB26_419
.LBB26_440:
	v_add_nc_u32_e32 v1, s44, v0
	v_mov_b32_e32 v4, 0x80
	v_mov_b32_e32 v2, 0
	s_mov_b32 s18, 0
                                        ; implicit-def: $sgpr19
                                        ; implicit-def: $vgpr11
	v_mul_lo_u32 v5, s40, v1
	v_add_nc_u32_sdwa v6, sext(v34), v4 dst_sel:DWORD dst_unused:UNUSED_PAD src0_sel:BYTE_0 src1_sel:DWORD
	v_mov_b32_e32 v1, v0
	s_branch .LBB26_442
.LBB26_441:                             ;   in Loop: Header=BB26_442 Depth=1
	s_or_b32 exec_lo, exec_lo, s21
	s_xor_b32 s3, s20, -1
	s_and_b32 s4, exec_lo, s4
	v_mov_b32_e32 v3, v8
	s_or_b32 s18, s4, s18
	v_mov_b32_e32 v1, v7
	s_andn2_b32 s4, s19, exec_lo
	s_and_b32 s3, s3, exec_lo
	s_or_b32 s19, s4, s3
	s_andn2_b32 exec_lo, exec_lo, s18
	s_cbranch_execz .LBB26_454
.LBB26_442:                             ; =>This Inner Loop Header: Depth=1
	v_add_nc_u32_e32 v7, s44, v1
	v_mov_b32_e32 v8, 0
	s_mov_b32 s4, exec_lo
	v_cmpx_gt_u32_e64 s36, v7
	s_cbranch_execz .LBB26_444
; %bb.443:                              ;   in Loop: Header=BB26_442 Depth=1
	global_load_ubyte v8, v5, s[42:43]
.LBB26_444:                             ;   in Loop: Header=BB26_442 Depth=1
	s_or_b32 exec_lo, exec_lo, s4
	s_waitcnt vmcnt(0)
	v_add_nc_u32_sdwa v12, sext(v3), v4 dst_sel:DWORD dst_unused:UNUSED_PAD src0_sel:BYTE_0 src1_sel:DWORD
	v_cmp_gt_u32_e64 s3, v12, v6
	v_cndmask_b32_e64 v13, 0, 1, s3
	v_cmp_lt_u32_e64 s3, v12, v6
	v_cndmask_b32_e64 v12, 0, 1, s3
	v_cmp_gt_u32_e64 s3, s36, v1
	v_cndmask_b32_e64 v12, v12, v13, s2
	v_and_b32_e32 v12, 1, v12
	v_cmp_eq_u32_e64 s4, 1, v12
	s_and_b32 s20, s3, s4
	v_cndmask_b32_e64 v12, 0, 1, s20
	v_cmp_ne_u32_e64 s3, 0, v12
	s_cmp_lg_u32 s3, 0
	s_cselect_b32 s4, -1, 0
	s_and_b32 s4, s0, s4
	s_and_saveexec_b32 s21, s4
	s_cbranch_execz .LBB26_448
; %bb.445:                              ;   in Loop: Header=BB26_442 Depth=1
	s_mov_b32 s24, exec_lo
	s_bcnt1_i32_b32 s22, s3
	s_waitcnt lgkmcnt(0)
	v_mbcnt_lo_u32_b32 v11, s24, 0
	s_mov_b32 s23, exec_lo
                                        ; implicit-def: $vgpr12
	v_cmpx_eq_u32_e32 0, v11
; %bb.446:                              ;   in Loop: Header=BB26_442 Depth=1
	s_bcnt1_i32_b32 s4, s24
	s_mul_i32 s4, s22, s4
	v_mov_b32_e32 v12, s4
	ds_add_rtn_u32 v12, v2, v12 offset:4108
; %bb.447:                              ;   in Loop: Header=BB26_442 Depth=1
	s_or_b32 exec_lo, exec_lo, s23
	s_waitcnt lgkmcnt(0)
	v_readfirstlane_b32 s4, v12
	v_mad_u32_u24 v11, s22, v11, s4
.LBB26_448:                             ;   in Loop: Header=BB26_442 Depth=1
	s_or_b32 exec_lo, exec_lo, s21
	s_waitcnt lgkmcnt(0)
	ds_bpermute_b32 v11, v2, v11
	s_mov_b32 s4, -1
	s_mov_b32 s22, -1
	s_and_saveexec_b32 s21, s20
	s_cbranch_execz .LBB26_452
; %bb.449:                              ;   in Loop: Header=BB26_442 Depth=1
	v_and_b32_e32 v12, s3, v15
	s_mov_b32 s20, 0
	s_mov_b32 s22, exec_lo
	s_waitcnt lgkmcnt(0)
	v_bcnt_u32_b32 v12, v12, v11
	v_cmpx_gt_u32_e64 s37, v12
; %bb.450:                              ;   in Loop: Header=BB26_442 Depth=1
	v_mul_lo_u32 v13, v12, s13
	v_mov_b32_e32 v14, v2
	v_mul_lo_u32 v16, v12, s12
	s_mov_b32 s20, exec_lo
	v_lshlrev_b64 v[13:14], 3, v[13:14]
	v_add_co_u32 v12, s3, s15, v13
	v_add_co_ci_u32_e64 v13, null, s16, v14, s3
	global_store_byte v16, v3, s[6:7]
	global_store_dwordx2 v[12:13], v[1:2], off
; %bb.451:                              ;   in Loop: Header=BB26_442 Depth=1
	s_or_b32 exec_lo, exec_lo, s22
	s_orn2_b32 s22, s20, exec_lo
.LBB26_452:                             ;   in Loop: Header=BB26_442 Depth=1
	s_or_b32 exec_lo, exec_lo, s21
	s_mov_b32 s20, -1
	s_and_saveexec_b32 s21, s22
	s_cbranch_execz .LBB26_441
; %bb.453:                              ;   in Loop: Header=BB26_442 Depth=1
	v_cmp_le_u32_e64 s3, s14, v7
	v_add_nc_u32_e32 v5, s51, v5
	s_xor_b32 s20, exec_lo, -1
	s_orn2_b32 s4, s3, exec_lo
	s_branch .LBB26_441
.LBB26_454:
	s_or_b32 exec_lo, exec_lo, s18
	s_mov_b32 s3, exec_lo
	s_orn2_b32 s4, s19, exec_lo
	s_or_b32 exec_lo, exec_lo, s17
	s_and_saveexec_b32 s2, s4
	s_cbranch_execz .LBB26_431
.LBB26_455:
	v_mov_b32_e32 v6, 0
	s_waitcnt vmcnt(0) lgkmcnt(0)
	s_waitcnt_vscnt null, 0x0
	s_barrier
	buffer_gl0_inv
	s_and_saveexec_b32 s4, s1
	s_cbranch_execz .LBB26_457
; %bb.456:
	global_load_ubyte v6, v[9:10], off
.LBB26_457:
	s_or_b32 exec_lo, exec_lo, s4
	s_mov_b32 s1, 0
	s_and_saveexec_b32 s4, vcc_lo
	s_cbranch_execz .LBB26_477
; %bb.458:
	v_add_nc_u32_e32 v1, s44, v0
	s_mov_b32 s5, 0
                                        ; implicit-def: $sgpr17
                                        ; implicit-def: $vgpr5
	v_mul_lo_u32 v2, s40, v1
	v_mov_b32_e32 v1, 0
	s_branch .LBB26_461
.LBB26_459:                             ;   in Loop: Header=BB26_461 Depth=1
	s_or_b32 exec_lo, exec_lo, s18
	s_orn2_b32 s20, s20, exec_lo
	s_orn2_b32 s19, s19, exec_lo
.LBB26_460:                             ;   in Loop: Header=BB26_461 Depth=1
	s_or_b32 exec_lo, exec_lo, s1
	s_xor_b32 s1, s20, -1
	s_and_b32 s18, exec_lo, s19
	v_mov_b32_e32 v0, v3
	s_or_b32 s5, s18, s5
	v_mov_b32_e32 v6, v4
	s_andn2_b32 s17, s17, exec_lo
	s_and_b32 s1, s1, exec_lo
	s_or_b32 s17, s17, s1
	s_andn2_b32 exec_lo, exec_lo, s5
	s_cbranch_execz .LBB26_475
.LBB26_461:                             ; =>This Inner Loop Header: Depth=1
	v_add_nc_u32_e32 v3, s44, v0
	v_mov_b32_e32 v4, 0
	s_mov_b32 s1, exec_lo
	v_cmpx_gt_u32_e64 s36, v3
	s_cbranch_execz .LBB26_463
; %bb.462:                              ;   in Loop: Header=BB26_461 Depth=1
	global_load_ubyte v4, v2, s[42:43]
.LBB26_463:                             ;   in Loop: Header=BB26_461 Depth=1
	s_or_b32 exec_lo, exec_lo, s1
	v_cmp_gt_u32_e32 vcc_lo, s36, v0
	s_waitcnt vmcnt(0)
	v_cmp_eq_u16_sdwa s1, v6, v34 src0_sel:BYTE_0 src1_sel:BYTE_0
	s_and_b32 s18, vcc_lo, s1
	v_cndmask_b32_e64 v6, 0, 1, s18
	v_cmp_ne_u32_e32 vcc_lo, 0, v6
	s_cmp_lg_u32 vcc_lo, 0
	s_cselect_b32 s1, -1, 0
	s_and_b32 s1, s0, s1
	s_and_saveexec_b32 s19, s1
	s_cbranch_execz .LBB26_467
; %bb.464:                              ;   in Loop: Header=BB26_461 Depth=1
	s_mov_b32 s22, exec_lo
	s_bcnt1_i32_b32 s20, vcc_lo
	v_mbcnt_lo_u32_b32 v5, s22, 0
	s_mov_b32 s21, exec_lo
                                        ; implicit-def: $vgpr6
	v_cmpx_eq_u32_e32 0, v5
; %bb.465:                              ;   in Loop: Header=BB26_461 Depth=1
	s_bcnt1_i32_b32 s1, s22
	s_mul_i32 s1, s20, s1
	v_mov_b32_e32 v6, s1
	ds_add_rtn_u32 v6, v1, v6 offset:4108
; %bb.466:                              ;   in Loop: Header=BB26_461 Depth=1
	s_or_b32 exec_lo, exec_lo, s21
	s_waitcnt lgkmcnt(0)
	v_readfirstlane_b32 s1, v6
	v_mad_u32_u24 v5, s20, v5, s1
.LBB26_467:                             ;   in Loop: Header=BB26_461 Depth=1
	s_or_b32 exec_lo, exec_lo, s19
	ds_bpermute_b32 v5, v1, v5
	s_cmp_eq_u32 vcc_lo, 0
	s_mov_b32 s19, -1
	s_cselect_b32 s20, -1, 0
	s_waitcnt lgkmcnt(0)
	v_cmp_gt_u32_e64 s1, s37, v5
	s_or_b32 s21, s20, s1
	s_mov_b32 s20, -1
	s_and_saveexec_b32 s1, s21
	s_cbranch_execz .LBB26_460
; %bb.468:                              ;   in Loop: Header=BB26_461 Depth=1
	v_and_b32_e32 v6, vcc_lo, v15
	v_sub_nc_u32_e32 v7, s37, v5
	s_mov_b32 s21, -1
	v_bcnt_u32_b32 v6, v6, 0
	v_bcnt_u32_b32 v6, 0, v6
	v_cmp_gt_u32_e32 vcc_lo, v7, v6
	s_and_b32 s22, s18, vcc_lo
	s_and_saveexec_b32 s18, s22
	s_cbranch_execz .LBB26_472
; %bb.469:                              ;   in Loop: Header=BB26_461 Depth=1
	v_add_nc_u32_e32 v6, v5, v6
	s_mov_b32 s21, 0
	s_mov_b32 s20, exec_lo
	v_cmpx_gt_u32_e64 s37, v6
; %bb.470:                              ;   in Loop: Header=BB26_461 Depth=1
	v_mul_lo_u32 v7, v6, s13
	v_mov_b32_e32 v8, v1
	v_mul_lo_u32 v9, v6, s12
	s_mov_b32 s21, exec_lo
	v_lshlrev_b64 v[7:8], 3, v[7:8]
	v_add_co_u32 v6, vcc_lo, s15, v7
	v_add_co_ci_u32_e64 v7, null, s16, v8, vcc_lo
	global_store_byte v9, v34, s[6:7]
	global_store_dwordx2 v[6:7], v[0:1], off
; %bb.471:                              ;   in Loop: Header=BB26_461 Depth=1
	s_or_b32 exec_lo, exec_lo, s20
	s_xor_b32 s20, exec_lo, -1
	s_orn2_b32 s21, s21, exec_lo
.LBB26_472:                             ;   in Loop: Header=BB26_461 Depth=1
	s_or_b32 exec_lo, exec_lo, s18
	s_and_saveexec_b32 s18, s21
	s_cbranch_execz .LBB26_459
; %bb.473:                              ;   in Loop: Header=BB26_461 Depth=1
	v_cmp_le_u32_e32 vcc_lo, s14, v3
	v_add_nc_u32_e32 v2, s51, v2
	s_or_b32 s20, s20, exec_lo
	s_orn2_b32 s19, vcc_lo, exec_lo
	s_branch .LBB26_459
.LBB26_474:
	s_or_b32 s10, s10, exec_lo
	s_trap 2
	s_branch .LBB26_438
.LBB26_475:
	s_or_b32 exec_lo, exec_lo, s5
	s_mov_b32 s0, 0
	s_and_saveexec_b32 s1, s17
	s_xor_b32 s1, exec_lo, s1
	s_cbranch_execnz .LBB26_481
.LBB26_476:
	s_or_b32 exec_lo, exec_lo, s1
	s_and_b32 s1, s0, exec_lo
.LBB26_477:
	s_or_b32 exec_lo, exec_lo, s4
	s_and_b32 s5, s1, exec_lo
	s_andn2_b32 s3, s3, exec_lo
	s_or_b32 exec_lo, exec_lo, s2
	s_and_saveexec_b32 s0, s3
	s_xor_b32 s0, exec_lo, s0
	s_cbranch_execz .LBB26_432
.LBB26_478:
	s_or_b32 s5, s5, exec_lo
	s_trap 2
	s_branch .LBB26_432
.LBB26_479:
	s_or_b32 s11, s11, exec_lo
	s_trap 2
	s_branch .LBB26_436
.LBB26_480:
	s_or_b32 s12, s12, exec_lo
	s_trap 2
	s_branch .LBB26_434
.LBB26_481:
	s_mov_b32 s0, exec_lo
	s_trap 2
	s_branch .LBB26_476
	.section	.rodata,"a",@progbits
	.p2align	6, 0x0
	.amdhsa_kernel _ZN2at6native6sbtopk10gatherTopKIajLin1ELb0EEEvNS_4cuda6detail10TensorInfoIKT_T0_EES8_S8_bS8_S8_NS5_IS6_S8_EES8_NS5_IlS8_EES8_PS6_
		.amdhsa_group_segment_fixed_size 4112
		.amdhsa_private_segment_fixed_size 0
		.amdhsa_kernarg_size 952
		.amdhsa_user_sgpr_count 6
		.amdhsa_user_sgpr_private_segment_buffer 1
		.amdhsa_user_sgpr_dispatch_ptr 0
		.amdhsa_user_sgpr_queue_ptr 0
		.amdhsa_user_sgpr_kernarg_segment_ptr 1
		.amdhsa_user_sgpr_dispatch_id 0
		.amdhsa_user_sgpr_flat_scratch_init 0
		.amdhsa_user_sgpr_private_segment_size 0
		.amdhsa_wavefront_size32 1
		.amdhsa_uses_dynamic_stack 0
		.amdhsa_system_sgpr_private_segment_wavefront_offset 0
		.amdhsa_system_sgpr_workgroup_id_x 1
		.amdhsa_system_sgpr_workgroup_id_y 1
		.amdhsa_system_sgpr_workgroup_id_z 1
		.amdhsa_system_sgpr_workgroup_info 0
		.amdhsa_system_vgpr_workitem_id 0
		.amdhsa_next_free_vgpr 69
		.amdhsa_next_free_sgpr 98
		.amdhsa_reserve_vcc 1
		.amdhsa_reserve_flat_scratch 0
		.amdhsa_float_round_mode_32 0
		.amdhsa_float_round_mode_16_64 0
		.amdhsa_float_denorm_mode_32 3
		.amdhsa_float_denorm_mode_16_64 3
		.amdhsa_dx10_clamp 1
		.amdhsa_ieee_mode 1
		.amdhsa_fp16_overflow 0
		.amdhsa_workgroup_processor_mode 1
		.amdhsa_memory_ordered 1
		.amdhsa_forward_progress 1
		.amdhsa_shared_vgpr_count 0
		.amdhsa_exception_fp_ieee_invalid_op 0
		.amdhsa_exception_fp_denorm_src 0
		.amdhsa_exception_fp_ieee_div_zero 0
		.amdhsa_exception_fp_ieee_overflow 0
		.amdhsa_exception_fp_ieee_underflow 0
		.amdhsa_exception_fp_ieee_inexact 0
		.amdhsa_exception_int_div_zero 0
	.end_amdhsa_kernel
	.section	.text._ZN2at6native6sbtopk10gatherTopKIajLin1ELb0EEEvNS_4cuda6detail10TensorInfoIKT_T0_EES8_S8_bS8_S8_NS5_IS6_S8_EES8_NS5_IlS8_EES8_PS6_,"axG",@progbits,_ZN2at6native6sbtopk10gatherTopKIajLin1ELb0EEEvNS_4cuda6detail10TensorInfoIKT_T0_EES8_S8_bS8_S8_NS5_IS6_S8_EES8_NS5_IlS8_EES8_PS6_,comdat
.Lfunc_end26:
	.size	_ZN2at6native6sbtopk10gatherTopKIajLin1ELb0EEEvNS_4cuda6detail10TensorInfoIKT_T0_EES8_S8_bS8_S8_NS5_IS6_S8_EES8_NS5_IlS8_EES8_PS6_, .Lfunc_end26-_ZN2at6native6sbtopk10gatherTopKIajLin1ELb0EEEvNS_4cuda6detail10TensorInfoIKT_T0_EES8_S8_bS8_S8_NS5_IS6_S8_EES8_NS5_IlS8_EES8_PS6_
                                        ; -- End function
	.set _ZN2at6native6sbtopk10gatherTopKIajLin1ELb0EEEvNS_4cuda6detail10TensorInfoIKT_T0_EES8_S8_bS8_S8_NS5_IS6_S8_EES8_NS5_IlS8_EES8_PS6_.num_vgpr, 69
	.set _ZN2at6native6sbtopk10gatherTopKIajLin1ELb0EEEvNS_4cuda6detail10TensorInfoIKT_T0_EES8_S8_bS8_S8_NS5_IS6_S8_EES8_NS5_IlS8_EES8_PS6_.num_agpr, 0
	.set _ZN2at6native6sbtopk10gatherTopKIajLin1ELb0EEEvNS_4cuda6detail10TensorInfoIKT_T0_EES8_S8_bS8_S8_NS5_IS6_S8_EES8_NS5_IlS8_EES8_PS6_.numbered_sgpr, 98
	.set _ZN2at6native6sbtopk10gatherTopKIajLin1ELb0EEEvNS_4cuda6detail10TensorInfoIKT_T0_EES8_S8_bS8_S8_NS5_IS6_S8_EES8_NS5_IlS8_EES8_PS6_.num_named_barrier, 0
	.set _ZN2at6native6sbtopk10gatherTopKIajLin1ELb0EEEvNS_4cuda6detail10TensorInfoIKT_T0_EES8_S8_bS8_S8_NS5_IS6_S8_EES8_NS5_IlS8_EES8_PS6_.private_seg_size, 0
	.set _ZN2at6native6sbtopk10gatherTopKIajLin1ELb0EEEvNS_4cuda6detail10TensorInfoIKT_T0_EES8_S8_bS8_S8_NS5_IS6_S8_EES8_NS5_IlS8_EES8_PS6_.uses_vcc, 1
	.set _ZN2at6native6sbtopk10gatherTopKIajLin1ELb0EEEvNS_4cuda6detail10TensorInfoIKT_T0_EES8_S8_bS8_S8_NS5_IS6_S8_EES8_NS5_IlS8_EES8_PS6_.uses_flat_scratch, 0
	.set _ZN2at6native6sbtopk10gatherTopKIajLin1ELb0EEEvNS_4cuda6detail10TensorInfoIKT_T0_EES8_S8_bS8_S8_NS5_IS6_S8_EES8_NS5_IlS8_EES8_PS6_.has_dyn_sized_stack, 0
	.set _ZN2at6native6sbtopk10gatherTopKIajLin1ELb0EEEvNS_4cuda6detail10TensorInfoIKT_T0_EES8_S8_bS8_S8_NS5_IS6_S8_EES8_NS5_IlS8_EES8_PS6_.has_recursion, 0
	.set _ZN2at6native6sbtopk10gatherTopKIajLin1ELb0EEEvNS_4cuda6detail10TensorInfoIKT_T0_EES8_S8_bS8_S8_NS5_IS6_S8_EES8_NS5_IlS8_EES8_PS6_.has_indirect_call, 0
	.section	.AMDGPU.csdata,"",@progbits
; Kernel info:
; codeLenInByte = 15904
; TotalNumSgprs: 100
; NumVgprs: 69
; ScratchSize: 0
; MemoryBound: 0
; FloatMode: 240
; IeeeMode: 1
; LDSByteSize: 4112 bytes/workgroup (compile time only)
; SGPRBlocks: 0
; VGPRBlocks: 8
; NumSGPRsForWavesPerEU: 100
; NumVGPRsForWavesPerEU: 69
; Occupancy: 12
; WaveLimiterHint : 1
; COMPUTE_PGM_RSRC2:SCRATCH_EN: 0
; COMPUTE_PGM_RSRC2:USER_SGPR: 6
; COMPUTE_PGM_RSRC2:TRAP_HANDLER: 0
; COMPUTE_PGM_RSRC2:TGID_X_EN: 1
; COMPUTE_PGM_RSRC2:TGID_Y_EN: 1
; COMPUTE_PGM_RSRC2:TGID_Z_EN: 1
; COMPUTE_PGM_RSRC2:TIDIG_COMP_CNT: 0
	.section	.text._ZN2at6native6mbtopk23computeBlockDigitCountsIijjLi1EEEvNS_4cuda6detail10TensorInfoIKT_T0_EEjPjjS8_iijT1_PSB_Ps,"axG",@progbits,_ZN2at6native6mbtopk23computeBlockDigitCountsIijjLi1EEEvNS_4cuda6detail10TensorInfoIKT_T0_EEjPjjS8_iijT1_PSB_Ps,comdat
	.protected	_ZN2at6native6mbtopk23computeBlockDigitCountsIijjLi1EEEvNS_4cuda6detail10TensorInfoIKT_T0_EEjPjjS8_iijT1_PSB_Ps ; -- Begin function _ZN2at6native6mbtopk23computeBlockDigitCountsIijjLi1EEEvNS_4cuda6detail10TensorInfoIKT_T0_EEjPjjS8_iijT1_PSB_Ps
	.globl	_ZN2at6native6mbtopk23computeBlockDigitCountsIijjLi1EEEvNS_4cuda6detail10TensorInfoIKT_T0_EEjPjjS8_iijT1_PSB_Ps
	.p2align	8
	.type	_ZN2at6native6mbtopk23computeBlockDigitCountsIijjLi1EEEvNS_4cuda6detail10TensorInfoIKT_T0_EEjPjjS8_iijT1_PSB_Ps,@function
_ZN2at6native6mbtopk23computeBlockDigitCountsIijjLi1EEEvNS_4cuda6detail10TensorInfoIKT_T0_EEjPjjS8_iijT1_PSB_Ps: ; @_ZN2at6native6mbtopk23computeBlockDigitCountsIijjLi1EEEvNS_4cuda6detail10TensorInfoIKT_T0_EEjPjjS8_iijT1_PSB_Ps
; %bb.0:
	s_clause 0x2
	s_load_dwordx2 s[10:11], s[4:5], 0xf8
	s_load_dwordx4 s[12:15], s[4:5], 0xe8
	s_load_dwordx2 s[0:1], s[4:5], 0x110
	s_waitcnt lgkmcnt(0)
	v_cvt_f32_u32_e32 v1, s10
	s_sub_i32 s3, 0, s10
	s_mul_i32 s1, s1, s8
	s_add_i32 s1, s1, s7
	v_rcp_iflag_f32_e32 v1, v1
	s_mul_i32 s16, s1, s0
	s_mov_b32 s7, 0
	s_add_i32 s16, s16, s6
	v_mul_f32_e32 v1, 0x4f7ffffe, v1
	v_cvt_u32_f32_e32 v1, v1
	v_readfirstlane_b32 s2, v1
	s_mul_i32 s3, s3, s2
	s_mul_hi_u32 s0, s2, s3
	s_add_i32 s2, s2, s0
	s_mul_hi_u32 s0, s16, s2
	s_mul_i32 s1, s0, s10
	s_add_i32 s2, s0, 1
	s_sub_i32 s1, s16, s1
	s_sub_i32 s3, s1, s10
	s_cmp_ge_u32 s1, s10
	s_cselect_b32 s0, s2, s0
	s_cselect_b32 s1, s3, s1
	s_add_i32 s2, s0, 1
	s_cmp_ge_u32 s1, s10
	s_cselect_b32 s6, s2, s0
	s_cmp_ge_u32 s6, s12
	s_cbranch_scc1 .LBB27_27
; %bb.1:
	s_load_dwordx4 s[0:3], s[4:5], 0x100
	s_lshl_b64 s[8:9], s[6:7], 2
	v_cmp_gt_u32_e32 vcc_lo, 0x100, v0
	v_lshlrev_b32_e32 v3, 2, v0
	s_waitcnt lgkmcnt(0)
	s_add_u32 s8, s0, s8
	s_addc_u32 s9, s1, s9
	s_and_saveexec_b32 s0, vcc_lo
; %bb.2:
	v_mov_b32_e32 v1, 0
	ds_write_b32 v3, v1
; %bb.3:
	s_or_b32 exec_lo, exec_lo, s0
	s_load_dword s7, s[4:5], 0xd8
	s_mul_i32 s0, s6, s10
	s_waitcnt lgkmcnt(0)
	s_sub_i32 s0, s16, s0
	s_barrier
	s_mul_i32 s1, s15, s0
	s_add_i32 s17, s0, 1
	s_lshl_b32 s12, s1, 8
	buffer_gl0_inv
	s_sub_i32 s1, s7, s12
	s_add_u32 s0, s1, 0xff
	s_addc_u32 s1, 0, 0
	s_lshr_b64 s[0:1], s[0:1], 8
	s_cmp_lt_u32 s17, s10
	s_mov_b32 s1, 0
	s_cselect_b32 s10, s15, s0
	s_cmp_lt_i32 s10, 1
	s_cbranch_scc1 .LBB27_25
; %bb.4:
	s_clause 0x1
	s_load_dword s0, s[4:5], 0x6c
	s_load_dwordx2 s[18:19], s[4:5], 0x0
	s_load_dword s4, s[8:9], 0x0
	s_waitcnt lgkmcnt(0)
	s_mul_i32 s0, s0, s6
	s_lshl_b64 s[8:9], s[0:1], 2
	s_add_u32 s5, s18, s8
	s_addc_u32 s6, s19, s9
	s_and_b32 s8, s14, 0xff
	s_cmp_lt_u32 s10, 4
	s_cbranch_scc1 .LBB27_19
; %bb.5:
	v_add_nc_u32_e32 v1, s12, v0
	v_mov_b32_e32 v9, 1
	s_and_b32 s1, s10, 0x7ffffffc
	s_lshl_b32 s9, s13, 10
	s_mov_b32 s14, 0
	v_add_nc_u32_e32 v4, 0x300, v1
	v_add_nc_u32_e32 v2, 0x200, v1
	;; [unrolled: 1-line block ×3, first 2 shown]
	v_mul_lo_u32 v8, s13, v1
	s_mov_b32 s15, 0
	v_mul_lo_u32 v5, s13, v4
	v_mul_lo_u32 v6, s13, v2
	;; [unrolled: 1-line block ×3, first 2 shown]
	v_mov_b32_e32 v2, 0
	s_branch .LBB27_7
.LBB27_6:                               ;   in Loop: Header=BB27_7 Depth=1
	s_or_b32 exec_lo, exec_lo, s17
	v_add_nc_u32_e32 v4, 0x400, v4
	s_add_i32 s15, s15, 4
	s_add_i32 s14, s14, s9
	s_cmp_eq_u32 s1, s15
	s_cbranch_scc1 .LBB27_19
.LBB27_7:                               ; =>This Inner Loop Header: Depth=1
	v_add_nc_u32_e32 v1, 0xfffffd00, v4
	s_mov_b32 s17, exec_lo
	v_cmpx_gt_u32_e64 s7, v1
	s_cbranch_execz .LBB27_10
; %bb.8:                                ;   in Loop: Header=BB27_7 Depth=1
	v_add_nc_u32_e32 v1, s14, v8
	v_lshlrev_b64 v[10:11], 2, v[1:2]
	v_add_co_u32 v10, s0, s5, v10
	v_add_co_ci_u32_e64 v11, null, s6, v11, s0
	global_load_dword v1, v[10:11], off
	s_waitcnt vmcnt(0)
	v_xor_b32_e32 v1, 0x80000000, v1
	v_xor_b32_e32 v10, s4, v1
	v_and_b32_e32 v10, s11, v10
	v_cmp_eq_u32_e64 s0, 0, v10
	s_and_b32 exec_lo, exec_lo, s0
; %bb.9:                                ;   in Loop: Header=BB27_7 Depth=1
	v_bfe_u32 v1, v1, s8, 8
	v_lshlrev_b32_e32 v1, 2, v1
	ds_add_u32 v1, v9
.LBB27_10:                              ;   in Loop: Header=BB27_7 Depth=1
	s_or_b32 exec_lo, exec_lo, s17
	v_add_nc_u32_e32 v1, 0xfffffe00, v4
	s_mov_b32 s17, exec_lo
	v_cmpx_gt_u32_e64 s7, v1
	s_cbranch_execz .LBB27_13
; %bb.11:                               ;   in Loop: Header=BB27_7 Depth=1
	v_add_nc_u32_e32 v1, s14, v7
	v_lshlrev_b64 v[10:11], 2, v[1:2]
	v_add_co_u32 v10, s0, s5, v10
	v_add_co_ci_u32_e64 v11, null, s6, v11, s0
	global_load_dword v1, v[10:11], off
	s_waitcnt vmcnt(0)
	v_xor_b32_e32 v1, 0x80000000, v1
	v_xor_b32_e32 v10, s4, v1
	v_and_b32_e32 v10, s11, v10
	v_cmp_eq_u32_e64 s0, 0, v10
	s_and_b32 exec_lo, exec_lo, s0
; %bb.12:                               ;   in Loop: Header=BB27_7 Depth=1
	v_bfe_u32 v1, v1, s8, 8
	v_lshlrev_b32_e32 v1, 2, v1
	ds_add_u32 v1, v9
.LBB27_13:                              ;   in Loop: Header=BB27_7 Depth=1
	s_or_b32 exec_lo, exec_lo, s17
	v_add_nc_u32_e32 v1, 0xffffff00, v4
	s_mov_b32 s17, exec_lo
	v_cmpx_gt_u32_e64 s7, v1
	s_cbranch_execz .LBB27_16
; %bb.14:                               ;   in Loop: Header=BB27_7 Depth=1
	v_add_nc_u32_e32 v1, s14, v6
	v_lshlrev_b64 v[10:11], 2, v[1:2]
	v_add_co_u32 v10, s0, s5, v10
	v_add_co_ci_u32_e64 v11, null, s6, v11, s0
	global_load_dword v1, v[10:11], off
	s_waitcnt vmcnt(0)
	v_xor_b32_e32 v1, 0x80000000, v1
	v_xor_b32_e32 v10, s4, v1
	v_and_b32_e32 v10, s11, v10
	v_cmp_eq_u32_e64 s0, 0, v10
	s_and_b32 exec_lo, exec_lo, s0
; %bb.15:                               ;   in Loop: Header=BB27_7 Depth=1
	v_bfe_u32 v1, v1, s8, 8
	v_lshlrev_b32_e32 v1, 2, v1
	ds_add_u32 v1, v9
.LBB27_16:                              ;   in Loop: Header=BB27_7 Depth=1
	s_or_b32 exec_lo, exec_lo, s17
	s_mov_b32 s17, exec_lo
	v_cmpx_gt_u32_e64 s7, v4
	s_cbranch_execz .LBB27_6
; %bb.17:                               ;   in Loop: Header=BB27_7 Depth=1
	v_add_nc_u32_e32 v1, s14, v5
	v_lshlrev_b64 v[10:11], 2, v[1:2]
	v_add_co_u32 v10, s0, s5, v10
	v_add_co_ci_u32_e64 v11, null, s6, v11, s0
	global_load_dword v1, v[10:11], off
	s_waitcnt vmcnt(0)
	v_xor_b32_e32 v1, 0x80000000, v1
	v_xor_b32_e32 v10, s4, v1
	v_and_b32_e32 v10, s11, v10
	v_cmp_eq_u32_e64 s0, 0, v10
	s_and_b32 exec_lo, exec_lo, s0
	s_cbranch_execz .LBB27_6
; %bb.18:                               ;   in Loop: Header=BB27_7 Depth=1
	v_bfe_u32 v1, v1, s8, 8
	v_lshlrev_b32_e32 v1, 2, v1
	ds_add_u32 v1, v9
	s_branch .LBB27_6
.LBB27_19:
	s_and_b32 s9, s10, 3
	s_cmp_eq_u32 s9, 0
	s_cbranch_scc1 .LBB27_25
; %bb.20:
	s_lshl_b32 s0, s1, 8
	v_mov_b32_e32 v2, 0
	v_add3_u32 v4, s0, s12, v0
	v_mov_b32_e32 v5, 1
	s_lshl_b32 s1, s13, 8
	v_mul_lo_u32 v1, s13, v4
	s_inst_prefetch 0x1
	s_branch .LBB27_22
	.p2align	6
.LBB27_21:                              ;   in Loop: Header=BB27_22 Depth=1
	s_or_b32 exec_lo, exec_lo, s10
	v_add_nc_u32_e32 v1, s1, v1
	v_add_nc_u32_e32 v4, 0x100, v4
	s_add_i32 s9, s9, -1
	s_cmp_lg_u32 s9, 0
	s_cbranch_scc0 .LBB27_25
.LBB27_22:                              ; =>This Inner Loop Header: Depth=1
	s_mov_b32 s10, exec_lo
	v_cmpx_gt_u32_e64 s7, v4
	s_cbranch_execz .LBB27_21
; %bb.23:                               ;   in Loop: Header=BB27_22 Depth=1
	v_lshlrev_b64 v[6:7], 2, v[1:2]
	v_add_co_u32 v6, s0, s5, v6
	v_add_co_ci_u32_e64 v7, null, s6, v7, s0
	global_load_dword v6, v[6:7], off
	s_waitcnt vmcnt(0)
	v_xor_b32_e32 v6, 0x80000000, v6
	v_xor_b32_e32 v7, s4, v6
	v_and_b32_e32 v7, s11, v7
	v_cmp_eq_u32_e64 s0, 0, v7
	s_and_b32 exec_lo, exec_lo, s0
	s_cbranch_execz .LBB27_21
; %bb.24:                               ;   in Loop: Header=BB27_22 Depth=1
	v_bfe_u32 v6, v6, s8, 8
	v_lshlrev_b32_e32 v6, 2, v6
	ds_add_u32 v6, v5
	s_branch .LBB27_21
.LBB27_25:
	s_inst_prefetch 0x2
	s_waitcnt lgkmcnt(0)
	s_barrier
	buffer_gl0_inv
	s_and_saveexec_b32 s0, vcc_lo
	s_cbranch_execz .LBB27_27
; %bb.26:
	ds_read_b32 v2, v3
	v_lshl_or_b32 v0, s16, 8, v0
	v_mov_b32_e32 v1, 0
	v_lshlrev_b64 v[0:1], 1, v[0:1]
	v_add_co_u32 v0, vcc_lo, s2, v0
	v_add_co_ci_u32_e64 v1, null, s3, v1, vcc_lo
	s_waitcnt lgkmcnt(0)
	global_store_short v[0:1], v2, off
.LBB27_27:
	s_endpgm
	.section	.rodata,"a",@progbits
	.p2align	6, 0x0
	.amdhsa_kernel _ZN2at6native6mbtopk23computeBlockDigitCountsIijjLi1EEEvNS_4cuda6detail10TensorInfoIKT_T0_EEjPjjS8_iijT1_PSB_Ps
		.amdhsa_group_segment_fixed_size 1024
		.amdhsa_private_segment_fixed_size 0
		.amdhsa_kernarg_size 528
		.amdhsa_user_sgpr_count 6
		.amdhsa_user_sgpr_private_segment_buffer 1
		.amdhsa_user_sgpr_dispatch_ptr 0
		.amdhsa_user_sgpr_queue_ptr 0
		.amdhsa_user_sgpr_kernarg_segment_ptr 1
		.amdhsa_user_sgpr_dispatch_id 0
		.amdhsa_user_sgpr_flat_scratch_init 0
		.amdhsa_user_sgpr_private_segment_size 0
		.amdhsa_wavefront_size32 1
		.amdhsa_uses_dynamic_stack 0
		.amdhsa_system_sgpr_private_segment_wavefront_offset 0
		.amdhsa_system_sgpr_workgroup_id_x 1
		.amdhsa_system_sgpr_workgroup_id_y 1
		.amdhsa_system_sgpr_workgroup_id_z 1
		.amdhsa_system_sgpr_workgroup_info 0
		.amdhsa_system_vgpr_workitem_id 0
		.amdhsa_next_free_vgpr 12
		.amdhsa_next_free_sgpr 20
		.amdhsa_reserve_vcc 1
		.amdhsa_reserve_flat_scratch 0
		.amdhsa_float_round_mode_32 0
		.amdhsa_float_round_mode_16_64 0
		.amdhsa_float_denorm_mode_32 3
		.amdhsa_float_denorm_mode_16_64 3
		.amdhsa_dx10_clamp 1
		.amdhsa_ieee_mode 1
		.amdhsa_fp16_overflow 0
		.amdhsa_workgroup_processor_mode 1
		.amdhsa_memory_ordered 1
		.amdhsa_forward_progress 1
		.amdhsa_shared_vgpr_count 0
		.amdhsa_exception_fp_ieee_invalid_op 0
		.amdhsa_exception_fp_denorm_src 0
		.amdhsa_exception_fp_ieee_div_zero 0
		.amdhsa_exception_fp_ieee_overflow 0
		.amdhsa_exception_fp_ieee_underflow 0
		.amdhsa_exception_fp_ieee_inexact 0
		.amdhsa_exception_int_div_zero 0
	.end_amdhsa_kernel
	.section	.text._ZN2at6native6mbtopk23computeBlockDigitCountsIijjLi1EEEvNS_4cuda6detail10TensorInfoIKT_T0_EEjPjjS8_iijT1_PSB_Ps,"axG",@progbits,_ZN2at6native6mbtopk23computeBlockDigitCountsIijjLi1EEEvNS_4cuda6detail10TensorInfoIKT_T0_EEjPjjS8_iijT1_PSB_Ps,comdat
.Lfunc_end27:
	.size	_ZN2at6native6mbtopk23computeBlockDigitCountsIijjLi1EEEvNS_4cuda6detail10TensorInfoIKT_T0_EEjPjjS8_iijT1_PSB_Ps, .Lfunc_end27-_ZN2at6native6mbtopk23computeBlockDigitCountsIijjLi1EEEvNS_4cuda6detail10TensorInfoIKT_T0_EEjPjjS8_iijT1_PSB_Ps
                                        ; -- End function
	.set _ZN2at6native6mbtopk23computeBlockDigitCountsIijjLi1EEEvNS_4cuda6detail10TensorInfoIKT_T0_EEjPjjS8_iijT1_PSB_Ps.num_vgpr, 12
	.set _ZN2at6native6mbtopk23computeBlockDigitCountsIijjLi1EEEvNS_4cuda6detail10TensorInfoIKT_T0_EEjPjjS8_iijT1_PSB_Ps.num_agpr, 0
	.set _ZN2at6native6mbtopk23computeBlockDigitCountsIijjLi1EEEvNS_4cuda6detail10TensorInfoIKT_T0_EEjPjjS8_iijT1_PSB_Ps.numbered_sgpr, 20
	.set _ZN2at6native6mbtopk23computeBlockDigitCountsIijjLi1EEEvNS_4cuda6detail10TensorInfoIKT_T0_EEjPjjS8_iijT1_PSB_Ps.num_named_barrier, 0
	.set _ZN2at6native6mbtopk23computeBlockDigitCountsIijjLi1EEEvNS_4cuda6detail10TensorInfoIKT_T0_EEjPjjS8_iijT1_PSB_Ps.private_seg_size, 0
	.set _ZN2at6native6mbtopk23computeBlockDigitCountsIijjLi1EEEvNS_4cuda6detail10TensorInfoIKT_T0_EEjPjjS8_iijT1_PSB_Ps.uses_vcc, 1
	.set _ZN2at6native6mbtopk23computeBlockDigitCountsIijjLi1EEEvNS_4cuda6detail10TensorInfoIKT_T0_EEjPjjS8_iijT1_PSB_Ps.uses_flat_scratch, 0
	.set _ZN2at6native6mbtopk23computeBlockDigitCountsIijjLi1EEEvNS_4cuda6detail10TensorInfoIKT_T0_EEjPjjS8_iijT1_PSB_Ps.has_dyn_sized_stack, 0
	.set _ZN2at6native6mbtopk23computeBlockDigitCountsIijjLi1EEEvNS_4cuda6detail10TensorInfoIKT_T0_EEjPjjS8_iijT1_PSB_Ps.has_recursion, 0
	.set _ZN2at6native6mbtopk23computeBlockDigitCountsIijjLi1EEEvNS_4cuda6detail10TensorInfoIKT_T0_EEjPjjS8_iijT1_PSB_Ps.has_indirect_call, 0
	.section	.AMDGPU.csdata,"",@progbits
; Kernel info:
; codeLenInByte = 1248
; TotalNumSgprs: 22
; NumVgprs: 12
; ScratchSize: 0
; MemoryBound: 0
; FloatMode: 240
; IeeeMode: 1
; LDSByteSize: 1024 bytes/workgroup (compile time only)
; SGPRBlocks: 0
; VGPRBlocks: 1
; NumSGPRsForWavesPerEU: 22
; NumVGPRsForWavesPerEU: 12
; Occupancy: 16
; WaveLimiterHint : 1
; COMPUTE_PGM_RSRC2:SCRATCH_EN: 0
; COMPUTE_PGM_RSRC2:USER_SGPR: 6
; COMPUTE_PGM_RSRC2:TRAP_HANDLER: 0
; COMPUTE_PGM_RSRC2:TGID_X_EN: 1
; COMPUTE_PGM_RSRC2:TGID_Y_EN: 1
; COMPUTE_PGM_RSRC2:TGID_Z_EN: 1
; COMPUTE_PGM_RSRC2:TIDIG_COMP_CNT: 0
	.section	.text._ZN2at6native6mbtopk29computeBlockwiseWithinKCountsIjiEEvPT_PsPjjibS6_PT0_S6_S4_S6_j,"axG",@progbits,_ZN2at6native6mbtopk29computeBlockwiseWithinKCountsIjiEEvPT_PsPjjibS6_PT0_S6_S4_S6_j,comdat
	.protected	_ZN2at6native6mbtopk29computeBlockwiseWithinKCountsIjiEEvPT_PsPjjibS6_PT0_S6_S4_S6_j ; -- Begin function _ZN2at6native6mbtopk29computeBlockwiseWithinKCountsIjiEEvPT_PsPjjibS6_PT0_S6_S4_S6_j
	.globl	_ZN2at6native6mbtopk29computeBlockwiseWithinKCountsIjiEEvPT_PsPjjibS6_PT0_S6_S4_S6_j
	.p2align	8
	.type	_ZN2at6native6mbtopk29computeBlockwiseWithinKCountsIjiEEvPT_PsPjjibS6_PT0_S6_S4_S6_j,@function
_ZN2at6native6mbtopk29computeBlockwiseWithinKCountsIjiEEvPT_PsPjjibS6_PT0_S6_S4_S6_j: ; @_ZN2at6native6mbtopk29computeBlockwiseWithinKCountsIjiEEvPT_PsPjjibS6_PT0_S6_S4_S6_j
; %bb.0:
	s_clause 0x2
	s_load_dwordx4 s[16:19], s[4:5], 0x18
	s_load_dwordx2 s[0:1], s[4:5], 0x58
	s_load_dword s3, s[4:5], 0x50
	s_waitcnt lgkmcnt(0)
	v_cvt_f32_u32_e32 v1, s16
	s_mul_i32 s1, s1, s8
	s_add_i32 s1, s1, s7
	v_rcp_iflag_f32_e32 v1, v1
	s_mul_i32 s0, s1, s0
	s_add_i32 s2, s0, s6
	s_cmp_ge_u32 s2, s3
	v_mul_f32_e32 v1, 0x4f7ffffe, v1
	v_cvt_u32_f32_e32 v1, v1
	v_readfirstlane_b32 s0, v1
	s_cbranch_scc1 .LBB28_37
; %bb.1:
	s_sub_i32 s1, 0, s16
	v_cmp_gt_u32_e32 vcc_lo, 0x100, v0
	s_mul_i32 s1, s1, s0
	s_load_dwordx4 s[20:23], s[4:5], 0x0
	s_mul_hi_u32 s1, s0, s1
	s_add_i32 s3, s0, s1
	s_load_dwordx2 s[0:1], s[4:5], 0x10
	s_mul_hi_u32 s6, s2, s3
	s_mul_i32 s3, s6, s16
	s_add_i32 s8, s6, 1
	s_sub_i32 s7, s2, s3
	s_mov_b32 s3, 0
	s_sub_i32 s9, s7, s16
	s_cmp_ge_u32 s7, s16
	s_mov_b32 s25, s3
	s_cselect_b32 s6, s8, s6
	s_cselect_b32 s7, s9, s7
	s_add_i32 s8, s6, 1
	s_cmp_ge_u32 s7, s16
	s_cselect_b32 s24, s8, s6
	s_lshl_b64 s[6:7], s[24:25], 2
	s_waitcnt lgkmcnt(0)
	s_add_u32 s8, s0, s6
	s_addc_u32 s9, s1, s7
	s_and_saveexec_b32 s1, vcc_lo
	s_cbranch_execz .LBB28_8
; %bb.2:
	s_mul_i32 s0, s24, s16
	s_mov_b32 s11, s3
	s_lshl_b32 s10, s0, 8
	v_lshlrev_b32_e32 v1, 1, v0
	s_lshl_b64 s[10:11], s[10:11], 1
	v_mov_b32_e32 v3, 0
	s_add_u32 s0, s22, s10
	s_addc_u32 s10, s23, s11
	v_add_co_u32 v1, s0, s0, v1
	v_add_co_ci_u32_e64 v2, null, s10, 0, s0
	s_cmp_lt_u32 s16, 4
	s_cbranch_scc1 .LBB28_38
; %bb.3:
	v_mov_b32_e32 v3, 0
	s_mov_b32 s10, 0
	.p2align	6
.LBB28_4:                               ; =>This Inner Loop Header: Depth=1
	s_clause 0x3
	global_load_sshort v4, v[1:2], off
	global_load_sshort v5, v[1:2], off offset:512
	global_load_sshort v6, v[1:2], off offset:1024
	;; [unrolled: 1-line block ×3, first 2 shown]
	v_add_co_u32 v1, s0, 0x800, v1
	v_add_co_ci_u32_e64 v2, null, 0, v2, s0
	s_add_i32 s0, s10, 7
	s_add_i32 s10, s10, 4
	s_cmp_ge_u32 s0, s16
	s_waitcnt vmcnt(2)
	v_add3_u32 v3, v3, v4, v5
	s_waitcnt vmcnt(0)
	v_add3_u32 v3, v3, v6, v7
	s_cbranch_scc0 .LBB28_4
; %bb.5:
	s_cmp_ge_u32 s10, s16
	s_cbranch_scc1 .LBB28_7
.LBB28_6:                               ; =>This Inner Loop Header: Depth=1
	global_load_sshort v4, v[1:2], off
	v_add_co_u32 v1, s0, 0x200, v1
	v_add_co_ci_u32_e64 v2, null, 0, v2, s0
	s_add_i32 s10, s10, 1
	s_cmp_lt_u32 s10, s16
	s_waitcnt vmcnt(0)
	v_add_nc_u32_e32 v3, v3, v4
	s_cbranch_scc1 .LBB28_6
.LBB28_7:
	v_lshlrev_b32_e32 v1, 2, v0
	ds_write_b32 v1, v3 offset:1056
.LBB28_8:
	s_or_b32 exec_lo, exec_lo, s1
	s_load_dword s19, s[8:9], 0x0
	v_mov_b32_e32 v5, 0
	v_lshlrev_b32_e32 v1, 2, v0
	s_waitcnt lgkmcnt(0)
	s_barrier
	buffer_gl0_inv
	s_and_saveexec_b32 s0, vcc_lo
; %bb.9:
	ds_read_b32 v5, v1 offset:1056
; %bb.10:
	s_or_b32 exec_lo, exec_lo, s0
	v_lshrrev_b32_e32 v3, 5, v0
	v_cmp_gt_u32_e64 s0, 32, v0
	v_mbcnt_lo_u32_b32 v2, -1, 0
	v_lshl_add_u32 v4, v3, 2, v1
	s_waitcnt lgkmcnt(0)
	ds_write_b32 v4, v5
	s_waitcnt lgkmcnt(0)
	s_barrier
	buffer_gl0_inv
	s_and_saveexec_b32 s8, s0
	s_cbranch_execz .LBB28_12
; %bb.11:
	v_and_b32_e32 v6, 0xfc, v0
	v_lshl_add_u32 v14, v0, 5, v6
	ds_read2_b32 v[6:7], v14 offset1:1
	ds_read2_b32 v[8:9], v14 offset0:2 offset1:3
	ds_read2_b32 v[10:11], v14 offset0:4 offset1:5
	;; [unrolled: 1-line block ×3, first 2 shown]
	; wave barrier
	s_waitcnt lgkmcnt(3)
	v_add_nc_u32_e32 v7, v7, v6
	s_waitcnt lgkmcnt(2)
	v_add3_u32 v7, v7, v8, v9
	v_and_b32_e32 v8, 15, v2
	s_waitcnt lgkmcnt(1)
	v_add3_u32 v7, v7, v10, v11
	v_cmp_ne_u32_e64 s1, 0, v8
	v_bfe_i32 v10, v2, 4, 1
	s_waitcnt lgkmcnt(0)
	v_add3_u32 v7, v7, v12, v13
	v_mov_b32_dpp v9, v7 row_shr:1 row_mask:0xf bank_mask:0xf
	v_cndmask_b32_e64 v9, 0, v9, s1
	v_cmp_lt_u32_e64 s1, 1, v8
	v_add_nc_u32_e32 v7, v9, v7
	v_mov_b32_dpp v9, v7 row_shr:2 row_mask:0xf bank_mask:0xf
	v_cndmask_b32_e64 v9, 0, v9, s1
	v_cmp_lt_u32_e64 s1, 3, v8
	v_add_nc_u32_e32 v7, v7, v9
	;; [unrolled: 4-line block ×3, first 2 shown]
	v_mov_b32_dpp v9, v7 row_shr:8 row_mask:0xf bank_mask:0xf
	v_cndmask_b32_e64 v8, 0, v9, s1
	v_add_nc_u32_e32 v9, -1, v2
	v_add_nc_u32_e32 v7, v7, v8
	v_cmp_gt_i32_e64 s1, 0, v9
	ds_swizzle_b32 v8, v7 offset:swizzle(BROADCAST,32,15)
	v_cndmask_b32_e64 v9, v9, v2, s1
	v_cmp_eq_u32_e64 s1, 0, v0
	v_lshlrev_b32_e32 v9, 2, v9
	s_waitcnt lgkmcnt(0)
	v_and_b32_e32 v8, v10, v8
	v_add_nc_u32_e32 v7, v7, v8
	ds_bpermute_b32 v7, v9, v7
	s_waitcnt lgkmcnt(0)
	v_add_nc_u32_e32 v6, v7, v6
	v_cndmask_b32_e64 v11, v6, v5, s1
	ds_write_b32 v14, v11
	; wave barrier
	ds_read2_b32 v[5:6], v14 offset0:1 offset1:2
	ds_read2_b32 v[7:8], v14 offset0:3 offset1:4
	;; [unrolled: 1-line block ×3, first 2 shown]
	ds_read_b32 v12, v14 offset:28
	s_waitcnt lgkmcnt(3)
	v_add_nc_u32_e32 v5, v5, v11
	v_add_nc_u32_e32 v6, v6, v5
	s_waitcnt lgkmcnt(2)
	v_add_nc_u32_e32 v7, v7, v6
	v_add_nc_u32_e32 v8, v8, v7
	;; [unrolled: 3-line block ×3, first 2 shown]
	s_waitcnt lgkmcnt(0)
	v_add_nc_u32_e32 v11, v12, v10
	ds_write2_b32 v14, v5, v6 offset0:1 offset1:2
	ds_write2_b32 v14, v7, v8 offset0:3 offset1:4
	;; [unrolled: 1-line block ×3, first 2 shown]
	ds_write_b32 v14, v11 offset:28
.LBB28_12:
	s_or_b32 exec_lo, exec_lo, s8
	s_waitcnt lgkmcnt(0)
	s_barrier
	buffer_gl0_inv
	ds_read_b32 v5, v4
	s_waitcnt lgkmcnt(0)
	s_barrier
	buffer_gl0_inv
	s_and_saveexec_b32 s1, vcc_lo
; %bb.13:
	ds_write_b32 v1, v5 offset:1056
; %bb.14:
	s_or_b32 exec_lo, exec_lo, s1
	s_clause 0x1
	s_load_dwordx8 s[8:15], s[4:5], 0x28
	s_load_dwordx2 s[4:5], s[4:5], 0x48
	s_waitcnt lgkmcnt(0)
	s_barrier
	buffer_gl0_inv
	s_and_saveexec_b32 s25, vcc_lo
	s_cbranch_execz .LBB28_20
; %bb.15:
	v_mov_b32_e32 v4, 0
	s_mov_b32 s1, exec_lo
	v_cmpx_ne_u32_e32 0, v0
; %bb.16:
	ds_read_b32 v4, v1 offset:1052
; %bb.17:
	s_or_b32 exec_lo, exec_lo, s1
	s_waitcnt lgkmcnt(0)
	v_cmp_gt_u32_e32 vcc_lo, s19, v4
	v_cmp_le_u32_e64 s1, s19, v5
	s_and_b32 s1, vcc_lo, s1
	s_and_b32 exec_lo, exec_lo, s1
	s_cbranch_execz .LBB28_20
; %bb.18:
	v_mov_b32_e32 v5, 0
	s_add_u32 s20, s20, s6
	s_addc_u32 s21, s21, s7
	s_lshl_b32 s1, 0xff, s17
	v_not_b32_e32 v7, s1
	global_load_dword v6, v5, s[20:21]
	s_mul_i32 s1, s24, s16
	s_cmp_lg_u32 s2, s1
	s_waitcnt vmcnt(0)
	v_and_b32_e32 v6, v6, v7
	v_lshl_or_b32 v6, v0, s17, v6
	ds_write_b32 v5, v6 offset:2112
	s_cbranch_scc1 .LBB28_20
; %bb.19:
	s_add_u32 s14, s14, s6
	v_sub_nc_u32_e32 v4, s19, v4
	s_addc_u32 s15, s15, s7
	s_cmp_gt_i32 s17, 0
	s_cselect_b32 s1, -1, 0
	v_cndmask_b32_e64 v4, -v6, v4, s1
	s_and_b32 s1, s1, exec_lo
	s_cselect_b32 s1, s12, s10
	s_cselect_b32 s10, s13, s11
	s_add_u32 s6, s1, s6
	s_addc_u32 s7, s10, s7
	global_store_dword v5, v6, s[14:15]
	global_store_dword v5, v4, s[6:7]
.LBB28_20:
	s_or_b32 exec_lo, exec_lo, s25
	v_mov_b32_e32 v4, 0
	s_waitcnt lgkmcnt(0)
	s_waitcnt_vscnt null, 0x0
	s_barrier
	buffer_gl0_inv
	s_bitcmp0_b32 s18, 0
	ds_read_b32 v4, v4 offset:2112
	s_mov_b32 s1, 0
	s_waitcnt lgkmcnt(0)
	v_lshrrev_b32_e32 v4, s17, v4
	s_cbranch_scc0 .LBB28_22
; %bb.21:
	v_and_b32_e32 v5, 0xe0, v0
	v_cmp_lt_u32_sdwa s6, v0, v4 src0_sel:DWORD src1_sel:BYTE_0
	v_cmp_lt_u32_sdwa s7, v5, v4 src0_sel:DWORD src1_sel:BYTE_0
	s_andn2_b32 vcc_lo, exec_lo, s1
	s_cbranch_vccz .LBB28_23
	s_branch .LBB28_24
.LBB28_22:
                                        ; implicit-def: $sgpr6
                                        ; implicit-def: $sgpr7
.LBB28_23:
	v_or_b32_e32 v5, 31, v0
	v_cmp_gt_u32_sdwa s1, v0, v4 src0_sel:DWORD src1_sel:BYTE_0
	s_andn2_b32 s6, s6, exec_lo
	s_andn2_b32 s7, s7, exec_lo
	v_cmp_gt_u32_sdwa s10, v5, v4 src0_sel:DWORD src1_sel:BYTE_0
	s_and_b32 s1, s1, exec_lo
	s_or_b32 s6, s6, s1
	s_and_b32 s10, s10, exec_lo
	s_or_b32 s7, s7, s10
.LBB28_24:
	v_mov_b32_e32 v4, 0
	s_and_saveexec_b32 s1, s7
	s_cbranch_execz .LBB28_28
; %bb.25:
	v_mov_b32_e32 v4, 0
	s_and_saveexec_b32 s7, s6
	s_cbranch_execz .LBB28_27
; %bb.26:
	s_lshl_b32 s10, s2, 8
	s_mov_b32 s11, 0
	v_lshlrev_b32_e32 v4, 1, v0
	s_lshl_b64 s[10:11], s[10:11], 1
	s_add_u32 s10, s22, s10
	s_addc_u32 s11, s23, s11
	global_load_sshort v4, v4, s[10:11]
.LBB28_27:
	s_or_b32 exec_lo, exec_lo, s7
	v_lshl_or_b32 v5, v2, 2, 64
	v_cmp_gt_u32_e32 vcc_lo, 24, v2
	s_waitcnt vmcnt(0)
	ds_bpermute_b32 v5, v5, v4
	v_cndmask_b32_e64 v6, 0, 8, vcc_lo
	v_cmp_gt_u32_e32 vcc_lo, 28, v2
	v_add_lshl_u32 v6, v6, v2, 2
	s_waitcnt lgkmcnt(0)
	v_add_nc_u32_e32 v4, v5, v4
	ds_bpermute_b32 v5, v6, v4
	v_cndmask_b32_e64 v6, 0, 4, vcc_lo
	v_cmp_gt_u32_e32 vcc_lo, 30, v2
	v_add_lshl_u32 v6, v6, v2, 2
	s_waitcnt lgkmcnt(0)
	v_add_nc_u32_e32 v4, v5, v4
	ds_bpermute_b32 v5, v6, v4
	v_cndmask_b32_e64 v6, 0, 2, vcc_lo
	v_cmp_ne_u32_e32 vcc_lo, 31, v2
	v_add_lshl_u32 v6, v6, v2, 2
	s_waitcnt lgkmcnt(0)
	v_add_nc_u32_e32 v4, v5, v4
	ds_bpermute_b32 v5, v6, v4
	v_add_co_ci_u32_e64 v6, null, 0, v2, vcc_lo
	s_waitcnt lgkmcnt(0)
	v_add_nc_u32_e32 v4, v5, v4
	v_lshlrev_b32_e32 v5, 2, v6
	ds_bpermute_b32 v5, v5, v4
	s_waitcnt lgkmcnt(0)
	v_add_nc_u32_e32 v4, v5, v4
.LBB28_28:
	s_or_b32 exec_lo, exec_lo, s1
	v_and_b32_e32 v5, 31, v0
	s_mov_b32 s1, exec_lo
	v_cmpx_eq_u32_e32 0, v5
; %bb.29:
	v_lshlrev_b32_e32 v3, 2, v3
	ds_write_b32 v3, v4 offset:2080
; %bb.30:
	s_or_b32 exec_lo, exec_lo, s1
	s_waitcnt lgkmcnt(0)
	s_barrier
	buffer_gl0_inv
	s_and_saveexec_b32 s1, s0
	s_cbranch_execz .LBB28_37
; %bb.31:
	v_mov_b32_e32 v3, 0
	s_mov_b32 s0, exec_lo
	v_cmpx_gt_u32_e32 8, v0
; %bb.32:
	ds_read_b32 v3, v1 offset:2080
; %bb.33:
	s_or_b32 exec_lo, exec_lo, s0
	v_cmp_gt_u32_e32 vcc_lo, 28, v2
	s_mov_b32 s0, exec_lo
	v_cndmask_b32_e64 v1, 0, 4, vcc_lo
	v_cmp_gt_u32_e32 vcc_lo, 30, v2
	v_add_lshl_u32 v1, v1, v2, 2
	v_cndmask_b32_e64 v4, 0, 2, vcc_lo
	v_cmp_ne_u32_e32 vcc_lo, 31, v2
	s_waitcnt lgkmcnt(0)
	ds_bpermute_b32 v1, v1, v3
	v_add_lshl_u32 v4, v4, v2, 2
	v_add_co_ci_u32_e64 v2, null, 0, v2, vcc_lo
	v_lshlrev_b32_e32 v2, 2, v2
	s_waitcnt lgkmcnt(0)
	v_add_nc_u32_e32 v1, v1, v3
	ds_bpermute_b32 v3, v4, v1
	s_waitcnt lgkmcnt(0)
	v_add_nc_u32_e32 v1, v3, v1
	ds_bpermute_b32 v2, v2, v1
	v_cmpx_eq_u32_e32 0, v0
	s_cbranch_execz .LBB28_35
; %bb.34:
	s_lshl_b64 s[6:7], s[2:3], 2
	v_mov_b32_e32 v3, 0
	s_add_u32 s6, s8, s6
	s_addc_u32 s7, s9, s7
	global_load_dword v4, v3, s[6:7]
	s_waitcnt vmcnt(0) lgkmcnt(0)
	v_add3_u32 v1, v2, v1, v4
	global_store_dword v3, v1, s[6:7]
.LBB28_35:
	s_or_b32 exec_lo, exec_lo, s0
	v_or_b32_e32 v0, s17, v0
	v_cmp_eq_u32_e32 vcc_lo, 0, v0
	s_and_b32 exec_lo, exec_lo, vcc_lo
	s_cbranch_execz .LBB28_37
; %bb.36:
	v_mov_b32_e32 v0, 0
	s_waitcnt lgkmcnt(0)
	v_mov_b32_e32 v2, 1
	s_lshl_b32 s0, s2, 8
	s_mov_b32 s1, 0
	s_lshl_b64 s[0:1], s[0:1], 1
	ds_read_b32 v1, v0 offset:2112
	s_add_u32 s0, s22, s0
	s_addc_u32 s1, s23, s1
	s_waitcnt lgkmcnt(0)
	v_lshlrev_b32_sdwa v1, v2, v1 dst_sel:DWORD dst_unused:UNUSED_PAD src0_sel:DWORD src1_sel:BYTE_0
	global_load_sshort v1, v1, s[0:1]
	s_lshl_b64 s[0:1], s[2:3], 2
	s_add_u32 s0, s4, s0
	s_addc_u32 s1, s5, s1
	s_waitcnt vmcnt(0)
	global_store_dword v0, v1, s[0:1]
.LBB28_37:
	s_endpgm
.LBB28_38:
	s_mov_b32 s10, s3
	s_cmp_ge_u32 s10, s16
	s_cbranch_scc0 .LBB28_6
	s_branch .LBB28_7
	.section	.rodata,"a",@progbits
	.p2align	6, 0x0
	.amdhsa_kernel _ZN2at6native6mbtopk29computeBlockwiseWithinKCountsIjiEEvPT_PsPjjibS6_PT0_S6_S4_S6_j
		.amdhsa_group_segment_fixed_size 2116
		.amdhsa_private_segment_fixed_size 0
		.amdhsa_kernarg_size 344
		.amdhsa_user_sgpr_count 6
		.amdhsa_user_sgpr_private_segment_buffer 1
		.amdhsa_user_sgpr_dispatch_ptr 0
		.amdhsa_user_sgpr_queue_ptr 0
		.amdhsa_user_sgpr_kernarg_segment_ptr 1
		.amdhsa_user_sgpr_dispatch_id 0
		.amdhsa_user_sgpr_flat_scratch_init 0
		.amdhsa_user_sgpr_private_segment_size 0
		.amdhsa_wavefront_size32 1
		.amdhsa_uses_dynamic_stack 0
		.amdhsa_system_sgpr_private_segment_wavefront_offset 0
		.amdhsa_system_sgpr_workgroup_id_x 1
		.amdhsa_system_sgpr_workgroup_id_y 1
		.amdhsa_system_sgpr_workgroup_id_z 1
		.amdhsa_system_sgpr_workgroup_info 0
		.amdhsa_system_vgpr_workitem_id 0
		.amdhsa_next_free_vgpr 15
		.amdhsa_next_free_sgpr 26
		.amdhsa_reserve_vcc 1
		.amdhsa_reserve_flat_scratch 0
		.amdhsa_float_round_mode_32 0
		.amdhsa_float_round_mode_16_64 0
		.amdhsa_float_denorm_mode_32 3
		.amdhsa_float_denorm_mode_16_64 3
		.amdhsa_dx10_clamp 1
		.amdhsa_ieee_mode 1
		.amdhsa_fp16_overflow 0
		.amdhsa_workgroup_processor_mode 1
		.amdhsa_memory_ordered 1
		.amdhsa_forward_progress 1
		.amdhsa_shared_vgpr_count 0
		.amdhsa_exception_fp_ieee_invalid_op 0
		.amdhsa_exception_fp_denorm_src 0
		.amdhsa_exception_fp_ieee_div_zero 0
		.amdhsa_exception_fp_ieee_overflow 0
		.amdhsa_exception_fp_ieee_underflow 0
		.amdhsa_exception_fp_ieee_inexact 0
		.amdhsa_exception_int_div_zero 0
	.end_amdhsa_kernel
	.section	.text._ZN2at6native6mbtopk29computeBlockwiseWithinKCountsIjiEEvPT_PsPjjibS6_PT0_S6_S4_S6_j,"axG",@progbits,_ZN2at6native6mbtopk29computeBlockwiseWithinKCountsIjiEEvPT_PsPjjibS6_PT0_S6_S4_S6_j,comdat
.Lfunc_end28:
	.size	_ZN2at6native6mbtopk29computeBlockwiseWithinKCountsIjiEEvPT_PsPjjibS6_PT0_S6_S4_S6_j, .Lfunc_end28-_ZN2at6native6mbtopk29computeBlockwiseWithinKCountsIjiEEvPT_PsPjjibS6_PT0_S6_S4_S6_j
                                        ; -- End function
	.set _ZN2at6native6mbtopk29computeBlockwiseWithinKCountsIjiEEvPT_PsPjjibS6_PT0_S6_S4_S6_j.num_vgpr, 15
	.set _ZN2at6native6mbtopk29computeBlockwiseWithinKCountsIjiEEvPT_PsPjjibS6_PT0_S6_S4_S6_j.num_agpr, 0
	.set _ZN2at6native6mbtopk29computeBlockwiseWithinKCountsIjiEEvPT_PsPjjibS6_PT0_S6_S4_S6_j.numbered_sgpr, 26
	.set _ZN2at6native6mbtopk29computeBlockwiseWithinKCountsIjiEEvPT_PsPjjibS6_PT0_S6_S4_S6_j.num_named_barrier, 0
	.set _ZN2at6native6mbtopk29computeBlockwiseWithinKCountsIjiEEvPT_PsPjjibS6_PT0_S6_S4_S6_j.private_seg_size, 0
	.set _ZN2at6native6mbtopk29computeBlockwiseWithinKCountsIjiEEvPT_PsPjjibS6_PT0_S6_S4_S6_j.uses_vcc, 1
	.set _ZN2at6native6mbtopk29computeBlockwiseWithinKCountsIjiEEvPT_PsPjjibS6_PT0_S6_S4_S6_j.uses_flat_scratch, 0
	.set _ZN2at6native6mbtopk29computeBlockwiseWithinKCountsIjiEEvPT_PsPjjibS6_PT0_S6_S4_S6_j.has_dyn_sized_stack, 0
	.set _ZN2at6native6mbtopk29computeBlockwiseWithinKCountsIjiEEvPT_PsPjjibS6_PT0_S6_S4_S6_j.has_recursion, 0
	.set _ZN2at6native6mbtopk29computeBlockwiseWithinKCountsIjiEEvPT_PsPjjibS6_PT0_S6_S4_S6_j.has_indirect_call, 0
	.section	.AMDGPU.csdata,"",@progbits
; Kernel info:
; codeLenInByte = 2020
; TotalNumSgprs: 28
; NumVgprs: 15
; ScratchSize: 0
; MemoryBound: 0
; FloatMode: 240
; IeeeMode: 1
; LDSByteSize: 2116 bytes/workgroup (compile time only)
; SGPRBlocks: 0
; VGPRBlocks: 1
; NumSGPRsForWavesPerEU: 28
; NumVGPRsForWavesPerEU: 15
; Occupancy: 16
; WaveLimiterHint : 1
; COMPUTE_PGM_RSRC2:SCRATCH_EN: 0
; COMPUTE_PGM_RSRC2:USER_SGPR: 6
; COMPUTE_PGM_RSRC2:TRAP_HANDLER: 0
; COMPUTE_PGM_RSRC2:TGID_X_EN: 1
; COMPUTE_PGM_RSRC2:TGID_Y_EN: 1
; COMPUTE_PGM_RSRC2:TGID_Z_EN: 1
; COMPUTE_PGM_RSRC2:TIDIG_COMP_CNT: 0
	.section	.text._ZN2at6native6mbtopk10gatherTopKIijLi1EEEvNS_4cuda6detail10TensorInfoIKT_T0_EES8_S8_bjS8_NS5_IS6_S8_EES8_NS5_IlS8_EES8_jjPS6_PjSD_j,"axG",@progbits,_ZN2at6native6mbtopk10gatherTopKIijLi1EEEvNS_4cuda6detail10TensorInfoIKT_T0_EES8_S8_bjS8_NS5_IS6_S8_EES8_NS5_IlS8_EES8_jjPS6_PjSD_j,comdat
	.protected	_ZN2at6native6mbtopk10gatherTopKIijLi1EEEvNS_4cuda6detail10TensorInfoIKT_T0_EES8_S8_bjS8_NS5_IS6_S8_EES8_NS5_IlS8_EES8_jjPS6_PjSD_j ; -- Begin function _ZN2at6native6mbtopk10gatherTopKIijLi1EEEvNS_4cuda6detail10TensorInfoIKT_T0_EES8_S8_bjS8_NS5_IS6_S8_EES8_NS5_IlS8_EES8_jjPS6_PjSD_j
	.globl	_ZN2at6native6mbtopk10gatherTopKIijLi1EEEvNS_4cuda6detail10TensorInfoIKT_T0_EES8_S8_bjS8_NS5_IS6_S8_EES8_NS5_IlS8_EES8_jjPS6_PjSD_j
	.p2align	8
	.type	_ZN2at6native6mbtopk10gatherTopKIijLi1EEEvNS_4cuda6detail10TensorInfoIKT_T0_EES8_S8_bjS8_NS5_IS6_S8_EES8_NS5_IlS8_EES8_jjPS6_PjSD_j,@function
_ZN2at6native6mbtopk10gatherTopKIijLi1EEEvNS_4cuda6detail10TensorInfoIKT_T0_EES8_S8_bjS8_NS5_IS6_S8_EES8_NS5_IlS8_EES8_jjPS6_PjSD_j: ; @_ZN2at6native6mbtopk10gatherTopKIijLi1EEEvNS_4cuda6detail10TensorInfoIKT_T0_EES8_S8_bjS8_NS5_IS6_S8_EES8_NS5_IlS8_EES8_jjPS6_PjSD_j
; %bb.0:
	s_clause 0x1
	s_load_dwordx2 s[0:1], s[4:5], 0x2d8
	s_load_dword s2, s[4:5], 0x2d0
	s_waitcnt lgkmcnt(0)
	s_mul_i32 s1, s1, s8
	s_add_i32 s1, s1, s7
	s_mul_i32 s0, s1, s0
	s_add_i32 s0, s0, s6
	s_cmp_ge_u32 s0, s2
	s_cbranch_scc1 .LBB29_40
; %bb.1:
	s_load_dwordx8 s[8:15], s[4:5], 0x2a8
	s_mov_b32 s23, 0
	s_waitcnt lgkmcnt(0)
	v_cvt_f32_u32_e32 v1, s10
	s_sub_i32 s2, 0, s10
	v_rcp_iflag_f32_e32 v1, v1
	v_mul_f32_e32 v1, 0x4f7ffffe, v1
	v_cvt_u32_f32_e32 v1, v1
	v_readfirstlane_b32 s1, v1
	s_mul_i32 s2, s2, s1
	s_mul_hi_u32 s2, s1, s2
	s_add_i32 s1, s1, s2
	s_mul_hi_u32 s1, s0, s1
	s_mul_i32 s2, s1, s10
	s_add_i32 s3, s1, 1
	s_sub_i32 s2, s0, s2
	s_sub_i32 s6, s2, s10
	s_cmp_ge_u32 s2, s10
	s_cselect_b32 s1, s3, s1
	s_cselect_b32 s2, s6, s2
	s_add_i32 s3, s1, 1
	s_cmp_ge_u32 s2, s10
	s_cselect_b32 s22, s3, s1
	s_mul_i32 s16, s22, s10
	s_lshl_b64 s[2:3], s[22:23], 2
	s_sub_i32 s11, s0, s16
	s_add_u32 s0, s12, s2
	s_addc_u32 s1, s13, s3
	s_clause 0x2
	s_load_dwordx2 s[2:3], s[4:5], 0x1d0
	s_load_dwordx2 s[6:7], s[4:5], 0xf0
	;; [unrolled: 1-line block ×3, first 2 shown]
	s_load_dword s28, s[0:1], 0x0
	v_cmp_ne_u32_e64 s0, 0, v0
	v_cmp_eq_u32_e64 s1, 0, v0
	s_and_saveexec_b32 s29, s1
	s_cbranch_execz .LBB29_17
; %bb.2:
	s_load_dwordx2 s[12:13], s[4:5], 0x2c8
	s_mov_b32 s17, s23
	s_lshl_b64 s[24:25], s[16:17], 2
	s_add_u32 s16, s14, s24
	s_addc_u32 s17, s15, s25
	s_waitcnt lgkmcnt(0)
	s_add_u32 s18, s12, s24
	s_addc_u32 s19, s13, s25
	s_cmp_lt_u32 s10, 4
	s_cbranch_scc1 .LBB29_14
; %bb.3:
	s_mov_b32 s30, s23
	s_mov_b32 s31, s23
	;; [unrolled: 1-line block ×3, first 2 shown]
.LBB29_4:                               ; =>This Inner Loop Header: Depth=1
	s_add_u32 s16, s14, s24
	s_addc_u32 s17, s15, s25
	s_add_u32 s26, s12, s24
	s_load_dwordx4 s[16:19], s[16:17], 0x0
	s_addc_u32 s27, s13, s25
	s_cmp_ge_u32 s33, s11
	s_cbranch_scc0 .LBB29_11
; %bb.5:                                ;   in Loop: Header=BB29_4 Depth=1
	s_add_i32 s34, s33, 1
	s_cmp_ge_u32 s34, s11
	s_cbranch_scc0 .LBB29_12
.LBB29_6:                               ;   in Loop: Header=BB29_4 Depth=1
	s_add_i32 s34, s34, 1
	s_cmp_ge_u32 s34, s11
	s_cbranch_scc0 .LBB29_13
.LBB29_7:                               ;   in Loop: Header=BB29_4 Depth=1
	s_add_i32 s34, s34, 1
	s_cmp_ge_u32 s34, s11
	s_cbranch_scc1 .LBB29_9
.LBB29_8:                               ;   in Loop: Header=BB29_4 Depth=1
	s_load_dword s26, s[26:27], 0xc
	s_waitcnt lgkmcnt(0)
	s_add_i32 s23, s23, s19
	s_add_i32 s30, s26, s30
.LBB29_9:                               ;   in Loop: Header=BB29_4 Depth=1
	s_waitcnt lgkmcnt(0)
	s_add_i32 s16, s16, s31
	s_add_i32 s16, s16, s17
	s_add_i32 s16, s16, s18
	s_add_i32 s31, s16, s19
	s_add_u32 s14, s14, 16
	s_addc_u32 s15, s15, 0
	s_add_u32 s12, s12, 16
	s_addc_u32 s13, s13, 0
	s_add_i32 s27, s34, 4
	s_add_u32 s18, s12, s24
	s_addc_u32 s19, s13, s25
	s_add_u32 s16, s14, s24
	s_addc_u32 s17, s15, s25
	s_add_i32 s26, s34, 1
	s_cmp_ge_u32 s27, s10
	s_cbranch_scc1 .LBB29_15
; %bb.10:                               ;   in Loop: Header=BB29_4 Depth=1
	s_mov_b32 s33, s26
	s_branch .LBB29_4
.LBB29_11:                              ;   in Loop: Header=BB29_4 Depth=1
	s_load_dword s34, s[26:27], 0x0
	s_waitcnt lgkmcnt(0)
	s_add_i32 s23, s16, s23
	s_add_i32 s30, s34, s30
	;; [unrolled: 1-line block ×3, first 2 shown]
	s_cmp_ge_u32 s34, s11
	s_cbranch_scc1 .LBB29_6
.LBB29_12:                              ;   in Loop: Header=BB29_4 Depth=1
	s_load_dword s35, s[26:27], 0x4
	s_waitcnt lgkmcnt(0)
	s_add_i32 s23, s23, s17
	s_add_i32 s30, s35, s30
	;; [unrolled: 1-line block ×3, first 2 shown]
	s_cmp_ge_u32 s34, s11
	s_cbranch_scc1 .LBB29_7
.LBB29_13:                              ;   in Loop: Header=BB29_4 Depth=1
	s_load_dword s35, s[26:27], 0x8
	s_waitcnt lgkmcnt(0)
	s_add_i32 s23, s23, s18
	s_add_i32 s30, s35, s30
	;; [unrolled: 1-line block ×3, first 2 shown]
	s_cmp_ge_u32 s34, s11
	s_cbranch_scc0 .LBB29_8
	s_branch .LBB29_9
.LBB29_14:
	s_mov_b32 s30, 0
	s_mov_b32 s31, 0
	;; [unrolled: 1-line block ×3, first 2 shown]
	s_cmp_ge_u32 s12, s10
	s_cbranch_scc0 .LBB29_38
	s_branch .LBB29_16
.LBB29_15:
	s_add_i32 s12, s33, 4
	s_cmp_ge_u32 s12, s10
	s_cbranch_scc0 .LBB29_38
.LBB29_16:
	v_mov_b32_e32 v1, s30
	v_mov_b32_e32 v2, s31
	v_mov_b32_e32 v3, s23
	v_mov_b32_e32 v4, 0
	ds_write_b96 v4, v[1:3] offset:1056
.LBB29_17:
	s_or_b32 exec_lo, exec_lo, s29
	s_clause 0x3
	s_load_dword s16, s[4:5], 0x23c
	s_load_dword s18, s[4:5], 0x15c
	;; [unrolled: 1-line block ×3, first 2 shown]
	s_load_dwordx4 s[12:15], s[4:5], 0xd8
	s_waitcnt lgkmcnt(0)
	s_mul_i32 s15, s9, s11
	s_add_i32 s11, s11, 1
	s_lshl_b32 s17, s15, 8
	s_barrier
	buffer_gl0_inv
	s_sub_i32 s15, s12, s17
	s_add_u32 s24, s15, 0xff
	s_addc_u32 s25, 0, 0
	s_lshr_b64 s[24:25], s[24:25], 8
	s_cmp_lt_u32 s11, s10
	s_mov_b32 s11, 0
	s_cselect_b32 s9, s9, s24
	s_cmp_eq_u32 s9, 0
	s_cbranch_scc1 .LBB29_40
; %bb.18:
	v_mov_b32_e32 v5, 0
	v_lshrrev_b32_e32 v4, 3, v0
	v_add_nc_u32_e32 v9, -1, v0
	s_mul_i32 s10, s22, s19
	s_mov_b32 s19, s11
	ds_read_b96 v[1:3], v5 offset:1056
	s_clause 0x1
	s_load_dword s24, s[4:5], 0xe8
	s_load_dword s4, s[4:5], 0x1c8
	v_and_b32_e32 v4, 28, v4
	v_lshrrev_b32_e32 v8, 3, v9
	s_mov_b32 s23, s11
	s_lshl_b64 s[10:11], s[10:11], 2
	s_mul_i32 s18, s22, s18
	s_add_u32 s5, s20, s10
	s_addc_u32 s10, s21, s11
	s_lshl_b64 s[18:19], s[18:19], 2
	v_lshl_add_u32 v6, v0, 2, v4
	v_and_b32_e32 v4, 0x1ffffffc, v8
	s_mul_i32 s22, s22, s16
	s_add_u32 s6, s6, s18
	s_addc_u32 s7, s7, s19
	s_lshl_b64 s[18:19], s[22:23], 3
	v_lshlrev_b32_e32 v10, 5, v0
	v_mbcnt_lo_u32_b32 v8, -1, 0
	s_add_u32 s11, s2, s18
	v_cmp_gt_u32_e64 s2, 32, v0
	s_waitcnt lgkmcnt(0)
	v_add_nc_u32_e32 v7, v1, v2
	v_add_nc_u32_e32 v1, s17, v0
	v_and_b32_e32 v2, 0xfc, v0
	v_lshl_add_u32 v0, v9, 2, v4
	s_addc_u32 s15, s3, s19
	s_xor_b32 s16, s28, 0x80000000
	v_mul_lo_u32 v4, s24, v1
	v_add_nc_u32_e32 v9, v2, v10
	v_and_b32_e32 v10, 15, v8
	v_bfe_i32 v11, v8, 4, 1
	v_add_nc_u32_e32 v12, -1, v8
	s_bitcmp1_b32 s14, 0
                                        ; implicit-def: $vgpr13
	s_cselect_b32 s3, -1, 0
	s_lshl_b32 s14, s24, 8
	s_branch .LBB29_21
.LBB29_19:                              ;   in Loop: Header=BB29_21 Depth=1
	s_or_b32 exec_lo, exec_lo, s17
	v_add_nc_u32_e32 v7, v16, v7
.LBB29_20:                              ;   in Loop: Header=BB29_21 Depth=1
	v_add_nc_u32_e32 v3, v15, v3
	v_add_nc_u32_e32 v4, s14, v4
	;; [unrolled: 1-line block ×3, first 2 shown]
	s_add_i32 s9, s9, -1
	s_cmp_lg_u32 s9, 0
	s_cbranch_scc0 .LBB29_40
.LBB29_21:                              ; =>This Inner Loop Header: Depth=1
	v_mov_b32_e32 v2, 0
	v_mov_b32_e32 v14, 0
	s_mov_b32 s17, exec_lo
	v_cmpx_gt_u32_e64 s12, v1
	s_cbranch_execz .LBB29_23
; %bb.22:                               ;   in Loop: Header=BB29_21 Depth=1
	v_lshlrev_b64 v[13:14], 2, v[4:5]
	v_add_co_u32 v13, vcc_lo, s5, v13
	v_add_co_ci_u32_e64 v14, null, s10, v14, vcc_lo
	global_load_dword v13, v[13:14], off
	s_waitcnt vmcnt(0)
	v_xor_b32_e32 v2, 0x80000000, v13
	v_cmp_lt_u32_e32 vcc_lo, s16, v2
	v_cndmask_b32_e64 v14, 0, 1, vcc_lo
	v_cmp_gt_u32_e32 vcc_lo, s16, v2
	v_cndmask_b32_e64 v2, 0, 1, vcc_lo
	v_cmp_eq_u32_e32 vcc_lo, s28, v13
	v_cndmask_b32_e64 v2, v2, v14, s3
	v_cndmask_b32_e64 v14, 0, 1, vcc_lo
	v_and_b32_e32 v2, 1, v2
.LBB29_23:                              ;   in Loop: Header=BB29_21 Depth=1
	s_or_b32 exec_lo, exec_lo, s17
	ds_write_b32 v6, v2
	s_waitcnt lgkmcnt(0)
	s_barrier
	buffer_gl0_inv
	s_and_saveexec_b32 s17, s2
	s_cbranch_execz .LBB29_25
; %bb.24:                               ;   in Loop: Header=BB29_21 Depth=1
	ds_read2_b32 v[15:16], v9 offset1:1
	ds_read2_b32 v[17:18], v9 offset0:2 offset1:3
	ds_read2_b32 v[19:20], v9 offset0:4 offset1:5
	;; [unrolled: 1-line block ×3, first 2 shown]
	v_cmp_ne_u32_e32 vcc_lo, 0, v10
	; wave barrier
	s_waitcnt lgkmcnt(3)
	v_add_nc_u32_e32 v16, v16, v15
	s_waitcnt lgkmcnt(2)
	v_add3_u32 v16, v16, v17, v18
	s_waitcnt lgkmcnt(1)
	v_add3_u32 v16, v16, v19, v20
	;; [unrolled: 2-line block ×3, first 2 shown]
	v_mov_b32_dpp v17, v16 row_shr:1 row_mask:0xf bank_mask:0xf
	v_cndmask_b32_e32 v17, 0, v17, vcc_lo
	v_cmp_lt_u32_e32 vcc_lo, 1, v10
	v_add_nc_u32_e32 v16, v17, v16
	v_mov_b32_dpp v17, v16 row_shr:2 row_mask:0xf bank_mask:0xf
	v_cndmask_b32_e32 v17, 0, v17, vcc_lo
	v_cmp_lt_u32_e32 vcc_lo, 3, v10
	v_add_nc_u32_e32 v16, v16, v17
	;; [unrolled: 4-line block ×3, first 2 shown]
	v_mov_b32_dpp v17, v16 row_shr:8 row_mask:0xf bank_mask:0xf
	v_cndmask_b32_e32 v17, 0, v17, vcc_lo
	v_cmp_gt_i32_e32 vcc_lo, 0, v12
	v_add_nc_u32_e32 v16, v16, v17
	v_cndmask_b32_e32 v18, v12, v8, vcc_lo
	ds_swizzle_b32 v17, v16 offset:swizzle(BROADCAST,32,15)
	v_lshlrev_b32_e32 v18, 2, v18
	s_waitcnt lgkmcnt(0)
	v_and_b32_e32 v17, v11, v17
	v_add_nc_u32_e32 v16, v16, v17
	ds_bpermute_b32 v16, v18, v16
	s_waitcnt lgkmcnt(0)
	v_add_nc_u32_e32 v15, v16, v15
	v_cndmask_b32_e64 v21, v15, v2, s1
	ds_write_b32 v9, v21
	; wave barrier
	ds_read2_b32 v[15:16], v9 offset0:1 offset1:2
	ds_read2_b32 v[17:18], v9 offset0:3 offset1:4
	;; [unrolled: 1-line block ×3, first 2 shown]
	ds_read_b32 v22, v9 offset:28
	s_waitcnt lgkmcnt(3)
	v_add_nc_u32_e32 v15, v15, v21
	v_add_nc_u32_e32 v16, v16, v15
	s_waitcnt lgkmcnt(2)
	v_add_nc_u32_e32 v17, v17, v16
	v_add_nc_u32_e32 v18, v18, v17
	;; [unrolled: 3-line block ×3, first 2 shown]
	s_waitcnt lgkmcnt(0)
	v_add_nc_u32_e32 v21, v22, v20
	ds_write2_b32 v9, v15, v16 offset0:1 offset1:2
	ds_write2_b32 v9, v17, v18 offset0:3 offset1:4
	;; [unrolled: 1-line block ×3, first 2 shown]
	ds_write_b32 v9, v21 offset:28
.LBB29_25:                              ;   in Loop: Header=BB29_21 Depth=1
	s_or_b32 exec_lo, exec_lo, s17
	v_mov_b32_e32 v16, 0
	s_waitcnt lgkmcnt(0)
	s_barrier
	buffer_gl0_inv
	s_and_saveexec_b32 s17, s0
; %bb.26:                               ;   in Loop: Header=BB29_21 Depth=1
	ds_read_b32 v16, v0
; %bb.27:                               ;   in Loop: Header=BB29_21 Depth=1
	s_or_b32 exec_lo, exec_lo, s17
	ds_read_b32 v15, v5 offset:1048
	s_mov_b32 s17, exec_lo
	s_waitcnt lgkmcnt(0)
	s_barrier
	buffer_gl0_inv
	v_cmpx_ne_u32_e32 0, v2
	s_cbranch_execz .LBB29_29
; %bb.28:                               ;   in Loop: Header=BB29_21 Depth=1
	v_add_nc_u32_e32 v2, v16, v3
	v_mov_b32_e32 v17, v5
	v_mov_b32_e32 v19, v5
	v_mul_lo_u32 v16, v2, s4
	v_mul_lo_u32 v18, v2, s8
	v_mov_b32_e32 v2, v5
	v_lshlrev_b64 v[16:17], 2, v[16:17]
	v_lshlrev_b64 v[18:19], 3, v[18:19]
	v_add_co_u32 v16, vcc_lo, s6, v16
	v_add_co_ci_u32_e64 v17, null, s7, v17, vcc_lo
	v_add_co_u32 v18, vcc_lo, s11, v18
	v_add_co_ci_u32_e64 v19, null, s15, v19, vcc_lo
	global_store_dword v[16:17], v13, off
	global_store_dwordx2 v[18:19], v[1:2], off
.LBB29_29:                              ;   in Loop: Header=BB29_21 Depth=1
	s_or_b32 exec_lo, exec_lo, s17
	v_cmp_le_u32_e32 vcc_lo, s13, v7
	s_cbranch_vccnz .LBB29_20
; %bb.30:                               ;   in Loop: Header=BB29_21 Depth=1
	ds_write_b32 v6, v14
	s_waitcnt lgkmcnt(0)
	s_waitcnt_vscnt null, 0x0
	s_barrier
	buffer_gl0_inv
	s_and_saveexec_b32 s17, s2
	s_cbranch_execz .LBB29_32
; %bb.31:                               ;   in Loop: Header=BB29_21 Depth=1
	ds_read2_b32 v[16:17], v9 offset1:1
	ds_read2_b32 v[18:19], v9 offset0:2 offset1:3
	ds_read2_b32 v[20:21], v9 offset0:4 offset1:5
	;; [unrolled: 1-line block ×3, first 2 shown]
	v_cmp_ne_u32_e32 vcc_lo, 0, v10
	; wave barrier
	s_waitcnt lgkmcnt(3)
	v_add_nc_u32_e32 v2, v17, v16
	s_waitcnt lgkmcnt(2)
	v_add3_u32 v2, v2, v18, v19
	s_waitcnt lgkmcnt(1)
	v_add3_u32 v2, v2, v20, v21
	;; [unrolled: 2-line block ×3, first 2 shown]
	v_mov_b32_dpp v17, v2 row_shr:1 row_mask:0xf bank_mask:0xf
	v_cndmask_b32_e32 v17, 0, v17, vcc_lo
	v_cmp_lt_u32_e32 vcc_lo, 1, v10
	v_add_nc_u32_e32 v2, v17, v2
	v_mov_b32_dpp v17, v2 row_shr:2 row_mask:0xf bank_mask:0xf
	v_cndmask_b32_e32 v17, 0, v17, vcc_lo
	v_cmp_lt_u32_e32 vcc_lo, 3, v10
	v_add_nc_u32_e32 v2, v2, v17
	;; [unrolled: 4-line block ×3, first 2 shown]
	v_mov_b32_dpp v17, v2 row_shr:8 row_mask:0xf bank_mask:0xf
	v_cndmask_b32_e32 v17, 0, v17, vcc_lo
	v_cmp_gt_i32_e32 vcc_lo, 0, v12
	v_add_nc_u32_e32 v2, v2, v17
	v_cndmask_b32_e32 v18, v12, v8, vcc_lo
	ds_swizzle_b32 v17, v2 offset:swizzle(BROADCAST,32,15)
	v_lshlrev_b32_e32 v18, 2, v18
	s_waitcnt lgkmcnt(0)
	v_and_b32_e32 v17, v11, v17
	v_add_nc_u32_e32 v2, v2, v17
	ds_bpermute_b32 v2, v18, v2
	s_waitcnt lgkmcnt(0)
	v_add_nc_u32_e32 v2, v2, v16
	v_cndmask_b32_e64 v2, v2, v14, s1
	ds_write_b32 v9, v2
	; wave barrier
	ds_read2_b32 v[16:17], v9 offset0:1 offset1:2
	ds_read2_b32 v[18:19], v9 offset0:3 offset1:4
	;; [unrolled: 1-line block ×3, first 2 shown]
	ds_read_b32 v22, v9 offset:28
	s_waitcnt lgkmcnt(3)
	v_add_nc_u32_e32 v2, v16, v2
	v_add_nc_u32_e32 v16, v17, v2
	s_waitcnt lgkmcnt(2)
	v_add_nc_u32_e32 v17, v18, v16
	v_add_nc_u32_e32 v18, v19, v17
	;; [unrolled: 3-line block ×3, first 2 shown]
	s_waitcnt lgkmcnt(0)
	v_add_nc_u32_e32 v21, v22, v20
	ds_write2_b32 v9, v2, v16 offset0:1 offset1:2
	ds_write2_b32 v9, v17, v18 offset0:3 offset1:4
	;; [unrolled: 1-line block ×3, first 2 shown]
	ds_write_b32 v9, v21 offset:28
.LBB29_32:                              ;   in Loop: Header=BB29_21 Depth=1
	s_or_b32 exec_lo, exec_lo, s17
	v_mov_b32_e32 v2, 0
	s_waitcnt lgkmcnt(0)
	s_barrier
	buffer_gl0_inv
	s_and_saveexec_b32 s17, s0
; %bb.33:                               ;   in Loop: Header=BB29_21 Depth=1
	ds_read_b32 v2, v0
; %bb.34:                               ;   in Loop: Header=BB29_21 Depth=1
	s_or_b32 exec_lo, exec_lo, s17
	ds_read_b32 v16, v5 offset:1048
	s_mov_b32 s17, exec_lo
	s_waitcnt lgkmcnt(0)
	s_barrier
	buffer_gl0_inv
	v_cmpx_ne_u32_e32 0, v14
	s_cbranch_execz .LBB29_19
; %bb.35:                               ;   in Loop: Header=BB29_21 Depth=1
	v_add_nc_u32_e32 v2, v2, v7
	v_cmp_gt_u32_e32 vcc_lo, s13, v2
	s_and_b32 exec_lo, exec_lo, vcc_lo
	s_cbranch_execz .LBB29_19
; %bb.36:                               ;   in Loop: Header=BB29_21 Depth=1
	v_mul_lo_u32 v17, v2, s4
	v_mul_lo_u32 v19, v2, s8
	v_mov_b32_e32 v18, v5
	v_mov_b32_e32 v20, v5
	;; [unrolled: 1-line block ×3, first 2 shown]
	v_lshlrev_b64 v[17:18], 2, v[17:18]
	v_lshlrev_b64 v[19:20], 3, v[19:20]
	v_add_co_u32 v17, vcc_lo, s6, v17
	v_add_co_ci_u32_e64 v18, null, s7, v18, vcc_lo
	v_add_co_u32 v19, vcc_lo, s11, v19
	v_add_co_ci_u32_e64 v20, null, s15, v20, vcc_lo
	global_store_dword v[17:18], v13, off
	global_store_dwordx2 v[19:20], v[1:2], off
	s_branch .LBB29_19
	.p2align	6
.LBB29_37:                              ;   in Loop: Header=BB29_38 Depth=1
	s_add_u32 s16, s16, 4
	s_addc_u32 s17, s17, 0
	s_waitcnt lgkmcnt(0)
	s_add_i32 s31, s13, s31
	s_add_u32 s18, s18, 4
	s_addc_u32 s19, s19, 0
	s_add_i32 s12, s12, 1
	s_cmp_lt_u32 s12, s10
	s_cbranch_scc0 .LBB29_16
.LBB29_38:                              ; =>This Inner Loop Header: Depth=1
	s_load_dword s13, s[16:17], 0x0
	s_cmp_ge_u32 s12, s11
	s_cbranch_scc1 .LBB29_37
; %bb.39:                               ;   in Loop: Header=BB29_38 Depth=1
	s_load_dword s14, s[18:19], 0x0
	s_waitcnt lgkmcnt(0)
	s_add_i32 s23, s13, s23
	s_add_i32 s30, s14, s30
	s_branch .LBB29_37
.LBB29_40:
	s_endpgm
	.section	.rodata,"a",@progbits
	.p2align	6, 0x0
	.amdhsa_kernel _ZN2at6native6mbtopk10gatherTopKIijLi1EEEvNS_4cuda6detail10TensorInfoIKT_T0_EES8_S8_bjS8_NS5_IS6_S8_EES8_NS5_IlS8_EES8_jjPS6_PjSD_j
		.amdhsa_group_segment_fixed_size 1068
		.amdhsa_private_segment_fixed_size 0
		.amdhsa_kernarg_size 984
		.amdhsa_user_sgpr_count 6
		.amdhsa_user_sgpr_private_segment_buffer 1
		.amdhsa_user_sgpr_dispatch_ptr 0
		.amdhsa_user_sgpr_queue_ptr 0
		.amdhsa_user_sgpr_kernarg_segment_ptr 1
		.amdhsa_user_sgpr_dispatch_id 0
		.amdhsa_user_sgpr_flat_scratch_init 0
		.amdhsa_user_sgpr_private_segment_size 0
		.amdhsa_wavefront_size32 1
		.amdhsa_uses_dynamic_stack 0
		.amdhsa_system_sgpr_private_segment_wavefront_offset 0
		.amdhsa_system_sgpr_workgroup_id_x 1
		.amdhsa_system_sgpr_workgroup_id_y 1
		.amdhsa_system_sgpr_workgroup_id_z 1
		.amdhsa_system_sgpr_workgroup_info 0
		.amdhsa_system_vgpr_workitem_id 0
		.amdhsa_next_free_vgpr 24
		.amdhsa_next_free_sgpr 36
		.amdhsa_reserve_vcc 1
		.amdhsa_reserve_flat_scratch 0
		.amdhsa_float_round_mode_32 0
		.amdhsa_float_round_mode_16_64 0
		.amdhsa_float_denorm_mode_32 3
		.amdhsa_float_denorm_mode_16_64 3
		.amdhsa_dx10_clamp 1
		.amdhsa_ieee_mode 1
		.amdhsa_fp16_overflow 0
		.amdhsa_workgroup_processor_mode 1
		.amdhsa_memory_ordered 1
		.amdhsa_forward_progress 1
		.amdhsa_shared_vgpr_count 0
		.amdhsa_exception_fp_ieee_invalid_op 0
		.amdhsa_exception_fp_denorm_src 0
		.amdhsa_exception_fp_ieee_div_zero 0
		.amdhsa_exception_fp_ieee_overflow 0
		.amdhsa_exception_fp_ieee_underflow 0
		.amdhsa_exception_fp_ieee_inexact 0
		.amdhsa_exception_int_div_zero 0
	.end_amdhsa_kernel
	.section	.text._ZN2at6native6mbtopk10gatherTopKIijLi1EEEvNS_4cuda6detail10TensorInfoIKT_T0_EES8_S8_bjS8_NS5_IS6_S8_EES8_NS5_IlS8_EES8_jjPS6_PjSD_j,"axG",@progbits,_ZN2at6native6mbtopk10gatherTopKIijLi1EEEvNS_4cuda6detail10TensorInfoIKT_T0_EES8_S8_bjS8_NS5_IS6_S8_EES8_NS5_IlS8_EES8_jjPS6_PjSD_j,comdat
.Lfunc_end29:
	.size	_ZN2at6native6mbtopk10gatherTopKIijLi1EEEvNS_4cuda6detail10TensorInfoIKT_T0_EES8_S8_bjS8_NS5_IS6_S8_EES8_NS5_IlS8_EES8_jjPS6_PjSD_j, .Lfunc_end29-_ZN2at6native6mbtopk10gatherTopKIijLi1EEEvNS_4cuda6detail10TensorInfoIKT_T0_EES8_S8_bjS8_NS5_IS6_S8_EES8_NS5_IlS8_EES8_jjPS6_PjSD_j
                                        ; -- End function
	.set _ZN2at6native6mbtopk10gatherTopKIijLi1EEEvNS_4cuda6detail10TensorInfoIKT_T0_EES8_S8_bjS8_NS5_IS6_S8_EES8_NS5_IlS8_EES8_jjPS6_PjSD_j.num_vgpr, 24
	.set _ZN2at6native6mbtopk10gatherTopKIijLi1EEEvNS_4cuda6detail10TensorInfoIKT_T0_EES8_S8_bjS8_NS5_IS6_S8_EES8_NS5_IlS8_EES8_jjPS6_PjSD_j.num_agpr, 0
	.set _ZN2at6native6mbtopk10gatherTopKIijLi1EEEvNS_4cuda6detail10TensorInfoIKT_T0_EES8_S8_bjS8_NS5_IS6_S8_EES8_NS5_IlS8_EES8_jjPS6_PjSD_j.numbered_sgpr, 36
	.set _ZN2at6native6mbtopk10gatherTopKIijLi1EEEvNS_4cuda6detail10TensorInfoIKT_T0_EES8_S8_bjS8_NS5_IS6_S8_EES8_NS5_IlS8_EES8_jjPS6_PjSD_j.num_named_barrier, 0
	.set _ZN2at6native6mbtopk10gatherTopKIijLi1EEEvNS_4cuda6detail10TensorInfoIKT_T0_EES8_S8_bjS8_NS5_IS6_S8_EES8_NS5_IlS8_EES8_jjPS6_PjSD_j.private_seg_size, 0
	.set _ZN2at6native6mbtopk10gatherTopKIijLi1EEEvNS_4cuda6detail10TensorInfoIKT_T0_EES8_S8_bjS8_NS5_IS6_S8_EES8_NS5_IlS8_EES8_jjPS6_PjSD_j.uses_vcc, 1
	.set _ZN2at6native6mbtopk10gatherTopKIijLi1EEEvNS_4cuda6detail10TensorInfoIKT_T0_EES8_S8_bjS8_NS5_IS6_S8_EES8_NS5_IlS8_EES8_jjPS6_PjSD_j.uses_flat_scratch, 0
	.set _ZN2at6native6mbtopk10gatherTopKIijLi1EEEvNS_4cuda6detail10TensorInfoIKT_T0_EES8_S8_bjS8_NS5_IS6_S8_EES8_NS5_IlS8_EES8_jjPS6_PjSD_j.has_dyn_sized_stack, 0
	.set _ZN2at6native6mbtopk10gatherTopKIijLi1EEEvNS_4cuda6detail10TensorInfoIKT_T0_EES8_S8_bjS8_NS5_IS6_S8_EES8_NS5_IlS8_EES8_jjPS6_PjSD_j.has_recursion, 0
	.set _ZN2at6native6mbtopk10gatherTopKIijLi1EEEvNS_4cuda6detail10TensorInfoIKT_T0_EES8_S8_bjS8_NS5_IS6_S8_EES8_NS5_IlS8_EES8_jjPS6_PjSD_j.has_indirect_call, 0
	.section	.AMDGPU.csdata,"",@progbits
; Kernel info:
; codeLenInByte = 2320
; TotalNumSgprs: 38
; NumVgprs: 24
; ScratchSize: 0
; MemoryBound: 0
; FloatMode: 240
; IeeeMode: 1
; LDSByteSize: 1068 bytes/workgroup (compile time only)
; SGPRBlocks: 0
; VGPRBlocks: 2
; NumSGPRsForWavesPerEU: 38
; NumVGPRsForWavesPerEU: 24
; Occupancy: 16
; WaveLimiterHint : 1
; COMPUTE_PGM_RSRC2:SCRATCH_EN: 0
; COMPUTE_PGM_RSRC2:USER_SGPR: 6
; COMPUTE_PGM_RSRC2:TRAP_HANDLER: 0
; COMPUTE_PGM_RSRC2:TGID_X_EN: 1
; COMPUTE_PGM_RSRC2:TGID_Y_EN: 1
; COMPUTE_PGM_RSRC2:TGID_Z_EN: 1
; COMPUTE_PGM_RSRC2:TIDIG_COMP_CNT: 0
	.section	.text._ZN2at6native6sbtopk10gatherTopKIijLi1ELb0EEEvNS_4cuda6detail10TensorInfoIKT_T0_EES8_S8_bS8_S8_NS5_IS6_S8_EES8_NS5_IlS8_EES8_PS6_,"axG",@progbits,_ZN2at6native6sbtopk10gatherTopKIijLi1ELb0EEEvNS_4cuda6detail10TensorInfoIKT_T0_EES8_S8_bS8_S8_NS5_IS6_S8_EES8_NS5_IlS8_EES8_PS6_,comdat
	.protected	_ZN2at6native6sbtopk10gatherTopKIijLi1ELb0EEEvNS_4cuda6detail10TensorInfoIKT_T0_EES8_S8_bS8_S8_NS5_IS6_S8_EES8_NS5_IlS8_EES8_PS6_ ; -- Begin function _ZN2at6native6sbtopk10gatherTopKIijLi1ELb0EEEvNS_4cuda6detail10TensorInfoIKT_T0_EES8_S8_bS8_S8_NS5_IS6_S8_EES8_NS5_IlS8_EES8_PS6_
	.globl	_ZN2at6native6sbtopk10gatherTopKIijLi1ELb0EEEvNS_4cuda6detail10TensorInfoIKT_T0_EES8_S8_bS8_S8_NS5_IS6_S8_EES8_NS5_IlS8_EES8_PS6_
	.p2align	8
	.type	_ZN2at6native6sbtopk10gatherTopKIijLi1ELb0EEEvNS_4cuda6detail10TensorInfoIKT_T0_EES8_S8_bS8_S8_NS5_IS6_S8_EES8_NS5_IlS8_EES8_PS6_,@function
_ZN2at6native6sbtopk10gatherTopKIijLi1ELb0EEEvNS_4cuda6detail10TensorInfoIKT_T0_EES8_S8_bS8_S8_NS5_IS6_S8_EES8_NS5_IlS8_EES8_PS6_: ; @_ZN2at6native6sbtopk10gatherTopKIijLi1ELb0EEEvNS_4cuda6detail10TensorInfoIKT_T0_EES8_S8_bS8_S8_NS5_IS6_S8_EES8_NS5_IlS8_EES8_PS6_
; %bb.0:
	s_clause 0x1
	s_load_dwordx2 s[2:3], s[4:5], 0x2b8
	s_load_dwordx4 s[36:39], s[4:5], 0xd8
	s_add_u32 s10, s4, 0x2b8
	s_addc_u32 s11, s5, 0
	s_waitcnt lgkmcnt(0)
	s_mul_i32 s0, s3, s8
	s_add_i32 s0, s0, s7
	s_mul_i32 s45, s0, s2
	s_add_i32 s45, s45, s6
	s_cmp_ge_u32 s45, s39
	s_cbranch_scc1 .LBB30_395
; %bb.1:
	s_clause 0x4
	s_load_dwordx2 s[34:35], s[4:5], 0x1d0
	s_load_dword s30, s[4:5], 0xe8
	s_load_dwordx2 s[40:41], s[4:5], 0xf0
	s_load_dword s7, s[4:5], 0x6c
	s_load_dwordx2 s[0:1], s[4:5], 0x0
	v_cmp_eq_u32_e64 s3, 0, v0
	s_mov_b32 s43, 0
	s_and_saveexec_b32 s8, s3
	s_cbranch_execz .LBB30_3
; %bb.2:
	v_mov_b32_e32 v1, 0
	v_mov_b32_e32 v2, s36
	;; [unrolled: 1-line block ×3, first 2 shown]
	ds_write_b96 v1, v[1:3] offset:4096
.LBB30_3:
	s_or_b32 exec_lo, exec_lo, s8
	s_waitcnt lgkmcnt(0)
	s_barrier
	buffer_gl0_inv
	s_load_dword s12, s[10:11], 0xc
	s_mul_i32 s42, s7, s45
	v_mbcnt_lo_u32_b32 v18, -1, 0
	s_lshl_b64 s[8:9], s[42:43], 2
	v_cmp_gt_u32_e32 vcc_lo, 32, v0
	s_add_u32 s31, s0, s8
	s_addc_u32 s33, s1, s9
	s_bitcmp1_b32 s38, 0
	v_cmp_gt_i32_e64 s0, 4, v18
	s_cselect_b32 s1, -1, 0
	v_mov_b32_e32 v9, 0
	s_xor_b32 s48, s1, -1
	v_mul_lo_u32 v7, s30, v0
	s_and_b32 s49, vcc_lo, s0
	s_clause 0x1
	s_load_dword s46, s[4:5], 0x23c
	s_load_dword s47, s[4:5], 0x15c
	v_mov_b32_e32 v8, v9
	v_lshlrev_b32_e32 v19, 2, v0
	v_lshlrev_b32_e32 v28, 4, v0
	v_lshl_or_b32 v29, v18, 2, 0xc00
	v_mov_b32_e32 v31, s37
	s_waitcnt lgkmcnt(0)
	s_and_b32 s42, s12, 0xffff
	s_bfe_u32 s0, s12, 0xb0005
	s_lshl_b32 s50, s42, 2
	s_bfe_u32 s7, s42, 0x80008
	v_cvt_f32_u32_e32 v1, s50
	s_lshl_b32 s51, s7, 3
	s_cmpk_gt_u32 s36, 0x300
	v_cvt_f32_u32_e32 v2, s42
	s_cselect_b32 s52, -1, 0
	v_rcp_iflag_f32_e32 v1, v1
	s_cmp_gt_u32 s42, 31
	v_mad_u64_u32 v[14:15], null, s30, v19, s[30:31]
	s_cselect_b32 s53, -1, 0
	s_add_i32 s54, s42, -1
	v_rcp_iflag_f32_e32 v2, v2
	s_add_i32 s9, s54, s36
	s_cmp_lt_u32 s6, s2
	v_cmp_gt_u32_e64 s2, s36, v0
	v_mul_f32_e32 v1, 0x4f7ffffe, v1
	s_cselect_b32 s6, 12, 18
	v_add_nc_u32_e32 v21, 0xc00, v19
	s_add_u32 s38, s10, s6
	s_addc_u32 s39, s11, 0
	s_add_i32 s0, s0, -1
	v_cvt_u32_f32_e32 v1, v1
	s_and_b32 s0, s0, 0xffff
	s_bfe_u32 s55, s42, 0x30005
	s_cmp_gt_u32 s0, 6
	v_mul_f32_e32 v3, 0x4f7ffffe, v2
	v_readfirstlane_b32 s7, v1
	s_cselect_b32 s56, -1, 0
	s_cmp_lg_u32 s55, 0
	v_lshlrev_b64 v[1:2], v18, -1
	s_cselect_b32 s57, -1, 0
	s_sub_i32 s0, 0, s50
	v_cvt_u32_f32_e32 v4, v3
	s_mul_i32 s0, s0, s7
	v_lshlrev_b64 v[2:3], 2, v[7:8]
	s_mul_hi_u32 s8, s7, s0
	v_not_b32_e32 v17, v1
	s_add_i32 s58, s7, s8
	v_lshrrev_b32_e32 v1, 1, v0
	s_mul_hi_u32 s7, s36, s58
	v_add_co_u32 v5, vcc_lo, s31, v2
	s_mul_i32 s7, s7, s50
	v_add_co_ci_u32_e64 v6, null, s33, v3, vcc_lo
	s_sub_i32 s7, s36, s7
	v_or_b32_e32 v3, 3, v19
	s_sub_i32 s8, s7, s50
	s_cmp_ge_u32 s7, s50
	v_cmp_gt_u32_e64 s6, 2, v0
	s_cselect_b32 s7, s8, s7
	v_readfirstlane_b32 s8, v4
	s_sub_i32 s10, s7, s50
	s_cmp_ge_u32 s7, s50
	v_mul_lo_u32 v25, s30, v3
	s_cselect_b32 s10, s10, s7
	s_sub_i32 s7, 0, s42
	s_sub_i32 s59, s36, s10
	s_mul_i32 s7, s7, s8
	v_add_nc_u32_e32 v20, s59, v0
	s_mul_hi_u32 s7, s8, s7
	v_cmp_eq_u32_e64 s0, 0, v18
	s_add_i32 s60, s8, s7
	s_movk_i32 s8, 0x1f0
	v_mul_lo_u32 v8, v20, s30
	v_and_or_b32 v22, v1, s8, 0xc00
	s_mul_hi_u32 s7, s9, s60
	v_lshlrev_b32_e32 v26, 2, v7
	s_mul_i32 s7, s7, s42
	v_mov_b32_e32 v15, 1
	s_sub_i32 s7, s9, s7
	v_mov_b32_e32 v11, 0
	v_lshlrev_b64 v[1:2], 2, v[8:9]
	s_sub_i32 s11, s7, s42
	s_cmp_ge_u32 s7, s42
	v_mov_b32_e32 v23, 0
	s_cselect_b32 s8, s11, s7
	v_cmp_gt_u32_e64 s7, s59, v19
	v_add_co_u32 v12, vcc_lo, s31, v1
	v_add3_u32 v1, s42, s36, v0
	v_add_co_ci_u32_e64 v13, null, s33, v2, vcc_lo
	v_or_b32_e32 v2, 2, v19
	s_sub_i32 s11, s8, s42
	v_subrev_nc_u32_e32 v1, s10, v1
	s_cmp_ge_u32 s8, s42
	v_mov_b32_e32 v30, 0
	s_cselect_b32 s11, s11, s8
	v_mul_lo_u32 v24, s30, v2
	v_mul_lo_u32 v27, s30, v1
	s_sub_i32 s61, s9, s11
	v_cmp_gt_u32_e64 s8, s36, v20
	v_cmp_gt_u32_e64 s9, s61, v0
	s_mul_i32 s44, s30, s42
	s_lshl_b32 s63, s42, 4
	s_lshl_b32 s62, s44, 2
	s_mov_b32 s69, 30
	s_mov_b32 s65, 0
                                        ; implicit-def: $sgpr64
                                        ; implicit-def: $sgpr68
                                        ; implicit-def: $sgpr67
                                        ; implicit-def: $sgpr70
                                        ; implicit-def: $sgpr66
                                        ; implicit-def: $sgpr74
                                        ; implicit-def: $sgpr75
                                        ; implicit-def: $sgpr71
                                        ; implicit-def: $sgpr73
                                        ; implicit-def: $sgpr72
	s_branch .LBB30_6
.LBB30_4:                               ;   in Loop: Header=BB30_6 Depth=1
	s_or_b32 exec_lo, exec_lo, s13
	v_mov_b32_e32 v31, v32
	s_andn2_b32 s13, s72, exec_lo
	s_and_b32 s12, s12, exec_lo
	s_andn2_b32 s73, s73, exec_lo
	s_or_b32 s72, s13, s12
	s_andn2_b32 s71, s71, exec_lo
	s_andn2_b32 s75, s75, exec_lo
	;; [unrolled: 1-line block ×3, first 2 shown]
	s_orn2_b32 s13, s11, exec_lo
.LBB30_5:                               ;   in Loop: Header=BB30_6 Depth=1
	s_or_b32 exec_lo, exec_lo, s10
	s_and_b32 s10, exec_lo, s13
	s_or_b32 s43, s10, s43
	s_andn2_b32 s10, s66, exec_lo
	s_and_b32 s11, s72, exec_lo
	s_andn2_b32 s12, s70, exec_lo
	s_or_b32 s66, s10, s11
	s_and_b32 s10, s73, exec_lo
	s_andn2_b32 s11, s67, exec_lo
	s_and_b32 s13, s71, exec_lo
	s_or_b32 s70, s12, s10
	s_or_b32 s67, s11, s13
	s_andn2_b32 s10, s68, exec_lo
	s_and_b32 s11, s75, exec_lo
	s_andn2_b32 s12, s64, exec_lo
	s_and_b32 s13, s74, exec_lo
	s_or_b32 s68, s10, s11
	s_or_b32 s64, s12, s13
	s_andn2_b32 exec_lo, exec_lo, s43
	s_cbranch_execz .LBB30_391
.LBB30_6:                               ; =>This Loop Header: Depth=1
                                        ;     Child Loop BB30_12 Depth 2
                                        ;     Child Loop BB30_25 Depth 2
	;; [unrolled: 1-line block ×24, first 2 shown]
	ds_read_b64 v[1:2], v9 offset:4096
	s_waitcnt lgkmcnt(0)
	v_readfirstlane_b32 s76, v1
	s_cmp_lg_u32 s76, 0
	s_cbranch_scc1 .LBB30_33
; %bb.7:                                ;   in Loop: Header=BB30_6 Depth=1
	s_and_b32 vcc_lo, exec_lo, s52
	s_cbranch_vccz .LBB30_20
; %bb.8:                                ;   in Loop: Header=BB30_6 Depth=1
	v_cmp_gt_u32_e32 vcc_lo, 0x301, v2
	s_mov_b32 s12, 0
	s_mov_b32 s10, 0
	s_cbranch_vccz .LBB30_21
; %bb.9:                                ;   in Loop: Header=BB30_6 Depth=1
	s_and_saveexec_b32 s13, s2
	s_cbranch_execz .LBB30_80
; %bb.10:                               ;   in Loop: Header=BB30_6 Depth=1
	global_load_ushort v1, v9, s[38:39]
	global_load_dword v3, v[5:6], off
	v_mov_b32_e32 v4, v0
	s_mov_b32 s14, 0
	s_waitcnt vmcnt(1)
	v_add_nc_u32_e32 v2, v0, v1
	v_mul_lo_u32 v8, s30, v2
	v_mul_lo_u32 v2, s30, v1
	s_branch .LBB30_12
.LBB30_11:                              ;   in Loop: Header=BB30_12 Depth=2
	s_or_b32 exec_lo, exec_lo, s11
	v_add_nc_u32_e32 v8, v8, v2
	v_mov_b32_e32 v3, v10
	s_andn2_b32 exec_lo, exec_lo, s14
	s_cbranch_execz .LBB30_80
.LBB30_12:                              ;   Parent Loop BB30_6 Depth=1
                                        ; =>  This Inner Loop Header: Depth=2
	v_add_nc_u32_e32 v4, v4, v1
	s_waitcnt lgkmcnt(0)
	v_mov_b32_e32 v16, 0
	v_mov_b32_e32 v10, 0
	s_mov_b32 s11, exec_lo
	v_cmp_le_u32_e32 vcc_lo, s36, v4
	v_cmpx_gt_u32_e64 s36, v4
	s_cbranch_execz .LBB30_14
; %bb.13:                               ;   in Loop: Header=BB30_12 Depth=2
	v_lshlrev_b64 v[32:33], 2, v[8:9]
	v_add_co_u32 v32, s10, s31, v32
	v_add_co_ci_u32_e64 v33, null, s33, v33, s10
	global_load_dword v10, v[32:33], off
.LBB30_14:                              ;   in Loop: Header=BB30_12 Depth=2
	s_or_b32 exec_lo, exec_lo, s11
	s_waitcnt vmcnt(0)
	v_xor_b32_e32 v32, 0x80000000, v3
	v_and_b32_e32 v32, v32, v30
	v_cmp_eq_u32_e64 s10, v32, v23
	s_cmp_lg_u32 s10, 0
	s_cselect_b32 s11, -1, 0
	s_and_b32 s11, s0, s11
	s_and_saveexec_b32 s15, s11
	s_cbranch_execz .LBB30_18
; %bb.15:                               ;   in Loop: Header=BB30_12 Depth=2
	s_mov_b32 s18, exec_lo
	s_bcnt1_i32_b32 s16, s10
	v_mbcnt_lo_u32_b32 v16, s18, 0
	s_mov_b32 s17, exec_lo
                                        ; implicit-def: $vgpr32
	v_cmpx_eq_u32_e32 0, v16
; %bb.16:                               ;   in Loop: Header=BB30_12 Depth=2
	s_bcnt1_i32_b32 s11, s18
	s_mul_i32 s11, s16, s11
	v_mov_b32_e32 v32, s11
	ds_add_rtn_u32 v32, v9, v32 offset:4104
; %bb.17:                               ;   in Loop: Header=BB30_12 Depth=2
	s_or_b32 exec_lo, exec_lo, s17
	s_waitcnt lgkmcnt(0)
	v_readfirstlane_b32 s11, v32
	v_mad_u32_u24 v16, s16, v16, s11
.LBB30_18:                              ;   in Loop: Header=BB30_12 Depth=2
	s_or_b32 exec_lo, exec_lo, s15
	ds_bpermute_b32 v16, v9, v16
	s_and_b32 s11, exec_lo, vcc_lo
	s_or_b32 s14, s11, s14
	s_and_saveexec_b32 s11, s10
	s_cbranch_execz .LBB30_11
; %bb.19:                               ;   in Loop: Header=BB30_12 Depth=2
	v_and_b32_e32 v32, s10, v17
	v_bcnt_u32_b32 v32, v32, 0
	v_lshlrev_b32_e32 v32, 2, v32
	s_waitcnt lgkmcnt(0)
	v_lshl_add_u32 v16, v16, 2, v32
	ds_write_b32 v16, v3
	s_branch .LBB30_11
.LBB30_20:                              ;   in Loop: Header=BB30_6 Depth=1
	s_mov_b32 s12, -1
	s_mov_b32 s10, 0
.LBB30_21:                              ;   in Loop: Header=BB30_6 Depth=1
	s_and_b32 vcc_lo, exec_lo, s12
	s_cbranch_vccz .LBB30_31
.LBB30_22:                              ;   in Loop: Header=BB30_6 Depth=1
	s_and_saveexec_b32 s10, s2
	s_cbranch_execz .LBB30_28
; %bb.23:                               ;   in Loop: Header=BB30_6 Depth=1
	global_load_ushort v1, v9, s[38:39]
	global_load_dword v3, v[5:6], off
	v_mov_b32_e32 v2, v0
	s_mov_b32 s11, exec_lo
	s_waitcnt vmcnt(1)
	v_add_nc_u32_e32 v4, v0, v1
	v_cmpx_gt_u32_e64 s36, v4
	s_cbranch_execz .LBB30_27
; %bb.24:                               ;   in Loop: Header=BB30_6 Depth=1
	v_mul_lo_u32 v8, s30, v4
	v_mul_lo_u32 v4, s30, v1
	v_lshlrev_b32_e32 v10, 2, v1
	v_mov_b32_e32 v16, v19
	v_mov_b32_e32 v2, v0
	s_mov_b32 s12, 0
	.p2align	6
.LBB30_25:                              ;   Parent Loop BB30_6 Depth=1
                                        ; =>  This Inner Loop Header: Depth=2
	v_lshlrev_b64 v[32:33], 2, v[8:9]
	v_add_nc_u32_e32 v2, v2, v1
	s_waitcnt vmcnt(0)
	ds_write_b32 v16, v3
	v_add_nc_u32_e32 v16, v16, v10
	v_add_nc_u32_e32 v8, v8, v4
	v_add_co_u32 v32, vcc_lo, s31, v32
	v_add_co_ci_u32_e64 v33, null, s33, v33, vcc_lo
	global_load_dword v32, v[32:33], off
	v_add_nc_u32_e32 v33, v1, v2
	v_cmp_le_u32_e32 vcc_lo, s36, v33
	s_or_b32 s12, vcc_lo, s12
	s_waitcnt vmcnt(0)
	v_mov_b32_e32 v3, v32
	s_andn2_b32 exec_lo, exec_lo, s12
	s_cbranch_execnz .LBB30_25
; %bb.26:                               ;   in Loop: Header=BB30_6 Depth=1
	s_or_b32 exec_lo, exec_lo, s12
	v_mov_b32_e32 v3, v32
.LBB30_27:                              ;   in Loop: Header=BB30_6 Depth=1
	s_or_b32 exec_lo, exec_lo, s11
	v_lshlrev_b32_e32 v1, 2, v2
	s_waitcnt vmcnt(0)
	ds_write_b32 v1, v3
.LBB30_28:                              ;   in Loop: Header=BB30_6 Depth=1
	s_or_b32 exec_lo, exec_lo, s10
	s_waitcnt lgkmcnt(0)
	s_barrier
	buffer_gl0_inv
	s_and_saveexec_b32 s10, s3
; %bb.29:                               ;   in Loop: Header=BB30_6 Depth=1
	v_mov_b32_e32 v1, s36
	ds_write_b32 v9, v1 offset:4096
; %bb.30:                               ;   in Loop: Header=BB30_6 Depth=1
	s_or_b32 exec_lo, exec_lo, s10
	s_mov_b32 s10, -1
	s_waitcnt lgkmcnt(0)
	s_barrier
.LBB30_31:                              ;   in Loop: Header=BB30_6 Depth=1
	s_and_b32 vcc_lo, exec_lo, s10
	s_mov_b32 s76, 0
	s_cbranch_vccz .LBB30_33
; %bb.32:                               ;   in Loop: Header=BB30_6 Depth=1
	buffer_gl0_inv
	ds_read_b32 v1, v9 offset:4096
	s_waitcnt lgkmcnt(0)
	v_readfirstlane_b32 s76, v1
.LBB30_33:                              ;   in Loop: Header=BB30_6 Depth=1
	s_cmp_lt_i32 s76, 1
	s_mov_b32 s10, -1
                                        ; implicit-def: $vgpr4
	s_cbranch_scc1 .LBB30_43
; %bb.34:                               ;   in Loop: Header=BB30_6 Depth=1
	s_and_b32 vcc_lo, exec_lo, s10
	s_cbranch_vccnz .LBB30_54
.LBB30_35:                              ;   in Loop: Header=BB30_6 Depth=1
	s_lshl_b32 s10, s65, 7
	s_and_saveexec_b32 s11, s0
.LBB30_36:                              ;   in Loop: Header=BB30_6 Depth=1
	v_lshl_add_u32 v8, s10, 2, v22
	ds_write_b128 v8, v[1:4]
.LBB30_37:                              ;   in Loop: Header=BB30_6 Depth=1
	s_or_b32 exec_lo, exec_lo, s11
	s_waitcnt lgkmcnt(0)
	s_barrier
	buffer_gl0_inv
	s_and_saveexec_b32 s11, s49
	s_cbranch_execz .LBB30_67
; %bb.38:                               ;   in Loop: Header=BB30_6 Depth=1
	v_mov_b32_e32 v1, 0
	s_andn2_b32 vcc_lo, exec_lo, s53
	s_cbranch_vccnz .LBB30_66
; %bb.39:                               ;   in Loop: Header=BB30_6 Depth=1
	s_andn2_b32 vcc_lo, exec_lo, s56
	s_cbranch_vccnz .LBB30_63
; %bb.40:                               ;   in Loop: Header=BB30_6 Depth=1
	v_lshl_add_u32 v2, s65, 9, v29
	v_mov_b32_e32 v1, 0
	s_mov_b32 s12, 0
	.p2align	6
.LBB30_41:                              ;   Parent Loop BB30_6 Depth=1
                                        ; =>  This Inner Loop Header: Depth=2
	ds_read2_b32 v[3:4], v2 offset1:4
	ds_read2_b32 v[32:33], v2 offset0:8 offset1:12
	ds_read2_b32 v[34:35], v2 offset0:16 offset1:20
	;; [unrolled: 1-line block ×3, first 2 shown]
	v_add_nc_u32_e32 v2, 0x80, v2
	s_add_i32 s12, s12, 8
	s_cmp_eq_u32 s51, s12
	s_waitcnt lgkmcnt(3)
	v_add3_u32 v1, v3, v1, v4
	s_waitcnt lgkmcnt(2)
	v_add3_u32 v1, v32, v1, v33
	s_waitcnt lgkmcnt(1)
	v_add3_u32 v1, v34, v1, v35
	s_waitcnt lgkmcnt(0)
	v_add3_u32 v1, v36, v1, v37
	s_cbranch_scc0 .LBB30_41
; %bb.42:                               ;   in Loop: Header=BB30_6 Depth=1
	s_mov_b32 s12, s51
	s_andn2_b32 vcc_lo, exec_lo, s57
	s_cbranch_vccz .LBB30_64
	s_branch .LBB30_66
.LBB30_43:                              ;   in Loop: Header=BB30_6 Depth=1
	v_mov_b32_e32 v1, 0
	v_mov_b32_e32 v2, 0
	;; [unrolled: 1-line block ×4, first 2 shown]
	s_and_saveexec_b32 s21, s7
	s_cbranch_execz .LBB30_47
; %bb.44:                               ;   in Loop: Header=BB30_6 Depth=1
	v_mov_b32_e32 v10, v19
	s_mov_b32 s22, 0
	s_mov_b32 s23, 0
	;; [unrolled: 1-line block ×6, first 2 shown]
.LBB30_45:                              ;   Parent Loop BB30_6 Depth=1
                                        ; =>  This Inner Loop Header: Depth=2
	v_add_nc_u32_e32 v8, s23, v26
	v_add_nc_u32_e32 v10, s50, v10
	v_lshlrev_b64 v[1:2], 2, v[8:9]
	v_add_nc_u32_e32 v8, s23, v14
	v_lshlrev_b64 v[3:4], 2, v[8:9]
	v_add_nc_u32_e32 v8, s23, v24
	v_add_co_u32 v1, vcc_lo, s31, v1
	v_add_co_ci_u32_e64 v2, null, s33, v2, vcc_lo
	v_lshlrev_b64 v[32:33], 2, v[8:9]
	v_add_nc_u32_e32 v8, s23, v25
	s_add_i32 s23, s23, s62
	global_load_dword v16, v[1:2], off
	v_add_co_u32 v1, vcc_lo, s31, v3
	v_add_co_ci_u32_e64 v2, null, s33, v4, vcc_lo
	v_add_co_u32 v32, vcc_lo, s31, v32
	v_add_co_ci_u32_e64 v33, null, s33, v33, vcc_lo
	v_lshlrev_b64 v[3:4], 2, v[8:9]
	s_clause 0x1
	global_load_dword v8, v[1:2], off
	global_load_dword v32, v[32:33], off
	v_add_co_u32 v1, vcc_lo, s31, v3
	v_add_co_ci_u32_e64 v2, null, s33, v4, vcc_lo
	v_cmp_le_u32_e32 vcc_lo, s59, v10
	global_load_dword v1, v[1:2], off
	s_waitcnt vmcnt(3)
	v_xor_b32_e32 v2, 0x80000000, v16
	v_and_b32_e32 v3, v2, v30
	v_bfe_u32 v2, v2, s69, 2
	s_waitcnt vmcnt(2)
	v_xor_b32_e32 v4, 0x80000000, v8
	v_cmp_eq_u32_e64 s10, v3, v23
	v_cmp_eq_u32_e64 s11, 0, v2
	s_waitcnt vmcnt(1)
	v_xor_b32_e32 v8, 0x80000000, v32
	v_cmp_eq_u32_e64 s12, 1, v2
	v_and_b32_e32 v3, v4, v30
	v_bfe_u32 v4, v4, s69, 2
	v_cmp_eq_u32_e64 s13, 2, v2
	s_and_b32 s11, s10, s11
	v_cmp_eq_u32_e64 s14, 3, v2
	v_cmp_eq_u32_e64 s15, v3, v23
	v_and_b32_e32 v2, v8, v30
	v_bfe_u32 v3, v8, s69, 2
	v_cmp_eq_u32_e64 s16, 0, v4
	v_cndmask_b32_e64 v8, 0, 1, s11
	v_cmp_eq_u32_e64 s11, 1, v4
	s_and_b32 s12, s10, s12
	s_and_b32 s13, s10, s13
	v_cndmask_b32_e64 v16, 0, 1, s12
	v_cmp_eq_u32_e64 s12, 2, v4
	s_waitcnt vmcnt(0)
	v_xor_b32_e32 v1, 0x80000000, v1
	v_cndmask_b32_e64 v32, 0, 1, s13
	s_and_b32 s10, s10, s14
	s_and_b32 s16, s15, s16
	;; [unrolled: 1-line block ×3, first 2 shown]
	v_cmp_eq_u32_e64 s13, 3, v4
	v_cndmask_b32_e64 v4, 0, 1, s10
	v_cmp_eq_u32_e64 s10, v2, v23
	v_cmp_eq_u32_e64 s14, 0, v3
	v_cmp_ne_u32_e64 s17, 0, v8
	v_cndmask_b32_e64 v8, 0, 1, s16
	v_cmp_eq_u32_e64 s16, 1, v3
	v_cmp_ne_u32_e64 s18, 0, v16
	v_cndmask_b32_e64 v16, 0, 1, s11
	v_cmp_eq_u32_e64 s11, 2, v3
	s_and_b32 s12, s15, s12
	v_and_b32_e32 v2, v1, v30
	v_bfe_u32 v1, v1, s69, 2
	v_cmp_ne_u32_e64 s19, 0, v32
	v_cndmask_b32_e64 v32, 0, 1, s12
	v_cmp_eq_u32_e64 s12, 3, v3
	s_and_b32 s13, s15, s13
	s_and_b32 s14, s10, s14
	s_and_b32 s16, s10, s16
	s_and_b32 s11, s10, s11
	v_cmp_ne_u32_e64 s20, 0, v4
	v_cndmask_b32_e64 v3, 0, 1, s13
	v_cmp_eq_u32_e64 s13, v2, v23
	v_cmp_eq_u32_e64 s15, 0, v1
	s_bcnt1_i32_b32 s28, s17
	v_cmp_ne_u32_e64 s17, 0, v8
	v_cndmask_b32_e64 v2, 0, 1, s14
	v_cmp_eq_u32_e64 s14, 1, v1
	v_cndmask_b32_e64 v4, 0, 1, s16
	v_cmp_eq_u32_e64 s16, 2, v1
	;; [unrolled: 2-line block ×3, first 2 shown]
	s_and_b32 s10, s10, s12
	s_bcnt1_i32_b32 s78, s20
	v_cndmask_b32_e64 v1, 0, 1, s10
	v_cmp_ne_u32_e64 s20, 0, v3
	s_and_b32 s12, s13, s15
	s_and_b32 s14, s13, s14
	;; [unrolled: 1-line block ×4, first 2 shown]
	v_cmp_ne_u32_e64 s10, 0, v2
	v_cndmask_b32_e64 v2, 0, 1, s12
	v_cmp_ne_u32_e64 s12, 0, v4
	v_cndmask_b32_e64 v3, 0, 1, s14
	v_cndmask_b32_e64 v4, 0, 1, s15
	v_cmp_ne_u32_e64 s15, 0, v1
	v_cndmask_b32_e64 v1, 0, 1, s11
	s_bcnt1_i32_b32 s29, s18
	v_cmp_ne_u32_e64 s18, 0, v16
	s_bcnt1_i32_b32 s77, s19
	v_cmp_ne_u32_e64 s19, 0, v32
	s_add_i32 s24, s78, s24
	v_cmp_ne_u32_e64 s14, 0, v8
	s_bcnt1_i32_b32 s16, s20
	s_bcnt1_i32_b32 s20, s10
	s_add_i32 s16, s24, s16
	v_cmp_ne_u32_e64 s10, 0, v2
	s_bcnt1_i32_b32 s24, s12
	v_cmp_ne_u32_e64 s11, 0, v3
	v_cmp_ne_u32_e64 s12, 0, v4
	;; [unrolled: 1-line block ×3, first 2 shown]
	s_add_i32 s27, s28, s27
	s_add_i32 s26, s29, s26
	;; [unrolled: 1-line block ×3, first 2 shown]
	s_bcnt1_i32_b32 s17, s17
	s_bcnt1_i32_b32 s18, s18
	s_bcnt1_i32_b32 s19, s19
	s_add_i32 s17, s27, s17
	s_add_i32 s18, s26, s18
	;; [unrolled: 1-line block ×3, first 2 shown]
	s_bcnt1_i32_b32 s14, s14
	s_bcnt1_i32_b32 s15, s15
	s_add_i32 s17, s17, s20
	s_add_i32 s18, s18, s24
	;; [unrolled: 1-line block ×4, first 2 shown]
	s_bcnt1_i32_b32 s10, s10
	s_bcnt1_i32_b32 s11, s11
	;; [unrolled: 1-line block ×4, first 2 shown]
	s_add_i32 s27, s17, s10
	s_add_i32 s26, s18, s11
	s_add_i32 s25, s14, s12
	s_add_i32 s24, s15, s13
	v_mov_b32_e32 v1, s27
	v_mov_b32_e32 v2, s26
	;; [unrolled: 1-line block ×4, first 2 shown]
	s_or_b32 s22, vcc_lo, s22
	s_andn2_b32 exec_lo, exec_lo, s22
	s_cbranch_execnz .LBB30_45
; %bb.46:                               ;   in Loop: Header=BB30_6 Depth=1
	s_or_b32 exec_lo, exec_lo, s22
.LBB30_47:                              ;   in Loop: Header=BB30_6 Depth=1
	s_or_b32 exec_lo, exec_lo, s21
	s_and_saveexec_b32 s14, s8
	s_cbranch_execz .LBB30_53
; %bb.48:                               ;   in Loop: Header=BB30_6 Depth=1
	global_load_dword v32, v[12:13], off
	v_mov_b32_e32 v8, v27
	v_mov_b32_e32 v10, v20
	s_mov_b32 s15, 0
	s_branch .LBB30_50
.LBB30_49:                              ;   in Loop: Header=BB30_50 Depth=2
	s_or_b32 exec_lo, exec_lo, s11
	s_waitcnt vmcnt(0)
	v_xor_b32_e32 v32, 0x80000000, v32
	s_and_b32 s11, exec_lo, vcc_lo
	v_add_nc_u32_e32 v8, s44, v8
	s_or_b32 s15, s11, s15
	v_and_b32_e32 v33, v32, v30
	v_bfe_u32 v32, v32, s69, 2
	v_cmp_eq_u32_e32 vcc_lo, v33, v23
	v_cmp_eq_u32_e64 s10, 0, v32
	v_cmp_eq_u32_e64 s11, 1, v32
	;; [unrolled: 1-line block ×4, first 2 shown]
	s_and_b32 s10, vcc_lo, s10
	v_cndmask_b32_e64 v32, 0, 1, s10
	s_and_b32 s10, vcc_lo, s11
	v_cndmask_b32_e64 v33, 0, 1, s10
	;; [unrolled: 2-line block ×3, first 2 shown]
	s_and_b32 s10, vcc_lo, s13
	v_cmp_ne_u32_e32 vcc_lo, 0, v32
	v_cndmask_b32_e64 v35, 0, 1, s10
	v_cmp_ne_u32_e64 s10, 0, v33
	v_cmp_ne_u32_e64 s11, 0, v34
	v_mov_b32_e32 v32, v16
	s_bcnt1_i32_b32 s13, vcc_lo
	v_cmp_ne_u32_e64 s12, 0, v35
	s_bcnt1_i32_b32 s10, s10
	s_bcnt1_i32_b32 s11, s11
	v_add_nc_u32_e32 v1, s13, v1
	v_add_nc_u32_e32 v2, s10, v2
	s_bcnt1_i32_b32 s12, s12
	v_add_nc_u32_e32 v3, s11, v3
	v_add_nc_u32_e32 v4, s12, v4
	s_andn2_b32 exec_lo, exec_lo, s15
	s_cbranch_execz .LBB30_52
.LBB30_50:                              ;   Parent Loop BB30_6 Depth=1
                                        ; =>  This Inner Loop Header: Depth=2
	v_add_nc_u32_e32 v10, s42, v10
	v_mov_b32_e32 v16, 0
	s_mov_b32 s11, exec_lo
	v_cmp_le_u32_e32 vcc_lo, s36, v10
	v_cmpx_gt_u32_e64 s36, v10
	s_cbranch_execz .LBB30_49
; %bb.51:                               ;   in Loop: Header=BB30_50 Depth=2
	v_lshlrev_b64 v[33:34], 2, v[8:9]
	v_add_co_u32 v33, s10, s31, v33
	v_add_co_ci_u32_e64 v34, null, s33, v34, s10
	global_load_dword v16, v[33:34], off
	s_branch .LBB30_49
.LBB30_52:                              ;   in Loop: Header=BB30_6 Depth=1
	s_or_b32 exec_lo, exec_lo, s15
.LBB30_53:                              ;   in Loop: Header=BB30_6 Depth=1
	s_or_b32 exec_lo, exec_lo, s14
	s_branch .LBB30_35
.LBB30_54:                              ;   in Loop: Header=BB30_6 Depth=1
	s_mul_hi_u32 s10, s76, s58
	v_mov_b32_e32 v1, 0
	s_mul_i32 s10, s10, s50
	v_mov_b32_e32 v2, 0
	s_sub_i32 s10, s76, s10
	v_mov_b32_e32 v3, 0
	s_sub_i32 s11, s10, s50
	s_cmp_ge_u32 s10, s50
	v_mov_b32_e32 v4, 0
	s_cselect_b32 s10, s11, s10
	s_mov_b32 s78, exec_lo
	s_sub_i32 s11, s10, s50
	s_cmp_ge_u32 s10, s50
	s_cselect_b32 s10, s11, s10
	s_sub_i32 s77, s76, s10
	v_cmpx_gt_u32_e64 s77, v19
	s_cbranch_execz .LBB30_58
; %bb.55:                               ;   in Loop: Header=BB30_6 Depth=1
	v_mov_b32_e32 v8, v28
	v_mov_b32_e32 v10, v19
	s_mov_b32 s79, 0
	s_mov_b32 s80, 0
	;; [unrolled: 1-line block ×5, first 2 shown]
.LBB30_56:                              ;   Parent Loop BB30_6 Depth=1
                                        ; =>  This Inner Loop Header: Depth=2
	ds_read_b128 v[1:4], v8
	v_add_nc_u32_e32 v10, s50, v10
	v_add_nc_u32_e32 v8, s63, v8
	v_cmp_le_u32_e32 vcc_lo, s77, v10
	s_waitcnt lgkmcnt(0)
	v_xor_b32_e32 v1, 0x80000000, v1
	v_xor_b32_e32 v2, 0x80000000, v2
	;; [unrolled: 1-line block ×4, first 2 shown]
	v_and_b32_e32 v16, v1, v30
	v_bfe_u32 v1, v1, s69, 2
	v_and_b32_e32 v32, v2, v30
	v_bfe_u32 v2, v2, s69, 2
	v_and_b32_e32 v33, v3, v30
	v_bfe_u32 v3, v3, s69, 2
	v_cmp_eq_u32_e64 s10, v16, v23
	v_cmp_eq_u32_e64 s14, 0, v1
	v_and_b32_e32 v34, v4, v30
	v_bfe_u32 v4, v4, s69, 2
	v_cmp_eq_u32_e64 s11, v32, v23
	v_cmp_eq_u32_e64 s15, 0, v2
	;; [unrolled: 1-line block ×4, first 2 shown]
	s_and_b32 s14, s10, s14
	v_cmp_eq_u32_e64 s13, v34, v23
	v_cmp_eq_u32_e64 s17, 0, v4
	;; [unrolled: 1-line block ×5, first 2 shown]
	v_cndmask_b32_e64 v1, 0, 1, s14
	s_and_b32 s14, s11, s15
	v_cmp_eq_u32_e64 s19, 1, v2
	v_cmp_eq_u32_e64 s23, 2, v2
	v_cmp_eq_u32_e64 s27, 3, v2
	v_cndmask_b32_e64 v2, 0, 1, s14
	s_and_b32 s14, s12, s16
	v_cmp_eq_u32_e64 s20, 1, v3
	v_cmp_eq_u32_e64 s24, 2, v3
	v_cmp_eq_u32_e64 s28, 3, v3
	;; [unrolled: 5-line block ×3, first 2 shown]
	v_cndmask_b32_e64 v4, 0, 1, s14
	s_and_b32 s14, s10, s18
	v_cndmask_b32_e64 v16, 0, 1, s14
	s_and_b32 s14, s11, s19
	;; [unrolled: 2-line block ×4, first 2 shown]
	v_cmp_ne_u32_e64 s15, 0, v32
	v_cndmask_b32_e64 v34, 0, 1, s14
	s_and_b32 s14, s10, s22
	s_and_b32 s10, s10, s26
	v_cndmask_b32_e64 v35, 0, 1, s14
	s_and_b32 s14, s11, s23
	v_cndmask_b32_e64 v39, 0, 1, s10
	s_and_b32 s10, s11, s27
	v_cndmask_b32_e64 v36, 0, 1, s14
	s_and_b32 s14, s12, s24
	v_cndmask_b32_e64 v40, 0, 1, s10
	s_and_b32 s10, s12, s28
	v_cndmask_b32_e64 v37, 0, 1, s14
	s_and_b32 s14, s13, s25
	v_cndmask_b32_e64 v41, 0, 1, s10
	s_and_b32 s10, s13, s29
	v_cndmask_b32_e64 v38, 0, 1, s14
	v_cndmask_b32_e64 v42, 0, 1, s10
	v_cmp_ne_u32_e64 s10, 0, v1
	v_cmp_ne_u32_e64 s14, 0, v16
	;; [unrolled: 1-line block ×11, first 2 shown]
	s_bcnt1_i32_b32 s10, s10
	s_bcnt1_i32_b32 s14, s14
	;; [unrolled: 1-line block ×4, first 2 shown]
	v_cmp_ne_u32_e64 s13, 0, v4
	v_cmp_ne_u32_e64 s17, 0, v34
	;; [unrolled: 1-line block ×4, first 2 shown]
	s_bcnt1_i32_b32 s11, s11
	s_bcnt1_i32_b32 s15, s15
	s_bcnt1_i32_b32 s19, s19
	s_bcnt1_i32_b32 s23, s23
	s_add_i32 s10, s10, s83
	s_add_i32 s14, s14, s82
	s_add_i32 s18, s18, s81
	s_add_i32 s22, s22, s80
	s_bcnt1_i32_b32 s12, s12
	s_bcnt1_i32_b32 s16, s16
	s_bcnt1_i32_b32 s20, s20
	s_bcnt1_i32_b32 s24, s24
	s_add_i32 s10, s10, s11
	s_add_i32 s11, s14, s15
	s_add_i32 s14, s18, s19
	s_add_i32 s15, s22, s23
	;; [unrolled: 8-line block ×3, first 2 shown]
	s_add_i32 s83, s10, s13
	s_add_i32 s82, s11, s17
	;; [unrolled: 1-line block ×4, first 2 shown]
	v_mov_b32_e32 v1, s83
	v_mov_b32_e32 v2, s82
	;; [unrolled: 1-line block ×4, first 2 shown]
	s_or_b32 s79, vcc_lo, s79
	s_andn2_b32 exec_lo, exec_lo, s79
	s_cbranch_execnz .LBB30_56
; %bb.57:                               ;   in Loop: Header=BB30_6 Depth=1
	s_or_b32 exec_lo, exec_lo, s79
.LBB30_58:                              ;   in Loop: Header=BB30_6 Depth=1
	s_or_b32 exec_lo, exec_lo, s78
	v_add_nc_u32_e32 v8, s77, v0
	s_mov_b32 s15, exec_lo
	v_cmpx_gt_u32_e64 s76, v8
	s_cbranch_execz .LBB30_62
; %bb.59:                               ;   in Loop: Header=BB30_6 Depth=1
	v_lshlrev_b32_e32 v10, 2, v8
	s_mov_b32 s16, 0
.LBB30_60:                              ;   Parent Loop BB30_6 Depth=1
                                        ; =>  This Inner Loop Header: Depth=2
	ds_read_b32 v16, v10
	v_add_nc_u32_e32 v8, s42, v8
	v_add_nc_u32_e32 v10, s50, v10
	v_cmp_le_u32_e32 vcc_lo, s76, v8
	s_waitcnt lgkmcnt(0)
	v_xor_b32_e32 v16, 0x80000000, v16
	v_and_b32_e32 v32, v16, v30
	v_bfe_u32 v16, v16, s69, 2
	v_cmp_eq_u32_e64 s10, v32, v23
	v_cmp_eq_u32_e64 s11, 0, v16
	;; [unrolled: 1-line block ×5, first 2 shown]
	s_and_b32 s11, s10, s11
	v_cndmask_b32_e64 v16, 0, 1, s11
	s_and_b32 s11, s10, s12
	v_cndmask_b32_e64 v32, 0, 1, s11
	s_and_b32 s11, s10, s13
	s_and_b32 s10, s10, s14
	v_cndmask_b32_e64 v33, 0, 1, s11
	v_cndmask_b32_e64 v34, 0, 1, s10
	v_cmp_ne_u32_e64 s10, 0, v16
	v_cmp_ne_u32_e64 s11, 0, v32
	;; [unrolled: 1-line block ×4, first 2 shown]
	s_bcnt1_i32_b32 s10, s10
	s_bcnt1_i32_b32 s11, s11
	v_add_nc_u32_e32 v1, s10, v1
	s_bcnt1_i32_b32 s12, s12
	s_bcnt1_i32_b32 s13, s13
	v_add_nc_u32_e32 v2, s11, v2
	v_add_nc_u32_e32 v3, s12, v3
	;; [unrolled: 1-line block ×3, first 2 shown]
	s_or_b32 s16, vcc_lo, s16
	s_andn2_b32 exec_lo, exec_lo, s16
	s_cbranch_execnz .LBB30_60
; %bb.61:                               ;   in Loop: Header=BB30_6 Depth=1
	s_or_b32 exec_lo, exec_lo, s16
.LBB30_62:                              ;   in Loop: Header=BB30_6 Depth=1
	s_or_b32 exec_lo, exec_lo, s15
	s_lshl_b32 s10, s65, 7
	s_and_saveexec_b32 s11, s0
	s_cbranch_execnz .LBB30_36
	s_branch .LBB30_37
.LBB30_63:                              ;   in Loop: Header=BB30_6 Depth=1
	v_mov_b32_e32 v1, 0
	s_mov_b32 s12, 0
	s_andn2_b32 vcc_lo, exec_lo, s57
	s_cbranch_vccnz .LBB30_66
.LBB30_64:                              ;   in Loop: Header=BB30_6 Depth=1
	s_lshl_b32 s13, s65, 9
	s_lshl_b32 s12, s12, 4
	v_add3_u32 v2, s13, s12, v29
	s_mov_b32 s12, s55
.LBB30_65:                              ;   Parent Loop BB30_6 Depth=1
                                        ; =>  This Inner Loop Header: Depth=2
	ds_read_b32 v3, v2
	v_add_nc_u32_e32 v2, 16, v2
	s_add_i32 s12, s12, -1
	s_cmp_lg_u32 s12, 0
	s_waitcnt lgkmcnt(0)
	v_add_nc_u32_e32 v1, v3, v1
	s_cbranch_scc1 .LBB30_65
.LBB30_66:                              ;   in Loop: Header=BB30_6 Depth=1
	v_add_lshl_u32 v2, s10, v18, 2
	ds_write_b32 v2, v1 offset:3072
.LBB30_67:                              ;   in Loop: Header=BB30_6 Depth=1
	s_or_b32 exec_lo, exec_lo, s11
	s_lshl_b32 s10, s10, 2
	s_waitcnt lgkmcnt(0)
	v_mov_b32_e32 v1, s10
	s_barrier
	buffer_gl0_inv
	v_cmp_eq_u32_e64 s10, 1, v31
	s_lshl_b32 s14, 3, s69
	ds_read_b128 v[1:4], v1 offset:3072
	s_mov_b32 s22, -1
	s_not_b32 s15, s14
	s_mov_b32 s12, 0
	s_andn2_b32 vcc_lo, exec_lo, s48
	s_mov_b32 s19, 0
	s_mov_b32 s11, 0
                                        ; implicit-def: $sgpr20
                                        ; implicit-def: $sgpr21
                                        ; implicit-def: $vgpr32
                                        ; implicit-def: $vgpr10
	s_waitcnt lgkmcnt(0)
	v_readfirstlane_b32 s13, v1
	v_readfirstlane_b32 s16, v2
	;; [unrolled: 1-line block ×4, first 2 shown]
                                        ; implicit-def: $vgpr3
                                        ; implicit-def: $vgpr4
                                        ; implicit-def: $vgpr2
	s_cbranch_vccnz .LBB30_228
; %bb.68:                               ;   in Loop: Header=BB30_6 Depth=1
	s_cmp_eq_u32 s13, 1
	v_mov_b32_e32 v4, v23
	v_mov_b32_e32 v10, v30
	;; [unrolled: 1-line block ×3, first 2 shown]
	s_cselect_b32 s11, -1, 0
	s_mov_b32 s25, -1
	s_and_b32 s24, s11, s10
                                        ; implicit-def: $sgpr21
                                        ; implicit-def: $sgpr20
	s_and_saveexec_b32 s11, s24
	s_cbranch_execz .LBB30_97
; %bb.69:                               ;   in Loop: Header=BB30_6 Depth=1
	ds_read_b32 v1, v9 offset:4096
	s_waitcnt lgkmcnt(0)
	s_barrier
	buffer_gl0_inv
	v_readfirstlane_b32 s22, v1
	s_and_saveexec_b32 s19, s6
; %bb.70:                               ;   in Loop: Header=BB30_6 Depth=1
	ds_write_b32 v21, v9
; %bb.71:                               ;   in Loop: Header=BB30_6 Depth=1
	s_or_b32 exec_lo, exec_lo, s19
	v_and_b32_e32 v4, s15, v23
	v_or_b32_e32 v10, s14, v30
	s_mov_b32 s20, -1
	s_mov_b32 s21, 0
	s_cmp_eq_u32 s22, 0
	s_mov_b32 s19, 0
	s_mov_b32 s23, -1
	s_waitcnt lgkmcnt(0)
	s_barrier
	buffer_gl0_inv
                                        ; implicit-def: $vgpr2
	s_cbranch_scc1 .LBB30_85
; %bb.72:                               ;   in Loop: Header=BB30_6 Depth=1
	s_add_i32 s19, s22, s54
                                        ; implicit-def: $vgpr2
	s_mul_hi_u32 s23, s19, s60
	s_mul_i32 s23, s23, s42
	s_sub_i32 s23, s19, s23
	s_sub_i32 s25, s23, s42
	s_cmp_ge_u32 s23, s42
	s_cselect_b32 s23, s25, s23
	s_sub_i32 s25, s23, s42
	s_cmp_ge_u32 s23, s42
	s_cselect_b32 s23, s25, s23
	s_mov_b32 s25, exec_lo
	s_sub_i32 s26, s19, s23
	s_mov_b32 s23, 0
	s_mov_b32 s19, 0
	v_cmpx_gt_u32_e64 s26, v0
	s_cbranch_execz .LBB30_84
; %bb.73:                               ;   in Loop: Header=BB30_6 Depth=1
	v_mov_b32_e32 v3, v19
	v_mov_b32_e32 v8, v0
                                        ; implicit-def: $sgpr27
	s_inst_prefetch 0x1
	s_branch .LBB30_76
	.p2align	6
.LBB30_74:                              ;   in Loop: Header=BB30_76 Depth=2
	s_or_b32 exec_lo, exec_lo, s28
	s_waitcnt lgkmcnt(0)
	s_barrier
	buffer_gl0_inv
	ds_read_b64 v[1:2], v9 offset:3072
	s_mov_b32 s28, -1
	s_mov_b32 s29, -1
	s_waitcnt lgkmcnt(0)
	s_barrier
	buffer_gl0_inv
	v_cmp_ne_u32_e32 vcc_lo, 0, v1
	s_cbranch_vccz .LBB30_79
.LBB30_75:                              ;   in Loop: Header=BB30_76 Depth=2
	s_and_b32 s28, exec_lo, s28
	s_or_b32 s19, s28, s19
	s_andn2_b32 s27, s27, exec_lo
	s_and_b32 s28, s29, exec_lo
	s_or_b32 s27, s27, s28
	s_andn2_b32 exec_lo, exec_lo, s19
	s_cbranch_execz .LBB30_83
.LBB30_76:                              ;   Parent Loop BB30_6 Depth=1
                                        ; =>  This Inner Loop Header: Depth=2
	s_mov_b32 s28, exec_lo
	v_cmpx_gt_u32_e64 s22, v8
	s_cbranch_execz .LBB30_74
; %bb.77:                               ;   in Loop: Header=BB30_76 Depth=2
	ds_read_b32 v16, v3
	s_waitcnt lgkmcnt(0)
	v_xor_b32_e32 v1, 0x80000000, v16
	v_and_b32_e32 v1, v1, v10
	v_cmp_eq_u32_e32 vcc_lo, v1, v4
	s_and_b32 exec_lo, exec_lo, vcc_lo
	s_cbranch_execz .LBB30_74
; %bb.78:                               ;   in Loop: Header=BB30_76 Depth=2
	ds_write_b64 v9, v[15:16] offset:3072
	s_branch .LBB30_74
	.p2align	6
.LBB30_79:                              ;   in Loop: Header=BB30_76 Depth=2
	v_add_nc_u32_e32 v8, s42, v8
	v_add_nc_u32_e32 v3, s50, v3
	s_mov_b32 s29, 0
	v_cmp_le_u32_e32 vcc_lo, s26, v8
	s_orn2_b32 s28, vcc_lo, exec_lo
	s_branch .LBB30_75
.LBB30_80:                              ;   in Loop: Header=BB30_6 Depth=1
	s_or_b32 exec_lo, exec_lo, s13
	s_waitcnt lgkmcnt(0)
	s_barrier
	buffer_gl0_inv
	s_and_saveexec_b32 s10, s3
	s_cbranch_execz .LBB30_82
; %bb.81:                               ;   in Loop: Header=BB30_6 Depth=1
	ds_read_b32 v1, v9 offset:4104
	s_waitcnt lgkmcnt(0)
	ds_write_b32 v9, v1 offset:4096
.LBB30_82:                              ;   in Loop: Header=BB30_6 Depth=1
	s_or_b32 exec_lo, exec_lo, s10
	s_waitcnt lgkmcnt(0)
	s_mov_b32 s10, -1
	s_barrier
	s_and_b32 vcc_lo, exec_lo, s12
	s_cbranch_vccnz .LBB30_22
	s_branch .LBB30_31
.LBB30_83:                              ;   in Loop: Header=BB30_6 Depth=1
	s_inst_prefetch 0x2
	s_or_b32 exec_lo, exec_lo, s19
	s_and_b32 s19, s27, exec_lo
.LBB30_84:                              ;   in Loop: Header=BB30_6 Depth=1
	s_or_b32 exec_lo, exec_lo, s25
.LBB30_85:                              ;   in Loop: Header=BB30_6 Depth=1
	s_and_b32 vcc_lo, exec_lo, s23
	s_cbranch_vccz .LBB30_96
; %bb.86:                               ;   in Loop: Header=BB30_6 Depth=1
                                        ; implicit-def: $vgpr2
	s_and_saveexec_b32 s20, s9
	s_cbranch_execz .LBB30_95
; %bb.87:                               ;   in Loop: Header=BB30_6 Depth=1
	v_mov_b32_e32 v8, v7
	v_mov_b32_e32 v3, v0
	s_mov_b32 s21, 0
                                        ; implicit-def: $sgpr22
	s_inst_prefetch 0x1
	s_branch .LBB30_90
	.p2align	6
.LBB30_88:                              ;   in Loop: Header=BB30_90 Depth=2
	s_or_b32 exec_lo, exec_lo, s23
	s_waitcnt lgkmcnt(0)
	s_barrier
	buffer_gl0_inv
	ds_read_b64 v[1:2], v9 offset:3072
	s_mov_b32 s23, -1
	s_mov_b32 s25, -1
	s_waitcnt lgkmcnt(0)
	s_barrier
	buffer_gl0_inv
	v_cmp_ne_u32_e32 vcc_lo, 0, v1
	s_cbranch_vccz .LBB30_93
.LBB30_89:                              ;   in Loop: Header=BB30_90 Depth=2
	s_and_b32 s23, exec_lo, s23
	s_or_b32 s21, s23, s21
	s_andn2_b32 s22, s22, exec_lo
	s_and_b32 s23, s25, exec_lo
	s_or_b32 s22, s22, s23
	s_andn2_b32 exec_lo, exec_lo, s21
	s_cbranch_execz .LBB30_94
.LBB30_90:                              ;   Parent Loop BB30_6 Depth=1
                                        ; =>  This Inner Loop Header: Depth=2
	s_mov_b32 s23, exec_lo
	v_cmpx_gt_u32_e64 s36, v3
	s_cbranch_execz .LBB30_88
; %bb.91:                               ;   in Loop: Header=BB30_90 Depth=2
	v_lshlrev_b64 v[1:2], 2, v[8:9]
	v_add_co_u32 v1, vcc_lo, s31, v1
	v_add_co_ci_u32_e64 v2, null, s33, v2, vcc_lo
	global_load_dword v16, v[1:2], off
	s_waitcnt vmcnt(0)
	v_xor_b32_e32 v1, 0x80000000, v16
	v_and_b32_e32 v1, v1, v10
	v_cmp_eq_u32_e32 vcc_lo, v1, v4
	s_and_b32 exec_lo, exec_lo, vcc_lo
	s_cbranch_execz .LBB30_88
; %bb.92:                               ;   in Loop: Header=BB30_90 Depth=2
	ds_write_b64 v9, v[15:16] offset:3072
	s_branch .LBB30_88
.LBB30_93:                              ;   in Loop: Header=BB30_90 Depth=2
	v_add_nc_u32_e32 v3, s42, v3
	v_add_nc_u32_e32 v8, s44, v8
	s_mov_b32 s25, 0
	v_cmp_le_u32_e32 vcc_lo, s61, v3
	s_orn2_b32 s23, vcc_lo, exec_lo
	s_branch .LBB30_89
.LBB30_94:                              ;   in Loop: Header=BB30_6 Depth=1
	s_inst_prefetch 0x2
	s_or_b32 exec_lo, exec_lo, s21
	s_andn2_b32 s19, s19, exec_lo
	s_and_b32 s21, s22, exec_lo
	s_or_b32 s19, s19, s21
.LBB30_95:                              ;   in Loop: Header=BB30_6 Depth=1
	s_or_b32 exec_lo, exec_lo, s20
	s_mov_b32 s20, 0
	s_mov_b32 s21, -1
.LBB30_96:                              ;   in Loop: Header=BB30_6 Depth=1
	s_orn2_b32 s25, s19, exec_lo
.LBB30_97:                              ;   in Loop: Header=BB30_6 Depth=1
	s_or_b32 exec_lo, exec_lo, s11
	s_mov_b32 s22, 0
	s_mov_b32 s19, 0
	;; [unrolled: 1-line block ×3, first 2 shown]
                                        ; implicit-def: $vgpr32
                                        ; implicit-def: $vgpr3
	s_and_saveexec_b32 s23, s25
	s_cbranch_execz .LBB30_227
; %bb.98:                               ;   in Loop: Header=BB30_6 Depth=1
	v_mov_b32_e32 v32, 1
	v_mov_b32_e32 v3, 1
	s_xor_b32 s19, s24, -1
	s_mov_b32 s26, 0
	s_and_saveexec_b32 s11, s19
	s_cbranch_execz .LBB30_107
; %bb.99:                               ;   in Loop: Header=BB30_6 Depth=1
	s_mov_b32 s19, exec_lo
	v_cmpx_ge_u32_e64 s13, v31
	s_xor_b32 s19, exec_lo, s19
	s_cbranch_execz .LBB30_104
; %bb.100:                              ;   in Loop: Header=BB30_6 Depth=1
	ds_read_b32 v1, v9 offset:4096
	v_and_b32_e32 v4, s15, v4
	v_or_b32_e32 v10, s14, v10
	s_waitcnt lgkmcnt(0)
	v_cmp_ne_u32_e32 vcc_lo, 0, v1
	s_cbranch_vccnz .LBB30_104
; %bb.101:                              ;   in Loop: Header=BB30_6 Depth=1
	s_and_saveexec_b32 s24, s3
; %bb.102:                              ;   in Loop: Header=BB30_6 Depth=1
	v_mov_b32_e32 v1, s13
	ds_write_b32 v9, v1 offset:4100
; %bb.103:                              ;   in Loop: Header=BB30_6 Depth=1
	s_or_b32 exec_lo, exec_lo, s24
	s_waitcnt lgkmcnt(0)
	s_barrier
	buffer_gl0_inv
.LBB30_104:                             ;   in Loop: Header=BB30_6 Depth=1
	s_or_saveexec_b32 s19, s19
	v_mov_b32_e32 v3, 8
	v_mov_b32_e32 v32, v31
	s_mov_b32 s24, 0
	s_xor_b32 exec_lo, exec_lo, s19
; %bb.105:                              ;   in Loop: Header=BB30_6 Depth=1
	v_subrev_nc_u32_e32 v32, s13, v31
	v_mov_b32_e32 v3, 0
	s_mov_b32 s24, exec_lo
; %bb.106:                              ;   in Loop: Header=BB30_6 Depth=1
	s_or_b32 exec_lo, exec_lo, s19
	s_and_b32 s26, s24, exec_lo
.LBB30_107:                             ;   in Loop: Header=BB30_6 Depth=1
	s_or_b32 exec_lo, exec_lo, s11
	s_mov_b32 s25, -1
                                        ; implicit-def: $sgpr19
                                        ; implicit-def: $sgpr24
	s_and_saveexec_b32 s11, s26
	s_xor_b32 s11, exec_lo, s11
	s_cbranch_execz .LBB30_224
; %bb.108:                              ;   in Loop: Header=BB30_6 Depth=1
	v_cmp_eq_u32_e32 vcc_lo, 1, v32
	s_cmp_eq_u32 s16, 1
	s_mov_b32 s27, -1
	s_cselect_b32 s19, -1, 0
                                        ; implicit-def: $sgpr24
	s_and_b32 s26, s19, vcc_lo
                                        ; implicit-def: $sgpr19
	s_and_saveexec_b32 s25, s26
	s_cbranch_execz .LBB30_134
; %bb.109:                              ;   in Loop: Header=BB30_6 Depth=1
	ds_read_b32 v1, v9 offset:4096
	s_waitcnt lgkmcnt(0)
	s_barrier
	buffer_gl0_inv
	v_readfirstlane_b32 s28, v1
	s_and_saveexec_b32 s19, s6
; %bb.110:                              ;   in Loop: Header=BB30_6 Depth=1
	ds_write_b32 v21, v9
; %bb.111:                              ;   in Loop: Header=BB30_6 Depth=1
	s_or_b32 exec_lo, exec_lo, s19
	s_lshl_b32 s19, 1, s69
	v_or_b32_e32 v10, s14, v10
	v_and_or_b32 v4, v4, s15, s19
	s_mov_b32 s19, -1
	s_mov_b32 s24, 0
	s_cmp_eq_u32 s28, 0
	s_mov_b32 s27, 0
	s_mov_b32 s29, -1
	s_waitcnt lgkmcnt(0)
	s_barrier
	buffer_gl0_inv
                                        ; implicit-def: $vgpr2
	s_cbranch_scc1 .LBB30_122
; %bb.112:                              ;   in Loop: Header=BB30_6 Depth=1
	s_add_i32 s27, s28, s54
                                        ; implicit-def: $vgpr2
	s_mul_hi_u32 s29, s27, s60
	s_mul_i32 s29, s29, s42
	s_sub_i32 s29, s27, s29
	s_sub_i32 s76, s29, s42
	s_cmp_ge_u32 s29, s42
	s_cselect_b32 s29, s76, s29
	s_sub_i32 s76, s29, s42
	s_cmp_ge_u32 s29, s42
	s_cselect_b32 s29, s76, s29
	s_mov_b32 s76, exec_lo
	s_sub_i32 s77, s27, s29
	s_mov_b32 s29, 0
	s_mov_b32 s27, 0
	v_cmpx_gt_u32_e64 s77, v0
	s_cbranch_execz .LBB30_121
; %bb.113:                              ;   in Loop: Header=BB30_6 Depth=1
	v_mov_b32_e32 v8, v19
	v_mov_b32_e32 v33, v0
                                        ; implicit-def: $sgpr78
	s_inst_prefetch 0x1
	s_branch .LBB30_116
	.p2align	6
.LBB30_114:                             ;   in Loop: Header=BB30_116 Depth=2
	s_or_b32 exec_lo, exec_lo, s79
	s_waitcnt lgkmcnt(0)
	s_barrier
	buffer_gl0_inv
	ds_read_b64 v[1:2], v9 offset:3072
	s_mov_b32 s79, -1
	s_mov_b32 s80, -1
	s_waitcnt lgkmcnt(0)
	s_barrier
	buffer_gl0_inv
	v_cmp_ne_u32_e32 vcc_lo, 0, v1
	s_cbranch_vccz .LBB30_119
.LBB30_115:                             ;   in Loop: Header=BB30_116 Depth=2
	s_and_b32 s79, exec_lo, s79
	s_or_b32 s27, s79, s27
	s_andn2_b32 s78, s78, exec_lo
	s_and_b32 s79, s80, exec_lo
	s_or_b32 s78, s78, s79
	s_andn2_b32 exec_lo, exec_lo, s27
	s_cbranch_execz .LBB30_120
.LBB30_116:                             ;   Parent Loop BB30_6 Depth=1
                                        ; =>  This Inner Loop Header: Depth=2
	s_mov_b32 s79, exec_lo
	v_cmpx_gt_u32_e64 s28, v33
	s_cbranch_execz .LBB30_114
; %bb.117:                              ;   in Loop: Header=BB30_116 Depth=2
	ds_read_b32 v16, v8
	s_waitcnt lgkmcnt(0)
	v_xor_b32_e32 v1, 0x80000000, v16
	v_and_b32_e32 v1, v1, v10
	v_cmp_eq_u32_e32 vcc_lo, v1, v4
	s_and_b32 exec_lo, exec_lo, vcc_lo
	s_cbranch_execz .LBB30_114
; %bb.118:                              ;   in Loop: Header=BB30_116 Depth=2
	ds_write_b64 v9, v[15:16] offset:3072
	s_branch .LBB30_114
	.p2align	6
.LBB30_119:                             ;   in Loop: Header=BB30_116 Depth=2
	v_add_nc_u32_e32 v33, s42, v33
	v_add_nc_u32_e32 v8, s50, v8
	s_mov_b32 s80, 0
	v_cmp_le_u32_e32 vcc_lo, s77, v33
	s_orn2_b32 s79, vcc_lo, exec_lo
	s_branch .LBB30_115
.LBB30_120:                             ;   in Loop: Header=BB30_6 Depth=1
	s_inst_prefetch 0x2
	s_or_b32 exec_lo, exec_lo, s27
	s_and_b32 s27, s78, exec_lo
.LBB30_121:                             ;   in Loop: Header=BB30_6 Depth=1
	s_or_b32 exec_lo, exec_lo, s76
.LBB30_122:                             ;   in Loop: Header=BB30_6 Depth=1
	s_and_b32 vcc_lo, exec_lo, s29
	s_cbranch_vccz .LBB30_133
; %bb.123:                              ;   in Loop: Header=BB30_6 Depth=1
                                        ; implicit-def: $vgpr2
	s_and_saveexec_b32 s19, s9
	s_cbranch_execz .LBB30_132
; %bb.124:                              ;   in Loop: Header=BB30_6 Depth=1
	v_mov_b32_e32 v8, v7
	v_mov_b32_e32 v33, v0
	s_mov_b32 s24, 0
                                        ; implicit-def: $sgpr28
	s_inst_prefetch 0x1
	s_branch .LBB30_127
	.p2align	6
.LBB30_125:                             ;   in Loop: Header=BB30_127 Depth=2
	s_or_b32 exec_lo, exec_lo, s29
	s_waitcnt lgkmcnt(0)
	s_barrier
	buffer_gl0_inv
	ds_read_b64 v[1:2], v9 offset:3072
	s_mov_b32 s29, -1
	s_mov_b32 s76, -1
	s_waitcnt lgkmcnt(0)
	s_barrier
	buffer_gl0_inv
	v_cmp_eq_u32_e32 vcc_lo, 0, v1
	s_cbranch_vccnz .LBB30_130
.LBB30_126:                             ;   in Loop: Header=BB30_127 Depth=2
	s_and_b32 s29, exec_lo, s29
	s_or_b32 s24, s29, s24
	s_andn2_b32 s28, s28, exec_lo
	s_and_b32 s29, s76, exec_lo
	s_or_b32 s28, s28, s29
	s_andn2_b32 exec_lo, exec_lo, s24
	s_cbranch_execz .LBB30_131
.LBB30_127:                             ;   Parent Loop BB30_6 Depth=1
                                        ; =>  This Inner Loop Header: Depth=2
	s_mov_b32 s29, exec_lo
	v_cmpx_gt_u32_e64 s36, v33
	s_cbranch_execz .LBB30_125
; %bb.128:                              ;   in Loop: Header=BB30_127 Depth=2
	v_lshlrev_b64 v[1:2], 2, v[8:9]
	v_add_co_u32 v1, vcc_lo, s31, v1
	v_add_co_ci_u32_e64 v2, null, s33, v2, vcc_lo
	global_load_dword v16, v[1:2], off
	s_waitcnt vmcnt(0)
	v_xor_b32_e32 v1, 0x80000000, v16
	v_and_b32_e32 v1, v1, v10
	v_cmp_eq_u32_e32 vcc_lo, v1, v4
	s_and_b32 exec_lo, exec_lo, vcc_lo
	s_cbranch_execz .LBB30_125
; %bb.129:                              ;   in Loop: Header=BB30_127 Depth=2
	ds_write_b64 v9, v[15:16] offset:3072
	s_branch .LBB30_125
.LBB30_130:                             ;   in Loop: Header=BB30_127 Depth=2
	v_add_nc_u32_e32 v33, s42, v33
	v_add_nc_u32_e32 v8, s44, v8
	s_mov_b32 s76, 0
	v_cmp_le_u32_e32 vcc_lo, s61, v33
	s_orn2_b32 s29, vcc_lo, exec_lo
	s_branch .LBB30_126
.LBB30_131:                             ;   in Loop: Header=BB30_6 Depth=1
	s_inst_prefetch 0x2
	s_or_b32 exec_lo, exec_lo, s24
	s_andn2_b32 s24, s27, exec_lo
	s_and_b32 s27, s28, exec_lo
	s_or_b32 s27, s24, s27
.LBB30_132:                             ;   in Loop: Header=BB30_6 Depth=1
	s_or_b32 exec_lo, exec_lo, s19
	s_mov_b32 s19, 0
	s_mov_b32 s24, -1
.LBB30_133:                             ;   in Loop: Header=BB30_6 Depth=1
	s_orn2_b32 s27, s27, exec_lo
.LBB30_134:                             ;   in Loop: Header=BB30_6 Depth=1
	s_or_b32 exec_lo, exec_lo, s25
	s_mov_b32 s28, 0
	s_and_saveexec_b32 s25, s27
	s_cbranch_execz .LBB30_223
; %bb.135:                              ;   in Loop: Header=BB30_6 Depth=1
	v_mov_b32_e32 v33, 1
	v_mov_b32_e32 v3, 1
	s_xor_b32 s27, s26, -1
	s_mov_b32 s76, 0
	s_and_saveexec_b32 s26, s27
	s_cbranch_execz .LBB30_144
; %bb.136:                              ;   in Loop: Header=BB30_6 Depth=1
	s_mov_b32 s27, exec_lo
	v_cmpx_ge_u32_e64 s16, v32
	s_xor_b32 s27, exec_lo, s27
	s_cbranch_execz .LBB30_141
; %bb.137:                              ;   in Loop: Header=BB30_6 Depth=1
	ds_read_b32 v1, v9 offset:4096
	s_lshl_b32 s28, 1, s69
	v_or_b32_e32 v10, s14, v10
	v_and_or_b32 v4, v4, s15, s28
	s_waitcnt lgkmcnt(0)
	v_cmp_ne_u32_e32 vcc_lo, 0, v1
	s_cbranch_vccnz .LBB30_141
; %bb.138:                              ;   in Loop: Header=BB30_6 Depth=1
	s_and_saveexec_b32 s28, s3
; %bb.139:                              ;   in Loop: Header=BB30_6 Depth=1
	v_mov_b32_e32 v1, s16
	ds_write_b32 v9, v1 offset:4100
; %bb.140:                              ;   in Loop: Header=BB30_6 Depth=1
	s_or_b32 exec_lo, exec_lo, s28
	s_waitcnt lgkmcnt(0)
	s_barrier
	buffer_gl0_inv
.LBB30_141:                             ;   in Loop: Header=BB30_6 Depth=1
	s_or_saveexec_b32 s27, s27
	v_mov_b32_e32 v3, 8
	s_mov_b32 s28, 0
	s_xor_b32 exec_lo, exec_lo, s27
; %bb.142:                              ;   in Loop: Header=BB30_6 Depth=1
	v_subrev_nc_u32_e32 v32, s16, v32
	v_mov_b32_e32 v3, 0
	s_mov_b32 s28, exec_lo
; %bb.143:                              ;   in Loop: Header=BB30_6 Depth=1
	s_or_b32 exec_lo, exec_lo, s27
	v_mov_b32_e32 v33, v32
	s_and_b32 s76, s28, exec_lo
.LBB30_144:                             ;   in Loop: Header=BB30_6 Depth=1
	s_or_b32 exec_lo, exec_lo, s26
	s_mov_b32 s29, -1
                                        ; implicit-def: $sgpr27
                                        ; implicit-def: $sgpr28
	s_and_saveexec_b32 s26, s76
	s_cbranch_execz .LBB30_222
; %bb.145:                              ;   in Loop: Header=BB30_6 Depth=1
	v_cmp_eq_u32_e32 vcc_lo, 1, v33
	s_cmp_eq_u32 s17, 1
	s_mov_b32 s77, -1
	s_cselect_b32 s27, -1, 0
                                        ; implicit-def: $sgpr28
	s_and_b32 s76, s27, vcc_lo
                                        ; implicit-def: $sgpr27
	s_and_saveexec_b32 s29, s76
	s_cbranch_execz .LBB30_171
; %bb.146:                              ;   in Loop: Header=BB30_6 Depth=1
	ds_read_b32 v1, v9 offset:4096
	s_waitcnt lgkmcnt(0)
	s_barrier
	buffer_gl0_inv
	v_readfirstlane_b32 s78, v1
	s_and_saveexec_b32 s27, s6
; %bb.147:                              ;   in Loop: Header=BB30_6 Depth=1
	ds_write_b32 v21, v9
; %bb.148:                              ;   in Loop: Header=BB30_6 Depth=1
	s_or_b32 exec_lo, exec_lo, s27
	s_lshl_b32 s27, 2, s69
	v_or_b32_e32 v10, s14, v10
	v_and_or_b32 v4, v4, s15, s27
	s_mov_b32 s27, -1
	s_mov_b32 s28, 0
	s_cmp_eq_u32 s78, 0
	s_mov_b32 s77, 0
	s_mov_b32 s79, -1
	s_waitcnt lgkmcnt(0)
	s_barrier
	buffer_gl0_inv
                                        ; implicit-def: $vgpr2
	s_cbranch_scc1 .LBB30_159
; %bb.149:                              ;   in Loop: Header=BB30_6 Depth=1
	s_add_i32 s77, s78, s54
                                        ; implicit-def: $vgpr2
	s_mul_hi_u32 s79, s77, s60
	s_mul_i32 s79, s79, s42
	s_sub_i32 s79, s77, s79
	s_sub_i32 s80, s79, s42
	s_cmp_ge_u32 s79, s42
	s_cselect_b32 s79, s80, s79
	s_sub_i32 s80, s79, s42
	s_cmp_ge_u32 s79, s42
	s_cselect_b32 s79, s80, s79
	s_mov_b32 s80, exec_lo
	s_sub_i32 s81, s77, s79
	s_mov_b32 s79, 0
	s_mov_b32 s77, 0
	v_cmpx_gt_u32_e64 s81, v0
	s_cbranch_execz .LBB30_158
; %bb.150:                              ;   in Loop: Header=BB30_6 Depth=1
	v_mov_b32_e32 v8, v19
	v_mov_b32_e32 v32, v0
                                        ; implicit-def: $sgpr82
	s_inst_prefetch 0x1
	s_branch .LBB30_153
	.p2align	6
.LBB30_151:                             ;   in Loop: Header=BB30_153 Depth=2
	s_or_b32 exec_lo, exec_lo, s83
	s_waitcnt lgkmcnt(0)
	s_barrier
	buffer_gl0_inv
	ds_read_b64 v[1:2], v9 offset:3072
	s_mov_b32 s83, -1
	s_mov_b32 s84, -1
	s_waitcnt lgkmcnt(0)
	s_barrier
	buffer_gl0_inv
	v_cmp_ne_u32_e32 vcc_lo, 0, v1
	s_cbranch_vccz .LBB30_156
.LBB30_152:                             ;   in Loop: Header=BB30_153 Depth=2
	s_and_b32 s83, exec_lo, s83
	s_or_b32 s77, s83, s77
	s_andn2_b32 s82, s82, exec_lo
	s_and_b32 s83, s84, exec_lo
	s_or_b32 s82, s82, s83
	s_andn2_b32 exec_lo, exec_lo, s77
	s_cbranch_execz .LBB30_157
.LBB30_153:                             ;   Parent Loop BB30_6 Depth=1
                                        ; =>  This Inner Loop Header: Depth=2
	s_mov_b32 s83, exec_lo
	v_cmpx_gt_u32_e64 s78, v32
	s_cbranch_execz .LBB30_151
; %bb.154:                              ;   in Loop: Header=BB30_153 Depth=2
	ds_read_b32 v16, v8
	s_waitcnt lgkmcnt(0)
	v_xor_b32_e32 v1, 0x80000000, v16
	v_and_b32_e32 v1, v1, v10
	v_cmp_eq_u32_e32 vcc_lo, v1, v4
	s_and_b32 exec_lo, exec_lo, vcc_lo
	s_cbranch_execz .LBB30_151
; %bb.155:                              ;   in Loop: Header=BB30_153 Depth=2
	ds_write_b64 v9, v[15:16] offset:3072
	s_branch .LBB30_151
	.p2align	6
.LBB30_156:                             ;   in Loop: Header=BB30_153 Depth=2
	v_add_nc_u32_e32 v32, s42, v32
	v_add_nc_u32_e32 v8, s50, v8
	s_mov_b32 s84, 0
	v_cmp_le_u32_e32 vcc_lo, s81, v32
	s_orn2_b32 s83, vcc_lo, exec_lo
	s_branch .LBB30_152
.LBB30_157:                             ;   in Loop: Header=BB30_6 Depth=1
	s_inst_prefetch 0x2
	s_or_b32 exec_lo, exec_lo, s77
	s_and_b32 s77, s82, exec_lo
.LBB30_158:                             ;   in Loop: Header=BB30_6 Depth=1
	s_or_b32 exec_lo, exec_lo, s80
.LBB30_159:                             ;   in Loop: Header=BB30_6 Depth=1
	s_and_b32 vcc_lo, exec_lo, s79
	s_cbranch_vccz .LBB30_170
; %bb.160:                              ;   in Loop: Header=BB30_6 Depth=1
                                        ; implicit-def: $vgpr2
	s_and_saveexec_b32 s27, s9
	s_cbranch_execz .LBB30_169
; %bb.161:                              ;   in Loop: Header=BB30_6 Depth=1
	v_mov_b32_e32 v8, v7
	v_mov_b32_e32 v32, v0
	s_mov_b32 s28, 0
                                        ; implicit-def: $sgpr78
	s_inst_prefetch 0x1
	s_branch .LBB30_164
	.p2align	6
.LBB30_162:                             ;   in Loop: Header=BB30_164 Depth=2
	s_or_b32 exec_lo, exec_lo, s79
	s_waitcnt lgkmcnt(0)
	s_barrier
	buffer_gl0_inv
	ds_read_b64 v[1:2], v9 offset:3072
	s_mov_b32 s79, -1
	s_mov_b32 s80, -1
	s_waitcnt lgkmcnt(0)
	s_barrier
	buffer_gl0_inv
	v_cmp_eq_u32_e32 vcc_lo, 0, v1
	s_cbranch_vccnz .LBB30_167
.LBB30_163:                             ;   in Loop: Header=BB30_164 Depth=2
	s_and_b32 s79, exec_lo, s79
	s_or_b32 s28, s79, s28
	s_andn2_b32 s78, s78, exec_lo
	s_and_b32 s79, s80, exec_lo
	s_or_b32 s78, s78, s79
	s_andn2_b32 exec_lo, exec_lo, s28
	s_cbranch_execz .LBB30_168
.LBB30_164:                             ;   Parent Loop BB30_6 Depth=1
                                        ; =>  This Inner Loop Header: Depth=2
	s_mov_b32 s79, exec_lo
	v_cmpx_gt_u32_e64 s36, v32
	s_cbranch_execz .LBB30_162
; %bb.165:                              ;   in Loop: Header=BB30_164 Depth=2
	v_lshlrev_b64 v[1:2], 2, v[8:9]
	v_add_co_u32 v1, vcc_lo, s31, v1
	v_add_co_ci_u32_e64 v2, null, s33, v2, vcc_lo
	global_load_dword v16, v[1:2], off
	s_waitcnt vmcnt(0)
	v_xor_b32_e32 v1, 0x80000000, v16
	v_and_b32_e32 v1, v1, v10
	v_cmp_eq_u32_e32 vcc_lo, v1, v4
	s_and_b32 exec_lo, exec_lo, vcc_lo
	s_cbranch_execz .LBB30_162
; %bb.166:                              ;   in Loop: Header=BB30_164 Depth=2
	ds_write_b64 v9, v[15:16] offset:3072
	s_branch .LBB30_162
.LBB30_167:                             ;   in Loop: Header=BB30_164 Depth=2
	v_add_nc_u32_e32 v32, s42, v32
	v_add_nc_u32_e32 v8, s44, v8
	s_mov_b32 s80, 0
	v_cmp_le_u32_e32 vcc_lo, s61, v32
	s_orn2_b32 s79, vcc_lo, exec_lo
	s_branch .LBB30_163
.LBB30_168:                             ;   in Loop: Header=BB30_6 Depth=1
	s_inst_prefetch 0x2
	s_or_b32 exec_lo, exec_lo, s28
	s_andn2_b32 s28, s77, exec_lo
	s_and_b32 s77, s78, exec_lo
	s_or_b32 s77, s28, s77
.LBB30_169:                             ;   in Loop: Header=BB30_6 Depth=1
	s_or_b32 exec_lo, exec_lo, s27
	s_mov_b32 s27, 0
	s_mov_b32 s28, -1
.LBB30_170:                             ;   in Loop: Header=BB30_6 Depth=1
	s_orn2_b32 s77, s77, exec_lo
.LBB30_171:                             ;   in Loop: Header=BB30_6 Depth=1
	s_or_b32 exec_lo, exec_lo, s29
	s_mov_b32 s78, 0
	s_and_saveexec_b32 s29, s77
	s_cbranch_execz .LBB30_221
; %bb.172:                              ;   in Loop: Header=BB30_6 Depth=1
	v_mov_b32_e32 v32, 1
	v_mov_b32_e32 v3, 1
	s_xor_b32 s77, s76, -1
	s_mov_b32 s80, 0
	s_and_saveexec_b32 s76, s77
	s_cbranch_execz .LBB30_181
; %bb.173:                              ;   in Loop: Header=BB30_6 Depth=1
	s_mov_b32 s77, exec_lo
	v_cmpx_ge_u32_e64 s17, v33
	s_xor_b32 s77, exec_lo, s77
	s_cbranch_execz .LBB30_178
; %bb.174:                              ;   in Loop: Header=BB30_6 Depth=1
	ds_read_b32 v1, v9 offset:4096
	s_lshl_b32 s78, 2, s69
	v_or_b32_e32 v10, s14, v10
	v_and_or_b32 v4, v4, s15, s78
	s_waitcnt lgkmcnt(0)
	v_cmp_ne_u32_e32 vcc_lo, 0, v1
	s_cbranch_vccnz .LBB30_178
; %bb.175:                              ;   in Loop: Header=BB30_6 Depth=1
	s_and_saveexec_b32 s78, s3
; %bb.176:                              ;   in Loop: Header=BB30_6 Depth=1
	v_mov_b32_e32 v1, s17
	ds_write_b32 v9, v1 offset:4100
; %bb.177:                              ;   in Loop: Header=BB30_6 Depth=1
	s_or_b32 exec_lo, exec_lo, s78
	s_waitcnt lgkmcnt(0)
	s_barrier
	buffer_gl0_inv
.LBB30_178:                             ;   in Loop: Header=BB30_6 Depth=1
	s_or_saveexec_b32 s77, s77
	v_mov_b32_e32 v3, 8
	s_mov_b32 s78, 0
	s_xor_b32 exec_lo, exec_lo, s77
; %bb.179:                              ;   in Loop: Header=BB30_6 Depth=1
	v_subrev_nc_u32_e32 v33, s17, v33
	v_mov_b32_e32 v3, 0
	s_mov_b32 s78, exec_lo
; %bb.180:                              ;   in Loop: Header=BB30_6 Depth=1
	s_or_b32 exec_lo, exec_lo, s77
	v_mov_b32_e32 v32, v33
	s_and_b32 s80, s78, exec_lo
.LBB30_181:                             ;   in Loop: Header=BB30_6 Depth=1
	s_or_b32 exec_lo, exec_lo, s76
	s_mov_b32 s77, -1
                                        ; implicit-def: $sgpr79
                                        ; implicit-def: $sgpr78
	s_and_saveexec_b32 s76, s80
	s_cbranch_execz .LBB30_220
; %bb.182:                              ;   in Loop: Header=BB30_6 Depth=1
	v_cmp_eq_u32_e32 vcc_lo, 1, v32
	s_cmp_eq_u32 s18, 1
	s_mov_b32 s81, -1
	s_cselect_b32 s77, -1, 0
                                        ; implicit-def: $sgpr79
                                        ; implicit-def: $sgpr78
	s_and_b32 s77, s77, vcc_lo
	s_and_saveexec_b32 s80, s77
	s_cbranch_execz .LBB30_208
; %bb.183:                              ;   in Loop: Header=BB30_6 Depth=1
	ds_read_b32 v1, v9 offset:4096
	s_waitcnt lgkmcnt(0)
	s_barrier
	buffer_gl0_inv
	v_readfirstlane_b32 s82, v1
	s_and_saveexec_b32 s78, s6
; %bb.184:                              ;   in Loop: Header=BB30_6 Depth=1
	ds_write_b32 v21, v9
; %bb.185:                              ;   in Loop: Header=BB30_6 Depth=1
	s_or_b32 exec_lo, exec_lo, s78
	v_or_b32_e32 v4, s14, v4
	v_or_b32_e32 v10, s14, v10
	s_mov_b32 s78, -1
	s_mov_b32 s79, 0
	s_cmp_eq_u32 s82, 0
	s_mov_b32 s81, 0
	s_mov_b32 s83, -1
	s_waitcnt lgkmcnt(0)
	s_barrier
	buffer_gl0_inv
                                        ; implicit-def: $vgpr2
	s_cbranch_scc1 .LBB30_196
; %bb.186:                              ;   in Loop: Header=BB30_6 Depth=1
	s_add_i32 s81, s82, s54
                                        ; implicit-def: $vgpr2
	s_mul_hi_u32 s83, s81, s60
	s_mul_i32 s83, s83, s42
	s_sub_i32 s83, s81, s83
	s_sub_i32 s84, s83, s42
	s_cmp_ge_u32 s83, s42
	s_cselect_b32 s83, s84, s83
	s_sub_i32 s84, s83, s42
	s_cmp_ge_u32 s83, s42
	s_cselect_b32 s83, s84, s83
	s_mov_b32 s84, exec_lo
	s_sub_i32 s85, s81, s83
	s_mov_b32 s83, 0
	s_mov_b32 s81, 0
	v_cmpx_gt_u32_e64 s85, v0
	s_cbranch_execz .LBB30_195
; %bb.187:                              ;   in Loop: Header=BB30_6 Depth=1
	v_mov_b32_e32 v8, v19
	v_mov_b32_e32 v33, v0
                                        ; implicit-def: $sgpr86
	s_inst_prefetch 0x1
	s_branch .LBB30_190
	.p2align	6
.LBB30_188:                             ;   in Loop: Header=BB30_190 Depth=2
	s_or_b32 exec_lo, exec_lo, s87
	s_waitcnt lgkmcnt(0)
	s_barrier
	buffer_gl0_inv
	ds_read_b64 v[1:2], v9 offset:3072
	s_mov_b32 s87, -1
	s_mov_b32 s88, -1
	s_waitcnt lgkmcnt(0)
	s_barrier
	buffer_gl0_inv
	v_cmp_ne_u32_e32 vcc_lo, 0, v1
	s_cbranch_vccz .LBB30_193
.LBB30_189:                             ;   in Loop: Header=BB30_190 Depth=2
	s_and_b32 s87, exec_lo, s87
	s_or_b32 s81, s87, s81
	s_andn2_b32 s86, s86, exec_lo
	s_and_b32 s87, s88, exec_lo
	s_or_b32 s86, s86, s87
	s_andn2_b32 exec_lo, exec_lo, s81
	s_cbranch_execz .LBB30_194
.LBB30_190:                             ;   Parent Loop BB30_6 Depth=1
                                        ; =>  This Inner Loop Header: Depth=2
	s_mov_b32 s87, exec_lo
	v_cmpx_gt_u32_e64 s82, v33
	s_cbranch_execz .LBB30_188
; %bb.191:                              ;   in Loop: Header=BB30_190 Depth=2
	ds_read_b32 v16, v8
	s_waitcnt lgkmcnt(0)
	v_xor_b32_e32 v1, 0x80000000, v16
	v_and_b32_e32 v1, v1, v10
	v_cmp_eq_u32_e32 vcc_lo, v1, v4
	s_and_b32 exec_lo, exec_lo, vcc_lo
	s_cbranch_execz .LBB30_188
; %bb.192:                              ;   in Loop: Header=BB30_190 Depth=2
	ds_write_b64 v9, v[15:16] offset:3072
	s_branch .LBB30_188
	.p2align	6
.LBB30_193:                             ;   in Loop: Header=BB30_190 Depth=2
	v_add_nc_u32_e32 v33, s42, v33
	v_add_nc_u32_e32 v8, s50, v8
	s_mov_b32 s88, 0
	v_cmp_le_u32_e32 vcc_lo, s85, v33
	s_orn2_b32 s87, vcc_lo, exec_lo
	s_branch .LBB30_189
.LBB30_194:                             ;   in Loop: Header=BB30_6 Depth=1
	s_inst_prefetch 0x2
	s_or_b32 exec_lo, exec_lo, s81
	s_and_b32 s81, s86, exec_lo
.LBB30_195:                             ;   in Loop: Header=BB30_6 Depth=1
	s_or_b32 exec_lo, exec_lo, s84
.LBB30_196:                             ;   in Loop: Header=BB30_6 Depth=1
	s_and_b32 vcc_lo, exec_lo, s83
	s_cbranch_vccz .LBB30_207
; %bb.197:                              ;   in Loop: Header=BB30_6 Depth=1
                                        ; implicit-def: $vgpr2
	s_and_saveexec_b32 s78, s9
	s_cbranch_execz .LBB30_206
; %bb.198:                              ;   in Loop: Header=BB30_6 Depth=1
	v_mov_b32_e32 v8, v7
	v_mov_b32_e32 v33, v0
	s_mov_b32 s79, 0
                                        ; implicit-def: $sgpr82
	s_inst_prefetch 0x1
	s_branch .LBB30_201
	.p2align	6
.LBB30_199:                             ;   in Loop: Header=BB30_201 Depth=2
	s_or_b32 exec_lo, exec_lo, s83
	s_waitcnt lgkmcnt(0)
	s_barrier
	buffer_gl0_inv
	ds_read_b64 v[1:2], v9 offset:3072
	s_mov_b32 s83, -1
	s_mov_b32 s84, -1
	s_waitcnt lgkmcnt(0)
	s_barrier
	buffer_gl0_inv
	v_cmp_eq_u32_e32 vcc_lo, 0, v1
	s_cbranch_vccnz .LBB30_204
.LBB30_200:                             ;   in Loop: Header=BB30_201 Depth=2
	s_and_b32 s83, exec_lo, s83
	s_or_b32 s79, s83, s79
	s_andn2_b32 s82, s82, exec_lo
	s_and_b32 s83, s84, exec_lo
	s_or_b32 s82, s82, s83
	s_andn2_b32 exec_lo, exec_lo, s79
	s_cbranch_execz .LBB30_205
.LBB30_201:                             ;   Parent Loop BB30_6 Depth=1
                                        ; =>  This Inner Loop Header: Depth=2
	s_mov_b32 s83, exec_lo
	v_cmpx_gt_u32_e64 s36, v33
	s_cbranch_execz .LBB30_199
; %bb.202:                              ;   in Loop: Header=BB30_201 Depth=2
	v_lshlrev_b64 v[1:2], 2, v[8:9]
	v_add_co_u32 v1, vcc_lo, s31, v1
	v_add_co_ci_u32_e64 v2, null, s33, v2, vcc_lo
	global_load_dword v16, v[1:2], off
	s_waitcnt vmcnt(0)
	v_xor_b32_e32 v1, 0x80000000, v16
	v_and_b32_e32 v1, v1, v10
	v_cmp_eq_u32_e32 vcc_lo, v1, v4
	s_and_b32 exec_lo, exec_lo, vcc_lo
	s_cbranch_execz .LBB30_199
; %bb.203:                              ;   in Loop: Header=BB30_201 Depth=2
	ds_write_b64 v9, v[15:16] offset:3072
	s_branch .LBB30_199
.LBB30_204:                             ;   in Loop: Header=BB30_201 Depth=2
	v_add_nc_u32_e32 v33, s42, v33
	v_add_nc_u32_e32 v8, s44, v8
	s_mov_b32 s84, 0
	v_cmp_le_u32_e32 vcc_lo, s61, v33
	s_orn2_b32 s83, vcc_lo, exec_lo
	s_branch .LBB30_200
.LBB30_205:                             ;   in Loop: Header=BB30_6 Depth=1
	s_inst_prefetch 0x2
	s_or_b32 exec_lo, exec_lo, s79
	s_andn2_b32 s79, s81, exec_lo
	s_and_b32 s81, s82, exec_lo
	s_or_b32 s81, s79, s81
.LBB30_206:                             ;   in Loop: Header=BB30_6 Depth=1
	s_or_b32 exec_lo, exec_lo, s78
	s_mov_b32 s78, 0
	s_mov_b32 s79, -1
.LBB30_207:                             ;   in Loop: Header=BB30_6 Depth=1
	s_orn2_b32 s81, s81, exec_lo
.LBB30_208:                             ;   in Loop: Header=BB30_6 Depth=1
	s_or_b32 exec_lo, exec_lo, s80
	s_mov_b32 s82, 0
	s_and_saveexec_b32 s80, s81
	s_cbranch_execz .LBB30_219
; %bb.209:                              ;   in Loop: Header=BB30_6 Depth=1
	v_mov_b32_e32 v3, 1
	v_mov_b32_e32 v1, 1
	s_xor_b32 s81, s77, -1
	s_and_saveexec_b32 s77, s81
	s_cbranch_execz .LBB30_218
; %bb.210:                              ;   in Loop: Header=BB30_6 Depth=1
	s_mov_b32 s81, exec_lo
	v_cmpx_ge_u32_e64 s18, v32
	s_xor_b32 s81, exec_lo, s81
	s_cbranch_execz .LBB30_215
; %bb.211:                              ;   in Loop: Header=BB30_6 Depth=1
	ds_read_b32 v1, v9 offset:4096
	v_or_b32_e32 v4, s14, v4
	v_or_b32_e32 v10, s14, v10
	s_waitcnt lgkmcnt(0)
	v_cmp_ne_u32_e32 vcc_lo, 0, v1
	s_cbranch_vccnz .LBB30_215
; %bb.212:                              ;   in Loop: Header=BB30_6 Depth=1
	s_and_saveexec_b32 s82, s3
; %bb.213:                              ;   in Loop: Header=BB30_6 Depth=1
	v_mov_b32_e32 v1, s18
	ds_write_b32 v9, v1 offset:4100
; %bb.214:                              ;   in Loop: Header=BB30_6 Depth=1
	s_or_b32 exec_lo, exec_lo, s82
	s_waitcnt lgkmcnt(0)
	s_barrier
	buffer_gl0_inv
.LBB30_215:                             ;   in Loop: Header=BB30_6 Depth=1
	s_andn2_saveexec_b32 s81, s81
; %bb.216:                              ;   in Loop: Header=BB30_6 Depth=1
	v_subrev_nc_u32_e32 v32, s18, v32
; %bb.217:                              ;   in Loop: Header=BB30_6 Depth=1
	s_or_b32 exec_lo, exec_lo, s81
	v_mov_b32_e32 v3, 8
	v_mov_b32_e32 v1, v32
.LBB30_218:                             ;   in Loop: Header=BB30_6 Depth=1
	s_or_b32 exec_lo, exec_lo, s77
	v_mov_b32_e32 v32, v1
	s_mov_b32 s82, exec_lo
.LBB30_219:                             ;   in Loop: Header=BB30_6 Depth=1
	s_or_b32 exec_lo, exec_lo, s80
	s_orn2_b32 s77, s82, exec_lo
.LBB30_220:                             ;   in Loop: Header=BB30_6 Depth=1
	s_or_b32 exec_lo, exec_lo, s76
	v_mov_b32_e32 v33, v32
	s_andn2_b32 s28, s28, exec_lo
	s_and_b32 s76, s79, exec_lo
	s_andn2_b32 s27, s27, exec_lo
	s_and_b32 s78, s78, exec_lo
	s_or_b32 s28, s28, s76
	s_or_b32 s27, s27, s78
	s_and_b32 s78, s77, exec_lo
.LBB30_221:                             ;   in Loop: Header=BB30_6 Depth=1
	s_or_b32 exec_lo, exec_lo, s29
	s_orn2_b32 s29, s78, exec_lo
.LBB30_222:                             ;   in Loop: Header=BB30_6 Depth=1
	s_or_b32 exec_lo, exec_lo, s26
	v_mov_b32_e32 v32, v33
	s_andn2_b32 s24, s24, exec_lo
	s_and_b32 s26, s28, exec_lo
	s_andn2_b32 s19, s19, exec_lo
	s_and_b32 s27, s27, exec_lo
	s_or_b32 s24, s24, s26
	s_or_b32 s19, s19, s27
	s_and_b32 s28, s29, exec_lo
.LBB30_223:                             ;   in Loop: Header=BB30_6 Depth=1
	s_or_b32 exec_lo, exec_lo, s25
	s_orn2_b32 s25, s28, exec_lo
.LBB30_224:                             ;   in Loop: Header=BB30_6 Depth=1
	s_or_b32 exec_lo, exec_lo, s11
	s_mov_b32 s26, 0
	s_mov_b32 s27, 0
	s_and_saveexec_b32 s11, s25
	s_xor_b32 s25, exec_lo, s11
; %bb.225:                              ;   in Loop: Header=BB30_6 Depth=1
	v_cmp_ne_u32_e32 vcc_lo, 8, v3
	v_cmp_eq_u32_e64 s11, 8, v3
	s_and_b32 s27, vcc_lo, exec_lo
	s_and_b32 s26, s11, exec_lo
; %bb.226:                              ;   in Loop: Header=BB30_6 Depth=1
	s_or_b32 exec_lo, exec_lo, s25
	s_andn2_b32 s11, s21, exec_lo
	s_and_b32 s21, s24, exec_lo
	s_andn2_b32 s20, s20, exec_lo
	s_and_b32 s19, s19, exec_lo
	s_or_b32 s21, s11, s21
	s_or_b32 s20, s20, s19
	s_and_b32 s11, s27, exec_lo
	s_and_b32 s19, s26, exec_lo
.LBB30_227:                             ;   in Loop: Header=BB30_6 Depth=1
	s_or_b32 exec_lo, exec_lo, s23
.LBB30_228:                             ;   in Loop: Header=BB30_6 Depth=1
	s_and_b32 vcc_lo, exec_lo, s22
	s_cbranch_vccz .LBB30_241
; %bb.229:                              ;   in Loop: Header=BB30_6 Depth=1
	s_cmp_eq_u32 s18, 1
	s_mov_b32 s21, -1
	s_cselect_b32 s12, -1, 0
                                        ; implicit-def: $sgpr22
	s_and_b32 s10, s12, s10
                                        ; implicit-def: $sgpr12
	s_and_saveexec_b32 s20, s10
	s_cbranch_execz .LBB30_256
; %bb.230:                              ;   in Loop: Header=BB30_6 Depth=1
	ds_read_b32 v1, v9 offset:4096
	s_waitcnt lgkmcnt(0)
	s_barrier
	buffer_gl0_inv
	v_readfirstlane_b32 s23, v1
	s_and_saveexec_b32 s12, s6
; %bb.231:                              ;   in Loop: Header=BB30_6 Depth=1
	ds_write_b32 v21, v9
; %bb.232:                              ;   in Loop: Header=BB30_6 Depth=1
	s_or_b32 exec_lo, exec_lo, s12
	v_or_b32_e32 v23, s14, v23
	v_or_b32_e32 v30, s14, v30
	s_mov_b32 s12, -1
	s_mov_b32 s22, 0
	s_cmp_eq_u32 s23, 0
	s_mov_b32 s21, 0
	s_mov_b32 s24, -1
	s_waitcnt lgkmcnt(0)
	s_barrier
	buffer_gl0_inv
                                        ; implicit-def: $vgpr11
	s_cbranch_scc1 .LBB30_244
; %bb.233:                              ;   in Loop: Header=BB30_6 Depth=1
	s_add_i32 s21, s23, s54
                                        ; implicit-def: $vgpr11
	s_mul_hi_u32 s24, s21, s60
	s_mul_i32 s24, s24, s42
	s_sub_i32 s24, s21, s24
	s_sub_i32 s25, s24, s42
	s_cmp_ge_u32 s24, s42
	s_cselect_b32 s24, s25, s24
	s_sub_i32 s25, s24, s42
	s_cmp_ge_u32 s24, s42
	s_cselect_b32 s24, s25, s24
	s_mov_b32 s25, exec_lo
	s_sub_i32 s26, s21, s24
	s_mov_b32 s24, 0
	s_mov_b32 s21, 0
	v_cmpx_gt_u32_e64 s26, v0
	s_cbranch_execz .LBB30_243
; %bb.234:                              ;   in Loop: Header=BB30_6 Depth=1
	v_mov_b32_e32 v1, v19
	v_mov_b32_e32 v2, v0
                                        ; implicit-def: $sgpr27
	s_inst_prefetch 0x1
	s_branch .LBB30_237
	.p2align	6
.LBB30_235:                             ;   in Loop: Header=BB30_237 Depth=2
	s_or_b32 exec_lo, exec_lo, s28
	s_waitcnt lgkmcnt(0)
	s_barrier
	buffer_gl0_inv
	ds_read_b64 v[10:11], v9 offset:3072
	s_mov_b32 s28, -1
	s_mov_b32 s29, -1
	s_waitcnt lgkmcnt(0)
	s_barrier
	buffer_gl0_inv
	v_cmp_ne_u32_e32 vcc_lo, 0, v10
	s_cbranch_vccz .LBB30_240
.LBB30_236:                             ;   in Loop: Header=BB30_237 Depth=2
	s_and_b32 s28, exec_lo, s28
	s_or_b32 s21, s28, s21
	s_andn2_b32 s27, s27, exec_lo
	s_and_b32 s28, s29, exec_lo
	s_or_b32 s27, s27, s28
	s_andn2_b32 exec_lo, exec_lo, s21
	s_cbranch_execz .LBB30_242
.LBB30_237:                             ;   Parent Loop BB30_6 Depth=1
                                        ; =>  This Inner Loop Header: Depth=2
	s_mov_b32 s28, exec_lo
	v_cmpx_gt_u32_e64 s23, v2
	s_cbranch_execz .LBB30_235
; %bb.238:                              ;   in Loop: Header=BB30_237 Depth=2
	ds_read_b32 v16, v1
	s_waitcnt lgkmcnt(0)
	v_xor_b32_e32 v3, 0x80000000, v16
	v_and_b32_e32 v3, v3, v30
	v_cmp_eq_u32_e32 vcc_lo, v3, v23
	s_and_b32 exec_lo, exec_lo, vcc_lo
	s_cbranch_execz .LBB30_235
; %bb.239:                              ;   in Loop: Header=BB30_237 Depth=2
	ds_write_b64 v9, v[15:16] offset:3072
	s_branch .LBB30_235
	.p2align	6
.LBB30_240:                             ;   in Loop: Header=BB30_237 Depth=2
	v_add_nc_u32_e32 v2, s42, v2
	v_add_nc_u32_e32 v1, s50, v1
	s_mov_b32 s29, 0
	v_cmp_le_u32_e32 vcc_lo, s26, v2
	s_orn2_b32 s28, vcc_lo, exec_lo
	s_branch .LBB30_236
.LBB30_241:                             ;   in Loop: Header=BB30_6 Depth=1
	v_mov_b32_e32 v23, v4
	v_mov_b32_e32 v30, v10
	;; [unrolled: 1-line block ×3, first 2 shown]
	s_mov_b32 s22, 0
	s_and_saveexec_b32 s10, s19
	s_cbranch_execnz .LBB30_387
	s_branch .LBB30_388
.LBB30_242:                             ;   in Loop: Header=BB30_6 Depth=1
	s_inst_prefetch 0x2
	s_or_b32 exec_lo, exec_lo, s21
	s_and_b32 s21, s27, exec_lo
.LBB30_243:                             ;   in Loop: Header=BB30_6 Depth=1
	s_or_b32 exec_lo, exec_lo, s25
.LBB30_244:                             ;   in Loop: Header=BB30_6 Depth=1
	s_and_b32 vcc_lo, exec_lo, s24
	s_cbranch_vccz .LBB30_255
; %bb.245:                              ;   in Loop: Header=BB30_6 Depth=1
                                        ; implicit-def: $vgpr11
	s_and_saveexec_b32 s12, s9
	s_cbranch_execz .LBB30_254
; %bb.246:                              ;   in Loop: Header=BB30_6 Depth=1
	v_mov_b32_e32 v8, v7
	v_mov_b32_e32 v1, v0
	s_mov_b32 s22, 0
                                        ; implicit-def: $sgpr23
	s_inst_prefetch 0x1
	s_branch .LBB30_249
	.p2align	6
.LBB30_247:                             ;   in Loop: Header=BB30_249 Depth=2
	s_or_b32 exec_lo, exec_lo, s24
	s_waitcnt lgkmcnt(0)
	s_barrier
	buffer_gl0_inv
	ds_read_b64 v[10:11], v9 offset:3072
	s_mov_b32 s24, -1
	s_mov_b32 s25, -1
	s_waitcnt lgkmcnt(0)
	s_barrier
	buffer_gl0_inv
	v_cmp_ne_u32_e32 vcc_lo, 0, v10
	s_cbranch_vccz .LBB30_252
.LBB30_248:                             ;   in Loop: Header=BB30_249 Depth=2
	s_and_b32 s24, exec_lo, s24
	s_or_b32 s22, s24, s22
	s_andn2_b32 s23, s23, exec_lo
	s_and_b32 s24, s25, exec_lo
	s_or_b32 s23, s23, s24
	s_andn2_b32 exec_lo, exec_lo, s22
	s_cbranch_execz .LBB30_253
.LBB30_249:                             ;   Parent Loop BB30_6 Depth=1
                                        ; =>  This Inner Loop Header: Depth=2
	s_mov_b32 s24, exec_lo
	v_cmpx_gt_u32_e64 s36, v1
	s_cbranch_execz .LBB30_247
; %bb.250:                              ;   in Loop: Header=BB30_249 Depth=2
	v_lshlrev_b64 v[2:3], 2, v[8:9]
	v_add_co_u32 v2, vcc_lo, s31, v2
	v_add_co_ci_u32_e64 v3, null, s33, v3, vcc_lo
	global_load_dword v16, v[2:3], off
	s_waitcnt vmcnt(0)
	v_xor_b32_e32 v2, 0x80000000, v16
	v_and_b32_e32 v2, v2, v30
	v_cmp_eq_u32_e32 vcc_lo, v2, v23
	s_and_b32 exec_lo, exec_lo, vcc_lo
	s_cbranch_execz .LBB30_247
; %bb.251:                              ;   in Loop: Header=BB30_249 Depth=2
	ds_write_b64 v9, v[15:16] offset:3072
	s_branch .LBB30_247
.LBB30_252:                             ;   in Loop: Header=BB30_249 Depth=2
	v_add_nc_u32_e32 v1, s42, v1
	v_add_nc_u32_e32 v8, s44, v8
	s_mov_b32 s25, 0
	v_cmp_le_u32_e32 vcc_lo, s61, v1
	s_orn2_b32 s24, vcc_lo, exec_lo
	s_branch .LBB30_248
.LBB30_253:                             ;   in Loop: Header=BB30_6 Depth=1
	s_inst_prefetch 0x2
	s_or_b32 exec_lo, exec_lo, s22
	s_andn2_b32 s21, s21, exec_lo
	s_and_b32 s22, s23, exec_lo
	s_or_b32 s21, s21, s22
.LBB30_254:                             ;   in Loop: Header=BB30_6 Depth=1
	s_or_b32 exec_lo, exec_lo, s12
	s_mov_b32 s12, 0
	s_mov_b32 s22, -1
.LBB30_255:                             ;   in Loop: Header=BB30_6 Depth=1
	s_orn2_b32 s21, s21, exec_lo
.LBB30_256:                             ;   in Loop: Header=BB30_6 Depth=1
	s_or_b32 exec_lo, exec_lo, s20
                                        ; implicit-def: $vgpr32
                                        ; implicit-def: $vgpr3
	s_and_saveexec_b32 s20, s21
	s_cbranch_execz .LBB30_386
; %bb.257:                              ;   in Loop: Header=BB30_6 Depth=1
	v_mov_b32_e32 v32, 1
	v_mov_b32_e32 v3, 1
	s_xor_b32 s21, s10, -1
	s_mov_b32 s24, 0
	s_and_saveexec_b32 s10, s21
	s_cbranch_execz .LBB30_266
; %bb.258:                              ;   in Loop: Header=BB30_6 Depth=1
	s_mov_b32 s21, exec_lo
	v_cmpx_ge_u32_e64 s18, v31
	s_xor_b32 s21, exec_lo, s21
	s_cbranch_execz .LBB30_263
; %bb.259:                              ;   in Loop: Header=BB30_6 Depth=1
	ds_read_b32 v1, v9 offset:4096
	v_or_b32_e32 v23, s14, v23
	v_or_b32_e32 v30, s14, v30
	s_waitcnt lgkmcnt(0)
	v_cmp_ne_u32_e32 vcc_lo, 0, v1
	s_cbranch_vccnz .LBB30_263
; %bb.260:                              ;   in Loop: Header=BB30_6 Depth=1
	s_and_saveexec_b32 s23, s3
; %bb.261:                              ;   in Loop: Header=BB30_6 Depth=1
	v_mov_b32_e32 v1, s18
	ds_write_b32 v9, v1 offset:4100
; %bb.262:                              ;   in Loop: Header=BB30_6 Depth=1
	s_or_b32 exec_lo, exec_lo, s23
	s_waitcnt lgkmcnt(0)
	s_barrier
	buffer_gl0_inv
.LBB30_263:                             ;   in Loop: Header=BB30_6 Depth=1
	s_or_saveexec_b32 s21, s21
	v_mov_b32_e32 v3, 5
	s_mov_b32 s23, 0
	s_xor_b32 exec_lo, exec_lo, s21
; %bb.264:                              ;   in Loop: Header=BB30_6 Depth=1
	v_subrev_nc_u32_e32 v31, s18, v31
	v_mov_b32_e32 v3, 0
	s_mov_b32 s23, exec_lo
; %bb.265:                              ;   in Loop: Header=BB30_6 Depth=1
	s_or_b32 exec_lo, exec_lo, s21
	v_mov_b32_e32 v32, v31
	s_and_b32 s24, s23, exec_lo
.LBB30_266:                             ;   in Loop: Header=BB30_6 Depth=1
	s_or_b32 exec_lo, exec_lo, s10
	s_mov_b32 s23, -1
                                        ; implicit-def: $sgpr18
                                        ; implicit-def: $sgpr21
	s_and_saveexec_b32 s10, s24
	s_xor_b32 s10, exec_lo, s10
	s_cbranch_execz .LBB30_383
; %bb.267:                              ;   in Loop: Header=BB30_6 Depth=1
	v_cmp_eq_u32_e32 vcc_lo, 1, v32
	s_cmp_eq_u32 s17, 1
	s_mov_b32 s25, -1
	s_cselect_b32 s18, -1, 0
                                        ; implicit-def: $sgpr21
	s_and_b32 s24, s18, vcc_lo
                                        ; implicit-def: $sgpr18
	s_and_saveexec_b32 s23, s24
	s_cbranch_execz .LBB30_293
; %bb.268:                              ;   in Loop: Header=BB30_6 Depth=1
	ds_read_b32 v1, v9 offset:4096
	s_waitcnt lgkmcnt(0)
	s_barrier
	buffer_gl0_inv
	v_readfirstlane_b32 s26, v1
	s_and_saveexec_b32 s18, s6
; %bb.269:                              ;   in Loop: Header=BB30_6 Depth=1
	ds_write_b32 v21, v9
; %bb.270:                              ;   in Loop: Header=BB30_6 Depth=1
	s_or_b32 exec_lo, exec_lo, s18
	s_lshl_b32 s18, 2, s69
	v_or_b32_e32 v30, s14, v30
	v_and_or_b32 v23, v23, s15, s18
	s_mov_b32 s18, -1
	s_mov_b32 s21, 0
	s_cmp_eq_u32 s26, 0
	s_mov_b32 s25, 0
	s_mov_b32 s27, -1
	s_waitcnt lgkmcnt(0)
	s_barrier
	buffer_gl0_inv
                                        ; implicit-def: $vgpr11
	s_cbranch_scc1 .LBB30_281
; %bb.271:                              ;   in Loop: Header=BB30_6 Depth=1
	s_add_i32 s25, s26, s54
                                        ; implicit-def: $vgpr11
	s_mul_hi_u32 s27, s25, s60
	s_mul_i32 s27, s27, s42
	s_sub_i32 s27, s25, s27
	s_sub_i32 s28, s27, s42
	s_cmp_ge_u32 s27, s42
	s_cselect_b32 s27, s28, s27
	s_sub_i32 s28, s27, s42
	s_cmp_ge_u32 s27, s42
	s_cselect_b32 s27, s28, s27
	s_mov_b32 s28, exec_lo
	s_sub_i32 s29, s25, s27
	s_mov_b32 s27, 0
	s_mov_b32 s25, 0
	v_cmpx_gt_u32_e64 s29, v0
	s_cbranch_execz .LBB30_280
; %bb.272:                              ;   in Loop: Header=BB30_6 Depth=1
	v_mov_b32_e32 v1, v19
	v_mov_b32_e32 v2, v0
                                        ; implicit-def: $sgpr76
	s_inst_prefetch 0x1
	s_branch .LBB30_275
	.p2align	6
.LBB30_273:                             ;   in Loop: Header=BB30_275 Depth=2
	s_or_b32 exec_lo, exec_lo, s77
	s_waitcnt lgkmcnt(0)
	s_barrier
	buffer_gl0_inv
	ds_read_b64 v[10:11], v9 offset:3072
	s_mov_b32 s77, -1
	s_mov_b32 s78, -1
	s_waitcnt lgkmcnt(0)
	s_barrier
	buffer_gl0_inv
	v_cmp_ne_u32_e32 vcc_lo, 0, v10
	s_cbranch_vccz .LBB30_278
.LBB30_274:                             ;   in Loop: Header=BB30_275 Depth=2
	s_and_b32 s77, exec_lo, s77
	s_or_b32 s25, s77, s25
	s_andn2_b32 s76, s76, exec_lo
	s_and_b32 s77, s78, exec_lo
	s_or_b32 s76, s76, s77
	s_andn2_b32 exec_lo, exec_lo, s25
	s_cbranch_execz .LBB30_279
.LBB30_275:                             ;   Parent Loop BB30_6 Depth=1
                                        ; =>  This Inner Loop Header: Depth=2
	s_mov_b32 s77, exec_lo
	v_cmpx_gt_u32_e64 s26, v2
	s_cbranch_execz .LBB30_273
; %bb.276:                              ;   in Loop: Header=BB30_275 Depth=2
	ds_read_b32 v16, v1
	s_waitcnt lgkmcnt(0)
	v_xor_b32_e32 v4, 0x80000000, v16
	v_and_b32_e32 v4, v4, v30
	v_cmp_eq_u32_e32 vcc_lo, v4, v23
	s_and_b32 exec_lo, exec_lo, vcc_lo
	s_cbranch_execz .LBB30_273
; %bb.277:                              ;   in Loop: Header=BB30_275 Depth=2
	ds_write_b64 v9, v[15:16] offset:3072
	s_branch .LBB30_273
	.p2align	6
.LBB30_278:                             ;   in Loop: Header=BB30_275 Depth=2
	v_add_nc_u32_e32 v2, s42, v2
	v_add_nc_u32_e32 v1, s50, v1
	s_mov_b32 s78, 0
	v_cmp_le_u32_e32 vcc_lo, s29, v2
	s_orn2_b32 s77, vcc_lo, exec_lo
	s_branch .LBB30_274
.LBB30_279:                             ;   in Loop: Header=BB30_6 Depth=1
	s_inst_prefetch 0x2
	s_or_b32 exec_lo, exec_lo, s25
	s_and_b32 s25, s76, exec_lo
.LBB30_280:                             ;   in Loop: Header=BB30_6 Depth=1
	s_or_b32 exec_lo, exec_lo, s28
.LBB30_281:                             ;   in Loop: Header=BB30_6 Depth=1
	s_and_b32 vcc_lo, exec_lo, s27
	s_cbranch_vccz .LBB30_292
; %bb.282:                              ;   in Loop: Header=BB30_6 Depth=1
                                        ; implicit-def: $vgpr11
	s_and_saveexec_b32 s18, s9
	s_cbranch_execz .LBB30_291
; %bb.283:                              ;   in Loop: Header=BB30_6 Depth=1
	v_mov_b32_e32 v8, v7
	v_mov_b32_e32 v1, v0
	s_mov_b32 s21, 0
                                        ; implicit-def: $sgpr26
	s_inst_prefetch 0x1
	s_branch .LBB30_286
	.p2align	6
.LBB30_284:                             ;   in Loop: Header=BB30_286 Depth=2
	s_or_b32 exec_lo, exec_lo, s27
	s_waitcnt lgkmcnt(0)
	s_barrier
	buffer_gl0_inv
	ds_read_b64 v[10:11], v9 offset:3072
	s_mov_b32 s27, -1
	s_mov_b32 s28, -1
	s_waitcnt lgkmcnt(0)
	s_barrier
	buffer_gl0_inv
	v_cmp_eq_u32_e32 vcc_lo, 0, v10
	s_cbranch_vccnz .LBB30_289
.LBB30_285:                             ;   in Loop: Header=BB30_286 Depth=2
	s_and_b32 s27, exec_lo, s27
	s_or_b32 s21, s27, s21
	s_andn2_b32 s26, s26, exec_lo
	s_and_b32 s27, s28, exec_lo
	s_or_b32 s26, s26, s27
	s_andn2_b32 exec_lo, exec_lo, s21
	s_cbranch_execz .LBB30_290
.LBB30_286:                             ;   Parent Loop BB30_6 Depth=1
                                        ; =>  This Inner Loop Header: Depth=2
	s_mov_b32 s27, exec_lo
	v_cmpx_gt_u32_e64 s36, v1
	s_cbranch_execz .LBB30_284
; %bb.287:                              ;   in Loop: Header=BB30_286 Depth=2
	v_lshlrev_b64 v[10:11], 2, v[8:9]
	v_add_co_u32 v10, vcc_lo, s31, v10
	v_add_co_ci_u32_e64 v11, null, s33, v11, vcc_lo
	global_load_dword v16, v[10:11], off
	s_waitcnt vmcnt(0)
	v_xor_b32_e32 v2, 0x80000000, v16
	v_and_b32_e32 v2, v2, v30
	v_cmp_eq_u32_e32 vcc_lo, v2, v23
	s_and_b32 exec_lo, exec_lo, vcc_lo
	s_cbranch_execz .LBB30_284
; %bb.288:                              ;   in Loop: Header=BB30_286 Depth=2
	ds_write_b64 v9, v[15:16] offset:3072
	s_branch .LBB30_284
.LBB30_289:                             ;   in Loop: Header=BB30_286 Depth=2
	v_add_nc_u32_e32 v1, s42, v1
	v_add_nc_u32_e32 v8, s44, v8
	s_mov_b32 s28, 0
	v_cmp_le_u32_e32 vcc_lo, s61, v1
	s_orn2_b32 s27, vcc_lo, exec_lo
	s_branch .LBB30_285
.LBB30_290:                             ;   in Loop: Header=BB30_6 Depth=1
	s_inst_prefetch 0x2
	s_or_b32 exec_lo, exec_lo, s21
	s_andn2_b32 s21, s25, exec_lo
	s_and_b32 s25, s26, exec_lo
	s_or_b32 s25, s21, s25
.LBB30_291:                             ;   in Loop: Header=BB30_6 Depth=1
	s_or_b32 exec_lo, exec_lo, s18
	s_mov_b32 s18, 0
	s_mov_b32 s21, -1
.LBB30_292:                             ;   in Loop: Header=BB30_6 Depth=1
	s_orn2_b32 s25, s25, exec_lo
.LBB30_293:                             ;   in Loop: Header=BB30_6 Depth=1
	s_or_b32 exec_lo, exec_lo, s23
	s_mov_b32 s26, 0
	s_and_saveexec_b32 s23, s25
	s_cbranch_execz .LBB30_382
; %bb.294:                              ;   in Loop: Header=BB30_6 Depth=1
	v_mov_b32_e32 v1, 1
	v_mov_b32_e32 v3, 1
	s_xor_b32 s25, s24, -1
	s_mov_b32 s27, 0
	s_and_saveexec_b32 s24, s25
	s_cbranch_execz .LBB30_303
; %bb.295:                              ;   in Loop: Header=BB30_6 Depth=1
	s_mov_b32 s25, exec_lo
	v_cmpx_ge_u32_e64 s17, v32
	s_xor_b32 s25, exec_lo, s25
	s_cbranch_execz .LBB30_300
; %bb.296:                              ;   in Loop: Header=BB30_6 Depth=1
	ds_read_b32 v1, v9 offset:4096
	s_lshl_b32 s26, 2, s69
	v_or_b32_e32 v30, s14, v30
	v_and_or_b32 v23, v23, s15, s26
	s_waitcnt lgkmcnt(0)
	v_cmp_ne_u32_e32 vcc_lo, 0, v1
	s_cbranch_vccnz .LBB30_300
; %bb.297:                              ;   in Loop: Header=BB30_6 Depth=1
	s_and_saveexec_b32 s26, s3
; %bb.298:                              ;   in Loop: Header=BB30_6 Depth=1
	v_mov_b32_e32 v1, s17
	ds_write_b32 v9, v1 offset:4100
; %bb.299:                              ;   in Loop: Header=BB30_6 Depth=1
	s_or_b32 exec_lo, exec_lo, s26
	s_waitcnt lgkmcnt(0)
	s_barrier
	buffer_gl0_inv
.LBB30_300:                             ;   in Loop: Header=BB30_6 Depth=1
	s_or_saveexec_b32 s25, s25
	v_mov_b32_e32 v3, 5
	s_mov_b32 s26, 0
	s_xor_b32 exec_lo, exec_lo, s25
; %bb.301:                              ;   in Loop: Header=BB30_6 Depth=1
	v_subrev_nc_u32_e32 v32, s17, v32
	v_mov_b32_e32 v3, 0
	s_mov_b32 s26, exec_lo
; %bb.302:                              ;   in Loop: Header=BB30_6 Depth=1
	s_or_b32 exec_lo, exec_lo, s25
	v_mov_b32_e32 v1, v32
	s_and_b32 s27, s26, exec_lo
.LBB30_303:                             ;   in Loop: Header=BB30_6 Depth=1
	s_or_b32 exec_lo, exec_lo, s24
	s_mov_b32 s26, -1
                                        ; implicit-def: $sgpr24
                                        ; implicit-def: $sgpr25
	s_and_saveexec_b32 s17, s27
	s_cbranch_execz .LBB30_381
; %bb.304:                              ;   in Loop: Header=BB30_6 Depth=1
	v_cmp_eq_u32_e32 vcc_lo, 1, v1
	s_cmp_eq_u32 s16, 1
	s_mov_b32 s28, -1
	s_cselect_b32 s24, -1, 0
                                        ; implicit-def: $sgpr25
	s_and_b32 s27, s24, vcc_lo
                                        ; implicit-def: $sgpr24
	s_and_saveexec_b32 s26, s27
	s_cbranch_execz .LBB30_330
; %bb.305:                              ;   in Loop: Header=BB30_6 Depth=1
	ds_read_b32 v2, v9 offset:4096
	s_waitcnt lgkmcnt(0)
	s_barrier
	buffer_gl0_inv
	v_readfirstlane_b32 s29, v2
	s_and_saveexec_b32 s24, s6
; %bb.306:                              ;   in Loop: Header=BB30_6 Depth=1
	ds_write_b32 v21, v9
; %bb.307:                              ;   in Loop: Header=BB30_6 Depth=1
	s_or_b32 exec_lo, exec_lo, s24
	s_lshl_b32 s24, 1, s69
	v_or_b32_e32 v30, s14, v30
	v_and_or_b32 v23, v23, s15, s24
	s_mov_b32 s24, -1
	s_mov_b32 s25, 0
	s_cmp_eq_u32 s29, 0
	s_mov_b32 s28, 0
	s_mov_b32 s76, -1
	s_waitcnt lgkmcnt(0)
	s_barrier
	buffer_gl0_inv
                                        ; implicit-def: $vgpr11
	s_cbranch_scc1 .LBB30_318
; %bb.308:                              ;   in Loop: Header=BB30_6 Depth=1
	s_add_i32 s28, s29, s54
                                        ; implicit-def: $vgpr11
	s_mul_hi_u32 s76, s28, s60
	s_mul_i32 s76, s76, s42
	s_sub_i32 s76, s28, s76
	s_sub_i32 s77, s76, s42
	s_cmp_ge_u32 s76, s42
	s_cselect_b32 s76, s77, s76
	s_sub_i32 s77, s76, s42
	s_cmp_ge_u32 s76, s42
	s_cselect_b32 s76, s77, s76
	s_mov_b32 s77, exec_lo
	s_sub_i32 s78, s28, s76
	s_mov_b32 s76, 0
	s_mov_b32 s28, 0
	v_cmpx_gt_u32_e64 s78, v0
	s_cbranch_execz .LBB30_317
; %bb.309:                              ;   in Loop: Header=BB30_6 Depth=1
	v_mov_b32_e32 v2, v19
	v_mov_b32_e32 v4, v0
                                        ; implicit-def: $sgpr79
	s_inst_prefetch 0x1
	s_branch .LBB30_312
	.p2align	6
.LBB30_310:                             ;   in Loop: Header=BB30_312 Depth=2
	s_or_b32 exec_lo, exec_lo, s80
	s_waitcnt lgkmcnt(0)
	s_barrier
	buffer_gl0_inv
	ds_read_b64 v[10:11], v9 offset:3072
	s_mov_b32 s80, -1
	s_mov_b32 s81, -1
	s_waitcnt lgkmcnt(0)
	s_barrier
	buffer_gl0_inv
	v_cmp_ne_u32_e32 vcc_lo, 0, v10
	s_cbranch_vccz .LBB30_315
.LBB30_311:                             ;   in Loop: Header=BB30_312 Depth=2
	s_and_b32 s80, exec_lo, s80
	s_or_b32 s28, s80, s28
	s_andn2_b32 s79, s79, exec_lo
	s_and_b32 s80, s81, exec_lo
	s_or_b32 s79, s79, s80
	s_andn2_b32 exec_lo, exec_lo, s28
	s_cbranch_execz .LBB30_316
.LBB30_312:                             ;   Parent Loop BB30_6 Depth=1
                                        ; =>  This Inner Loop Header: Depth=2
	s_mov_b32 s80, exec_lo
	v_cmpx_gt_u32_e64 s29, v4
	s_cbranch_execz .LBB30_310
; %bb.313:                              ;   in Loop: Header=BB30_312 Depth=2
	ds_read_b32 v16, v2
	s_waitcnt lgkmcnt(0)
	v_xor_b32_e32 v8, 0x80000000, v16
	v_and_b32_e32 v8, v8, v30
	v_cmp_eq_u32_e32 vcc_lo, v8, v23
	s_and_b32 exec_lo, exec_lo, vcc_lo
	s_cbranch_execz .LBB30_310
; %bb.314:                              ;   in Loop: Header=BB30_312 Depth=2
	ds_write_b64 v9, v[15:16] offset:3072
	s_branch .LBB30_310
	.p2align	6
.LBB30_315:                             ;   in Loop: Header=BB30_312 Depth=2
	v_add_nc_u32_e32 v4, s42, v4
	v_add_nc_u32_e32 v2, s50, v2
	s_mov_b32 s81, 0
	v_cmp_le_u32_e32 vcc_lo, s78, v4
	s_orn2_b32 s80, vcc_lo, exec_lo
	s_branch .LBB30_311
.LBB30_316:                             ;   in Loop: Header=BB30_6 Depth=1
	s_inst_prefetch 0x2
	s_or_b32 exec_lo, exec_lo, s28
	s_and_b32 s28, s79, exec_lo
.LBB30_317:                             ;   in Loop: Header=BB30_6 Depth=1
	s_or_b32 exec_lo, exec_lo, s77
.LBB30_318:                             ;   in Loop: Header=BB30_6 Depth=1
	s_and_b32 vcc_lo, exec_lo, s76
	s_cbranch_vccz .LBB30_329
; %bb.319:                              ;   in Loop: Header=BB30_6 Depth=1
                                        ; implicit-def: $vgpr11
	s_and_saveexec_b32 s24, s9
	s_cbranch_execz .LBB30_328
; %bb.320:                              ;   in Loop: Header=BB30_6 Depth=1
	v_mov_b32_e32 v8, v7
	v_mov_b32_e32 v2, v0
	s_mov_b32 s25, 0
                                        ; implicit-def: $sgpr29
	s_inst_prefetch 0x1
	s_branch .LBB30_323
	.p2align	6
.LBB30_321:                             ;   in Loop: Header=BB30_323 Depth=2
	s_or_b32 exec_lo, exec_lo, s76
	s_waitcnt lgkmcnt(0)
	s_barrier
	buffer_gl0_inv
	ds_read_b64 v[10:11], v9 offset:3072
	s_mov_b32 s76, -1
	s_mov_b32 s77, -1
	s_waitcnt lgkmcnt(0)
	s_barrier
	buffer_gl0_inv
	v_cmp_eq_u32_e32 vcc_lo, 0, v10
	s_cbranch_vccnz .LBB30_326
.LBB30_322:                             ;   in Loop: Header=BB30_323 Depth=2
	s_and_b32 s76, exec_lo, s76
	s_or_b32 s25, s76, s25
	s_andn2_b32 s29, s29, exec_lo
	s_and_b32 s76, s77, exec_lo
	s_or_b32 s29, s29, s76
	s_andn2_b32 exec_lo, exec_lo, s25
	s_cbranch_execz .LBB30_327
.LBB30_323:                             ;   Parent Loop BB30_6 Depth=1
                                        ; =>  This Inner Loop Header: Depth=2
	s_mov_b32 s76, exec_lo
	v_cmpx_gt_u32_e64 s36, v2
	s_cbranch_execz .LBB30_321
; %bb.324:                              ;   in Loop: Header=BB30_323 Depth=2
	v_lshlrev_b64 v[10:11], 2, v[8:9]
	v_add_co_u32 v10, vcc_lo, s31, v10
	v_add_co_ci_u32_e64 v11, null, s33, v11, vcc_lo
	global_load_dword v16, v[10:11], off
	s_waitcnt vmcnt(0)
	v_xor_b32_e32 v4, 0x80000000, v16
	v_and_b32_e32 v4, v4, v30
	v_cmp_eq_u32_e32 vcc_lo, v4, v23
	s_and_b32 exec_lo, exec_lo, vcc_lo
	s_cbranch_execz .LBB30_321
; %bb.325:                              ;   in Loop: Header=BB30_323 Depth=2
	ds_write_b64 v9, v[15:16] offset:3072
	s_branch .LBB30_321
.LBB30_326:                             ;   in Loop: Header=BB30_323 Depth=2
	v_add_nc_u32_e32 v2, s42, v2
	v_add_nc_u32_e32 v8, s44, v8
	s_mov_b32 s77, 0
	v_cmp_le_u32_e32 vcc_lo, s61, v2
	s_orn2_b32 s76, vcc_lo, exec_lo
	s_branch .LBB30_322
.LBB30_327:                             ;   in Loop: Header=BB30_6 Depth=1
	s_inst_prefetch 0x2
	s_or_b32 exec_lo, exec_lo, s25
	s_andn2_b32 s25, s28, exec_lo
	s_and_b32 s28, s29, exec_lo
	s_or_b32 s28, s25, s28
.LBB30_328:                             ;   in Loop: Header=BB30_6 Depth=1
	s_or_b32 exec_lo, exec_lo, s24
	s_mov_b32 s24, 0
	s_mov_b32 s25, -1
.LBB30_329:                             ;   in Loop: Header=BB30_6 Depth=1
	s_orn2_b32 s28, s28, exec_lo
.LBB30_330:                             ;   in Loop: Header=BB30_6 Depth=1
	s_or_b32 exec_lo, exec_lo, s26
	s_mov_b32 s29, 0
	s_and_saveexec_b32 s26, s28
	s_cbranch_execz .LBB30_380
; %bb.331:                              ;   in Loop: Header=BB30_6 Depth=1
	v_mov_b32_e32 v2, 1
	v_mov_b32_e32 v3, 1
	s_xor_b32 s28, s27, -1
	s_mov_b32 s76, 0
	s_and_saveexec_b32 s27, s28
	s_cbranch_execz .LBB30_340
; %bb.332:                              ;   in Loop: Header=BB30_6 Depth=1
	s_mov_b32 s28, exec_lo
	v_cmpx_ge_u32_e64 s16, v1
	s_xor_b32 s28, exec_lo, s28
	s_cbranch_execz .LBB30_337
; %bb.333:                              ;   in Loop: Header=BB30_6 Depth=1
	ds_read_b32 v2, v9 offset:4096
	s_lshl_b32 s29, 1, s69
	v_or_b32_e32 v30, s14, v30
	v_and_or_b32 v23, v23, s15, s29
	s_waitcnt lgkmcnt(0)
	v_cmp_ne_u32_e32 vcc_lo, 0, v2
	s_cbranch_vccnz .LBB30_337
; %bb.334:                              ;   in Loop: Header=BB30_6 Depth=1
	s_and_saveexec_b32 s29, s3
; %bb.335:                              ;   in Loop: Header=BB30_6 Depth=1
	v_mov_b32_e32 v2, s16
	ds_write_b32 v9, v2 offset:4100
; %bb.336:                              ;   in Loop: Header=BB30_6 Depth=1
	s_or_b32 exec_lo, exec_lo, s29
	s_waitcnt lgkmcnt(0)
	s_barrier
	buffer_gl0_inv
.LBB30_337:                             ;   in Loop: Header=BB30_6 Depth=1
	s_or_saveexec_b32 s28, s28
	v_mov_b32_e32 v3, 5
	s_mov_b32 s29, 0
	s_xor_b32 exec_lo, exec_lo, s28
; %bb.338:                              ;   in Loop: Header=BB30_6 Depth=1
	v_subrev_nc_u32_e32 v1, s16, v1
	v_mov_b32_e32 v3, 0
	s_mov_b32 s29, exec_lo
; %bb.339:                              ;   in Loop: Header=BB30_6 Depth=1
	s_or_b32 exec_lo, exec_lo, s28
	v_mov_b32_e32 v2, v1
	s_and_b32 s76, s29, exec_lo
.LBB30_340:                             ;   in Loop: Header=BB30_6 Depth=1
	s_or_b32 exec_lo, exec_lo, s27
	s_mov_b32 s27, -1
                                        ; implicit-def: $sgpr29
                                        ; implicit-def: $sgpr28
	s_and_saveexec_b32 s16, s76
	s_cbranch_execz .LBB30_379
; %bb.341:                              ;   in Loop: Header=BB30_6 Depth=1
	v_cmp_eq_u32_e32 vcc_lo, 1, v2
	s_cmp_eq_u32 s13, 1
	s_mov_b32 s77, -1
	s_cselect_b32 s27, -1, 0
                                        ; implicit-def: $sgpr29
                                        ; implicit-def: $sgpr28
	s_and_b32 s27, s27, vcc_lo
	s_and_saveexec_b32 s76, s27
	s_cbranch_execz .LBB30_367
; %bb.342:                              ;   in Loop: Header=BB30_6 Depth=1
	ds_read_b32 v1, v9 offset:4096
	s_waitcnt lgkmcnt(0)
	s_barrier
	buffer_gl0_inv
	v_readfirstlane_b32 s78, v1
	s_and_saveexec_b32 s28, s6
; %bb.343:                              ;   in Loop: Header=BB30_6 Depth=1
	ds_write_b32 v21, v9
; %bb.344:                              ;   in Loop: Header=BB30_6 Depth=1
	s_or_b32 exec_lo, exec_lo, s28
	v_and_b32_e32 v23, s15, v23
	v_or_b32_e32 v30, s14, v30
	s_mov_b32 s28, -1
	s_mov_b32 s29, 0
	s_cmp_eq_u32 s78, 0
	s_mov_b32 s77, 0
	s_mov_b32 s79, -1
	s_waitcnt lgkmcnt(0)
	s_barrier
	buffer_gl0_inv
                                        ; implicit-def: $vgpr11
	s_cbranch_scc1 .LBB30_355
; %bb.345:                              ;   in Loop: Header=BB30_6 Depth=1
	s_add_i32 s77, s78, s54
                                        ; implicit-def: $vgpr11
	s_mul_hi_u32 s79, s77, s60
	s_mul_i32 s79, s79, s42
	s_sub_i32 s79, s77, s79
	s_sub_i32 s80, s79, s42
	s_cmp_ge_u32 s79, s42
	s_cselect_b32 s79, s80, s79
	s_sub_i32 s80, s79, s42
	s_cmp_ge_u32 s79, s42
	s_cselect_b32 s79, s80, s79
	s_mov_b32 s80, exec_lo
	s_sub_i32 s81, s77, s79
	s_mov_b32 s79, 0
	s_mov_b32 s77, 0
	v_cmpx_gt_u32_e64 s81, v0
	s_cbranch_execz .LBB30_354
; %bb.346:                              ;   in Loop: Header=BB30_6 Depth=1
	v_mov_b32_e32 v1, v19
	v_mov_b32_e32 v4, v0
                                        ; implicit-def: $sgpr82
	s_inst_prefetch 0x1
	s_branch .LBB30_349
	.p2align	6
.LBB30_347:                             ;   in Loop: Header=BB30_349 Depth=2
	s_or_b32 exec_lo, exec_lo, s83
	s_waitcnt lgkmcnt(0)
	s_barrier
	buffer_gl0_inv
	ds_read_b64 v[10:11], v9 offset:3072
	s_mov_b32 s83, -1
	s_mov_b32 s84, -1
	s_waitcnt lgkmcnt(0)
	s_barrier
	buffer_gl0_inv
	v_cmp_ne_u32_e32 vcc_lo, 0, v10
	s_cbranch_vccz .LBB30_352
.LBB30_348:                             ;   in Loop: Header=BB30_349 Depth=2
	s_and_b32 s83, exec_lo, s83
	s_or_b32 s77, s83, s77
	s_andn2_b32 s82, s82, exec_lo
	s_and_b32 s83, s84, exec_lo
	s_or_b32 s82, s82, s83
	s_andn2_b32 exec_lo, exec_lo, s77
	s_cbranch_execz .LBB30_353
.LBB30_349:                             ;   Parent Loop BB30_6 Depth=1
                                        ; =>  This Inner Loop Header: Depth=2
	s_mov_b32 s83, exec_lo
	v_cmpx_gt_u32_e64 s78, v4
	s_cbranch_execz .LBB30_347
; %bb.350:                              ;   in Loop: Header=BB30_349 Depth=2
	ds_read_b32 v16, v1
	s_waitcnt lgkmcnt(0)
	v_xor_b32_e32 v8, 0x80000000, v16
	v_and_b32_e32 v8, v8, v30
	v_cmp_eq_u32_e32 vcc_lo, v8, v23
	s_and_b32 exec_lo, exec_lo, vcc_lo
	s_cbranch_execz .LBB30_347
; %bb.351:                              ;   in Loop: Header=BB30_349 Depth=2
	ds_write_b64 v9, v[15:16] offset:3072
	s_branch .LBB30_347
	.p2align	6
.LBB30_352:                             ;   in Loop: Header=BB30_349 Depth=2
	v_add_nc_u32_e32 v4, s42, v4
	v_add_nc_u32_e32 v1, s50, v1
	s_mov_b32 s84, 0
	v_cmp_le_u32_e32 vcc_lo, s81, v4
	s_orn2_b32 s83, vcc_lo, exec_lo
	s_branch .LBB30_348
.LBB30_353:                             ;   in Loop: Header=BB30_6 Depth=1
	s_inst_prefetch 0x2
	s_or_b32 exec_lo, exec_lo, s77
	s_and_b32 s77, s82, exec_lo
.LBB30_354:                             ;   in Loop: Header=BB30_6 Depth=1
	s_or_b32 exec_lo, exec_lo, s80
.LBB30_355:                             ;   in Loop: Header=BB30_6 Depth=1
	s_and_b32 vcc_lo, exec_lo, s79
	s_cbranch_vccz .LBB30_366
; %bb.356:                              ;   in Loop: Header=BB30_6 Depth=1
                                        ; implicit-def: $vgpr11
	s_and_saveexec_b32 s28, s9
	s_cbranch_execz .LBB30_365
; %bb.357:                              ;   in Loop: Header=BB30_6 Depth=1
	v_mov_b32_e32 v8, v7
	v_mov_b32_e32 v1, v0
	s_mov_b32 s29, 0
                                        ; implicit-def: $sgpr78
	s_inst_prefetch 0x1
	s_branch .LBB30_360
	.p2align	6
.LBB30_358:                             ;   in Loop: Header=BB30_360 Depth=2
	s_or_b32 exec_lo, exec_lo, s79
	s_waitcnt lgkmcnt(0)
	s_barrier
	buffer_gl0_inv
	ds_read_b64 v[10:11], v9 offset:3072
	s_mov_b32 s79, -1
	s_mov_b32 s80, -1
	s_waitcnt lgkmcnt(0)
	s_barrier
	buffer_gl0_inv
	v_cmp_eq_u32_e32 vcc_lo, 0, v10
	s_cbranch_vccnz .LBB30_363
.LBB30_359:                             ;   in Loop: Header=BB30_360 Depth=2
	s_and_b32 s79, exec_lo, s79
	s_or_b32 s29, s79, s29
	s_andn2_b32 s78, s78, exec_lo
	s_and_b32 s79, s80, exec_lo
	s_or_b32 s78, s78, s79
	s_andn2_b32 exec_lo, exec_lo, s29
	s_cbranch_execz .LBB30_364
.LBB30_360:                             ;   Parent Loop BB30_6 Depth=1
                                        ; =>  This Inner Loop Header: Depth=2
	s_mov_b32 s79, exec_lo
	v_cmpx_gt_u32_e64 s36, v1
	s_cbranch_execz .LBB30_358
; %bb.361:                              ;   in Loop: Header=BB30_360 Depth=2
	v_lshlrev_b64 v[10:11], 2, v[8:9]
	v_add_co_u32 v10, vcc_lo, s31, v10
	v_add_co_ci_u32_e64 v11, null, s33, v11, vcc_lo
	global_load_dword v16, v[10:11], off
	s_waitcnt vmcnt(0)
	v_xor_b32_e32 v4, 0x80000000, v16
	v_and_b32_e32 v4, v4, v30
	v_cmp_eq_u32_e32 vcc_lo, v4, v23
	s_and_b32 exec_lo, exec_lo, vcc_lo
	s_cbranch_execz .LBB30_358
; %bb.362:                              ;   in Loop: Header=BB30_360 Depth=2
	ds_write_b64 v9, v[15:16] offset:3072
	s_branch .LBB30_358
.LBB30_363:                             ;   in Loop: Header=BB30_360 Depth=2
	v_add_nc_u32_e32 v1, s42, v1
	v_add_nc_u32_e32 v8, s44, v8
	s_mov_b32 s80, 0
	v_cmp_le_u32_e32 vcc_lo, s61, v1
	s_orn2_b32 s79, vcc_lo, exec_lo
	s_branch .LBB30_359
.LBB30_364:                             ;   in Loop: Header=BB30_6 Depth=1
	s_inst_prefetch 0x2
	s_or_b32 exec_lo, exec_lo, s29
	s_andn2_b32 s29, s77, exec_lo
	s_and_b32 s77, s78, exec_lo
	s_or_b32 s77, s29, s77
.LBB30_365:                             ;   in Loop: Header=BB30_6 Depth=1
	s_or_b32 exec_lo, exec_lo, s28
	s_mov_b32 s28, 0
	s_mov_b32 s29, -1
.LBB30_366:                             ;   in Loop: Header=BB30_6 Depth=1
	s_orn2_b32 s77, s77, exec_lo
.LBB30_367:                             ;   in Loop: Header=BB30_6 Depth=1
	s_or_b32 exec_lo, exec_lo, s76
	s_mov_b32 s78, 0
	s_and_saveexec_b32 s76, s77
	s_cbranch_execz .LBB30_378
; %bb.368:                              ;   in Loop: Header=BB30_6 Depth=1
	v_mov_b32_e32 v3, 1
	v_mov_b32_e32 v1, 1
	s_xor_b32 s77, s27, -1
	s_and_saveexec_b32 s27, s77
	s_cbranch_execz .LBB30_377
; %bb.369:                              ;   in Loop: Header=BB30_6 Depth=1
	s_mov_b32 s77, exec_lo
	v_cmpx_ge_u32_e64 s13, v2
	s_xor_b32 s77, exec_lo, s77
	s_cbranch_execz .LBB30_374
; %bb.370:                              ;   in Loop: Header=BB30_6 Depth=1
	ds_read_b32 v1, v9 offset:4096
	v_and_b32_e32 v23, s15, v23
	v_or_b32_e32 v30, s14, v30
	s_waitcnt lgkmcnt(0)
	v_cmp_ne_u32_e32 vcc_lo, 0, v1
	s_cbranch_vccnz .LBB30_374
; %bb.371:                              ;   in Loop: Header=BB30_6 Depth=1
	s_and_saveexec_b32 s14, s3
; %bb.372:                              ;   in Loop: Header=BB30_6 Depth=1
	v_mov_b32_e32 v1, s13
	ds_write_b32 v9, v1 offset:4100
; %bb.373:                              ;   in Loop: Header=BB30_6 Depth=1
	s_or_b32 exec_lo, exec_lo, s14
	s_waitcnt lgkmcnt(0)
	s_barrier
	buffer_gl0_inv
.LBB30_374:                             ;   in Loop: Header=BB30_6 Depth=1
	s_andn2_saveexec_b32 s14, s77
; %bb.375:                              ;   in Loop: Header=BB30_6 Depth=1
	v_subrev_nc_u32_e32 v2, s13, v2
; %bb.376:                              ;   in Loop: Header=BB30_6 Depth=1
	s_or_b32 exec_lo, exec_lo, s14
	v_mov_b32_e32 v3, 5
	v_mov_b32_e32 v1, v2
.LBB30_377:                             ;   in Loop: Header=BB30_6 Depth=1
	s_or_b32 exec_lo, exec_lo, s27
	v_mov_b32_e32 v2, v1
	s_mov_b32 s78, exec_lo
.LBB30_378:                             ;   in Loop: Header=BB30_6 Depth=1
	s_or_b32 exec_lo, exec_lo, s76
	s_orn2_b32 s27, s78, exec_lo
.LBB30_379:                             ;   in Loop: Header=BB30_6 Depth=1
	s_or_b32 exec_lo, exec_lo, s16
	v_mov_b32_e32 v1, v2
	s_andn2_b32 s13, s25, exec_lo
	s_and_b32 s14, s29, exec_lo
	s_andn2_b32 s15, s24, exec_lo
	s_and_b32 s16, s28, exec_lo
	s_or_b32 s25, s13, s14
	s_or_b32 s24, s15, s16
	s_and_b32 s29, s27, exec_lo
.LBB30_380:                             ;   in Loop: Header=BB30_6 Depth=1
	s_or_b32 exec_lo, exec_lo, s26
	s_orn2_b32 s26, s29, exec_lo
.LBB30_381:                             ;   in Loop: Header=BB30_6 Depth=1
	s_or_b32 exec_lo, exec_lo, s17
	v_mov_b32_e32 v32, v1
	s_andn2_b32 s13, s21, exec_lo
	s_and_b32 s14, s25, exec_lo
	s_andn2_b32 s15, s18, exec_lo
	s_and_b32 s16, s24, exec_lo
	s_or_b32 s21, s13, s14
	s_or_b32 s18, s15, s16
	s_and_b32 s26, s26, exec_lo
.LBB30_382:                             ;   in Loop: Header=BB30_6 Depth=1
	s_or_b32 exec_lo, exec_lo, s23
	s_orn2_b32 s23, s26, exec_lo
.LBB30_383:                             ;   in Loop: Header=BB30_6 Depth=1
	s_or_b32 exec_lo, exec_lo, s10
	s_mov_b32 s10, s19
	s_mov_b32 s13, s11
	s_and_saveexec_b32 s14, s23
; %bb.384:                              ;   in Loop: Header=BB30_6 Depth=1
	v_cmp_ne_u32_e32 vcc_lo, 5, v3
	v_cmp_eq_u32_e64 s10, 5, v3
	s_andn2_b32 s13, s11, exec_lo
	s_andn2_b32 s15, s19, exec_lo
	s_and_b32 s16, vcc_lo, exec_lo
	s_and_b32 s10, s10, exec_lo
	s_or_b32 s13, s13, s16
	s_or_b32 s10, s15, s10
; %bb.385:                              ;   in Loop: Header=BB30_6 Depth=1
	s_or_b32 exec_lo, exec_lo, s14
	s_andn2_b32 s14, s22, exec_lo
	s_and_b32 s15, s21, exec_lo
	s_andn2_b32 s12, s12, exec_lo
	s_and_b32 s16, s18, exec_lo
	s_or_b32 s22, s14, s15
	s_andn2_b32 s11, s11, exec_lo
	s_and_b32 s13, s13, exec_lo
	s_andn2_b32 s14, s19, exec_lo
	s_and_b32 s10, s10, exec_lo
	s_or_b32 s12, s12, s16
	s_or_b32 s11, s11, s13
	;; [unrolled: 1-line block ×3, first 2 shown]
.LBB30_386:                             ;   in Loop: Header=BB30_6 Depth=1
	s_or_b32 exec_lo, exec_lo, s20
	s_mov_b32 s20, 0
	s_mov_b32 s21, 0
	s_and_saveexec_b32 s10, s19
.LBB30_387:                             ;   in Loop: Header=BB30_6 Depth=1
	v_mov_b32_e32 v3, 0
	s_or_b32 s11, s11, exec_lo
.LBB30_388:                             ;   in Loop: Header=BB30_6 Depth=1
	s_or_b32 exec_lo, exec_lo, s10
	s_andn2_b32 s10, s73, exec_lo
	s_and_b32 s14, s22, exec_lo
	s_andn2_b32 s15, s71, exec_lo
	s_and_b32 s12, s12, exec_lo
	v_mov_b32_e32 v31, v32
	s_or_b32 s73, s10, s14
	s_or_b32 s71, s15, s12
	s_andn2_b32 s10, s75, exec_lo
	s_and_b32 s12, s21, exec_lo
	s_andn2_b32 s14, s74, exec_lo
	s_and_b32 s15, s20, exec_lo
	s_mov_b32 s13, -1
	s_andn2_b32 s72, s72, exec_lo
	s_or_b32 s75, s10, s12
	s_or_b32 s74, s14, s15
	s_and_saveexec_b32 s10, s11
	s_xor_b32 s10, exec_lo, s10
	s_cbranch_execz .LBB30_5
; %bb.389:                              ;   in Loop: Header=BB30_6 Depth=1
	s_mov_b32 s11, -1
	s_mov_b32 s12, -1
	s_mov_b32 s13, exec_lo
	v_cmpx_eq_u32_e32 0, v3
	s_cbranch_execz .LBB30_4
; %bb.390:                              ;   in Loop: Header=BB30_6 Depth=1
	s_xor_b32 s65, s65, 1
	s_add_i32 s14, s69, -2
	s_cmp_eq_u32 s69, 0
	s_mov_b32 s69, s14
	s_cselect_b32 s11, -1, 0
	s_xor_b32 s12, exec_lo, -1
	s_orn2_b32 s11, s11, exec_lo
	s_branch .LBB30_4
.LBB30_391:
	s_or_b32 exec_lo, exec_lo, s43
	s_xor_b32 s9, s70, -1
	s_xor_b32 s12, s67, -1
	;; [unrolled: 1-line block ×5, first 2 shown]
	s_mov_b32 s7, 0
	s_and_saveexec_b32 s8, s6
	s_xor_b32 s6, exec_lo, s8
	s_cbranch_execnz .LBB30_396
; %bb.392:
	s_andn2_saveexec_b32 s0, s6
	s_cbranch_execnz .LBB30_415
.LBB30_393:
	s_or_b32 exec_lo, exec_lo, s0
	s_and_saveexec_b32 s0, s7
.LBB30_394:
	; divergent unreachable
.LBB30_395:
	s_endpgm
.LBB30_396:
	s_mov_b32 s8, 0
	s_and_saveexec_b32 s7, s11
	s_xor_b32 s7, exec_lo, s7
	s_cbranch_execz .LBB30_413
; %bb.397:
	s_mov_b32 s11, 0
	s_and_saveexec_b32 s8, s12
	s_xor_b32 s8, exec_lo, s8
	s_cbranch_execz .LBB30_411
; %bb.398:
	s_and_saveexec_b32 s12, s9
	s_xor_b32 s9, exec_lo, s12
	s_cbranch_execz .LBB30_409
; %bb.399:
	s_and_saveexec_b32 s11, s10
	s_xor_b32 s10, exec_lo, s11
; %bb.400:
	v_xor_b32_e32 v11, 0x80000000, v23
; %bb.401:
	s_or_b32 exec_lo, exec_lo, s10
	s_and_saveexec_b32 s10, s3
; %bb.402:
	v_mov_b32_e32 v1, 0
	ds_write_b32 v1, v1 offset:4108
; %bb.403:
	s_or_b32 exec_lo, exec_lo, s10
	v_mov_b32_e32 v7, 0
	s_waitcnt lgkmcnt(0)
	s_barrier
	buffer_gl0_inv
	s_and_saveexec_b32 s3, s2
	s_cbranch_execz .LBB30_405
; %bb.404:
	global_load_dword v7, v[5:6], off
.LBB30_405:
	s_or_b32 exec_lo, exec_lo, s3
	s_clause 0x1
	s_load_dword s10, s[4:5], 0x1c8
	s_load_dword s11, s[4:5], 0x2a8
	s_mul_i32 s4, s47, s45
	s_mov_b32 s5, 0
	s_add_i32 s12, s36, 31
	s_lshl_b64 s[14:15], s[4:5], 2
	s_andn2_b32 s12, s12, 31
	s_mul_i32 s16, s46, s45
	s_mov_b32 s17, s5
	s_add_u32 s13, s40, s14
	s_addc_u32 s14, s41, s15
	s_lshl_b64 s[16:17], s[16:17], 3
	v_cmp_gt_u32_e32 vcc_lo, s12, v0
	s_add_u32 s15, s34, s16
	s_addc_u32 s16, s35, s17
	s_mov_b32 s18, -1
	s_mov_b32 s3, 0
	s_and_saveexec_b32 s17, vcc_lo
	s_cbranch_execnz .LBB30_416
; %bb.406:
	s_or_b32 exec_lo, exec_lo, s17
	s_and_saveexec_b32 s4, s18
	s_cbranch_execnz .LBB30_431
.LBB30_407:
	s_or_b32 exec_lo, exec_lo, s4
	s_and_saveexec_b32 s0, s3
	s_xor_b32 s0, exec_lo, s0
	s_cbranch_execnz .LBB30_454
.LBB30_408:
	s_or_b32 exec_lo, exec_lo, s0
	s_waitcnt lgkmcnt(0)
	s_and_b32 s11, s5, exec_lo
.LBB30_409:
	s_andn2_saveexec_b32 s0, s9
	s_cbranch_execnz .LBB30_456
.LBB30_410:
	s_or_b32 exec_lo, exec_lo, s0
	s_and_b32 s11, s11, exec_lo
.LBB30_411:
	s_andn2_saveexec_b32 s0, s8
	s_cbranch_execnz .LBB30_455
.LBB30_412:
	s_or_b32 exec_lo, exec_lo, s0
	s_and_b32 s8, s11, exec_lo
.LBB30_413:
	s_andn2_saveexec_b32 s0, s7
	s_cbranch_execnz .LBB30_450
.LBB30_414:
	s_or_b32 exec_lo, exec_lo, s0
	s_and_b32 s7, s8, exec_lo
	s_andn2_saveexec_b32 s0, s6
	s_cbranch_execz .LBB30_393
.LBB30_415:
	s_or_b32 s7, s7, exec_lo
	s_trap 2
	s_or_b32 exec_lo, exec_lo, s0
	s_and_saveexec_b32 s0, s7
	s_cbranch_execnz .LBB30_394
	s_branch .LBB30_395
.LBB30_416:
	v_add_nc_u32_e32 v1, s42, v0
	v_xor_b32_e32 v8, 0x80000000, v11
	v_mov_b32_e32 v2, 0
	v_mov_b32_e32 v3, v0
	s_mov_b32 s18, 0
	v_mul_lo_u32 v1, s30, v1
                                        ; implicit-def: $sgpr19
                                        ; implicit-def: $vgpr10
	s_branch .LBB30_418
.LBB30_417:                             ;   in Loop: Header=BB30_418 Depth=1
	s_or_b32 exec_lo, exec_lo, s21
	s_xor_b32 s3, s20, -1
	s_and_b32 s4, exec_lo, s4
	v_mov_b32_e32 v7, v12
	s_or_b32 s18, s4, s18
	v_mov_b32_e32 v3, v9
	s_andn2_b32 s4, s19, exec_lo
	s_and_b32 s3, s3, exec_lo
	s_or_b32 s19, s4, s3
	s_andn2_b32 exec_lo, exec_lo, s18
	s_cbranch_execz .LBB30_430
.LBB30_418:                             ; =>This Inner Loop Header: Depth=1
	v_add_nc_u32_e32 v9, s42, v3
	v_mov_b32_e32 v12, 0
	s_mov_b32 s4, exec_lo
	v_cmpx_gt_u32_e64 s36, v9
	s_cbranch_execz .LBB30_420
; %bb.419:                              ;   in Loop: Header=BB30_418 Depth=1
	v_lshlrev_b64 v[12:13], 2, v[1:2]
	v_add_co_u32 v12, s3, s31, v12
	v_add_co_ci_u32_e64 v13, null, s33, v13, s3
	global_load_dword v12, v[12:13], off
.LBB30_420:                             ;   in Loop: Header=BB30_418 Depth=1
	s_or_b32 exec_lo, exec_lo, s4
	s_waitcnt vmcnt(0)
	v_xor_b32_e32 v4, 0x80000000, v7
	v_cmp_gt_u32_e64 s3, v4, v8
	v_cndmask_b32_e64 v13, 0, 1, s3
	v_cmp_lt_u32_e64 s3, v4, v8
	v_cndmask_b32_e64 v4, 0, 1, s3
	v_cmp_gt_u32_e64 s3, s36, v3
	v_cndmask_b32_e64 v4, v4, v13, s1
	v_and_b32_e32 v4, 1, v4
	v_cmp_eq_u32_e64 s4, 1, v4
	s_and_b32 s21, s3, s4
	v_cndmask_b32_e64 v4, 0, 1, s21
	v_cmp_ne_u32_e64 s3, 0, v4
	s_cmp_lg_u32 s3, 0
	s_cselect_b32 s4, -1, 0
	s_and_b32 s4, s0, s4
	s_and_saveexec_b32 s20, s4
	s_cbranch_execz .LBB30_424
; %bb.421:                              ;   in Loop: Header=BB30_418 Depth=1
	s_mov_b32 s24, exec_lo
	s_bcnt1_i32_b32 s22, s3
	v_mbcnt_lo_u32_b32 v4, s24, 0
	s_mov_b32 s23, exec_lo
                                        ; implicit-def: $vgpr10
	v_cmpx_eq_u32_e32 0, v4
	s_cbranch_execz .LBB30_423
; %bb.422:                              ;   in Loop: Header=BB30_418 Depth=1
	s_bcnt1_i32_b32 s4, s24
	s_mul_i32 s4, s22, s4
	s_waitcnt lgkmcnt(0)
	v_mov_b32_e32 v10, s4
	ds_add_rtn_u32 v10, v2, v10 offset:4108
.LBB30_423:                             ;   in Loop: Header=BB30_418 Depth=1
	s_or_b32 exec_lo, exec_lo, s23
	s_waitcnt lgkmcnt(0)
	v_readfirstlane_b32 s4, v10
	v_mad_u32_u24 v10, s22, v4, s4
.LBB30_424:                             ;   in Loop: Header=BB30_418 Depth=1
	s_or_b32 exec_lo, exec_lo, s20
	s_waitcnt lgkmcnt(0)
	ds_bpermute_b32 v10, v2, v10
	s_mov_b32 s4, -1
	s_mov_b32 s22, -1
	s_and_saveexec_b32 s20, s21
	s_cbranch_execz .LBB30_428
; %bb.425:                              ;   in Loop: Header=BB30_418 Depth=1
	v_and_b32_e32 v4, s3, v17
	s_mov_b32 s21, 0
	s_mov_b32 s22, exec_lo
	s_waitcnt lgkmcnt(0)
	v_bcnt_u32_b32 v4, v4, v10
	v_cmpx_gt_u32_e64 s37, v4
; %bb.426:                              ;   in Loop: Header=BB30_418 Depth=1
	v_mul_lo_u32 v13, v4, s10
	v_mul_lo_u32 v15, v4, s11
	v_mov_b32_e32 v14, v2
	v_mov_b32_e32 v16, v2
	;; [unrolled: 1-line block ×3, first 2 shown]
	s_mov_b32 s21, exec_lo
	v_lshlrev_b64 v[13:14], 2, v[13:14]
	v_lshlrev_b64 v[15:16], 3, v[15:16]
	v_add_co_u32 v13, s3, s13, v13
	v_add_co_ci_u32_e64 v14, null, s14, v14, s3
	v_add_co_u32 v15, s3, s15, v15
	v_add_co_ci_u32_e64 v16, null, s16, v16, s3
	global_store_dword v[13:14], v7, off
	global_store_dwordx2 v[15:16], v[3:4], off
; %bb.427:                              ;   in Loop: Header=BB30_418 Depth=1
	s_or_b32 exec_lo, exec_lo, s22
	s_orn2_b32 s22, s21, exec_lo
.LBB30_428:                             ;   in Loop: Header=BB30_418 Depth=1
	s_or_b32 exec_lo, exec_lo, s20
	s_mov_b32 s20, -1
	s_and_saveexec_b32 s21, s22
	s_cbranch_execz .LBB30_417
; %bb.429:                              ;   in Loop: Header=BB30_418 Depth=1
	v_cmp_le_u32_e64 s3, s12, v9
	v_add_nc_u32_e32 v1, s44, v1
	s_xor_b32 s20, exec_lo, -1
	s_orn2_b32 s4, s3, exec_lo
	s_branch .LBB30_417
.LBB30_430:
	s_or_b32 exec_lo, exec_lo, s18
	s_mov_b32 s3, exec_lo
	s_orn2_b32 s18, s19, exec_lo
	s_or_b32 exec_lo, exec_lo, s17
	s_and_saveexec_b32 s4, s18
	s_cbranch_execz .LBB30_407
.LBB30_431:
	v_mov_b32_e32 v1, 0
	s_waitcnt vmcnt(0) lgkmcnt(0)
	s_waitcnt_vscnt null, 0x0
	s_barrier
	buffer_gl0_inv
	s_and_saveexec_b32 s1, s2
	s_cbranch_execz .LBB30_433
; %bb.432:
	global_load_dword v1, v[5:6], off
.LBB30_433:
	s_or_b32 exec_lo, exec_lo, s1
	s_mov_b32 s1, 0
	s_and_saveexec_b32 s2, vcc_lo
	s_cbranch_execz .LBB30_453
; %bb.434:
	v_add_nc_u32_e32 v2, s42, v0
	v_mov_b32_e32 v3, 0
	s_mov_b32 s5, 0
                                        ; implicit-def: $sgpr17
                                        ; implicit-def: $vgpr5
	v_mul_lo_u32 v2, s30, v2
	s_branch .LBB30_437
.LBB30_435:                             ;   in Loop: Header=BB30_437 Depth=1
	s_or_b32 exec_lo, exec_lo, s19
	s_orn2_b32 s20, s21, exec_lo
	s_orn2_b32 s18, s18, exec_lo
.LBB30_436:                             ;   in Loop: Header=BB30_437 Depth=1
	s_or_b32 exec_lo, exec_lo, s1
	s_xor_b32 s1, s20, -1
	s_and_b32 s18, exec_lo, s18
	v_mov_b32_e32 v0, v4
	s_or_b32 s5, s18, s5
	v_mov_b32_e32 v1, v6
	s_andn2_b32 s17, s17, exec_lo
	s_and_b32 s1, s1, exec_lo
	s_or_b32 s17, s17, s1
	s_andn2_b32 exec_lo, exec_lo, s5
	s_cbranch_execz .LBB30_451
.LBB30_437:                             ; =>This Inner Loop Header: Depth=1
	v_add_nc_u32_e32 v4, s42, v0
	v_mov_b32_e32 v6, 0
	s_mov_b32 s1, exec_lo
	v_cmpx_gt_u32_e64 s36, v4
	s_cbranch_execz .LBB30_439
; %bb.438:                              ;   in Loop: Header=BB30_437 Depth=1
	v_lshlrev_b64 v[6:7], 2, v[2:3]
	v_add_co_u32 v6, vcc_lo, s31, v6
	v_add_co_ci_u32_e64 v7, null, s33, v7, vcc_lo
	global_load_dword v6, v[6:7], off
.LBB30_439:                             ;   in Loop: Header=BB30_437 Depth=1
	s_or_b32 exec_lo, exec_lo, s1
	v_cmp_gt_u32_e32 vcc_lo, s36, v0
	s_waitcnt vmcnt(0)
	v_cmp_eq_u32_e64 s1, v1, v11
	s_and_b32 s19, vcc_lo, s1
	v_cndmask_b32_e64 v1, 0, 1, s19
	v_cmp_ne_u32_e32 vcc_lo, 0, v1
	s_cmp_lg_u32 vcc_lo, 0
	s_cselect_b32 s1, -1, 0
	s_and_b32 s1, s0, s1
	s_and_saveexec_b32 s18, s1
	s_cbranch_execz .LBB30_443
; %bb.440:                              ;   in Loop: Header=BB30_437 Depth=1
	s_mov_b32 s22, exec_lo
	s_bcnt1_i32_b32 s20, vcc_lo
	v_mbcnt_lo_u32_b32 v1, s22, 0
	s_mov_b32 s21, exec_lo
                                        ; implicit-def: $vgpr5
	v_cmpx_eq_u32_e32 0, v1
; %bb.441:                              ;   in Loop: Header=BB30_437 Depth=1
	s_bcnt1_i32_b32 s1, s22
	s_mul_i32 s1, s20, s1
	v_mov_b32_e32 v5, s1
	ds_add_rtn_u32 v5, v3, v5 offset:4108
; %bb.442:                              ;   in Loop: Header=BB30_437 Depth=1
	s_or_b32 exec_lo, exec_lo, s21
	s_waitcnt lgkmcnt(0)
	v_readfirstlane_b32 s1, v5
	v_mad_u32_u24 v5, s20, v1, s1
.LBB30_443:                             ;   in Loop: Header=BB30_437 Depth=1
	s_or_b32 exec_lo, exec_lo, s18
	ds_bpermute_b32 v5, v3, v5
	s_cmp_eq_u32 vcc_lo, 0
	s_mov_b32 s18, -1
	s_cselect_b32 s20, -1, 0
	s_waitcnt lgkmcnt(0)
	v_cmp_gt_u32_e64 s1, s37, v5
	s_or_b32 s21, s20, s1
	s_mov_b32 s20, -1
	s_and_saveexec_b32 s1, s21
	s_cbranch_execz .LBB30_436
; %bb.444:                              ;   in Loop: Header=BB30_437 Depth=1
	v_and_b32_e32 v1, vcc_lo, v17
	v_sub_nc_u32_e32 v7, s37, v5
	s_mov_b32 s21, -1
	v_bcnt_u32_b32 v1, v1, 0
	v_bcnt_u32_b32 v1, 0, v1
	v_cmp_gt_u32_e32 vcc_lo, v7, v1
	s_and_b32 s22, s19, vcc_lo
	s_and_saveexec_b32 s19, s22
	s_cbranch_execz .LBB30_448
; %bb.445:                              ;   in Loop: Header=BB30_437 Depth=1
	v_add_nc_u32_e32 v1, v5, v1
	s_mov_b32 s20, 0
	s_mov_b32 s21, exec_lo
	v_cmpx_gt_u32_e64 s37, v1
; %bb.446:                              ;   in Loop: Header=BB30_437 Depth=1
	v_mul_lo_u32 v7, v1, s10
	v_mul_lo_u32 v9, v1, s11
	v_mov_b32_e32 v8, v3
	v_mov_b32_e32 v10, v3
	;; [unrolled: 1-line block ×3, first 2 shown]
	s_mov_b32 s20, exec_lo
	v_lshlrev_b64 v[7:8], 2, v[7:8]
	v_lshlrev_b64 v[9:10], 3, v[9:10]
	v_add_co_u32 v7, vcc_lo, s13, v7
	v_add_co_ci_u32_e64 v8, null, s14, v8, vcc_lo
	v_add_co_u32 v9, vcc_lo, s15, v9
	v_add_co_ci_u32_e64 v10, null, s16, v10, vcc_lo
	global_store_dword v[7:8], v11, off
	global_store_dwordx2 v[9:10], v[0:1], off
; %bb.447:                              ;   in Loop: Header=BB30_437 Depth=1
	s_or_b32 exec_lo, exec_lo, s21
	s_xor_b32 s21, exec_lo, -1
	s_orn2_b32 s20, s20, exec_lo
.LBB30_448:                             ;   in Loop: Header=BB30_437 Depth=1
	s_or_b32 exec_lo, exec_lo, s19
	s_and_saveexec_b32 s19, s20
	s_cbranch_execz .LBB30_435
; %bb.449:                              ;   in Loop: Header=BB30_437 Depth=1
	v_cmp_le_u32_e32 vcc_lo, s12, v4
	v_add_nc_u32_e32 v2, s44, v2
	s_or_b32 s21, s21, exec_lo
	s_orn2_b32 s18, vcc_lo, exec_lo
	s_branch .LBB30_435
.LBB30_450:
	s_or_b32 s8, s8, exec_lo
	s_trap 2
	s_branch .LBB30_414
.LBB30_451:
	s_or_b32 exec_lo, exec_lo, s5
	s_mov_b32 s0, 0
	s_and_saveexec_b32 s1, s17
	s_xor_b32 s1, exec_lo, s1
	s_cbranch_execnz .LBB30_457
.LBB30_452:
	s_or_b32 exec_lo, exec_lo, s1
	s_and_b32 s1, s0, exec_lo
.LBB30_453:
	s_or_b32 exec_lo, exec_lo, s2
	s_and_b32 s5, s1, exec_lo
	s_andn2_b32 s3, s3, exec_lo
	s_or_b32 exec_lo, exec_lo, s4
	s_and_saveexec_b32 s0, s3
	s_xor_b32 s0, exec_lo, s0
	s_cbranch_execz .LBB30_408
.LBB30_454:
	s_or_b32 s5, s5, exec_lo
	s_trap 2
	s_branch .LBB30_408
.LBB30_455:
	s_or_b32 s11, s11, exec_lo
	s_trap 2
	s_branch .LBB30_412
.LBB30_456:
	s_or_b32 s11, s11, exec_lo
	s_trap 2
	s_branch .LBB30_410
.LBB30_457:
	s_mov_b32 s0, exec_lo
	s_trap 2
	s_branch .LBB30_452
	.section	.rodata,"a",@progbits
	.p2align	6, 0x0
	.amdhsa_kernel _ZN2at6native6sbtopk10gatherTopKIijLi1ELb0EEEvNS_4cuda6detail10TensorInfoIKT_T0_EES8_S8_bS8_S8_NS5_IS6_S8_EES8_NS5_IlS8_EES8_PS6_
		.amdhsa_group_segment_fixed_size 4112
		.amdhsa_private_segment_fixed_size 0
		.amdhsa_kernarg_size 952
		.amdhsa_user_sgpr_count 6
		.amdhsa_user_sgpr_private_segment_buffer 1
		.amdhsa_user_sgpr_dispatch_ptr 0
		.amdhsa_user_sgpr_queue_ptr 0
		.amdhsa_user_sgpr_kernarg_segment_ptr 1
		.amdhsa_user_sgpr_dispatch_id 0
		.amdhsa_user_sgpr_flat_scratch_init 0
		.amdhsa_user_sgpr_private_segment_size 0
		.amdhsa_wavefront_size32 1
		.amdhsa_uses_dynamic_stack 0
		.amdhsa_system_sgpr_private_segment_wavefront_offset 0
		.amdhsa_system_sgpr_workgroup_id_x 1
		.amdhsa_system_sgpr_workgroup_id_y 1
		.amdhsa_system_sgpr_workgroup_id_z 1
		.amdhsa_system_sgpr_workgroup_info 0
		.amdhsa_system_vgpr_workitem_id 0
		.amdhsa_next_free_vgpr 43
		.amdhsa_next_free_sgpr 89
		.amdhsa_reserve_vcc 1
		.amdhsa_reserve_flat_scratch 0
		.amdhsa_float_round_mode_32 0
		.amdhsa_float_round_mode_16_64 0
		.amdhsa_float_denorm_mode_32 3
		.amdhsa_float_denorm_mode_16_64 3
		.amdhsa_dx10_clamp 1
		.amdhsa_ieee_mode 1
		.amdhsa_fp16_overflow 0
		.amdhsa_workgroup_processor_mode 1
		.amdhsa_memory_ordered 1
		.amdhsa_forward_progress 1
		.amdhsa_shared_vgpr_count 0
		.amdhsa_exception_fp_ieee_invalid_op 0
		.amdhsa_exception_fp_denorm_src 0
		.amdhsa_exception_fp_ieee_div_zero 0
		.amdhsa_exception_fp_ieee_overflow 0
		.amdhsa_exception_fp_ieee_underflow 0
		.amdhsa_exception_fp_ieee_inexact 0
		.amdhsa_exception_int_div_zero 0
	.end_amdhsa_kernel
	.section	.text._ZN2at6native6sbtopk10gatherTopKIijLi1ELb0EEEvNS_4cuda6detail10TensorInfoIKT_T0_EES8_S8_bS8_S8_NS5_IS6_S8_EES8_NS5_IlS8_EES8_PS6_,"axG",@progbits,_ZN2at6native6sbtopk10gatherTopKIijLi1ELb0EEEvNS_4cuda6detail10TensorInfoIKT_T0_EES8_S8_bS8_S8_NS5_IS6_S8_EES8_NS5_IlS8_EES8_PS6_,comdat
.Lfunc_end30:
	.size	_ZN2at6native6sbtopk10gatherTopKIijLi1ELb0EEEvNS_4cuda6detail10TensorInfoIKT_T0_EES8_S8_bS8_S8_NS5_IS6_S8_EES8_NS5_IlS8_EES8_PS6_, .Lfunc_end30-_ZN2at6native6sbtopk10gatherTopKIijLi1ELb0EEEvNS_4cuda6detail10TensorInfoIKT_T0_EES8_S8_bS8_S8_NS5_IS6_S8_EES8_NS5_IlS8_EES8_PS6_
                                        ; -- End function
	.set _ZN2at6native6sbtopk10gatherTopKIijLi1ELb0EEEvNS_4cuda6detail10TensorInfoIKT_T0_EES8_S8_bS8_S8_NS5_IS6_S8_EES8_NS5_IlS8_EES8_PS6_.num_vgpr, 43
	.set _ZN2at6native6sbtopk10gatherTopKIijLi1ELb0EEEvNS_4cuda6detail10TensorInfoIKT_T0_EES8_S8_bS8_S8_NS5_IS6_S8_EES8_NS5_IlS8_EES8_PS6_.num_agpr, 0
	.set _ZN2at6native6sbtopk10gatherTopKIijLi1ELb0EEEvNS_4cuda6detail10TensorInfoIKT_T0_EES8_S8_bS8_S8_NS5_IS6_S8_EES8_NS5_IlS8_EES8_PS6_.numbered_sgpr, 89
	.set _ZN2at6native6sbtopk10gatherTopKIijLi1ELb0EEEvNS_4cuda6detail10TensorInfoIKT_T0_EES8_S8_bS8_S8_NS5_IS6_S8_EES8_NS5_IlS8_EES8_PS6_.num_named_barrier, 0
	.set _ZN2at6native6sbtopk10gatherTopKIijLi1ELb0EEEvNS_4cuda6detail10TensorInfoIKT_T0_EES8_S8_bS8_S8_NS5_IS6_S8_EES8_NS5_IlS8_EES8_PS6_.private_seg_size, 0
	.set _ZN2at6native6sbtopk10gatherTopKIijLi1ELb0EEEvNS_4cuda6detail10TensorInfoIKT_T0_EES8_S8_bS8_S8_NS5_IS6_S8_EES8_NS5_IlS8_EES8_PS6_.uses_vcc, 1
	.set _ZN2at6native6sbtopk10gatherTopKIijLi1ELb0EEEvNS_4cuda6detail10TensorInfoIKT_T0_EES8_S8_bS8_S8_NS5_IS6_S8_EES8_NS5_IlS8_EES8_PS6_.uses_flat_scratch, 0
	.set _ZN2at6native6sbtopk10gatherTopKIijLi1ELb0EEEvNS_4cuda6detail10TensorInfoIKT_T0_EES8_S8_bS8_S8_NS5_IS6_S8_EES8_NS5_IlS8_EES8_PS6_.has_dyn_sized_stack, 0
	.set _ZN2at6native6sbtopk10gatherTopKIijLi1ELb0EEEvNS_4cuda6detail10TensorInfoIKT_T0_EES8_S8_bS8_S8_NS5_IS6_S8_EES8_NS5_IlS8_EES8_PS6_.has_recursion, 0
	.set _ZN2at6native6sbtopk10gatherTopKIijLi1ELb0EEEvNS_4cuda6detail10TensorInfoIKT_T0_EES8_S8_bS8_S8_NS5_IS6_S8_EES8_NS5_IlS8_EES8_PS6_.has_indirect_call, 0
	.section	.AMDGPU.csdata,"",@progbits
; Kernel info:
; codeLenInByte = 14276
; TotalNumSgprs: 91
; NumVgprs: 43
; ScratchSize: 0
; MemoryBound: 0
; FloatMode: 240
; IeeeMode: 1
; LDSByteSize: 4112 bytes/workgroup (compile time only)
; SGPRBlocks: 0
; VGPRBlocks: 5
; NumSGPRsForWavesPerEU: 91
; NumVGPRsForWavesPerEU: 43
; Occupancy: 16
; WaveLimiterHint : 1
; COMPUTE_PGM_RSRC2:SCRATCH_EN: 0
; COMPUTE_PGM_RSRC2:USER_SGPR: 6
; COMPUTE_PGM_RSRC2:TRAP_HANDLER: 0
; COMPUTE_PGM_RSRC2:TGID_X_EN: 1
; COMPUTE_PGM_RSRC2:TGID_Y_EN: 1
; COMPUTE_PGM_RSRC2:TGID_Z_EN: 1
; COMPUTE_PGM_RSRC2:TIDIG_COMP_CNT: 0
	.section	.text._ZN2at6native6mbtopk23computeBlockDigitCountsIijjLi2EEEvNS_4cuda6detail10TensorInfoIKT_T0_EEjPjjS8_iijT1_PSB_Ps,"axG",@progbits,_ZN2at6native6mbtopk23computeBlockDigitCountsIijjLi2EEEvNS_4cuda6detail10TensorInfoIKT_T0_EEjPjjS8_iijT1_PSB_Ps,comdat
	.protected	_ZN2at6native6mbtopk23computeBlockDigitCountsIijjLi2EEEvNS_4cuda6detail10TensorInfoIKT_T0_EEjPjjS8_iijT1_PSB_Ps ; -- Begin function _ZN2at6native6mbtopk23computeBlockDigitCountsIijjLi2EEEvNS_4cuda6detail10TensorInfoIKT_T0_EEjPjjS8_iijT1_PSB_Ps
	.globl	_ZN2at6native6mbtopk23computeBlockDigitCountsIijjLi2EEEvNS_4cuda6detail10TensorInfoIKT_T0_EEjPjjS8_iijT1_PSB_Ps
	.p2align	8
	.type	_ZN2at6native6mbtopk23computeBlockDigitCountsIijjLi2EEEvNS_4cuda6detail10TensorInfoIKT_T0_EEjPjjS8_iijT1_PSB_Ps,@function
_ZN2at6native6mbtopk23computeBlockDigitCountsIijjLi2EEEvNS_4cuda6detail10TensorInfoIKT_T0_EEjPjjS8_iijT1_PSB_Ps: ; @_ZN2at6native6mbtopk23computeBlockDigitCountsIijjLi2EEEvNS_4cuda6detail10TensorInfoIKT_T0_EEjPjjS8_iijT1_PSB_Ps
; %bb.0:
	s_clause 0x2
	s_load_dwordx2 s[10:11], s[4:5], 0xf8
	s_load_dwordx4 s[12:15], s[4:5], 0xe8
	s_load_dwordx2 s[0:1], s[4:5], 0x110
	s_waitcnt lgkmcnt(0)
	v_cvt_f32_u32_e32 v1, s10
	s_sub_i32 s3, 0, s10
	s_mul_i32 s1, s1, s8
	s_add_i32 s1, s1, s7
	v_rcp_iflag_f32_e32 v1, v1
	s_mul_i32 s16, s1, s0
	s_mov_b32 s7, 0
	s_add_i32 s16, s16, s6
	v_mul_f32_e32 v1, 0x4f7ffffe, v1
	v_cvt_u32_f32_e32 v1, v1
	v_readfirstlane_b32 s2, v1
	s_mul_i32 s3, s3, s2
	s_mul_hi_u32 s0, s2, s3
	s_add_i32 s2, s2, s0
	s_mul_hi_u32 s0, s16, s2
	s_mul_i32 s1, s0, s10
	s_add_i32 s2, s0, 1
	s_sub_i32 s1, s16, s1
	s_sub_i32 s3, s1, s10
	s_cmp_ge_u32 s1, s10
	s_cselect_b32 s0, s2, s0
	s_cselect_b32 s1, s3, s1
	s_add_i32 s2, s0, 1
	s_cmp_ge_u32 s1, s10
	s_cselect_b32 s6, s2, s0
	s_cmp_ge_u32 s6, s12
	s_cbranch_scc1 .LBB31_27
; %bb.1:
	s_clause 0x1
	s_load_dword s17, s[4:5], 0xc
	s_load_dwordx4 s[0:3], s[4:5], 0x100
	s_lshl_b64 s[8:9], s[6:7], 2
	v_cmp_gt_u32_e32 vcc_lo, 0x100, v0
	v_lshlrev_b32_e32 v3, 2, v0
	s_waitcnt lgkmcnt(0)
	v_cvt_f32_u32_e32 v1, s17
	s_add_u32 s8, s0, s8
	s_addc_u32 s9, s1, s9
	v_rcp_iflag_f32_e32 v1, v1
	v_mul_f32_e32 v1, 0x4f7ffffe, v1
	v_cvt_u32_f32_e32 v1, v1
	v_readfirstlane_b32 s18, v1
	s_and_saveexec_b32 s0, vcc_lo
; %bb.2:
	v_mov_b32_e32 v1, 0
	ds_write_b32 v3, v1
; %bb.3:
	s_or_b32 exec_lo, exec_lo, s0
	s_load_dword s7, s[4:5], 0xd8
	s_mul_i32 s0, s6, s10
	s_waitcnt lgkmcnt(0)
	s_sub_i32 s0, s16, s0
	s_barrier
	s_mul_i32 s1, s15, s0
	s_add_i32 s19, s0, 1
	s_lshl_b32 s12, s1, 8
	buffer_gl0_inv
	s_sub_i32 s1, s7, s12
	s_add_u32 s0, s1, 0xff
	s_addc_u32 s1, 0, 0
	s_lshr_b64 s[0:1], s[0:1], 8
	s_cmp_lt_u32 s19, s10
	s_mov_b32 s1, 0
	s_cselect_b32 s10, s15, s0
	s_cmp_lt_i32 s10, 1
	s_cbranch_scc1 .LBB31_25
; %bb.4:
	s_sub_i32 s0, 0, s17
	s_load_dwordx2 s[20:21], s[4:5], 0x0
	s_mul_i32 s0, s0, s18
	s_mul_hi_u32 s0, s18, s0
	s_add_i32 s0, s18, s0
	s_load_dwordx2 s[18:19], s[4:5], 0x6c
	s_mul_hi_u32 s0, s6, s0
	s_load_dword s4, s[8:9], 0x0
	s_mul_i32 s15, s0, s17
	s_sub_i32 s5, s6, s15
	s_add_i32 s15, s0, 1
	s_sub_i32 s22, s5, s17
	s_cmp_ge_u32 s5, s17
	s_cselect_b32 s0, s15, s0
	s_cselect_b32 s5, s22, s5
	s_add_i32 s8, s0, 1
	s_cmp_ge_u32 s5, s17
	s_cselect_b32 s0, s8, s0
	s_mul_i32 s5, s0, s17
	s_sub_i32 s5, s6, s5
	s_waitcnt lgkmcnt(0)
	s_mul_i32 s0, s0, s18
	s_mul_i32 s5, s5, s19
	s_add_i32 s0, s0, s5
	s_lshl_b64 s[8:9], s[0:1], 2
	s_add_u32 s5, s20, s8
	s_addc_u32 s6, s21, s9
	s_and_b32 s8, s14, 0xff
	s_cmp_lt_u32 s10, 4
	s_cbranch_scc1 .LBB31_19
; %bb.5:
	v_add_nc_u32_e32 v1, s12, v0
	v_mov_b32_e32 v9, 1
	s_and_b32 s1, s10, 0x7ffffffc
	s_lshl_b32 s9, s13, 10
	s_mov_b32 s14, 0
	v_add_nc_u32_e32 v4, 0x300, v1
	v_add_nc_u32_e32 v2, 0x200, v1
	;; [unrolled: 1-line block ×3, first 2 shown]
	v_mul_lo_u32 v8, s13, v1
	s_mov_b32 s15, 0
	v_mul_lo_u32 v5, s13, v4
	v_mul_lo_u32 v6, s13, v2
	;; [unrolled: 1-line block ×3, first 2 shown]
	v_mov_b32_e32 v2, 0
	s_branch .LBB31_7
.LBB31_6:                               ;   in Loop: Header=BB31_7 Depth=1
	s_or_b32 exec_lo, exec_lo, s17
	v_add_nc_u32_e32 v4, 0x400, v4
	s_add_i32 s15, s15, 4
	s_add_i32 s14, s14, s9
	s_cmp_eq_u32 s1, s15
	s_cbranch_scc1 .LBB31_19
.LBB31_7:                               ; =>This Inner Loop Header: Depth=1
	v_add_nc_u32_e32 v1, 0xfffffd00, v4
	s_mov_b32 s17, exec_lo
	v_cmpx_gt_u32_e64 s7, v1
	s_cbranch_execz .LBB31_10
; %bb.8:                                ;   in Loop: Header=BB31_7 Depth=1
	v_add_nc_u32_e32 v1, s14, v8
	v_lshlrev_b64 v[10:11], 2, v[1:2]
	v_add_co_u32 v10, s0, s5, v10
	v_add_co_ci_u32_e64 v11, null, s6, v11, s0
	global_load_dword v1, v[10:11], off
	s_waitcnt vmcnt(0)
	v_xor_b32_e32 v1, 0x80000000, v1
	v_xor_b32_e32 v10, s4, v1
	v_and_b32_e32 v10, s11, v10
	v_cmp_eq_u32_e64 s0, 0, v10
	s_and_b32 exec_lo, exec_lo, s0
; %bb.9:                                ;   in Loop: Header=BB31_7 Depth=1
	v_bfe_u32 v1, v1, s8, 8
	v_lshlrev_b32_e32 v1, 2, v1
	ds_add_u32 v1, v9
.LBB31_10:                              ;   in Loop: Header=BB31_7 Depth=1
	s_or_b32 exec_lo, exec_lo, s17
	v_add_nc_u32_e32 v1, 0xfffffe00, v4
	s_mov_b32 s17, exec_lo
	v_cmpx_gt_u32_e64 s7, v1
	s_cbranch_execz .LBB31_13
; %bb.11:                               ;   in Loop: Header=BB31_7 Depth=1
	v_add_nc_u32_e32 v1, s14, v7
	v_lshlrev_b64 v[10:11], 2, v[1:2]
	v_add_co_u32 v10, s0, s5, v10
	v_add_co_ci_u32_e64 v11, null, s6, v11, s0
	global_load_dword v1, v[10:11], off
	s_waitcnt vmcnt(0)
	v_xor_b32_e32 v1, 0x80000000, v1
	v_xor_b32_e32 v10, s4, v1
	v_and_b32_e32 v10, s11, v10
	v_cmp_eq_u32_e64 s0, 0, v10
	s_and_b32 exec_lo, exec_lo, s0
; %bb.12:                               ;   in Loop: Header=BB31_7 Depth=1
	v_bfe_u32 v1, v1, s8, 8
	v_lshlrev_b32_e32 v1, 2, v1
	ds_add_u32 v1, v9
.LBB31_13:                              ;   in Loop: Header=BB31_7 Depth=1
	s_or_b32 exec_lo, exec_lo, s17
	v_add_nc_u32_e32 v1, 0xffffff00, v4
	s_mov_b32 s17, exec_lo
	v_cmpx_gt_u32_e64 s7, v1
	s_cbranch_execz .LBB31_16
; %bb.14:                               ;   in Loop: Header=BB31_7 Depth=1
	v_add_nc_u32_e32 v1, s14, v6
	v_lshlrev_b64 v[10:11], 2, v[1:2]
	v_add_co_u32 v10, s0, s5, v10
	v_add_co_ci_u32_e64 v11, null, s6, v11, s0
	global_load_dword v1, v[10:11], off
	s_waitcnt vmcnt(0)
	v_xor_b32_e32 v1, 0x80000000, v1
	v_xor_b32_e32 v10, s4, v1
	v_and_b32_e32 v10, s11, v10
	v_cmp_eq_u32_e64 s0, 0, v10
	s_and_b32 exec_lo, exec_lo, s0
; %bb.15:                               ;   in Loop: Header=BB31_7 Depth=1
	v_bfe_u32 v1, v1, s8, 8
	v_lshlrev_b32_e32 v1, 2, v1
	ds_add_u32 v1, v9
.LBB31_16:                              ;   in Loop: Header=BB31_7 Depth=1
	s_or_b32 exec_lo, exec_lo, s17
	s_mov_b32 s17, exec_lo
	v_cmpx_gt_u32_e64 s7, v4
	s_cbranch_execz .LBB31_6
; %bb.17:                               ;   in Loop: Header=BB31_7 Depth=1
	v_add_nc_u32_e32 v1, s14, v5
	v_lshlrev_b64 v[10:11], 2, v[1:2]
	v_add_co_u32 v10, s0, s5, v10
	v_add_co_ci_u32_e64 v11, null, s6, v11, s0
	global_load_dword v1, v[10:11], off
	s_waitcnt vmcnt(0)
	v_xor_b32_e32 v1, 0x80000000, v1
	v_xor_b32_e32 v10, s4, v1
	v_and_b32_e32 v10, s11, v10
	v_cmp_eq_u32_e64 s0, 0, v10
	s_and_b32 exec_lo, exec_lo, s0
	s_cbranch_execz .LBB31_6
; %bb.18:                               ;   in Loop: Header=BB31_7 Depth=1
	v_bfe_u32 v1, v1, s8, 8
	v_lshlrev_b32_e32 v1, 2, v1
	ds_add_u32 v1, v9
	s_branch .LBB31_6
.LBB31_19:
	s_and_b32 s9, s10, 3
	s_cmp_eq_u32 s9, 0
	s_cbranch_scc1 .LBB31_25
; %bb.20:
	s_lshl_b32 s0, s1, 8
	v_mov_b32_e32 v2, 0
	v_add3_u32 v4, s0, s12, v0
	v_mov_b32_e32 v5, 1
	s_lshl_b32 s1, s13, 8
	v_mul_lo_u32 v1, s13, v4
	s_inst_prefetch 0x1
	s_branch .LBB31_22
	.p2align	6
.LBB31_21:                              ;   in Loop: Header=BB31_22 Depth=1
	s_or_b32 exec_lo, exec_lo, s10
	v_add_nc_u32_e32 v1, s1, v1
	v_add_nc_u32_e32 v4, 0x100, v4
	s_add_i32 s9, s9, -1
	s_cmp_lg_u32 s9, 0
	s_cbranch_scc0 .LBB31_25
.LBB31_22:                              ; =>This Inner Loop Header: Depth=1
	s_mov_b32 s10, exec_lo
	v_cmpx_gt_u32_e64 s7, v4
	s_cbranch_execz .LBB31_21
; %bb.23:                               ;   in Loop: Header=BB31_22 Depth=1
	v_lshlrev_b64 v[6:7], 2, v[1:2]
	v_add_co_u32 v6, s0, s5, v6
	v_add_co_ci_u32_e64 v7, null, s6, v7, s0
	global_load_dword v6, v[6:7], off
	s_waitcnt vmcnt(0)
	v_xor_b32_e32 v6, 0x80000000, v6
	v_xor_b32_e32 v7, s4, v6
	v_and_b32_e32 v7, s11, v7
	v_cmp_eq_u32_e64 s0, 0, v7
	s_and_b32 exec_lo, exec_lo, s0
	s_cbranch_execz .LBB31_21
; %bb.24:                               ;   in Loop: Header=BB31_22 Depth=1
	v_bfe_u32 v6, v6, s8, 8
	v_lshlrev_b32_e32 v6, 2, v6
	ds_add_u32 v6, v5
	s_branch .LBB31_21
.LBB31_25:
	s_inst_prefetch 0x2
	s_waitcnt lgkmcnt(0)
	s_barrier
	buffer_gl0_inv
	s_and_saveexec_b32 s0, vcc_lo
	s_cbranch_execz .LBB31_27
; %bb.26:
	ds_read_b32 v2, v3
	v_lshl_or_b32 v0, s16, 8, v0
	v_mov_b32_e32 v1, 0
	v_lshlrev_b64 v[0:1], 1, v[0:1]
	v_add_co_u32 v0, vcc_lo, s2, v0
	v_add_co_ci_u32_e64 v1, null, s3, v1, vcc_lo
	s_waitcnt lgkmcnt(0)
	global_store_short v[0:1], v2, off
.LBB31_27:
	s_endpgm
	.section	.rodata,"a",@progbits
	.p2align	6, 0x0
	.amdhsa_kernel _ZN2at6native6mbtopk23computeBlockDigitCountsIijjLi2EEEvNS_4cuda6detail10TensorInfoIKT_T0_EEjPjjS8_iijT1_PSB_Ps
		.amdhsa_group_segment_fixed_size 1024
		.amdhsa_private_segment_fixed_size 0
		.amdhsa_kernarg_size 528
		.amdhsa_user_sgpr_count 6
		.amdhsa_user_sgpr_private_segment_buffer 1
		.amdhsa_user_sgpr_dispatch_ptr 0
		.amdhsa_user_sgpr_queue_ptr 0
		.amdhsa_user_sgpr_kernarg_segment_ptr 1
		.amdhsa_user_sgpr_dispatch_id 0
		.amdhsa_user_sgpr_flat_scratch_init 0
		.amdhsa_user_sgpr_private_segment_size 0
		.amdhsa_wavefront_size32 1
		.amdhsa_uses_dynamic_stack 0
		.amdhsa_system_sgpr_private_segment_wavefront_offset 0
		.amdhsa_system_sgpr_workgroup_id_x 1
		.amdhsa_system_sgpr_workgroup_id_y 1
		.amdhsa_system_sgpr_workgroup_id_z 1
		.amdhsa_system_sgpr_workgroup_info 0
		.amdhsa_system_vgpr_workitem_id 0
		.amdhsa_next_free_vgpr 12
		.amdhsa_next_free_sgpr 23
		.amdhsa_reserve_vcc 1
		.amdhsa_reserve_flat_scratch 0
		.amdhsa_float_round_mode_32 0
		.amdhsa_float_round_mode_16_64 0
		.amdhsa_float_denorm_mode_32 3
		.amdhsa_float_denorm_mode_16_64 3
		.amdhsa_dx10_clamp 1
		.amdhsa_ieee_mode 1
		.amdhsa_fp16_overflow 0
		.amdhsa_workgroup_processor_mode 1
		.amdhsa_memory_ordered 1
		.amdhsa_forward_progress 1
		.amdhsa_shared_vgpr_count 0
		.amdhsa_exception_fp_ieee_invalid_op 0
		.amdhsa_exception_fp_denorm_src 0
		.amdhsa_exception_fp_ieee_div_zero 0
		.amdhsa_exception_fp_ieee_overflow 0
		.amdhsa_exception_fp_ieee_underflow 0
		.amdhsa_exception_fp_ieee_inexact 0
		.amdhsa_exception_int_div_zero 0
	.end_amdhsa_kernel
	.section	.text._ZN2at6native6mbtopk23computeBlockDigitCountsIijjLi2EEEvNS_4cuda6detail10TensorInfoIKT_T0_EEjPjjS8_iijT1_PSB_Ps,"axG",@progbits,_ZN2at6native6mbtopk23computeBlockDigitCountsIijjLi2EEEvNS_4cuda6detail10TensorInfoIKT_T0_EEjPjjS8_iijT1_PSB_Ps,comdat
.Lfunc_end31:
	.size	_ZN2at6native6mbtopk23computeBlockDigitCountsIijjLi2EEEvNS_4cuda6detail10TensorInfoIKT_T0_EEjPjjS8_iijT1_PSB_Ps, .Lfunc_end31-_ZN2at6native6mbtopk23computeBlockDigitCountsIijjLi2EEEvNS_4cuda6detail10TensorInfoIKT_T0_EEjPjjS8_iijT1_PSB_Ps
                                        ; -- End function
	.set _ZN2at6native6mbtopk23computeBlockDigitCountsIijjLi2EEEvNS_4cuda6detail10TensorInfoIKT_T0_EEjPjjS8_iijT1_PSB_Ps.num_vgpr, 12
	.set _ZN2at6native6mbtopk23computeBlockDigitCountsIijjLi2EEEvNS_4cuda6detail10TensorInfoIKT_T0_EEjPjjS8_iijT1_PSB_Ps.num_agpr, 0
	.set _ZN2at6native6mbtopk23computeBlockDigitCountsIijjLi2EEEvNS_4cuda6detail10TensorInfoIKT_T0_EEjPjjS8_iijT1_PSB_Ps.numbered_sgpr, 23
	.set _ZN2at6native6mbtopk23computeBlockDigitCountsIijjLi2EEEvNS_4cuda6detail10TensorInfoIKT_T0_EEjPjjS8_iijT1_PSB_Ps.num_named_barrier, 0
	.set _ZN2at6native6mbtopk23computeBlockDigitCountsIijjLi2EEEvNS_4cuda6detail10TensorInfoIKT_T0_EEjPjjS8_iijT1_PSB_Ps.private_seg_size, 0
	.set _ZN2at6native6mbtopk23computeBlockDigitCountsIijjLi2EEEvNS_4cuda6detail10TensorInfoIKT_T0_EEjPjjS8_iijT1_PSB_Ps.uses_vcc, 1
	.set _ZN2at6native6mbtopk23computeBlockDigitCountsIijjLi2EEEvNS_4cuda6detail10TensorInfoIKT_T0_EEjPjjS8_iijT1_PSB_Ps.uses_flat_scratch, 0
	.set _ZN2at6native6mbtopk23computeBlockDigitCountsIijjLi2EEEvNS_4cuda6detail10TensorInfoIKT_T0_EEjPjjS8_iijT1_PSB_Ps.has_dyn_sized_stack, 0
	.set _ZN2at6native6mbtopk23computeBlockDigitCountsIijjLi2EEEvNS_4cuda6detail10TensorInfoIKT_T0_EEjPjjS8_iijT1_PSB_Ps.has_recursion, 0
	.set _ZN2at6native6mbtopk23computeBlockDigitCountsIijjLi2EEEvNS_4cuda6detail10TensorInfoIKT_T0_EEjPjjS8_iijT1_PSB_Ps.has_indirect_call, 0
	.section	.AMDGPU.csdata,"",@progbits
; Kernel info:
; codeLenInByte = 1312
; TotalNumSgprs: 25
; NumVgprs: 12
; ScratchSize: 0
; MemoryBound: 0
; FloatMode: 240
; IeeeMode: 1
; LDSByteSize: 1024 bytes/workgroup (compile time only)
; SGPRBlocks: 0
; VGPRBlocks: 1
; NumSGPRsForWavesPerEU: 25
; NumVGPRsForWavesPerEU: 12
; Occupancy: 16
; WaveLimiterHint : 1
; COMPUTE_PGM_RSRC2:SCRATCH_EN: 0
; COMPUTE_PGM_RSRC2:USER_SGPR: 6
; COMPUTE_PGM_RSRC2:TRAP_HANDLER: 0
; COMPUTE_PGM_RSRC2:TGID_X_EN: 1
; COMPUTE_PGM_RSRC2:TGID_Y_EN: 1
; COMPUTE_PGM_RSRC2:TGID_Z_EN: 1
; COMPUTE_PGM_RSRC2:TIDIG_COMP_CNT: 0
	.section	.text._ZN2at6native6mbtopk10gatherTopKIijLi2EEEvNS_4cuda6detail10TensorInfoIKT_T0_EES8_S8_bjS8_NS5_IS6_S8_EES8_NS5_IlS8_EES8_jjPS6_PjSD_j,"axG",@progbits,_ZN2at6native6mbtopk10gatherTopKIijLi2EEEvNS_4cuda6detail10TensorInfoIKT_T0_EES8_S8_bjS8_NS5_IS6_S8_EES8_NS5_IlS8_EES8_jjPS6_PjSD_j,comdat
	.protected	_ZN2at6native6mbtopk10gatherTopKIijLi2EEEvNS_4cuda6detail10TensorInfoIKT_T0_EES8_S8_bjS8_NS5_IS6_S8_EES8_NS5_IlS8_EES8_jjPS6_PjSD_j ; -- Begin function _ZN2at6native6mbtopk10gatherTopKIijLi2EEEvNS_4cuda6detail10TensorInfoIKT_T0_EES8_S8_bjS8_NS5_IS6_S8_EES8_NS5_IlS8_EES8_jjPS6_PjSD_j
	.globl	_ZN2at6native6mbtopk10gatherTopKIijLi2EEEvNS_4cuda6detail10TensorInfoIKT_T0_EES8_S8_bjS8_NS5_IS6_S8_EES8_NS5_IlS8_EES8_jjPS6_PjSD_j
	.p2align	8
	.type	_ZN2at6native6mbtopk10gatherTopKIijLi2EEEvNS_4cuda6detail10TensorInfoIKT_T0_EES8_S8_bjS8_NS5_IS6_S8_EES8_NS5_IlS8_EES8_jjPS6_PjSD_j,@function
_ZN2at6native6mbtopk10gatherTopKIijLi2EEEvNS_4cuda6detail10TensorInfoIKT_T0_EES8_S8_bjS8_NS5_IS6_S8_EES8_NS5_IlS8_EES8_jjPS6_PjSD_j: ; @_ZN2at6native6mbtopk10gatherTopKIijLi2EEEvNS_4cuda6detail10TensorInfoIKT_T0_EES8_S8_bjS8_NS5_IS6_S8_EES8_NS5_IlS8_EES8_jjPS6_PjSD_j
; %bb.0:
	s_clause 0x1
	s_load_dwordx2 s[0:1], s[4:5], 0x2d8
	s_load_dword s2, s[4:5], 0x2d0
	s_waitcnt lgkmcnt(0)
	s_mul_i32 s1, s1, s8
	s_add_i32 s1, s1, s7
	s_mul_i32 s0, s1, s0
	s_add_i32 s0, s0, s6
	s_cmp_ge_u32 s0, s2
	s_cbranch_scc1 .LBB32_40
; %bb.1:
	s_clause 0x3
	s_load_dwordx8 s[8:15], s[4:5], 0x2a8
	s_load_dword s38, s[4:5], 0xc
	s_load_dword s37, s[4:5], 0xfc
	;; [unrolled: 1-line block ×3, first 2 shown]
	s_mov_b32 s23, 0
	s_clause 0x4
	s_load_dwordx2 s[6:7], s[4:5], 0xf0
	s_load_dwordx2 s[28:29], s[4:5], 0x6c
	;; [unrolled: 1-line block ×5, first 2 shown]
	s_waitcnt lgkmcnt(0)
	v_cvt_f32_u32_e32 v1, s10
	v_cvt_f32_u32_e32 v2, s38
	;; [unrolled: 1-line block ×4, first 2 shown]
	s_sub_i32 s11, 0, s10
	v_rcp_iflag_f32_e32 v1, v1
	v_rcp_iflag_f32_e32 v2, v2
	;; [unrolled: 1-line block ×4, first 2 shown]
	v_mul_f32_e32 v1, 0x4f7ffffe, v1
	v_cvt_u32_f32_e32 v1, v1
	v_readfirstlane_b32 s1, v1
	v_mul_f32_e32 v1, 0x4f7ffffe, v2
	v_mul_f32_e32 v2, 0x4f7ffffe, v3
	;; [unrolled: 1-line block ×3, first 2 shown]
	s_mul_i32 s11, s11, s1
	v_cvt_u32_f32_e32 v1, v1
	s_mul_hi_u32 s11, s1, s11
	v_cvt_u32_f32_e32 v2, v2
	s_add_i32 s1, s1, s11
	v_cvt_u32_f32_e32 v3, v3
	s_mul_hi_u32 s1, s0, s1
	v_readfirstlane_b32 s17, v1
	s_mul_i32 s11, s1, s10
	s_add_i32 s16, s1, 1
	s_sub_i32 s11, s0, s11
	v_readfirstlane_b32 s26, v2
	s_sub_i32 s18, s11, s10
	s_cmp_ge_u32 s11, s10
	v_readfirstlane_b32 s27, v3
	s_cselect_b32 s1, s16, s1
	s_cselect_b32 s11, s18, s11
	s_add_i32 s16, s1, 1
	s_cmp_ge_u32 s11, s10
	s_cselect_b32 s22, s16, s1
	s_sub_i32 s1, 0, s38
	s_sub_i32 s11, 0, s37
	;; [unrolled: 1-line block ×3, first 2 shown]
	s_mul_i32 s16, s22, s10
	s_mul_i32 s1, s1, s17
	;; [unrolled: 1-line block ×4, first 2 shown]
	s_sub_i32 s11, s0, s16
	s_mul_hi_u32 s0, s17, s1
	s_mul_hi_u32 s1, s26, s30
	;; [unrolled: 1-line block ×3, first 2 shown]
	s_lshl_b64 s[18:19], s[22:23], 2
	s_add_i32 s17, s17, s0
	s_add_i32 s31, s26, s1
	;; [unrolled: 1-line block ×3, first 2 shown]
	s_add_u32 s0, s12, s18
	s_addc_u32 s1, s13, s19
	s_load_dwordx2 s[26:27], s[4:5], 0x23c
	s_load_dword s33, s[0:1], 0x0
	v_cmp_ne_u32_e64 s0, 0, v0
	v_cmp_eq_u32_e64 s1, 0, v0
	s_mul_hi_u32 s41, s22, s17
	s_mul_hi_u32 s40, s22, s31
	;; [unrolled: 1-line block ×3, first 2 shown]
	s_and_saveexec_b32 s42, s1
	s_cbranch_execz .LBB32_17
; %bb.2:
	s_load_dwordx2 s[12:13], s[4:5], 0x2c8
	s_mov_b32 s17, s23
	s_lshl_b64 s[30:31], s[16:17], 2
	s_add_u32 s16, s14, s30
	s_addc_u32 s17, s15, s31
	s_waitcnt lgkmcnt(0)
	s_add_u32 s18, s12, s30
	s_addc_u32 s19, s13, s31
	s_cmp_lt_u32 s10, 4
	s_cbranch_scc1 .LBB32_14
; %bb.3:
	s_mov_b32 s43, s23
	s_mov_b32 s44, s23
	;; [unrolled: 1-line block ×3, first 2 shown]
.LBB32_4:                               ; =>This Inner Loop Header: Depth=1
	s_add_u32 s16, s14, s30
	s_addc_u32 s17, s15, s31
	s_add_u32 s34, s12, s30
	s_load_dwordx4 s[16:19], s[16:17], 0x0
	s_addc_u32 s35, s13, s31
	s_cmp_ge_u32 s45, s11
	s_cbranch_scc0 .LBB32_11
; %bb.5:                                ;   in Loop: Header=BB32_4 Depth=1
	s_add_i32 s46, s45, 1
	s_cmp_ge_u32 s46, s11
	s_cbranch_scc0 .LBB32_12
.LBB32_6:                               ;   in Loop: Header=BB32_4 Depth=1
	s_add_i32 s46, s46, 1
	s_cmp_ge_u32 s46, s11
	s_cbranch_scc0 .LBB32_13
.LBB32_7:                               ;   in Loop: Header=BB32_4 Depth=1
	s_add_i32 s46, s46, 1
	s_cmp_ge_u32 s46, s11
	s_cbranch_scc1 .LBB32_9
.LBB32_8:                               ;   in Loop: Header=BB32_4 Depth=1
	s_load_dword s34, s[34:35], 0xc
	s_waitcnt lgkmcnt(0)
	s_add_i32 s23, s23, s19
	s_add_i32 s43, s34, s43
.LBB32_9:                               ;   in Loop: Header=BB32_4 Depth=1
	s_waitcnt lgkmcnt(0)
	s_add_i32 s16, s16, s44
	s_add_i32 s16, s16, s17
	;; [unrolled: 1-line block ×4, first 2 shown]
	s_add_u32 s14, s14, 16
	s_addc_u32 s15, s15, 0
	s_add_u32 s12, s12, 16
	s_addc_u32 s13, s13, 0
	s_add_i32 s35, s46, 4
	s_add_u32 s18, s12, s30
	s_addc_u32 s19, s13, s31
	s_add_u32 s16, s14, s30
	s_addc_u32 s17, s15, s31
	s_add_i32 s34, s46, 1
	s_cmp_ge_u32 s35, s10
	s_cbranch_scc1 .LBB32_15
; %bb.10:                               ;   in Loop: Header=BB32_4 Depth=1
	s_mov_b32 s45, s34
	s_branch .LBB32_4
.LBB32_11:                              ;   in Loop: Header=BB32_4 Depth=1
	s_load_dword s46, s[34:35], 0x0
	s_waitcnt lgkmcnt(0)
	s_add_i32 s23, s16, s23
	s_add_i32 s43, s46, s43
	s_add_i32 s46, s45, 1
	s_cmp_ge_u32 s46, s11
	s_cbranch_scc1 .LBB32_6
.LBB32_12:                              ;   in Loop: Header=BB32_4 Depth=1
	s_load_dword s47, s[34:35], 0x4
	s_waitcnt lgkmcnt(0)
	s_add_i32 s23, s23, s17
	s_add_i32 s43, s47, s43
	s_add_i32 s46, s46, 1
	s_cmp_ge_u32 s46, s11
	s_cbranch_scc1 .LBB32_7
.LBB32_13:                              ;   in Loop: Header=BB32_4 Depth=1
	s_load_dword s47, s[34:35], 0x8
	s_waitcnt lgkmcnt(0)
	s_add_i32 s23, s23, s18
	s_add_i32 s43, s47, s43
	;; [unrolled: 1-line block ×3, first 2 shown]
	s_cmp_ge_u32 s46, s11
	s_cbranch_scc0 .LBB32_8
	s_branch .LBB32_9
.LBB32_14:
	s_mov_b32 s43, 0
	s_mov_b32 s44, 0
	;; [unrolled: 1-line block ×3, first 2 shown]
	s_cmp_ge_u32 s12, s10
	s_cbranch_scc0 .LBB32_38
	s_branch .LBB32_16
.LBB32_15:
	s_add_i32 s12, s45, 4
	s_cmp_ge_u32 s12, s10
	s_cbranch_scc0 .LBB32_38
.LBB32_16:
	v_mov_b32_e32 v1, s43
	v_mov_b32_e32 v2, s44
	;; [unrolled: 1-line block ×4, first 2 shown]
	ds_write_b96 v4, v[1:3] offset:1056
.LBB32_17:
	s_or_b32 exec_lo, exec_lo, s42
	s_load_dwordx4 s[12:15], s[4:5], 0xd8
	s_waitcnt lgkmcnt(0)
	s_mul_i32 s15, s9, s11
	s_add_i32 s11, s11, 1
	s_lshl_b32 s18, s15, 8
	s_barrier
	buffer_gl0_inv
	s_sub_i32 s15, s12, s18
	s_add_u32 s16, s15, 0xff
	s_addc_u32 s17, 0, 0
	s_lshr_b64 s[16:17], s[16:17], 8
	s_cmp_lt_u32 s11, s10
	s_mov_b32 s11, 0
	s_cselect_b32 s9, s9, s16
	s_cmp_eq_u32 s9, 0
	s_cbranch_scc1 .LBB32_40
; %bb.18:
	s_mul_i32 s10, s41, s38
	s_add_i32 s15, s41, 1
	s_sub_i32 s10, s22, s10
	v_mov_b32_e32 v5, 0
	s_sub_i32 s16, s10, s38
	s_cmp_ge_u32 s10, s38
	v_lshrrev_b32_e32 v4, 3, v0
	s_cselect_b32 s15, s15, s41
	s_cselect_b32 s10, s16, s10
	s_add_i32 s16, s15, 1
	s_cmp_ge_u32 s10, s38
	s_mul_i32 s10, s40, s37
	s_cselect_b32 s15, s16, s15
	s_sub_i32 s16, s22, s10
	s_mul_i32 s10, s15, s38
	s_mul_i32 s15, s15, s28
	s_sub_i32 s10, s22, s10
	s_add_i32 s17, s40, 1
	s_mul_i32 s10, s10, s29
	s_sub_i32 s19, s16, s37
	s_add_i32 s10, s15, s10
	s_cmp_ge_u32 s16, s37
	s_mul_i32 s15, s39, s36
	s_cselect_b32 s23, s17, s40
	s_cselect_b32 s16, s19, s16
	s_add_i32 s19, s23, 1
	s_cmp_ge_u32 s16, s37
	ds_read_b96 v[1:3], v5 offset:1056
	s_cselect_b32 s16, s19, s23
	s_sub_i32 s15, s22, s15
	s_mul_i32 s19, s16, s37
	s_mul_i32 s16, s16, s24
	s_sub_i32 s19, s22, s19
	s_add_i32 s23, s39, 1
	s_mul_i32 s19, s19, s25
	s_sub_i32 s24, s15, s36
	s_add_i32 s16, s16, s19
	s_cmp_ge_u32 s15, s36
	v_add_nc_u32_e32 v9, -1, v0
	s_cselect_b32 s19, s23, s39
	s_cselect_b32 s15, s24, s15
	s_add_i32 s24, s19, 1
	s_cmp_ge_u32 s15, s36
	v_and_b32_e32 v4, 28, v4
	s_cselect_b32 s15, s24, s19
	s_load_dword s19, s[4:5], 0xe8
	s_mul_i32 s24, s15, s36
	s_load_dword s4, s[4:5], 0x1c8
	s_sub_i32 s22, s22, s24
	v_lshrrev_b32_e32 v8, 3, v9
	s_mul_i32 s15, s15, s26
	s_mul_i32 s22, s22, s27
	s_mov_b32 s17, s11
	s_mov_b32 s23, s11
	s_lshl_b64 s[10:11], s[10:11], 2
	s_add_i32 s22, s15, s22
	s_add_u32 s10, s20, s10
	s_addc_u32 s11, s21, s11
	s_lshl_b64 s[16:17], s[16:17], 2
	s_waitcnt lgkmcnt(0)
	v_add_nc_u32_e32 v6, v1, v2
	v_lshl_add_u32 v7, v0, 2, v4
	v_and_b32_e32 v4, 0x1ffffffc, v8
	v_add_nc_u32_e32 v1, s18, v0
	s_add_u32 s6, s6, s16
	s_addc_u32 s7, s7, s17
	s_lshl_b64 s[16:17], s[22:23], 3
	v_and_b32_e32 v2, 0xfc, v0
	v_lshlrev_b32_e32 v10, 5, v0
	v_mbcnt_lo_u32_b32 v8, -1, 0
	s_add_u32 s15, s2, s16
	v_cmp_gt_u32_e64 s2, 32, v0
	v_lshl_add_u32 v0, v9, 2, v4
	v_mul_lo_u32 v4, s19, v1
	s_addc_u32 s16, s3, s17
	s_xor_b32 s17, s33, 0x80000000
	v_add_nc_u32_e32 v9, v2, v10
	v_and_b32_e32 v10, 15, v8
	v_bfe_i32 v11, v8, 4, 1
	v_add_nc_u32_e32 v12, -1, v8
	s_bitcmp1_b32 s14, 0
                                        ; implicit-def: $vgpr13
	s_cselect_b32 s3, -1, 0
	s_lshl_b32 s5, s19, 8
	s_branch .LBB32_21
.LBB32_19:                              ;   in Loop: Header=BB32_21 Depth=1
	s_or_b32 exec_lo, exec_lo, s14
	v_add_nc_u32_e32 v6, v16, v6
.LBB32_20:                              ;   in Loop: Header=BB32_21 Depth=1
	v_add_nc_u32_e32 v3, v15, v3
	v_add_nc_u32_e32 v4, s5, v4
	;; [unrolled: 1-line block ×3, first 2 shown]
	s_add_i32 s9, s9, -1
	s_cmp_lg_u32 s9, 0
	s_cbranch_scc0 .LBB32_40
.LBB32_21:                              ; =>This Inner Loop Header: Depth=1
	v_mov_b32_e32 v2, 0
	v_mov_b32_e32 v14, 0
	s_mov_b32 s14, exec_lo
	v_cmpx_gt_u32_e64 s12, v1
	s_cbranch_execz .LBB32_23
; %bb.22:                               ;   in Loop: Header=BB32_21 Depth=1
	v_lshlrev_b64 v[13:14], 2, v[4:5]
	v_add_co_u32 v13, vcc_lo, s10, v13
	v_add_co_ci_u32_e64 v14, null, s11, v14, vcc_lo
	global_load_dword v13, v[13:14], off
	s_waitcnt vmcnt(0)
	v_xor_b32_e32 v2, 0x80000000, v13
	v_cmp_lt_u32_e32 vcc_lo, s17, v2
	v_cndmask_b32_e64 v14, 0, 1, vcc_lo
	v_cmp_gt_u32_e32 vcc_lo, s17, v2
	v_cndmask_b32_e64 v2, 0, 1, vcc_lo
	v_cmp_eq_u32_e32 vcc_lo, s33, v13
	v_cndmask_b32_e64 v2, v2, v14, s3
	v_cndmask_b32_e64 v14, 0, 1, vcc_lo
	v_and_b32_e32 v2, 1, v2
.LBB32_23:                              ;   in Loop: Header=BB32_21 Depth=1
	s_or_b32 exec_lo, exec_lo, s14
	ds_write_b32 v7, v2
	s_waitcnt lgkmcnt(0)
	s_barrier
	buffer_gl0_inv
	s_and_saveexec_b32 s14, s2
	s_cbranch_execz .LBB32_25
; %bb.24:                               ;   in Loop: Header=BB32_21 Depth=1
	ds_read2_b32 v[15:16], v9 offset1:1
	ds_read2_b32 v[17:18], v9 offset0:2 offset1:3
	ds_read2_b32 v[19:20], v9 offset0:4 offset1:5
	;; [unrolled: 1-line block ×3, first 2 shown]
	v_cmp_ne_u32_e32 vcc_lo, 0, v10
	; wave barrier
	s_waitcnt lgkmcnt(3)
	v_add_nc_u32_e32 v16, v16, v15
	s_waitcnt lgkmcnt(2)
	v_add3_u32 v16, v16, v17, v18
	s_waitcnt lgkmcnt(1)
	v_add3_u32 v16, v16, v19, v20
	;; [unrolled: 2-line block ×3, first 2 shown]
	v_mov_b32_dpp v17, v16 row_shr:1 row_mask:0xf bank_mask:0xf
	v_cndmask_b32_e32 v17, 0, v17, vcc_lo
	v_cmp_lt_u32_e32 vcc_lo, 1, v10
	v_add_nc_u32_e32 v16, v17, v16
	v_mov_b32_dpp v17, v16 row_shr:2 row_mask:0xf bank_mask:0xf
	v_cndmask_b32_e32 v17, 0, v17, vcc_lo
	v_cmp_lt_u32_e32 vcc_lo, 3, v10
	v_add_nc_u32_e32 v16, v16, v17
	;; [unrolled: 4-line block ×3, first 2 shown]
	v_mov_b32_dpp v17, v16 row_shr:8 row_mask:0xf bank_mask:0xf
	v_cndmask_b32_e32 v17, 0, v17, vcc_lo
	v_cmp_gt_i32_e32 vcc_lo, 0, v12
	v_add_nc_u32_e32 v16, v16, v17
	v_cndmask_b32_e32 v18, v12, v8, vcc_lo
	ds_swizzle_b32 v17, v16 offset:swizzle(BROADCAST,32,15)
	v_lshlrev_b32_e32 v18, 2, v18
	s_waitcnt lgkmcnt(0)
	v_and_b32_e32 v17, v11, v17
	v_add_nc_u32_e32 v16, v16, v17
	ds_bpermute_b32 v16, v18, v16
	s_waitcnt lgkmcnt(0)
	v_add_nc_u32_e32 v15, v16, v15
	v_cndmask_b32_e64 v21, v15, v2, s1
	ds_write_b32 v9, v21
	; wave barrier
	ds_read2_b32 v[15:16], v9 offset0:1 offset1:2
	ds_read2_b32 v[17:18], v9 offset0:3 offset1:4
	;; [unrolled: 1-line block ×3, first 2 shown]
	ds_read_b32 v22, v9 offset:28
	s_waitcnt lgkmcnt(3)
	v_add_nc_u32_e32 v15, v15, v21
	v_add_nc_u32_e32 v16, v16, v15
	s_waitcnt lgkmcnt(2)
	v_add_nc_u32_e32 v17, v17, v16
	v_add_nc_u32_e32 v18, v18, v17
	;; [unrolled: 3-line block ×3, first 2 shown]
	s_waitcnt lgkmcnt(0)
	v_add_nc_u32_e32 v21, v22, v20
	ds_write2_b32 v9, v15, v16 offset0:1 offset1:2
	ds_write2_b32 v9, v17, v18 offset0:3 offset1:4
	ds_write2_b32 v9, v19, v20 offset0:5 offset1:6
	ds_write_b32 v9, v21 offset:28
.LBB32_25:                              ;   in Loop: Header=BB32_21 Depth=1
	s_or_b32 exec_lo, exec_lo, s14
	v_mov_b32_e32 v16, 0
	s_waitcnt lgkmcnt(0)
	s_barrier
	buffer_gl0_inv
	s_and_saveexec_b32 s14, s0
; %bb.26:                               ;   in Loop: Header=BB32_21 Depth=1
	ds_read_b32 v16, v0
; %bb.27:                               ;   in Loop: Header=BB32_21 Depth=1
	s_or_b32 exec_lo, exec_lo, s14
	ds_read_b32 v15, v5 offset:1048
	s_mov_b32 s14, exec_lo
	s_waitcnt lgkmcnt(0)
	s_barrier
	buffer_gl0_inv
	v_cmpx_ne_u32_e32 0, v2
	s_cbranch_execz .LBB32_29
; %bb.28:                               ;   in Loop: Header=BB32_21 Depth=1
	v_add_nc_u32_e32 v2, v16, v3
	v_mov_b32_e32 v17, v5
	v_mov_b32_e32 v19, v5
	v_mul_lo_u32 v16, v2, s4
	v_mul_lo_u32 v18, v2, s8
	v_mov_b32_e32 v2, v5
	v_lshlrev_b64 v[16:17], 2, v[16:17]
	v_lshlrev_b64 v[18:19], 3, v[18:19]
	v_add_co_u32 v16, vcc_lo, s6, v16
	v_add_co_ci_u32_e64 v17, null, s7, v17, vcc_lo
	v_add_co_u32 v18, vcc_lo, s15, v18
	v_add_co_ci_u32_e64 v19, null, s16, v19, vcc_lo
	global_store_dword v[16:17], v13, off
	global_store_dwordx2 v[18:19], v[1:2], off
.LBB32_29:                              ;   in Loop: Header=BB32_21 Depth=1
	s_or_b32 exec_lo, exec_lo, s14
	v_cmp_le_u32_e32 vcc_lo, s13, v6
	s_cbranch_vccnz .LBB32_20
; %bb.30:                               ;   in Loop: Header=BB32_21 Depth=1
	ds_write_b32 v7, v14
	s_waitcnt lgkmcnt(0)
	s_waitcnt_vscnt null, 0x0
	s_barrier
	buffer_gl0_inv
	s_and_saveexec_b32 s14, s2
	s_cbranch_execz .LBB32_32
; %bb.31:                               ;   in Loop: Header=BB32_21 Depth=1
	ds_read2_b32 v[16:17], v9 offset1:1
	ds_read2_b32 v[18:19], v9 offset0:2 offset1:3
	ds_read2_b32 v[20:21], v9 offset0:4 offset1:5
	;; [unrolled: 1-line block ×3, first 2 shown]
	v_cmp_ne_u32_e32 vcc_lo, 0, v10
	; wave barrier
	s_waitcnt lgkmcnt(3)
	v_add_nc_u32_e32 v2, v17, v16
	s_waitcnt lgkmcnt(2)
	v_add3_u32 v2, v2, v18, v19
	s_waitcnt lgkmcnt(1)
	v_add3_u32 v2, v2, v20, v21
	;; [unrolled: 2-line block ×3, first 2 shown]
	v_mov_b32_dpp v17, v2 row_shr:1 row_mask:0xf bank_mask:0xf
	v_cndmask_b32_e32 v17, 0, v17, vcc_lo
	v_cmp_lt_u32_e32 vcc_lo, 1, v10
	v_add_nc_u32_e32 v2, v17, v2
	v_mov_b32_dpp v17, v2 row_shr:2 row_mask:0xf bank_mask:0xf
	v_cndmask_b32_e32 v17, 0, v17, vcc_lo
	v_cmp_lt_u32_e32 vcc_lo, 3, v10
	v_add_nc_u32_e32 v2, v2, v17
	;; [unrolled: 4-line block ×3, first 2 shown]
	v_mov_b32_dpp v17, v2 row_shr:8 row_mask:0xf bank_mask:0xf
	v_cndmask_b32_e32 v17, 0, v17, vcc_lo
	v_cmp_gt_i32_e32 vcc_lo, 0, v12
	v_add_nc_u32_e32 v2, v2, v17
	v_cndmask_b32_e32 v18, v12, v8, vcc_lo
	ds_swizzle_b32 v17, v2 offset:swizzle(BROADCAST,32,15)
	v_lshlrev_b32_e32 v18, 2, v18
	s_waitcnt lgkmcnt(0)
	v_and_b32_e32 v17, v11, v17
	v_add_nc_u32_e32 v2, v2, v17
	ds_bpermute_b32 v2, v18, v2
	s_waitcnt lgkmcnt(0)
	v_add_nc_u32_e32 v2, v2, v16
	v_cndmask_b32_e64 v2, v2, v14, s1
	ds_write_b32 v9, v2
	; wave barrier
	ds_read2_b32 v[16:17], v9 offset0:1 offset1:2
	ds_read2_b32 v[18:19], v9 offset0:3 offset1:4
	;; [unrolled: 1-line block ×3, first 2 shown]
	ds_read_b32 v22, v9 offset:28
	s_waitcnt lgkmcnt(3)
	v_add_nc_u32_e32 v2, v16, v2
	v_add_nc_u32_e32 v16, v17, v2
	s_waitcnt lgkmcnt(2)
	v_add_nc_u32_e32 v17, v18, v16
	v_add_nc_u32_e32 v18, v19, v17
	;; [unrolled: 3-line block ×3, first 2 shown]
	s_waitcnt lgkmcnt(0)
	v_add_nc_u32_e32 v21, v22, v20
	ds_write2_b32 v9, v2, v16 offset0:1 offset1:2
	ds_write2_b32 v9, v17, v18 offset0:3 offset1:4
	ds_write2_b32 v9, v19, v20 offset0:5 offset1:6
	ds_write_b32 v9, v21 offset:28
.LBB32_32:                              ;   in Loop: Header=BB32_21 Depth=1
	s_or_b32 exec_lo, exec_lo, s14
	v_mov_b32_e32 v2, 0
	s_waitcnt lgkmcnt(0)
	s_barrier
	buffer_gl0_inv
	s_and_saveexec_b32 s14, s0
; %bb.33:                               ;   in Loop: Header=BB32_21 Depth=1
	ds_read_b32 v2, v0
; %bb.34:                               ;   in Loop: Header=BB32_21 Depth=1
	s_or_b32 exec_lo, exec_lo, s14
	ds_read_b32 v16, v5 offset:1048
	s_mov_b32 s14, exec_lo
	s_waitcnt lgkmcnt(0)
	s_barrier
	buffer_gl0_inv
	v_cmpx_ne_u32_e32 0, v14
	s_cbranch_execz .LBB32_19
; %bb.35:                               ;   in Loop: Header=BB32_21 Depth=1
	v_add_nc_u32_e32 v2, v2, v6
	v_cmp_gt_u32_e32 vcc_lo, s13, v2
	s_and_b32 exec_lo, exec_lo, vcc_lo
	s_cbranch_execz .LBB32_19
; %bb.36:                               ;   in Loop: Header=BB32_21 Depth=1
	v_mul_lo_u32 v17, v2, s4
	v_mul_lo_u32 v19, v2, s8
	v_mov_b32_e32 v18, v5
	v_mov_b32_e32 v20, v5
	;; [unrolled: 1-line block ×3, first 2 shown]
	v_lshlrev_b64 v[17:18], 2, v[17:18]
	v_lshlrev_b64 v[19:20], 3, v[19:20]
	v_add_co_u32 v17, vcc_lo, s6, v17
	v_add_co_ci_u32_e64 v18, null, s7, v18, vcc_lo
	v_add_co_u32 v19, vcc_lo, s15, v19
	v_add_co_ci_u32_e64 v20, null, s16, v20, vcc_lo
	global_store_dword v[17:18], v13, off
	global_store_dwordx2 v[19:20], v[1:2], off
	s_branch .LBB32_19
	.p2align	6
.LBB32_37:                              ;   in Loop: Header=BB32_38 Depth=1
	s_add_u32 s16, s16, 4
	s_addc_u32 s17, s17, 0
	s_waitcnt lgkmcnt(0)
	s_add_i32 s44, s13, s44
	s_add_u32 s18, s18, 4
	s_addc_u32 s19, s19, 0
	s_add_i32 s12, s12, 1
	s_cmp_lt_u32 s12, s10
	s_cbranch_scc0 .LBB32_16
.LBB32_38:                              ; =>This Inner Loop Header: Depth=1
	s_load_dword s13, s[16:17], 0x0
	s_cmp_ge_u32 s12, s11
	s_cbranch_scc1 .LBB32_37
; %bb.39:                               ;   in Loop: Header=BB32_38 Depth=1
	s_load_dword s14, s[18:19], 0x0
	s_waitcnt lgkmcnt(0)
	s_add_i32 s23, s13, s23
	s_add_i32 s43, s14, s43
	s_branch .LBB32_37
.LBB32_40:
	s_endpgm
	.section	.rodata,"a",@progbits
	.p2align	6, 0x0
	.amdhsa_kernel _ZN2at6native6mbtopk10gatherTopKIijLi2EEEvNS_4cuda6detail10TensorInfoIKT_T0_EES8_S8_bjS8_NS5_IS6_S8_EES8_NS5_IlS8_EES8_jjPS6_PjSD_j
		.amdhsa_group_segment_fixed_size 1068
		.amdhsa_private_segment_fixed_size 0
		.amdhsa_kernarg_size 984
		.amdhsa_user_sgpr_count 6
		.amdhsa_user_sgpr_private_segment_buffer 1
		.amdhsa_user_sgpr_dispatch_ptr 0
		.amdhsa_user_sgpr_queue_ptr 0
		.amdhsa_user_sgpr_kernarg_segment_ptr 1
		.amdhsa_user_sgpr_dispatch_id 0
		.amdhsa_user_sgpr_flat_scratch_init 0
		.amdhsa_user_sgpr_private_segment_size 0
		.amdhsa_wavefront_size32 1
		.amdhsa_uses_dynamic_stack 0
		.amdhsa_system_sgpr_private_segment_wavefront_offset 0
		.amdhsa_system_sgpr_workgroup_id_x 1
		.amdhsa_system_sgpr_workgroup_id_y 1
		.amdhsa_system_sgpr_workgroup_id_z 1
		.amdhsa_system_sgpr_workgroup_info 0
		.amdhsa_system_vgpr_workitem_id 0
		.amdhsa_next_free_vgpr 24
		.amdhsa_next_free_sgpr 48
		.amdhsa_reserve_vcc 1
		.amdhsa_reserve_flat_scratch 0
		.amdhsa_float_round_mode_32 0
		.amdhsa_float_round_mode_16_64 0
		.amdhsa_float_denorm_mode_32 3
		.amdhsa_float_denorm_mode_16_64 3
		.amdhsa_dx10_clamp 1
		.amdhsa_ieee_mode 1
		.amdhsa_fp16_overflow 0
		.amdhsa_workgroup_processor_mode 1
		.amdhsa_memory_ordered 1
		.amdhsa_forward_progress 1
		.amdhsa_shared_vgpr_count 0
		.amdhsa_exception_fp_ieee_invalid_op 0
		.amdhsa_exception_fp_denorm_src 0
		.amdhsa_exception_fp_ieee_div_zero 0
		.amdhsa_exception_fp_ieee_overflow 0
		.amdhsa_exception_fp_ieee_underflow 0
		.amdhsa_exception_fp_ieee_inexact 0
		.amdhsa_exception_int_div_zero 0
	.end_amdhsa_kernel
	.section	.text._ZN2at6native6mbtopk10gatherTopKIijLi2EEEvNS_4cuda6detail10TensorInfoIKT_T0_EES8_S8_bjS8_NS5_IS6_S8_EES8_NS5_IlS8_EES8_jjPS6_PjSD_j,"axG",@progbits,_ZN2at6native6mbtopk10gatherTopKIijLi2EEEvNS_4cuda6detail10TensorInfoIKT_T0_EES8_S8_bjS8_NS5_IS6_S8_EES8_NS5_IlS8_EES8_jjPS6_PjSD_j,comdat
.Lfunc_end32:
	.size	_ZN2at6native6mbtopk10gatherTopKIijLi2EEEvNS_4cuda6detail10TensorInfoIKT_T0_EES8_S8_bjS8_NS5_IS6_S8_EES8_NS5_IlS8_EES8_jjPS6_PjSD_j, .Lfunc_end32-_ZN2at6native6mbtopk10gatherTopKIijLi2EEEvNS_4cuda6detail10TensorInfoIKT_T0_EES8_S8_bjS8_NS5_IS6_S8_EES8_NS5_IlS8_EES8_jjPS6_PjSD_j
                                        ; -- End function
	.set _ZN2at6native6mbtopk10gatherTopKIijLi2EEEvNS_4cuda6detail10TensorInfoIKT_T0_EES8_S8_bjS8_NS5_IS6_S8_EES8_NS5_IlS8_EES8_jjPS6_PjSD_j.num_vgpr, 24
	.set _ZN2at6native6mbtopk10gatherTopKIijLi2EEEvNS_4cuda6detail10TensorInfoIKT_T0_EES8_S8_bjS8_NS5_IS6_S8_EES8_NS5_IlS8_EES8_jjPS6_PjSD_j.num_agpr, 0
	.set _ZN2at6native6mbtopk10gatherTopKIijLi2EEEvNS_4cuda6detail10TensorInfoIKT_T0_EES8_S8_bjS8_NS5_IS6_S8_EES8_NS5_IlS8_EES8_jjPS6_PjSD_j.numbered_sgpr, 48
	.set _ZN2at6native6mbtopk10gatherTopKIijLi2EEEvNS_4cuda6detail10TensorInfoIKT_T0_EES8_S8_bjS8_NS5_IS6_S8_EES8_NS5_IlS8_EES8_jjPS6_PjSD_j.num_named_barrier, 0
	.set _ZN2at6native6mbtopk10gatherTopKIijLi2EEEvNS_4cuda6detail10TensorInfoIKT_T0_EES8_S8_bjS8_NS5_IS6_S8_EES8_NS5_IlS8_EES8_jjPS6_PjSD_j.private_seg_size, 0
	.set _ZN2at6native6mbtopk10gatherTopKIijLi2EEEvNS_4cuda6detail10TensorInfoIKT_T0_EES8_S8_bjS8_NS5_IS6_S8_EES8_NS5_IlS8_EES8_jjPS6_PjSD_j.uses_vcc, 1
	.set _ZN2at6native6mbtopk10gatherTopKIijLi2EEEvNS_4cuda6detail10TensorInfoIKT_T0_EES8_S8_bjS8_NS5_IS6_S8_EES8_NS5_IlS8_EES8_jjPS6_PjSD_j.uses_flat_scratch, 0
	.set _ZN2at6native6mbtopk10gatherTopKIijLi2EEEvNS_4cuda6detail10TensorInfoIKT_T0_EES8_S8_bjS8_NS5_IS6_S8_EES8_NS5_IlS8_EES8_jjPS6_PjSD_j.has_dyn_sized_stack, 0
	.set _ZN2at6native6mbtopk10gatherTopKIijLi2EEEvNS_4cuda6detail10TensorInfoIKT_T0_EES8_S8_bjS8_NS5_IS6_S8_EES8_NS5_IlS8_EES8_jjPS6_PjSD_j.has_recursion, 0
	.set _ZN2at6native6mbtopk10gatherTopKIijLi2EEEvNS_4cuda6detail10TensorInfoIKT_T0_EES8_S8_bjS8_NS5_IS6_S8_EES8_NS5_IlS8_EES8_jjPS6_PjSD_j.has_indirect_call, 0
	.section	.AMDGPU.csdata,"",@progbits
; Kernel info:
; codeLenInByte = 2640
; TotalNumSgprs: 50
; NumVgprs: 24
; ScratchSize: 0
; MemoryBound: 0
; FloatMode: 240
; IeeeMode: 1
; LDSByteSize: 1068 bytes/workgroup (compile time only)
; SGPRBlocks: 0
; VGPRBlocks: 2
; NumSGPRsForWavesPerEU: 50
; NumVGPRsForWavesPerEU: 24
; Occupancy: 16
; WaveLimiterHint : 1
; COMPUTE_PGM_RSRC2:SCRATCH_EN: 0
; COMPUTE_PGM_RSRC2:USER_SGPR: 6
; COMPUTE_PGM_RSRC2:TRAP_HANDLER: 0
; COMPUTE_PGM_RSRC2:TGID_X_EN: 1
; COMPUTE_PGM_RSRC2:TGID_Y_EN: 1
; COMPUTE_PGM_RSRC2:TGID_Z_EN: 1
; COMPUTE_PGM_RSRC2:TIDIG_COMP_CNT: 0
	.section	.text._ZN2at6native6sbtopk10gatherTopKIijLi2ELb0EEEvNS_4cuda6detail10TensorInfoIKT_T0_EES8_S8_bS8_S8_NS5_IS6_S8_EES8_NS5_IlS8_EES8_PS6_,"axG",@progbits,_ZN2at6native6sbtopk10gatherTopKIijLi2ELb0EEEvNS_4cuda6detail10TensorInfoIKT_T0_EES8_S8_bS8_S8_NS5_IS6_S8_EES8_NS5_IlS8_EES8_PS6_,comdat
	.protected	_ZN2at6native6sbtopk10gatherTopKIijLi2ELb0EEEvNS_4cuda6detail10TensorInfoIKT_T0_EES8_S8_bS8_S8_NS5_IS6_S8_EES8_NS5_IlS8_EES8_PS6_ ; -- Begin function _ZN2at6native6sbtopk10gatherTopKIijLi2ELb0EEEvNS_4cuda6detail10TensorInfoIKT_T0_EES8_S8_bS8_S8_NS5_IS6_S8_EES8_NS5_IlS8_EES8_PS6_
	.globl	_ZN2at6native6sbtopk10gatherTopKIijLi2ELb0EEEvNS_4cuda6detail10TensorInfoIKT_T0_EES8_S8_bS8_S8_NS5_IS6_S8_EES8_NS5_IlS8_EES8_PS6_
	.p2align	8
	.type	_ZN2at6native6sbtopk10gatherTopKIijLi2ELb0EEEvNS_4cuda6detail10TensorInfoIKT_T0_EES8_S8_bS8_S8_NS5_IS6_S8_EES8_NS5_IlS8_EES8_PS6_,@function
_ZN2at6native6sbtopk10gatherTopKIijLi2ELb0EEEvNS_4cuda6detail10TensorInfoIKT_T0_EES8_S8_bS8_S8_NS5_IS6_S8_EES8_NS5_IlS8_EES8_PS6_: ; @_ZN2at6native6sbtopk10gatherTopKIijLi2ELb0EEEvNS_4cuda6detail10TensorInfoIKT_T0_EES8_S8_bS8_S8_NS5_IS6_S8_EES8_NS5_IlS8_EES8_PS6_
; %bb.0:
	s_clause 0x1
	s_load_dwordx2 s[2:3], s[4:5], 0x2b8
	s_load_dwordx4 s[36:39], s[4:5], 0xd8
	s_add_u32 s10, s4, 0x2b8
	s_addc_u32 s11, s5, 0
	s_waitcnt lgkmcnt(0)
	s_mul_i32 s0, s3, s8
	s_add_i32 s0, s0, s7
	s_mul_i32 s49, s0, s2
	s_add_i32 s49, s49, s6
	s_cmp_ge_u32 s49, s39
	s_cbranch_scc1 .LBB33_395
; %bb.1:
	s_clause 0x9
	s_load_dword s7, s[4:5], 0xc
	s_load_dword s51, s[4:5], 0xfc
	;; [unrolled: 1-line block ×3, first 2 shown]
	s_load_dwordx2 s[34:35], s[4:5], 0xf0
	s_load_dwordx2 s[42:43], s[4:5], 0x23c
	;; [unrolled: 1-line block ×4, first 2 shown]
	s_load_dword s30, s[4:5], 0xe8
	s_load_dwordx2 s[8:9], s[4:5], 0x6c
	s_load_dwordx2 s[0:1], s[4:5], 0x0
	v_cmp_eq_u32_e64 s3, 0, v0
	s_mov_b32 s47, 0
	s_waitcnt lgkmcnt(0)
	v_cvt_f32_u32_e32 v1, s7
	v_cvt_f32_u32_e32 v2, s51
	;; [unrolled: 1-line block ×3, first 2 shown]
	s_sub_i32 s12, 0, s7
	s_sub_i32 s16, 0, s51
	v_rcp_iflag_f32_e32 v1, v1
	v_rcp_iflag_f32_e32 v2, v2
	;; [unrolled: 1-line block ×3, first 2 shown]
	s_sub_i32 s17, 0, s50
	v_mul_f32_e32 v1, 0x4f7ffffe, v1
	v_mul_f32_e32 v2, 0x4f7ffffe, v2
	;; [unrolled: 1-line block ×3, first 2 shown]
	v_cvt_u32_f32_e32 v1, v1
	v_cvt_u32_f32_e32 v2, v2
	;; [unrolled: 1-line block ×3, first 2 shown]
	v_readfirstlane_b32 s13, v1
	v_readfirstlane_b32 s14, v2
	;; [unrolled: 1-line block ×3, first 2 shown]
	s_mul_i32 s12, s12, s13
	s_mul_i32 s16, s16, s14
	;; [unrolled: 1-line block ×3, first 2 shown]
	s_mul_hi_u32 s12, s13, s12
	s_mul_hi_u32 s16, s14, s16
	s_mul_hi_u32 s17, s15, s17
	s_add_i32 s13, s13, s12
	s_add_i32 s14, s14, s16
	;; [unrolled: 1-line block ×3, first 2 shown]
	s_mul_hi_u32 s12, s49, s13
	s_mul_hi_u32 s53, s49, s14
	;; [unrolled: 1-line block ×3, first 2 shown]
	s_and_saveexec_b32 s13, s3
	s_cbranch_execz .LBB33_3
; %bb.2:
	v_mov_b32_e32 v1, 0
	v_mov_b32_e32 v2, s36
	;; [unrolled: 1-line block ×3, first 2 shown]
	ds_write_b96 v1, v[1:3] offset:4096
.LBB33_3:
	s_or_b32 exec_lo, exec_lo, s13
	s_mul_i32 s13, s12, s7
	s_add_i32 s14, s12, 1
	s_sub_i32 s13, s49, s13
	s_waitcnt lgkmcnt(0)
	s_sub_i32 s15, s13, s7
	s_cmp_ge_u32 s13, s7
	s_barrier
	s_cselect_b32 s12, s14, s12
	s_cselect_b32 s13, s15, s13
	buffer_gl0_inv
	s_load_dword s15, s[10:11], 0xc
	s_add_i32 s14, s12, 1
	s_cmp_ge_u32 s13, s7
	v_mbcnt_lo_u32_b32 v18, -1, 0
	s_cselect_b32 s12, s14, s12
	v_cmp_gt_u32_e32 vcc_lo, 32, v0
	s_mul_i32 s7, s12, s7
	s_mul_i32 s8, s12, s8
	s_sub_i32 s7, s49, s7
	v_mov_b32_e32 v9, 0
	s_mul_i32 s7, s7, s9
	v_mul_lo_u32 v7, s30, v0
	s_add_i32 s46, s8, s7
	v_lshlrev_b32_e32 v19, 2, v0
	s_lshl_b64 s[8:9], s[46:47], 2
	v_mov_b32_e32 v8, v9
	s_add_u32 s31, s0, s8
	s_addc_u32 s33, s1, s9
	s_bitcmp1_b32 s38, 0
	v_cmp_gt_i32_e64 s0, 4, v18
	s_cselect_b32 s1, -1, 0
	s_waitcnt lgkmcnt(0)
	s_and_b32 s46, s15, 0xffff
	s_bfe_u32 s7, s15, 0xb0005
	s_lshl_b32 s55, s46, 2
	s_bfe_u32 s8, s46, 0x80008
	v_cvt_f32_u32_e32 v1, s55
	s_xor_b32 s54, s1, -1
	s_lshl_b32 s56, s8, 3
	s_and_b32 s57, vcc_lo, s0
	s_cmpk_gt_u32 s36, 0x300
	v_rcp_iflag_f32_e32 v1, v1
	s_cselect_b32 s58, -1, 0
	s_cmp_gt_u32 s46, 31
	v_cvt_f32_u32_e32 v2, s46
	s_cselect_b32 s59, -1, 0
	s_add_i32 s60, s46, -1
	v_mad_u64_u32 v[14:15], null, s30, v19, s[30:31]
	s_add_i32 s9, s60, s36
	s_cmp_lt_u32 s6, s2
	v_mul_f32_e32 v1, 0x4f7ffffe, v1
	s_cselect_b32 s0, 12, 18
	v_rcp_iflag_f32_e32 v3, v2
	s_add_u32 s38, s10, s0
	s_addc_u32 s39, s11, 0
	s_add_i32 s7, s7, -1
	v_cvt_u32_f32_e32 v1, v1
	s_and_b32 s0, s7, 0xffff
	s_bfe_u32 s61, s46, 0x30005
	s_cmp_gt_u32 s0, 6
	v_add_nc_u32_e32 v21, 0xc00, v19
	v_readfirstlane_b32 s0, v1
	s_cselect_b32 s62, -1, 0
	s_cmp_lg_u32 s61, 0
	v_lshlrev_b64 v[1:2], 2, v[7:8]
	s_cselect_b32 s63, -1, 0
	s_sub_i32 s2, 0, s55
	v_mul_f32_e32 v3, 0x4f7ffffe, v3
	s_mul_i32 s2, s2, s0
	v_lshlrev_b32_e32 v26, 2, v7
	s_mul_hi_u32 s6, s0, s2
	v_add_co_u32 v5, vcc_lo, s31, v1
	s_add_i32 s64, s0, s6
	v_cvt_u32_f32_e32 v1, v3
	s_mul_hi_u32 s6, s36, s64
	v_add_co_ci_u32_e64 v6, null, s33, v2, vcc_lo
	s_mul_i32 s6, s6, s55
	v_readfirstlane_b32 s10, v1
	s_sub_i32 s6, s36, s6
	v_lshlrev_b64 v[1:2], v18, -1
	s_sub_i32 s7, s6, s55
	s_cmp_ge_u32 s6, s55
	v_or_b32_e32 v3, 3, v19
	s_cselect_b32 s7, s7, s6
	v_cmp_gt_u32_e64 s2, s36, v0
	s_sub_i32 s8, s7, s55
	s_cmp_ge_u32 s7, s55
	v_not_b32_e32 v17, v1
	s_cselect_b32 s11, s8, s7
	s_sub_i32 s7, 0, s46
	s_sub_i32 s65, s36, s11
	s_mul_i32 s7, s7, s10
	v_add_nc_u32_e32 v20, s65, v0
	v_lshrrev_b32_e32 v1, 1, v0
	s_mul_hi_u32 s7, s10, s7
	s_movk_i32 s8, 0x1f0
	s_add_i32 s66, s10, s7
	v_mul_lo_u32 v8, v20, s30
	v_and_or_b32 v22, v1, s8, 0xc00
	s_mul_hi_u32 s7, s9, s66
	v_mul_lo_u32 v25, s30, v3
	s_mul_i32 s7, s7, s46
	v_cmp_eq_u32_e64 s0, 0, v18
	s_sub_i32 s7, s9, s7
	v_cmp_gt_u32_e64 s6, 2, v0
	v_lshlrev_b64 v[1:2], 2, v[8:9]
	s_sub_i32 s10, s7, s46
	s_cmp_ge_u32 s7, s46
	v_lshlrev_b32_e32 v28, 4, v0
	s_cselect_b32 s8, s10, s7
	v_cmp_gt_u32_e64 s7, s65, v19
	v_add_co_u32 v12, vcc_lo, s31, v1
	v_add3_u32 v1, s46, s36, v0
	v_add_co_ci_u32_e64 v13, null, s33, v2, vcc_lo
	v_or_b32_e32 v2, 2, v19
	s_sub_i32 s10, s8, s46
	v_subrev_nc_u32_e32 v1, s11, v1
	s_cmp_ge_u32 s8, s46
	v_lshl_or_b32 v29, v18, 2, 0xc00
	s_cselect_b32 s10, s10, s8
	v_mul_lo_u32 v24, s30, v2
	v_mul_lo_u32 v27, s30, v1
	s_sub_i32 s67, s9, s10
	v_cmp_gt_u32_e64 s8, s36, v20
	v_cmp_gt_u32_e64 s9, s67, v0
	v_mov_b32_e32 v31, s37
	v_mov_b32_e32 v15, 1
	;; [unrolled: 1-line block ×5, first 2 shown]
	s_mul_i32 s48, s30, s46
	s_lshl_b32 s69, s46, 4
	s_lshl_b32 s68, s48, 2
	s_mov_b32 s75, 30
	s_mov_b32 s71, 0
                                        ; implicit-def: $sgpr70
                                        ; implicit-def: $sgpr74
                                        ; implicit-def: $sgpr73
                                        ; implicit-def: $sgpr76
                                        ; implicit-def: $sgpr72
                                        ; implicit-def: $sgpr80
                                        ; implicit-def: $sgpr81
                                        ; implicit-def: $sgpr77
                                        ; implicit-def: $sgpr79
                                        ; implicit-def: $sgpr78
	s_branch .LBB33_6
.LBB33_4:                               ;   in Loop: Header=BB33_6 Depth=1
	s_or_b32 exec_lo, exec_lo, s13
	v_mov_b32_e32 v31, v32
	s_andn2_b32 s13, s78, exec_lo
	s_and_b32 s12, s12, exec_lo
	s_andn2_b32 s79, s79, exec_lo
	s_or_b32 s78, s13, s12
	s_andn2_b32 s77, s77, exec_lo
	s_andn2_b32 s81, s81, exec_lo
	;; [unrolled: 1-line block ×3, first 2 shown]
	s_orn2_b32 s13, s11, exec_lo
.LBB33_5:                               ;   in Loop: Header=BB33_6 Depth=1
	s_or_b32 exec_lo, exec_lo, s10
	s_and_b32 s10, exec_lo, s13
	s_or_b32 s47, s10, s47
	s_andn2_b32 s10, s72, exec_lo
	s_and_b32 s11, s78, exec_lo
	s_andn2_b32 s12, s76, exec_lo
	s_or_b32 s72, s10, s11
	s_and_b32 s10, s79, exec_lo
	s_andn2_b32 s11, s73, exec_lo
	s_and_b32 s13, s77, exec_lo
	s_or_b32 s76, s12, s10
	s_or_b32 s73, s11, s13
	s_andn2_b32 s10, s74, exec_lo
	s_and_b32 s11, s81, exec_lo
	s_andn2_b32 s12, s70, exec_lo
	s_and_b32 s13, s80, exec_lo
	s_or_b32 s74, s10, s11
	s_or_b32 s70, s12, s13
	s_andn2_b32 exec_lo, exec_lo, s47
	s_cbranch_execz .LBB33_391
.LBB33_6:                               ; =>This Loop Header: Depth=1
                                        ;     Child Loop BB33_12 Depth 2
                                        ;     Child Loop BB33_25 Depth 2
                                        ;     Child Loop BB33_56 Depth 2
                                        ;     Child Loop BB33_60 Depth 2
                                        ;     Child Loop BB33_45 Depth 2
                                        ;     Child Loop BB33_50 Depth 2
                                        ;     Child Loop BB33_41 Depth 2
                                        ;     Child Loop BB33_65 Depth 2
                                        ;     Child Loop BB33_76 Depth 2
                                        ;     Child Loop BB33_90 Depth 2
                                        ;     Child Loop BB33_116 Depth 2
                                        ;     Child Loop BB33_127 Depth 2
                                        ;     Child Loop BB33_153 Depth 2
                                        ;     Child Loop BB33_164 Depth 2
                                        ;     Child Loop BB33_190 Depth 2
                                        ;     Child Loop BB33_201 Depth 2
                                        ;     Child Loop BB33_237 Depth 2
                                        ;     Child Loop BB33_249 Depth 2
                                        ;     Child Loop BB33_275 Depth 2
                                        ;     Child Loop BB33_286 Depth 2
                                        ;     Child Loop BB33_312 Depth 2
                                        ;     Child Loop BB33_323 Depth 2
                                        ;     Child Loop BB33_349 Depth 2
                                        ;     Child Loop BB33_360 Depth 2
	ds_read_b64 v[1:2], v9 offset:4096
	s_waitcnt lgkmcnt(0)
	v_readfirstlane_b32 s82, v1
	s_cmp_lg_u32 s82, 0
	s_cbranch_scc1 .LBB33_33
; %bb.7:                                ;   in Loop: Header=BB33_6 Depth=1
	s_and_b32 vcc_lo, exec_lo, s58
	s_cbranch_vccz .LBB33_20
; %bb.8:                                ;   in Loop: Header=BB33_6 Depth=1
	v_cmp_gt_u32_e32 vcc_lo, 0x301, v2
	s_mov_b32 s12, 0
	s_mov_b32 s10, 0
	s_cbranch_vccz .LBB33_21
; %bb.9:                                ;   in Loop: Header=BB33_6 Depth=1
	s_and_saveexec_b32 s13, s2
	s_cbranch_execz .LBB33_80
; %bb.10:                               ;   in Loop: Header=BB33_6 Depth=1
	global_load_ushort v1, v9, s[38:39]
	global_load_dword v3, v[5:6], off
	v_mov_b32_e32 v4, v0
	s_mov_b32 s14, 0
	s_waitcnt vmcnt(1)
	v_add_nc_u32_e32 v2, v0, v1
	v_mul_lo_u32 v8, s30, v2
	v_mul_lo_u32 v2, s30, v1
	s_branch .LBB33_12
.LBB33_11:                              ;   in Loop: Header=BB33_12 Depth=2
	s_or_b32 exec_lo, exec_lo, s11
	v_add_nc_u32_e32 v8, v8, v2
	v_mov_b32_e32 v3, v10
	s_andn2_b32 exec_lo, exec_lo, s14
	s_cbranch_execz .LBB33_80
.LBB33_12:                              ;   Parent Loop BB33_6 Depth=1
                                        ; =>  This Inner Loop Header: Depth=2
	v_add_nc_u32_e32 v4, v4, v1
	s_waitcnt lgkmcnt(0)
	v_mov_b32_e32 v16, 0
	v_mov_b32_e32 v10, 0
	s_mov_b32 s11, exec_lo
	v_cmp_le_u32_e32 vcc_lo, s36, v4
	v_cmpx_gt_u32_e64 s36, v4
	s_cbranch_execz .LBB33_14
; %bb.13:                               ;   in Loop: Header=BB33_12 Depth=2
	v_lshlrev_b64 v[32:33], 2, v[8:9]
	v_add_co_u32 v32, s10, s31, v32
	v_add_co_ci_u32_e64 v33, null, s33, v33, s10
	global_load_dword v10, v[32:33], off
.LBB33_14:                              ;   in Loop: Header=BB33_12 Depth=2
	s_or_b32 exec_lo, exec_lo, s11
	s_waitcnt vmcnt(0)
	v_xor_b32_e32 v32, 0x80000000, v3
	v_and_b32_e32 v32, v32, v30
	v_cmp_eq_u32_e64 s10, v32, v23
	s_cmp_lg_u32 s10, 0
	s_cselect_b32 s11, -1, 0
	s_and_b32 s11, s0, s11
	s_and_saveexec_b32 s15, s11
	s_cbranch_execz .LBB33_18
; %bb.15:                               ;   in Loop: Header=BB33_12 Depth=2
	s_mov_b32 s18, exec_lo
	s_bcnt1_i32_b32 s16, s10
	v_mbcnt_lo_u32_b32 v16, s18, 0
	s_mov_b32 s17, exec_lo
                                        ; implicit-def: $vgpr32
	v_cmpx_eq_u32_e32 0, v16
; %bb.16:                               ;   in Loop: Header=BB33_12 Depth=2
	s_bcnt1_i32_b32 s11, s18
	s_mul_i32 s11, s16, s11
	v_mov_b32_e32 v32, s11
	ds_add_rtn_u32 v32, v9, v32 offset:4104
; %bb.17:                               ;   in Loop: Header=BB33_12 Depth=2
	s_or_b32 exec_lo, exec_lo, s17
	s_waitcnt lgkmcnt(0)
	v_readfirstlane_b32 s11, v32
	v_mad_u32_u24 v16, s16, v16, s11
.LBB33_18:                              ;   in Loop: Header=BB33_12 Depth=2
	s_or_b32 exec_lo, exec_lo, s15
	ds_bpermute_b32 v16, v9, v16
	s_and_b32 s11, exec_lo, vcc_lo
	s_or_b32 s14, s11, s14
	s_and_saveexec_b32 s11, s10
	s_cbranch_execz .LBB33_11
; %bb.19:                               ;   in Loop: Header=BB33_12 Depth=2
	v_and_b32_e32 v32, s10, v17
	v_bcnt_u32_b32 v32, v32, 0
	v_lshlrev_b32_e32 v32, 2, v32
	s_waitcnt lgkmcnt(0)
	v_lshl_add_u32 v16, v16, 2, v32
	ds_write_b32 v16, v3
	s_branch .LBB33_11
.LBB33_20:                              ;   in Loop: Header=BB33_6 Depth=1
	s_mov_b32 s12, -1
	s_mov_b32 s10, 0
.LBB33_21:                              ;   in Loop: Header=BB33_6 Depth=1
	s_and_b32 vcc_lo, exec_lo, s12
	s_cbranch_vccz .LBB33_31
.LBB33_22:                              ;   in Loop: Header=BB33_6 Depth=1
	s_and_saveexec_b32 s10, s2
	s_cbranch_execz .LBB33_28
; %bb.23:                               ;   in Loop: Header=BB33_6 Depth=1
	global_load_ushort v1, v9, s[38:39]
	global_load_dword v3, v[5:6], off
	v_mov_b32_e32 v2, v0
	s_mov_b32 s11, exec_lo
	s_waitcnt vmcnt(1)
	v_add_nc_u32_e32 v4, v0, v1
	v_cmpx_gt_u32_e64 s36, v4
	s_cbranch_execz .LBB33_27
; %bb.24:                               ;   in Loop: Header=BB33_6 Depth=1
	v_mul_lo_u32 v8, s30, v4
	v_mul_lo_u32 v4, s30, v1
	v_lshlrev_b32_e32 v10, 2, v1
	v_mov_b32_e32 v16, v19
	v_mov_b32_e32 v2, v0
	s_mov_b32 s12, 0
	.p2align	6
.LBB33_25:                              ;   Parent Loop BB33_6 Depth=1
                                        ; =>  This Inner Loop Header: Depth=2
	v_lshlrev_b64 v[32:33], 2, v[8:9]
	v_add_nc_u32_e32 v2, v2, v1
	s_waitcnt vmcnt(0)
	ds_write_b32 v16, v3
	v_add_nc_u32_e32 v16, v16, v10
	v_add_nc_u32_e32 v8, v8, v4
	v_add_co_u32 v32, vcc_lo, s31, v32
	v_add_co_ci_u32_e64 v33, null, s33, v33, vcc_lo
	global_load_dword v32, v[32:33], off
	v_add_nc_u32_e32 v33, v1, v2
	v_cmp_le_u32_e32 vcc_lo, s36, v33
	s_or_b32 s12, vcc_lo, s12
	s_waitcnt vmcnt(0)
	v_mov_b32_e32 v3, v32
	s_andn2_b32 exec_lo, exec_lo, s12
	s_cbranch_execnz .LBB33_25
; %bb.26:                               ;   in Loop: Header=BB33_6 Depth=1
	s_or_b32 exec_lo, exec_lo, s12
	v_mov_b32_e32 v3, v32
.LBB33_27:                              ;   in Loop: Header=BB33_6 Depth=1
	s_or_b32 exec_lo, exec_lo, s11
	v_lshlrev_b32_e32 v1, 2, v2
	s_waitcnt vmcnt(0)
	ds_write_b32 v1, v3
.LBB33_28:                              ;   in Loop: Header=BB33_6 Depth=1
	s_or_b32 exec_lo, exec_lo, s10
	s_waitcnt lgkmcnt(0)
	s_barrier
	buffer_gl0_inv
	s_and_saveexec_b32 s10, s3
; %bb.29:                               ;   in Loop: Header=BB33_6 Depth=1
	v_mov_b32_e32 v1, s36
	ds_write_b32 v9, v1 offset:4096
; %bb.30:                               ;   in Loop: Header=BB33_6 Depth=1
	s_or_b32 exec_lo, exec_lo, s10
	s_mov_b32 s10, -1
	s_waitcnt lgkmcnt(0)
	s_barrier
.LBB33_31:                              ;   in Loop: Header=BB33_6 Depth=1
	s_and_b32 vcc_lo, exec_lo, s10
	s_mov_b32 s82, 0
	s_cbranch_vccz .LBB33_33
; %bb.32:                               ;   in Loop: Header=BB33_6 Depth=1
	buffer_gl0_inv
	ds_read_b32 v1, v9 offset:4096
	s_waitcnt lgkmcnt(0)
	v_readfirstlane_b32 s82, v1
.LBB33_33:                              ;   in Loop: Header=BB33_6 Depth=1
	s_cmp_lt_i32 s82, 1
	s_mov_b32 s10, -1
                                        ; implicit-def: $vgpr4
	s_cbranch_scc1 .LBB33_43
; %bb.34:                               ;   in Loop: Header=BB33_6 Depth=1
	s_and_b32 vcc_lo, exec_lo, s10
	s_cbranch_vccnz .LBB33_54
.LBB33_35:                              ;   in Loop: Header=BB33_6 Depth=1
	s_lshl_b32 s10, s71, 7
	s_and_saveexec_b32 s11, s0
.LBB33_36:                              ;   in Loop: Header=BB33_6 Depth=1
	v_lshl_add_u32 v8, s10, 2, v22
	ds_write_b128 v8, v[1:4]
.LBB33_37:                              ;   in Loop: Header=BB33_6 Depth=1
	s_or_b32 exec_lo, exec_lo, s11
	s_waitcnt lgkmcnt(0)
	s_barrier
	buffer_gl0_inv
	s_and_saveexec_b32 s11, s57
	s_cbranch_execz .LBB33_67
; %bb.38:                               ;   in Loop: Header=BB33_6 Depth=1
	v_mov_b32_e32 v1, 0
	s_andn2_b32 vcc_lo, exec_lo, s59
	s_cbranch_vccnz .LBB33_66
; %bb.39:                               ;   in Loop: Header=BB33_6 Depth=1
	s_andn2_b32 vcc_lo, exec_lo, s62
	s_cbranch_vccnz .LBB33_63
; %bb.40:                               ;   in Loop: Header=BB33_6 Depth=1
	v_lshl_add_u32 v2, s71, 9, v29
	v_mov_b32_e32 v1, 0
	s_mov_b32 s12, 0
	.p2align	6
.LBB33_41:                              ;   Parent Loop BB33_6 Depth=1
                                        ; =>  This Inner Loop Header: Depth=2
	ds_read2_b32 v[3:4], v2 offset1:4
	ds_read2_b32 v[32:33], v2 offset0:8 offset1:12
	ds_read2_b32 v[34:35], v2 offset0:16 offset1:20
	;; [unrolled: 1-line block ×3, first 2 shown]
	v_add_nc_u32_e32 v2, 0x80, v2
	s_add_i32 s12, s12, 8
	s_cmp_eq_u32 s56, s12
	s_waitcnt lgkmcnt(3)
	v_add3_u32 v1, v3, v1, v4
	s_waitcnt lgkmcnt(2)
	v_add3_u32 v1, v32, v1, v33
	;; [unrolled: 2-line block ×4, first 2 shown]
	s_cbranch_scc0 .LBB33_41
; %bb.42:                               ;   in Loop: Header=BB33_6 Depth=1
	s_mov_b32 s12, s56
	s_andn2_b32 vcc_lo, exec_lo, s63
	s_cbranch_vccz .LBB33_64
	s_branch .LBB33_66
.LBB33_43:                              ;   in Loop: Header=BB33_6 Depth=1
	v_mov_b32_e32 v1, 0
	v_mov_b32_e32 v2, 0
	;; [unrolled: 1-line block ×4, first 2 shown]
	s_and_saveexec_b32 s21, s7
	s_cbranch_execz .LBB33_47
; %bb.44:                               ;   in Loop: Header=BB33_6 Depth=1
	v_mov_b32_e32 v10, v19
	s_mov_b32 s22, 0
	s_mov_b32 s23, 0
	;; [unrolled: 1-line block ×6, first 2 shown]
.LBB33_45:                              ;   Parent Loop BB33_6 Depth=1
                                        ; =>  This Inner Loop Header: Depth=2
	v_add_nc_u32_e32 v8, s23, v26
	v_add_nc_u32_e32 v10, s55, v10
	v_lshlrev_b64 v[1:2], 2, v[8:9]
	v_add_nc_u32_e32 v8, s23, v14
	v_lshlrev_b64 v[3:4], 2, v[8:9]
	v_add_nc_u32_e32 v8, s23, v24
	v_add_co_u32 v1, vcc_lo, s31, v1
	v_add_co_ci_u32_e64 v2, null, s33, v2, vcc_lo
	v_lshlrev_b64 v[32:33], 2, v[8:9]
	v_add_nc_u32_e32 v8, s23, v25
	s_add_i32 s23, s23, s68
	global_load_dword v16, v[1:2], off
	v_add_co_u32 v1, vcc_lo, s31, v3
	v_add_co_ci_u32_e64 v2, null, s33, v4, vcc_lo
	v_add_co_u32 v32, vcc_lo, s31, v32
	v_add_co_ci_u32_e64 v33, null, s33, v33, vcc_lo
	v_lshlrev_b64 v[3:4], 2, v[8:9]
	s_clause 0x1
	global_load_dword v8, v[1:2], off
	global_load_dword v32, v[32:33], off
	v_add_co_u32 v1, vcc_lo, s31, v3
	v_add_co_ci_u32_e64 v2, null, s33, v4, vcc_lo
	v_cmp_le_u32_e32 vcc_lo, s65, v10
	global_load_dword v1, v[1:2], off
	s_waitcnt vmcnt(3)
	v_xor_b32_e32 v2, 0x80000000, v16
	v_and_b32_e32 v3, v2, v30
	v_bfe_u32 v2, v2, s75, 2
	s_waitcnt vmcnt(2)
	v_xor_b32_e32 v4, 0x80000000, v8
	v_cmp_eq_u32_e64 s10, v3, v23
	v_cmp_eq_u32_e64 s11, 0, v2
	s_waitcnt vmcnt(1)
	v_xor_b32_e32 v8, 0x80000000, v32
	v_cmp_eq_u32_e64 s12, 1, v2
	v_and_b32_e32 v3, v4, v30
	v_bfe_u32 v4, v4, s75, 2
	v_cmp_eq_u32_e64 s13, 2, v2
	s_and_b32 s11, s10, s11
	v_cmp_eq_u32_e64 s14, 3, v2
	v_cmp_eq_u32_e64 s15, v3, v23
	v_and_b32_e32 v2, v8, v30
	v_bfe_u32 v3, v8, s75, 2
	v_cmp_eq_u32_e64 s16, 0, v4
	v_cndmask_b32_e64 v8, 0, 1, s11
	v_cmp_eq_u32_e64 s11, 1, v4
	s_and_b32 s12, s10, s12
	s_and_b32 s13, s10, s13
	v_cndmask_b32_e64 v16, 0, 1, s12
	v_cmp_eq_u32_e64 s12, 2, v4
	s_waitcnt vmcnt(0)
	v_xor_b32_e32 v1, 0x80000000, v1
	v_cndmask_b32_e64 v32, 0, 1, s13
	s_and_b32 s10, s10, s14
	s_and_b32 s16, s15, s16
	;; [unrolled: 1-line block ×3, first 2 shown]
	v_cmp_eq_u32_e64 s13, 3, v4
	v_cndmask_b32_e64 v4, 0, 1, s10
	v_cmp_eq_u32_e64 s10, v2, v23
	v_cmp_eq_u32_e64 s14, 0, v3
	v_cmp_ne_u32_e64 s17, 0, v8
	v_cndmask_b32_e64 v8, 0, 1, s16
	v_cmp_eq_u32_e64 s16, 1, v3
	v_cmp_ne_u32_e64 s18, 0, v16
	v_cndmask_b32_e64 v16, 0, 1, s11
	v_cmp_eq_u32_e64 s11, 2, v3
	s_and_b32 s12, s15, s12
	v_and_b32_e32 v2, v1, v30
	v_bfe_u32 v1, v1, s75, 2
	v_cmp_ne_u32_e64 s19, 0, v32
	v_cndmask_b32_e64 v32, 0, 1, s12
	v_cmp_eq_u32_e64 s12, 3, v3
	s_and_b32 s13, s15, s13
	s_and_b32 s14, s10, s14
	;; [unrolled: 1-line block ×4, first 2 shown]
	v_cmp_ne_u32_e64 s20, 0, v4
	v_cndmask_b32_e64 v3, 0, 1, s13
	v_cmp_eq_u32_e64 s13, v2, v23
	v_cmp_eq_u32_e64 s15, 0, v1
	s_bcnt1_i32_b32 s28, s17
	v_cmp_ne_u32_e64 s17, 0, v8
	v_cndmask_b32_e64 v2, 0, 1, s14
	v_cmp_eq_u32_e64 s14, 1, v1
	v_cndmask_b32_e64 v4, 0, 1, s16
	v_cmp_eq_u32_e64 s16, 2, v1
	;; [unrolled: 2-line block ×3, first 2 shown]
	s_and_b32 s10, s10, s12
	s_bcnt1_i32_b32 s84, s20
	v_cndmask_b32_e64 v1, 0, 1, s10
	v_cmp_ne_u32_e64 s20, 0, v3
	s_and_b32 s12, s13, s15
	s_and_b32 s14, s13, s14
	;; [unrolled: 1-line block ×4, first 2 shown]
	v_cmp_ne_u32_e64 s10, 0, v2
	v_cndmask_b32_e64 v2, 0, 1, s12
	v_cmp_ne_u32_e64 s12, 0, v4
	v_cndmask_b32_e64 v3, 0, 1, s14
	v_cndmask_b32_e64 v4, 0, 1, s15
	v_cmp_ne_u32_e64 s15, 0, v1
	v_cndmask_b32_e64 v1, 0, 1, s11
	s_bcnt1_i32_b32 s29, s18
	v_cmp_ne_u32_e64 s18, 0, v16
	s_bcnt1_i32_b32 s83, s19
	v_cmp_ne_u32_e64 s19, 0, v32
	s_add_i32 s24, s84, s24
	v_cmp_ne_u32_e64 s14, 0, v8
	s_bcnt1_i32_b32 s16, s20
	s_bcnt1_i32_b32 s20, s10
	s_add_i32 s16, s24, s16
	v_cmp_ne_u32_e64 s10, 0, v2
	s_bcnt1_i32_b32 s24, s12
	v_cmp_ne_u32_e64 s11, 0, v3
	v_cmp_ne_u32_e64 s12, 0, v4
	;; [unrolled: 1-line block ×3, first 2 shown]
	s_add_i32 s27, s28, s27
	s_add_i32 s26, s29, s26
	s_add_i32 s25, s83, s25
	s_bcnt1_i32_b32 s17, s17
	s_bcnt1_i32_b32 s18, s18
	;; [unrolled: 1-line block ×3, first 2 shown]
	s_add_i32 s17, s27, s17
	s_add_i32 s18, s26, s18
	;; [unrolled: 1-line block ×3, first 2 shown]
	s_bcnt1_i32_b32 s14, s14
	s_bcnt1_i32_b32 s15, s15
	s_add_i32 s17, s17, s20
	s_add_i32 s18, s18, s24
	;; [unrolled: 1-line block ×4, first 2 shown]
	s_bcnt1_i32_b32 s10, s10
	s_bcnt1_i32_b32 s11, s11
	;; [unrolled: 1-line block ×4, first 2 shown]
	s_add_i32 s27, s17, s10
	s_add_i32 s26, s18, s11
	;; [unrolled: 1-line block ×4, first 2 shown]
	v_mov_b32_e32 v1, s27
	v_mov_b32_e32 v2, s26
	;; [unrolled: 1-line block ×4, first 2 shown]
	s_or_b32 s22, vcc_lo, s22
	s_andn2_b32 exec_lo, exec_lo, s22
	s_cbranch_execnz .LBB33_45
; %bb.46:                               ;   in Loop: Header=BB33_6 Depth=1
	s_or_b32 exec_lo, exec_lo, s22
.LBB33_47:                              ;   in Loop: Header=BB33_6 Depth=1
	s_or_b32 exec_lo, exec_lo, s21
	s_and_saveexec_b32 s14, s8
	s_cbranch_execz .LBB33_53
; %bb.48:                               ;   in Loop: Header=BB33_6 Depth=1
	global_load_dword v32, v[12:13], off
	v_mov_b32_e32 v8, v27
	v_mov_b32_e32 v10, v20
	s_mov_b32 s15, 0
	s_branch .LBB33_50
.LBB33_49:                              ;   in Loop: Header=BB33_50 Depth=2
	s_or_b32 exec_lo, exec_lo, s11
	s_waitcnt vmcnt(0)
	v_xor_b32_e32 v32, 0x80000000, v32
	s_and_b32 s11, exec_lo, vcc_lo
	v_add_nc_u32_e32 v8, s48, v8
	s_or_b32 s15, s11, s15
	v_and_b32_e32 v33, v32, v30
	v_bfe_u32 v32, v32, s75, 2
	v_cmp_eq_u32_e32 vcc_lo, v33, v23
	v_cmp_eq_u32_e64 s10, 0, v32
	v_cmp_eq_u32_e64 s11, 1, v32
	;; [unrolled: 1-line block ×4, first 2 shown]
	s_and_b32 s10, vcc_lo, s10
	v_cndmask_b32_e64 v32, 0, 1, s10
	s_and_b32 s10, vcc_lo, s11
	v_cndmask_b32_e64 v33, 0, 1, s10
	;; [unrolled: 2-line block ×3, first 2 shown]
	s_and_b32 s10, vcc_lo, s13
	v_cmp_ne_u32_e32 vcc_lo, 0, v32
	v_cndmask_b32_e64 v35, 0, 1, s10
	v_cmp_ne_u32_e64 s10, 0, v33
	v_cmp_ne_u32_e64 s11, 0, v34
	v_mov_b32_e32 v32, v16
	s_bcnt1_i32_b32 s13, vcc_lo
	v_cmp_ne_u32_e64 s12, 0, v35
	s_bcnt1_i32_b32 s10, s10
	s_bcnt1_i32_b32 s11, s11
	v_add_nc_u32_e32 v1, s13, v1
	v_add_nc_u32_e32 v2, s10, v2
	s_bcnt1_i32_b32 s12, s12
	v_add_nc_u32_e32 v3, s11, v3
	v_add_nc_u32_e32 v4, s12, v4
	s_andn2_b32 exec_lo, exec_lo, s15
	s_cbranch_execz .LBB33_52
.LBB33_50:                              ;   Parent Loop BB33_6 Depth=1
                                        ; =>  This Inner Loop Header: Depth=2
	v_add_nc_u32_e32 v10, s46, v10
	v_mov_b32_e32 v16, 0
	s_mov_b32 s11, exec_lo
	v_cmp_le_u32_e32 vcc_lo, s36, v10
	v_cmpx_gt_u32_e64 s36, v10
	s_cbranch_execz .LBB33_49
; %bb.51:                               ;   in Loop: Header=BB33_50 Depth=2
	v_lshlrev_b64 v[33:34], 2, v[8:9]
	v_add_co_u32 v33, s10, s31, v33
	v_add_co_ci_u32_e64 v34, null, s33, v34, s10
	global_load_dword v16, v[33:34], off
	s_branch .LBB33_49
.LBB33_52:                              ;   in Loop: Header=BB33_6 Depth=1
	s_or_b32 exec_lo, exec_lo, s15
.LBB33_53:                              ;   in Loop: Header=BB33_6 Depth=1
	s_or_b32 exec_lo, exec_lo, s14
	s_branch .LBB33_35
.LBB33_54:                              ;   in Loop: Header=BB33_6 Depth=1
	s_mul_hi_u32 s10, s82, s64
	v_mov_b32_e32 v1, 0
	s_mul_i32 s10, s10, s55
	v_mov_b32_e32 v2, 0
	s_sub_i32 s10, s82, s10
	v_mov_b32_e32 v3, 0
	s_sub_i32 s11, s10, s55
	s_cmp_ge_u32 s10, s55
	v_mov_b32_e32 v4, 0
	s_cselect_b32 s10, s11, s10
	s_mov_b32 s84, exec_lo
	s_sub_i32 s11, s10, s55
	s_cmp_ge_u32 s10, s55
	s_cselect_b32 s10, s11, s10
	s_sub_i32 s83, s82, s10
	v_cmpx_gt_u32_e64 s83, v19
	s_cbranch_execz .LBB33_58
; %bb.55:                               ;   in Loop: Header=BB33_6 Depth=1
	v_mov_b32_e32 v8, v28
	v_mov_b32_e32 v10, v19
	s_mov_b32 s85, 0
	s_mov_b32 s86, 0
	;; [unrolled: 1-line block ×5, first 2 shown]
.LBB33_56:                              ;   Parent Loop BB33_6 Depth=1
                                        ; =>  This Inner Loop Header: Depth=2
	ds_read_b128 v[1:4], v8
	v_add_nc_u32_e32 v10, s55, v10
	v_add_nc_u32_e32 v8, s69, v8
	v_cmp_le_u32_e32 vcc_lo, s83, v10
	s_waitcnt lgkmcnt(0)
	v_xor_b32_e32 v1, 0x80000000, v1
	v_xor_b32_e32 v2, 0x80000000, v2
	;; [unrolled: 1-line block ×4, first 2 shown]
	v_and_b32_e32 v16, v1, v30
	v_bfe_u32 v1, v1, s75, 2
	v_and_b32_e32 v32, v2, v30
	v_bfe_u32 v2, v2, s75, 2
	;; [unrolled: 2-line block ×3, first 2 shown]
	v_cmp_eq_u32_e64 s10, v16, v23
	v_cmp_eq_u32_e64 s14, 0, v1
	v_and_b32_e32 v34, v4, v30
	v_bfe_u32 v4, v4, s75, 2
	v_cmp_eq_u32_e64 s11, v32, v23
	v_cmp_eq_u32_e64 s15, 0, v2
	;; [unrolled: 1-line block ×4, first 2 shown]
	s_and_b32 s14, s10, s14
	v_cmp_eq_u32_e64 s13, v34, v23
	v_cmp_eq_u32_e64 s17, 0, v4
	;; [unrolled: 1-line block ×5, first 2 shown]
	v_cndmask_b32_e64 v1, 0, 1, s14
	s_and_b32 s14, s11, s15
	v_cmp_eq_u32_e64 s19, 1, v2
	v_cmp_eq_u32_e64 s23, 2, v2
	v_cmp_eq_u32_e64 s27, 3, v2
	v_cndmask_b32_e64 v2, 0, 1, s14
	s_and_b32 s14, s12, s16
	v_cmp_eq_u32_e64 s20, 1, v3
	v_cmp_eq_u32_e64 s24, 2, v3
	v_cmp_eq_u32_e64 s28, 3, v3
	;; [unrolled: 5-line block ×3, first 2 shown]
	v_cndmask_b32_e64 v4, 0, 1, s14
	s_and_b32 s14, s10, s18
	v_cndmask_b32_e64 v16, 0, 1, s14
	s_and_b32 s14, s11, s19
	;; [unrolled: 2-line block ×4, first 2 shown]
	v_cmp_ne_u32_e64 s15, 0, v32
	v_cndmask_b32_e64 v34, 0, 1, s14
	s_and_b32 s14, s10, s22
	s_and_b32 s10, s10, s26
	v_cndmask_b32_e64 v35, 0, 1, s14
	s_and_b32 s14, s11, s23
	v_cndmask_b32_e64 v39, 0, 1, s10
	;; [unrolled: 2-line block ×7, first 2 shown]
	v_cndmask_b32_e64 v42, 0, 1, s10
	v_cmp_ne_u32_e64 s10, 0, v1
	v_cmp_ne_u32_e64 s14, 0, v16
	;; [unrolled: 1-line block ×11, first 2 shown]
	s_bcnt1_i32_b32 s10, s10
	s_bcnt1_i32_b32 s14, s14
	;; [unrolled: 1-line block ×4, first 2 shown]
	v_cmp_ne_u32_e64 s13, 0, v4
	v_cmp_ne_u32_e64 s17, 0, v34
	;; [unrolled: 1-line block ×4, first 2 shown]
	s_bcnt1_i32_b32 s11, s11
	s_bcnt1_i32_b32 s15, s15
	s_bcnt1_i32_b32 s19, s19
	s_bcnt1_i32_b32 s23, s23
	s_add_i32 s10, s10, s89
	s_add_i32 s14, s14, s88
	s_add_i32 s18, s18, s87
	s_add_i32 s22, s22, s86
	s_bcnt1_i32_b32 s12, s12
	s_bcnt1_i32_b32 s16, s16
	s_bcnt1_i32_b32 s20, s20
	s_bcnt1_i32_b32 s24, s24
	s_add_i32 s10, s10, s11
	s_add_i32 s11, s14, s15
	s_add_i32 s14, s18, s19
	s_add_i32 s15, s22, s23
	;; [unrolled: 8-line block ×3, first 2 shown]
	s_add_i32 s89, s10, s13
	s_add_i32 s88, s11, s17
	;; [unrolled: 1-line block ×4, first 2 shown]
	v_mov_b32_e32 v1, s89
	v_mov_b32_e32 v2, s88
	v_mov_b32_e32 v3, s87
	v_mov_b32_e32 v4, s86
	s_or_b32 s85, vcc_lo, s85
	s_andn2_b32 exec_lo, exec_lo, s85
	s_cbranch_execnz .LBB33_56
; %bb.57:                               ;   in Loop: Header=BB33_6 Depth=1
	s_or_b32 exec_lo, exec_lo, s85
.LBB33_58:                              ;   in Loop: Header=BB33_6 Depth=1
	s_or_b32 exec_lo, exec_lo, s84
	v_add_nc_u32_e32 v8, s83, v0
	s_mov_b32 s15, exec_lo
	v_cmpx_gt_u32_e64 s82, v8
	s_cbranch_execz .LBB33_62
; %bb.59:                               ;   in Loop: Header=BB33_6 Depth=1
	v_lshlrev_b32_e32 v10, 2, v8
	s_mov_b32 s16, 0
.LBB33_60:                              ;   Parent Loop BB33_6 Depth=1
                                        ; =>  This Inner Loop Header: Depth=2
	ds_read_b32 v16, v10
	v_add_nc_u32_e32 v8, s46, v8
	v_add_nc_u32_e32 v10, s55, v10
	v_cmp_le_u32_e32 vcc_lo, s82, v8
	s_waitcnt lgkmcnt(0)
	v_xor_b32_e32 v16, 0x80000000, v16
	v_and_b32_e32 v32, v16, v30
	v_bfe_u32 v16, v16, s75, 2
	v_cmp_eq_u32_e64 s10, v32, v23
	v_cmp_eq_u32_e64 s11, 0, v16
	;; [unrolled: 1-line block ×5, first 2 shown]
	s_and_b32 s11, s10, s11
	v_cndmask_b32_e64 v16, 0, 1, s11
	s_and_b32 s11, s10, s12
	v_cndmask_b32_e64 v32, 0, 1, s11
	s_and_b32 s11, s10, s13
	s_and_b32 s10, s10, s14
	v_cndmask_b32_e64 v33, 0, 1, s11
	v_cndmask_b32_e64 v34, 0, 1, s10
	v_cmp_ne_u32_e64 s10, 0, v16
	v_cmp_ne_u32_e64 s11, 0, v32
	;; [unrolled: 1-line block ×4, first 2 shown]
	s_bcnt1_i32_b32 s10, s10
	s_bcnt1_i32_b32 s11, s11
	v_add_nc_u32_e32 v1, s10, v1
	s_bcnt1_i32_b32 s12, s12
	s_bcnt1_i32_b32 s13, s13
	v_add_nc_u32_e32 v2, s11, v2
	v_add_nc_u32_e32 v3, s12, v3
	;; [unrolled: 1-line block ×3, first 2 shown]
	s_or_b32 s16, vcc_lo, s16
	s_andn2_b32 exec_lo, exec_lo, s16
	s_cbranch_execnz .LBB33_60
; %bb.61:                               ;   in Loop: Header=BB33_6 Depth=1
	s_or_b32 exec_lo, exec_lo, s16
.LBB33_62:                              ;   in Loop: Header=BB33_6 Depth=1
	s_or_b32 exec_lo, exec_lo, s15
	s_lshl_b32 s10, s71, 7
	s_and_saveexec_b32 s11, s0
	s_cbranch_execnz .LBB33_36
	s_branch .LBB33_37
.LBB33_63:                              ;   in Loop: Header=BB33_6 Depth=1
	v_mov_b32_e32 v1, 0
	s_mov_b32 s12, 0
	s_andn2_b32 vcc_lo, exec_lo, s63
	s_cbranch_vccnz .LBB33_66
.LBB33_64:                              ;   in Loop: Header=BB33_6 Depth=1
	s_lshl_b32 s13, s71, 9
	s_lshl_b32 s12, s12, 4
	v_add3_u32 v2, s13, s12, v29
	s_mov_b32 s12, s61
.LBB33_65:                              ;   Parent Loop BB33_6 Depth=1
                                        ; =>  This Inner Loop Header: Depth=2
	ds_read_b32 v3, v2
	v_add_nc_u32_e32 v2, 16, v2
	s_add_i32 s12, s12, -1
	s_cmp_lg_u32 s12, 0
	s_waitcnt lgkmcnt(0)
	v_add_nc_u32_e32 v1, v3, v1
	s_cbranch_scc1 .LBB33_65
.LBB33_66:                              ;   in Loop: Header=BB33_6 Depth=1
	v_add_lshl_u32 v2, s10, v18, 2
	ds_write_b32 v2, v1 offset:3072
.LBB33_67:                              ;   in Loop: Header=BB33_6 Depth=1
	s_or_b32 exec_lo, exec_lo, s11
	s_lshl_b32 s10, s10, 2
	s_waitcnt lgkmcnt(0)
	v_mov_b32_e32 v1, s10
	s_barrier
	buffer_gl0_inv
	v_cmp_eq_u32_e64 s10, 1, v31
	s_lshl_b32 s14, 3, s75
	ds_read_b128 v[1:4], v1 offset:3072
	s_mov_b32 s22, -1
	s_not_b32 s15, s14
	s_mov_b32 s12, 0
	s_andn2_b32 vcc_lo, exec_lo, s54
	s_mov_b32 s19, 0
	s_mov_b32 s11, 0
                                        ; implicit-def: $sgpr20
                                        ; implicit-def: $sgpr21
                                        ; implicit-def: $vgpr32
                                        ; implicit-def: $vgpr10
	s_waitcnt lgkmcnt(0)
	v_readfirstlane_b32 s13, v1
	v_readfirstlane_b32 s16, v2
	;; [unrolled: 1-line block ×4, first 2 shown]
                                        ; implicit-def: $vgpr3
                                        ; implicit-def: $vgpr4
                                        ; implicit-def: $vgpr2
	s_cbranch_vccnz .LBB33_228
; %bb.68:                               ;   in Loop: Header=BB33_6 Depth=1
	s_cmp_eq_u32 s13, 1
	v_mov_b32_e32 v4, v23
	v_mov_b32_e32 v10, v30
	;; [unrolled: 1-line block ×3, first 2 shown]
	s_cselect_b32 s11, -1, 0
	s_mov_b32 s25, -1
	s_and_b32 s24, s11, s10
                                        ; implicit-def: $sgpr21
                                        ; implicit-def: $sgpr20
	s_and_saveexec_b32 s11, s24
	s_cbranch_execz .LBB33_97
; %bb.69:                               ;   in Loop: Header=BB33_6 Depth=1
	ds_read_b32 v1, v9 offset:4096
	s_waitcnt lgkmcnt(0)
	s_barrier
	buffer_gl0_inv
	v_readfirstlane_b32 s22, v1
	s_and_saveexec_b32 s19, s6
; %bb.70:                               ;   in Loop: Header=BB33_6 Depth=1
	ds_write_b32 v21, v9
; %bb.71:                               ;   in Loop: Header=BB33_6 Depth=1
	s_or_b32 exec_lo, exec_lo, s19
	v_and_b32_e32 v4, s15, v23
	v_or_b32_e32 v10, s14, v30
	s_mov_b32 s20, -1
	s_mov_b32 s21, 0
	s_cmp_eq_u32 s22, 0
	s_mov_b32 s19, 0
	s_mov_b32 s23, -1
	s_waitcnt lgkmcnt(0)
	s_barrier
	buffer_gl0_inv
                                        ; implicit-def: $vgpr2
	s_cbranch_scc1 .LBB33_85
; %bb.72:                               ;   in Loop: Header=BB33_6 Depth=1
	s_add_i32 s19, s22, s60
                                        ; implicit-def: $vgpr2
	s_mul_hi_u32 s23, s19, s66
	s_mul_i32 s23, s23, s46
	s_sub_i32 s23, s19, s23
	s_sub_i32 s25, s23, s46
	s_cmp_ge_u32 s23, s46
	s_cselect_b32 s23, s25, s23
	s_sub_i32 s25, s23, s46
	s_cmp_ge_u32 s23, s46
	s_cselect_b32 s23, s25, s23
	s_mov_b32 s25, exec_lo
	s_sub_i32 s26, s19, s23
	s_mov_b32 s23, 0
	s_mov_b32 s19, 0
	v_cmpx_gt_u32_e64 s26, v0
	s_cbranch_execz .LBB33_84
; %bb.73:                               ;   in Loop: Header=BB33_6 Depth=1
	v_mov_b32_e32 v3, v19
	v_mov_b32_e32 v8, v0
                                        ; implicit-def: $sgpr27
	s_inst_prefetch 0x1
	s_branch .LBB33_76
	.p2align	6
.LBB33_74:                              ;   in Loop: Header=BB33_76 Depth=2
	s_or_b32 exec_lo, exec_lo, s28
	s_waitcnt lgkmcnt(0)
	s_barrier
	buffer_gl0_inv
	ds_read_b64 v[1:2], v9 offset:3072
	s_mov_b32 s28, -1
	s_mov_b32 s29, -1
	s_waitcnt lgkmcnt(0)
	s_barrier
	buffer_gl0_inv
	v_cmp_ne_u32_e32 vcc_lo, 0, v1
	s_cbranch_vccz .LBB33_79
.LBB33_75:                              ;   in Loop: Header=BB33_76 Depth=2
	s_and_b32 s28, exec_lo, s28
	s_or_b32 s19, s28, s19
	s_andn2_b32 s27, s27, exec_lo
	s_and_b32 s28, s29, exec_lo
	s_or_b32 s27, s27, s28
	s_andn2_b32 exec_lo, exec_lo, s19
	s_cbranch_execz .LBB33_83
.LBB33_76:                              ;   Parent Loop BB33_6 Depth=1
                                        ; =>  This Inner Loop Header: Depth=2
	s_mov_b32 s28, exec_lo
	v_cmpx_gt_u32_e64 s22, v8
	s_cbranch_execz .LBB33_74
; %bb.77:                               ;   in Loop: Header=BB33_76 Depth=2
	ds_read_b32 v16, v3
	s_waitcnt lgkmcnt(0)
	v_xor_b32_e32 v1, 0x80000000, v16
	v_and_b32_e32 v1, v1, v10
	v_cmp_eq_u32_e32 vcc_lo, v1, v4
	s_and_b32 exec_lo, exec_lo, vcc_lo
	s_cbranch_execz .LBB33_74
; %bb.78:                               ;   in Loop: Header=BB33_76 Depth=2
	ds_write_b64 v9, v[15:16] offset:3072
	s_branch .LBB33_74
	.p2align	6
.LBB33_79:                              ;   in Loop: Header=BB33_76 Depth=2
	v_add_nc_u32_e32 v8, s46, v8
	v_add_nc_u32_e32 v3, s55, v3
	s_mov_b32 s29, 0
	v_cmp_le_u32_e32 vcc_lo, s26, v8
	s_orn2_b32 s28, vcc_lo, exec_lo
	s_branch .LBB33_75
.LBB33_80:                              ;   in Loop: Header=BB33_6 Depth=1
	s_or_b32 exec_lo, exec_lo, s13
	s_waitcnt lgkmcnt(0)
	s_barrier
	buffer_gl0_inv
	s_and_saveexec_b32 s10, s3
	s_cbranch_execz .LBB33_82
; %bb.81:                               ;   in Loop: Header=BB33_6 Depth=1
	ds_read_b32 v1, v9 offset:4104
	s_waitcnt lgkmcnt(0)
	ds_write_b32 v9, v1 offset:4096
.LBB33_82:                              ;   in Loop: Header=BB33_6 Depth=1
	s_or_b32 exec_lo, exec_lo, s10
	s_waitcnt lgkmcnt(0)
	s_mov_b32 s10, -1
	s_barrier
	s_and_b32 vcc_lo, exec_lo, s12
	s_cbranch_vccnz .LBB33_22
	s_branch .LBB33_31
.LBB33_83:                              ;   in Loop: Header=BB33_6 Depth=1
	s_inst_prefetch 0x2
	s_or_b32 exec_lo, exec_lo, s19
	s_and_b32 s19, s27, exec_lo
.LBB33_84:                              ;   in Loop: Header=BB33_6 Depth=1
	s_or_b32 exec_lo, exec_lo, s25
.LBB33_85:                              ;   in Loop: Header=BB33_6 Depth=1
	s_and_b32 vcc_lo, exec_lo, s23
	s_cbranch_vccz .LBB33_96
; %bb.86:                               ;   in Loop: Header=BB33_6 Depth=1
                                        ; implicit-def: $vgpr2
	s_and_saveexec_b32 s20, s9
	s_cbranch_execz .LBB33_95
; %bb.87:                               ;   in Loop: Header=BB33_6 Depth=1
	v_mov_b32_e32 v8, v7
	v_mov_b32_e32 v3, v0
	s_mov_b32 s21, 0
                                        ; implicit-def: $sgpr22
	s_inst_prefetch 0x1
	s_branch .LBB33_90
	.p2align	6
.LBB33_88:                              ;   in Loop: Header=BB33_90 Depth=2
	s_or_b32 exec_lo, exec_lo, s23
	s_waitcnt lgkmcnt(0)
	s_barrier
	buffer_gl0_inv
	ds_read_b64 v[1:2], v9 offset:3072
	s_mov_b32 s23, -1
	s_mov_b32 s25, -1
	s_waitcnt lgkmcnt(0)
	s_barrier
	buffer_gl0_inv
	v_cmp_ne_u32_e32 vcc_lo, 0, v1
	s_cbranch_vccz .LBB33_93
.LBB33_89:                              ;   in Loop: Header=BB33_90 Depth=2
	s_and_b32 s23, exec_lo, s23
	s_or_b32 s21, s23, s21
	s_andn2_b32 s22, s22, exec_lo
	s_and_b32 s23, s25, exec_lo
	s_or_b32 s22, s22, s23
	s_andn2_b32 exec_lo, exec_lo, s21
	s_cbranch_execz .LBB33_94
.LBB33_90:                              ;   Parent Loop BB33_6 Depth=1
                                        ; =>  This Inner Loop Header: Depth=2
	s_mov_b32 s23, exec_lo
	v_cmpx_gt_u32_e64 s36, v3
	s_cbranch_execz .LBB33_88
; %bb.91:                               ;   in Loop: Header=BB33_90 Depth=2
	v_lshlrev_b64 v[1:2], 2, v[8:9]
	v_add_co_u32 v1, vcc_lo, s31, v1
	v_add_co_ci_u32_e64 v2, null, s33, v2, vcc_lo
	global_load_dword v16, v[1:2], off
	s_waitcnt vmcnt(0)
	v_xor_b32_e32 v1, 0x80000000, v16
	v_and_b32_e32 v1, v1, v10
	v_cmp_eq_u32_e32 vcc_lo, v1, v4
	s_and_b32 exec_lo, exec_lo, vcc_lo
	s_cbranch_execz .LBB33_88
; %bb.92:                               ;   in Loop: Header=BB33_90 Depth=2
	ds_write_b64 v9, v[15:16] offset:3072
	s_branch .LBB33_88
.LBB33_93:                              ;   in Loop: Header=BB33_90 Depth=2
	v_add_nc_u32_e32 v3, s46, v3
	v_add_nc_u32_e32 v8, s48, v8
	s_mov_b32 s25, 0
	v_cmp_le_u32_e32 vcc_lo, s67, v3
	s_orn2_b32 s23, vcc_lo, exec_lo
	s_branch .LBB33_89
.LBB33_94:                              ;   in Loop: Header=BB33_6 Depth=1
	s_inst_prefetch 0x2
	s_or_b32 exec_lo, exec_lo, s21
	s_andn2_b32 s19, s19, exec_lo
	s_and_b32 s21, s22, exec_lo
	s_or_b32 s19, s19, s21
.LBB33_95:                              ;   in Loop: Header=BB33_6 Depth=1
	s_or_b32 exec_lo, exec_lo, s20
	s_mov_b32 s20, 0
	s_mov_b32 s21, -1
.LBB33_96:                              ;   in Loop: Header=BB33_6 Depth=1
	s_orn2_b32 s25, s19, exec_lo
.LBB33_97:                              ;   in Loop: Header=BB33_6 Depth=1
	s_or_b32 exec_lo, exec_lo, s11
	s_mov_b32 s22, 0
	s_mov_b32 s19, 0
	;; [unrolled: 1-line block ×3, first 2 shown]
                                        ; implicit-def: $vgpr32
                                        ; implicit-def: $vgpr3
	s_and_saveexec_b32 s23, s25
	s_cbranch_execz .LBB33_227
; %bb.98:                               ;   in Loop: Header=BB33_6 Depth=1
	v_mov_b32_e32 v32, 1
	v_mov_b32_e32 v3, 1
	s_xor_b32 s19, s24, -1
	s_mov_b32 s26, 0
	s_and_saveexec_b32 s11, s19
	s_cbranch_execz .LBB33_107
; %bb.99:                               ;   in Loop: Header=BB33_6 Depth=1
	s_mov_b32 s19, exec_lo
	v_cmpx_ge_u32_e64 s13, v31
	s_xor_b32 s19, exec_lo, s19
	s_cbranch_execz .LBB33_104
; %bb.100:                              ;   in Loop: Header=BB33_6 Depth=1
	ds_read_b32 v1, v9 offset:4096
	v_and_b32_e32 v4, s15, v4
	v_or_b32_e32 v10, s14, v10
	s_waitcnt lgkmcnt(0)
	v_cmp_ne_u32_e32 vcc_lo, 0, v1
	s_cbranch_vccnz .LBB33_104
; %bb.101:                              ;   in Loop: Header=BB33_6 Depth=1
	s_and_saveexec_b32 s24, s3
; %bb.102:                              ;   in Loop: Header=BB33_6 Depth=1
	v_mov_b32_e32 v1, s13
	ds_write_b32 v9, v1 offset:4100
; %bb.103:                              ;   in Loop: Header=BB33_6 Depth=1
	s_or_b32 exec_lo, exec_lo, s24
	s_waitcnt lgkmcnt(0)
	s_barrier
	buffer_gl0_inv
.LBB33_104:                             ;   in Loop: Header=BB33_6 Depth=1
	s_or_saveexec_b32 s19, s19
	v_mov_b32_e32 v3, 8
	v_mov_b32_e32 v32, v31
	s_mov_b32 s24, 0
	s_xor_b32 exec_lo, exec_lo, s19
; %bb.105:                              ;   in Loop: Header=BB33_6 Depth=1
	v_subrev_nc_u32_e32 v32, s13, v31
	v_mov_b32_e32 v3, 0
	s_mov_b32 s24, exec_lo
; %bb.106:                              ;   in Loop: Header=BB33_6 Depth=1
	s_or_b32 exec_lo, exec_lo, s19
	s_and_b32 s26, s24, exec_lo
.LBB33_107:                             ;   in Loop: Header=BB33_6 Depth=1
	s_or_b32 exec_lo, exec_lo, s11
	s_mov_b32 s25, -1
                                        ; implicit-def: $sgpr19
                                        ; implicit-def: $sgpr24
	s_and_saveexec_b32 s11, s26
	s_xor_b32 s11, exec_lo, s11
	s_cbranch_execz .LBB33_224
; %bb.108:                              ;   in Loop: Header=BB33_6 Depth=1
	v_cmp_eq_u32_e32 vcc_lo, 1, v32
	s_cmp_eq_u32 s16, 1
	s_mov_b32 s27, -1
	s_cselect_b32 s19, -1, 0
                                        ; implicit-def: $sgpr24
	s_and_b32 s26, s19, vcc_lo
                                        ; implicit-def: $sgpr19
	s_and_saveexec_b32 s25, s26
	s_cbranch_execz .LBB33_134
; %bb.109:                              ;   in Loop: Header=BB33_6 Depth=1
	ds_read_b32 v1, v9 offset:4096
	s_waitcnt lgkmcnt(0)
	s_barrier
	buffer_gl0_inv
	v_readfirstlane_b32 s28, v1
	s_and_saveexec_b32 s19, s6
; %bb.110:                              ;   in Loop: Header=BB33_6 Depth=1
	ds_write_b32 v21, v9
; %bb.111:                              ;   in Loop: Header=BB33_6 Depth=1
	s_or_b32 exec_lo, exec_lo, s19
	s_lshl_b32 s19, 1, s75
	v_or_b32_e32 v10, s14, v10
	v_and_or_b32 v4, v4, s15, s19
	s_mov_b32 s19, -1
	s_mov_b32 s24, 0
	s_cmp_eq_u32 s28, 0
	s_mov_b32 s27, 0
	s_mov_b32 s29, -1
	s_waitcnt lgkmcnt(0)
	s_barrier
	buffer_gl0_inv
                                        ; implicit-def: $vgpr2
	s_cbranch_scc1 .LBB33_122
; %bb.112:                              ;   in Loop: Header=BB33_6 Depth=1
	s_add_i32 s27, s28, s60
                                        ; implicit-def: $vgpr2
	s_mul_hi_u32 s29, s27, s66
	s_mul_i32 s29, s29, s46
	s_sub_i32 s29, s27, s29
	s_sub_i32 s82, s29, s46
	s_cmp_ge_u32 s29, s46
	s_cselect_b32 s29, s82, s29
	s_sub_i32 s82, s29, s46
	s_cmp_ge_u32 s29, s46
	s_cselect_b32 s29, s82, s29
	s_mov_b32 s82, exec_lo
	s_sub_i32 s83, s27, s29
	s_mov_b32 s29, 0
	s_mov_b32 s27, 0
	v_cmpx_gt_u32_e64 s83, v0
	s_cbranch_execz .LBB33_121
; %bb.113:                              ;   in Loop: Header=BB33_6 Depth=1
	v_mov_b32_e32 v8, v19
	v_mov_b32_e32 v33, v0
                                        ; implicit-def: $sgpr84
	s_inst_prefetch 0x1
	s_branch .LBB33_116
	.p2align	6
.LBB33_114:                             ;   in Loop: Header=BB33_116 Depth=2
	s_or_b32 exec_lo, exec_lo, s85
	s_waitcnt lgkmcnt(0)
	s_barrier
	buffer_gl0_inv
	ds_read_b64 v[1:2], v9 offset:3072
	s_mov_b32 s85, -1
	s_mov_b32 s86, -1
	s_waitcnt lgkmcnt(0)
	s_barrier
	buffer_gl0_inv
	v_cmp_ne_u32_e32 vcc_lo, 0, v1
	s_cbranch_vccz .LBB33_119
.LBB33_115:                             ;   in Loop: Header=BB33_116 Depth=2
	s_and_b32 s85, exec_lo, s85
	s_or_b32 s27, s85, s27
	s_andn2_b32 s84, s84, exec_lo
	s_and_b32 s85, s86, exec_lo
	s_or_b32 s84, s84, s85
	s_andn2_b32 exec_lo, exec_lo, s27
	s_cbranch_execz .LBB33_120
.LBB33_116:                             ;   Parent Loop BB33_6 Depth=1
                                        ; =>  This Inner Loop Header: Depth=2
	s_mov_b32 s85, exec_lo
	v_cmpx_gt_u32_e64 s28, v33
	s_cbranch_execz .LBB33_114
; %bb.117:                              ;   in Loop: Header=BB33_116 Depth=2
	ds_read_b32 v16, v8
	s_waitcnt lgkmcnt(0)
	v_xor_b32_e32 v1, 0x80000000, v16
	v_and_b32_e32 v1, v1, v10
	v_cmp_eq_u32_e32 vcc_lo, v1, v4
	s_and_b32 exec_lo, exec_lo, vcc_lo
	s_cbranch_execz .LBB33_114
; %bb.118:                              ;   in Loop: Header=BB33_116 Depth=2
	ds_write_b64 v9, v[15:16] offset:3072
	s_branch .LBB33_114
	.p2align	6
.LBB33_119:                             ;   in Loop: Header=BB33_116 Depth=2
	v_add_nc_u32_e32 v33, s46, v33
	v_add_nc_u32_e32 v8, s55, v8
	s_mov_b32 s86, 0
	v_cmp_le_u32_e32 vcc_lo, s83, v33
	s_orn2_b32 s85, vcc_lo, exec_lo
	s_branch .LBB33_115
.LBB33_120:                             ;   in Loop: Header=BB33_6 Depth=1
	s_inst_prefetch 0x2
	s_or_b32 exec_lo, exec_lo, s27
	s_and_b32 s27, s84, exec_lo
.LBB33_121:                             ;   in Loop: Header=BB33_6 Depth=1
	s_or_b32 exec_lo, exec_lo, s82
.LBB33_122:                             ;   in Loop: Header=BB33_6 Depth=1
	s_and_b32 vcc_lo, exec_lo, s29
	s_cbranch_vccz .LBB33_133
; %bb.123:                              ;   in Loop: Header=BB33_6 Depth=1
                                        ; implicit-def: $vgpr2
	s_and_saveexec_b32 s19, s9
	s_cbranch_execz .LBB33_132
; %bb.124:                              ;   in Loop: Header=BB33_6 Depth=1
	v_mov_b32_e32 v8, v7
	v_mov_b32_e32 v33, v0
	s_mov_b32 s24, 0
                                        ; implicit-def: $sgpr28
	s_inst_prefetch 0x1
	s_branch .LBB33_127
	.p2align	6
.LBB33_125:                             ;   in Loop: Header=BB33_127 Depth=2
	s_or_b32 exec_lo, exec_lo, s29
	s_waitcnt lgkmcnt(0)
	s_barrier
	buffer_gl0_inv
	ds_read_b64 v[1:2], v9 offset:3072
	s_mov_b32 s29, -1
	s_mov_b32 s82, -1
	s_waitcnt lgkmcnt(0)
	s_barrier
	buffer_gl0_inv
	v_cmp_eq_u32_e32 vcc_lo, 0, v1
	s_cbranch_vccnz .LBB33_130
.LBB33_126:                             ;   in Loop: Header=BB33_127 Depth=2
	s_and_b32 s29, exec_lo, s29
	s_or_b32 s24, s29, s24
	s_andn2_b32 s28, s28, exec_lo
	s_and_b32 s29, s82, exec_lo
	s_or_b32 s28, s28, s29
	s_andn2_b32 exec_lo, exec_lo, s24
	s_cbranch_execz .LBB33_131
.LBB33_127:                             ;   Parent Loop BB33_6 Depth=1
                                        ; =>  This Inner Loop Header: Depth=2
	s_mov_b32 s29, exec_lo
	v_cmpx_gt_u32_e64 s36, v33
	s_cbranch_execz .LBB33_125
; %bb.128:                              ;   in Loop: Header=BB33_127 Depth=2
	v_lshlrev_b64 v[1:2], 2, v[8:9]
	v_add_co_u32 v1, vcc_lo, s31, v1
	v_add_co_ci_u32_e64 v2, null, s33, v2, vcc_lo
	global_load_dword v16, v[1:2], off
	s_waitcnt vmcnt(0)
	v_xor_b32_e32 v1, 0x80000000, v16
	v_and_b32_e32 v1, v1, v10
	v_cmp_eq_u32_e32 vcc_lo, v1, v4
	s_and_b32 exec_lo, exec_lo, vcc_lo
	s_cbranch_execz .LBB33_125
; %bb.129:                              ;   in Loop: Header=BB33_127 Depth=2
	ds_write_b64 v9, v[15:16] offset:3072
	s_branch .LBB33_125
.LBB33_130:                             ;   in Loop: Header=BB33_127 Depth=2
	v_add_nc_u32_e32 v33, s46, v33
	v_add_nc_u32_e32 v8, s48, v8
	s_mov_b32 s82, 0
	v_cmp_le_u32_e32 vcc_lo, s67, v33
	s_orn2_b32 s29, vcc_lo, exec_lo
	s_branch .LBB33_126
.LBB33_131:                             ;   in Loop: Header=BB33_6 Depth=1
	s_inst_prefetch 0x2
	s_or_b32 exec_lo, exec_lo, s24
	s_andn2_b32 s24, s27, exec_lo
	s_and_b32 s27, s28, exec_lo
	s_or_b32 s27, s24, s27
.LBB33_132:                             ;   in Loop: Header=BB33_6 Depth=1
	s_or_b32 exec_lo, exec_lo, s19
	s_mov_b32 s19, 0
	s_mov_b32 s24, -1
.LBB33_133:                             ;   in Loop: Header=BB33_6 Depth=1
	s_orn2_b32 s27, s27, exec_lo
.LBB33_134:                             ;   in Loop: Header=BB33_6 Depth=1
	s_or_b32 exec_lo, exec_lo, s25
	s_mov_b32 s28, 0
	s_and_saveexec_b32 s25, s27
	s_cbranch_execz .LBB33_223
; %bb.135:                              ;   in Loop: Header=BB33_6 Depth=1
	v_mov_b32_e32 v33, 1
	v_mov_b32_e32 v3, 1
	s_xor_b32 s27, s26, -1
	s_mov_b32 s82, 0
	s_and_saveexec_b32 s26, s27
	s_cbranch_execz .LBB33_144
; %bb.136:                              ;   in Loop: Header=BB33_6 Depth=1
	s_mov_b32 s27, exec_lo
	v_cmpx_ge_u32_e64 s16, v32
	s_xor_b32 s27, exec_lo, s27
	s_cbranch_execz .LBB33_141
; %bb.137:                              ;   in Loop: Header=BB33_6 Depth=1
	ds_read_b32 v1, v9 offset:4096
	s_lshl_b32 s28, 1, s75
	v_or_b32_e32 v10, s14, v10
	v_and_or_b32 v4, v4, s15, s28
	s_waitcnt lgkmcnt(0)
	v_cmp_ne_u32_e32 vcc_lo, 0, v1
	s_cbranch_vccnz .LBB33_141
; %bb.138:                              ;   in Loop: Header=BB33_6 Depth=1
	s_and_saveexec_b32 s28, s3
; %bb.139:                              ;   in Loop: Header=BB33_6 Depth=1
	v_mov_b32_e32 v1, s16
	ds_write_b32 v9, v1 offset:4100
; %bb.140:                              ;   in Loop: Header=BB33_6 Depth=1
	s_or_b32 exec_lo, exec_lo, s28
	s_waitcnt lgkmcnt(0)
	s_barrier
	buffer_gl0_inv
.LBB33_141:                             ;   in Loop: Header=BB33_6 Depth=1
	s_or_saveexec_b32 s27, s27
	v_mov_b32_e32 v3, 8
	s_mov_b32 s28, 0
	s_xor_b32 exec_lo, exec_lo, s27
; %bb.142:                              ;   in Loop: Header=BB33_6 Depth=1
	v_subrev_nc_u32_e32 v32, s16, v32
	v_mov_b32_e32 v3, 0
	s_mov_b32 s28, exec_lo
; %bb.143:                              ;   in Loop: Header=BB33_6 Depth=1
	s_or_b32 exec_lo, exec_lo, s27
	v_mov_b32_e32 v33, v32
	s_and_b32 s82, s28, exec_lo
.LBB33_144:                             ;   in Loop: Header=BB33_6 Depth=1
	s_or_b32 exec_lo, exec_lo, s26
	s_mov_b32 s29, -1
                                        ; implicit-def: $sgpr27
                                        ; implicit-def: $sgpr28
	s_and_saveexec_b32 s26, s82
	s_cbranch_execz .LBB33_222
; %bb.145:                              ;   in Loop: Header=BB33_6 Depth=1
	v_cmp_eq_u32_e32 vcc_lo, 1, v33
	s_cmp_eq_u32 s17, 1
	s_mov_b32 s83, -1
	s_cselect_b32 s27, -1, 0
                                        ; implicit-def: $sgpr28
	s_and_b32 s82, s27, vcc_lo
                                        ; implicit-def: $sgpr27
	s_and_saveexec_b32 s29, s82
	s_cbranch_execz .LBB33_171
; %bb.146:                              ;   in Loop: Header=BB33_6 Depth=1
	ds_read_b32 v1, v9 offset:4096
	s_waitcnt lgkmcnt(0)
	s_barrier
	buffer_gl0_inv
	v_readfirstlane_b32 s84, v1
	s_and_saveexec_b32 s27, s6
; %bb.147:                              ;   in Loop: Header=BB33_6 Depth=1
	ds_write_b32 v21, v9
; %bb.148:                              ;   in Loop: Header=BB33_6 Depth=1
	s_or_b32 exec_lo, exec_lo, s27
	s_lshl_b32 s27, 2, s75
	v_or_b32_e32 v10, s14, v10
	v_and_or_b32 v4, v4, s15, s27
	s_mov_b32 s27, -1
	s_mov_b32 s28, 0
	s_cmp_eq_u32 s84, 0
	s_mov_b32 s83, 0
	s_mov_b32 s85, -1
	s_waitcnt lgkmcnt(0)
	s_barrier
	buffer_gl0_inv
                                        ; implicit-def: $vgpr2
	s_cbranch_scc1 .LBB33_159
; %bb.149:                              ;   in Loop: Header=BB33_6 Depth=1
	s_add_i32 s83, s84, s60
                                        ; implicit-def: $vgpr2
	s_mul_hi_u32 s85, s83, s66
	s_mul_i32 s85, s85, s46
	s_sub_i32 s85, s83, s85
	s_sub_i32 s86, s85, s46
	s_cmp_ge_u32 s85, s46
	s_cselect_b32 s85, s86, s85
	s_sub_i32 s86, s85, s46
	s_cmp_ge_u32 s85, s46
	s_cselect_b32 s85, s86, s85
	s_mov_b32 s86, exec_lo
	s_sub_i32 s87, s83, s85
	s_mov_b32 s85, 0
	s_mov_b32 s83, 0
	v_cmpx_gt_u32_e64 s87, v0
	s_cbranch_execz .LBB33_158
; %bb.150:                              ;   in Loop: Header=BB33_6 Depth=1
	v_mov_b32_e32 v8, v19
	v_mov_b32_e32 v32, v0
                                        ; implicit-def: $sgpr88
	s_inst_prefetch 0x1
	s_branch .LBB33_153
	.p2align	6
.LBB33_151:                             ;   in Loop: Header=BB33_153 Depth=2
	s_or_b32 exec_lo, exec_lo, s89
	s_waitcnt lgkmcnt(0)
	s_barrier
	buffer_gl0_inv
	ds_read_b64 v[1:2], v9 offset:3072
	s_mov_b32 s89, -1
	s_mov_b32 s90, -1
	s_waitcnt lgkmcnt(0)
	s_barrier
	buffer_gl0_inv
	v_cmp_ne_u32_e32 vcc_lo, 0, v1
	s_cbranch_vccz .LBB33_156
.LBB33_152:                             ;   in Loop: Header=BB33_153 Depth=2
	s_and_b32 s89, exec_lo, s89
	s_or_b32 s83, s89, s83
	s_andn2_b32 s88, s88, exec_lo
	s_and_b32 s89, s90, exec_lo
	s_or_b32 s88, s88, s89
	s_andn2_b32 exec_lo, exec_lo, s83
	s_cbranch_execz .LBB33_157
.LBB33_153:                             ;   Parent Loop BB33_6 Depth=1
                                        ; =>  This Inner Loop Header: Depth=2
	s_mov_b32 s89, exec_lo
	v_cmpx_gt_u32_e64 s84, v32
	s_cbranch_execz .LBB33_151
; %bb.154:                              ;   in Loop: Header=BB33_153 Depth=2
	ds_read_b32 v16, v8
	s_waitcnt lgkmcnt(0)
	v_xor_b32_e32 v1, 0x80000000, v16
	v_and_b32_e32 v1, v1, v10
	v_cmp_eq_u32_e32 vcc_lo, v1, v4
	s_and_b32 exec_lo, exec_lo, vcc_lo
	s_cbranch_execz .LBB33_151
; %bb.155:                              ;   in Loop: Header=BB33_153 Depth=2
	ds_write_b64 v9, v[15:16] offset:3072
	s_branch .LBB33_151
	.p2align	6
.LBB33_156:                             ;   in Loop: Header=BB33_153 Depth=2
	v_add_nc_u32_e32 v32, s46, v32
	v_add_nc_u32_e32 v8, s55, v8
	s_mov_b32 s90, 0
	v_cmp_le_u32_e32 vcc_lo, s87, v32
	s_orn2_b32 s89, vcc_lo, exec_lo
	s_branch .LBB33_152
.LBB33_157:                             ;   in Loop: Header=BB33_6 Depth=1
	s_inst_prefetch 0x2
	s_or_b32 exec_lo, exec_lo, s83
	s_and_b32 s83, s88, exec_lo
.LBB33_158:                             ;   in Loop: Header=BB33_6 Depth=1
	s_or_b32 exec_lo, exec_lo, s86
.LBB33_159:                             ;   in Loop: Header=BB33_6 Depth=1
	s_and_b32 vcc_lo, exec_lo, s85
	s_cbranch_vccz .LBB33_170
; %bb.160:                              ;   in Loop: Header=BB33_6 Depth=1
                                        ; implicit-def: $vgpr2
	s_and_saveexec_b32 s27, s9
	s_cbranch_execz .LBB33_169
; %bb.161:                              ;   in Loop: Header=BB33_6 Depth=1
	v_mov_b32_e32 v8, v7
	v_mov_b32_e32 v32, v0
	s_mov_b32 s28, 0
                                        ; implicit-def: $sgpr84
	s_inst_prefetch 0x1
	s_branch .LBB33_164
	.p2align	6
.LBB33_162:                             ;   in Loop: Header=BB33_164 Depth=2
	s_or_b32 exec_lo, exec_lo, s85
	s_waitcnt lgkmcnt(0)
	s_barrier
	buffer_gl0_inv
	ds_read_b64 v[1:2], v9 offset:3072
	s_mov_b32 s85, -1
	s_mov_b32 s86, -1
	s_waitcnt lgkmcnt(0)
	s_barrier
	buffer_gl0_inv
	v_cmp_eq_u32_e32 vcc_lo, 0, v1
	s_cbranch_vccnz .LBB33_167
.LBB33_163:                             ;   in Loop: Header=BB33_164 Depth=2
	s_and_b32 s85, exec_lo, s85
	s_or_b32 s28, s85, s28
	s_andn2_b32 s84, s84, exec_lo
	s_and_b32 s85, s86, exec_lo
	s_or_b32 s84, s84, s85
	s_andn2_b32 exec_lo, exec_lo, s28
	s_cbranch_execz .LBB33_168
.LBB33_164:                             ;   Parent Loop BB33_6 Depth=1
                                        ; =>  This Inner Loop Header: Depth=2
	s_mov_b32 s85, exec_lo
	v_cmpx_gt_u32_e64 s36, v32
	s_cbranch_execz .LBB33_162
; %bb.165:                              ;   in Loop: Header=BB33_164 Depth=2
	v_lshlrev_b64 v[1:2], 2, v[8:9]
	v_add_co_u32 v1, vcc_lo, s31, v1
	v_add_co_ci_u32_e64 v2, null, s33, v2, vcc_lo
	global_load_dword v16, v[1:2], off
	s_waitcnt vmcnt(0)
	v_xor_b32_e32 v1, 0x80000000, v16
	v_and_b32_e32 v1, v1, v10
	v_cmp_eq_u32_e32 vcc_lo, v1, v4
	s_and_b32 exec_lo, exec_lo, vcc_lo
	s_cbranch_execz .LBB33_162
; %bb.166:                              ;   in Loop: Header=BB33_164 Depth=2
	ds_write_b64 v9, v[15:16] offset:3072
	s_branch .LBB33_162
.LBB33_167:                             ;   in Loop: Header=BB33_164 Depth=2
	v_add_nc_u32_e32 v32, s46, v32
	v_add_nc_u32_e32 v8, s48, v8
	s_mov_b32 s86, 0
	v_cmp_le_u32_e32 vcc_lo, s67, v32
	s_orn2_b32 s85, vcc_lo, exec_lo
	s_branch .LBB33_163
.LBB33_168:                             ;   in Loop: Header=BB33_6 Depth=1
	s_inst_prefetch 0x2
	s_or_b32 exec_lo, exec_lo, s28
	s_andn2_b32 s28, s83, exec_lo
	s_and_b32 s83, s84, exec_lo
	s_or_b32 s83, s28, s83
.LBB33_169:                             ;   in Loop: Header=BB33_6 Depth=1
	s_or_b32 exec_lo, exec_lo, s27
	s_mov_b32 s27, 0
	s_mov_b32 s28, -1
.LBB33_170:                             ;   in Loop: Header=BB33_6 Depth=1
	s_orn2_b32 s83, s83, exec_lo
.LBB33_171:                             ;   in Loop: Header=BB33_6 Depth=1
	s_or_b32 exec_lo, exec_lo, s29
	s_mov_b32 s84, 0
	s_and_saveexec_b32 s29, s83
	s_cbranch_execz .LBB33_221
; %bb.172:                              ;   in Loop: Header=BB33_6 Depth=1
	v_mov_b32_e32 v32, 1
	v_mov_b32_e32 v3, 1
	s_xor_b32 s83, s82, -1
	s_mov_b32 s86, 0
	s_and_saveexec_b32 s82, s83
	s_cbranch_execz .LBB33_181
; %bb.173:                              ;   in Loop: Header=BB33_6 Depth=1
	s_mov_b32 s83, exec_lo
	v_cmpx_ge_u32_e64 s17, v33
	s_xor_b32 s83, exec_lo, s83
	s_cbranch_execz .LBB33_178
; %bb.174:                              ;   in Loop: Header=BB33_6 Depth=1
	ds_read_b32 v1, v9 offset:4096
	s_lshl_b32 s84, 2, s75
	v_or_b32_e32 v10, s14, v10
	v_and_or_b32 v4, v4, s15, s84
	s_waitcnt lgkmcnt(0)
	v_cmp_ne_u32_e32 vcc_lo, 0, v1
	s_cbranch_vccnz .LBB33_178
; %bb.175:                              ;   in Loop: Header=BB33_6 Depth=1
	s_and_saveexec_b32 s84, s3
; %bb.176:                              ;   in Loop: Header=BB33_6 Depth=1
	v_mov_b32_e32 v1, s17
	ds_write_b32 v9, v1 offset:4100
; %bb.177:                              ;   in Loop: Header=BB33_6 Depth=1
	s_or_b32 exec_lo, exec_lo, s84
	s_waitcnt lgkmcnt(0)
	s_barrier
	buffer_gl0_inv
.LBB33_178:                             ;   in Loop: Header=BB33_6 Depth=1
	s_or_saveexec_b32 s83, s83
	v_mov_b32_e32 v3, 8
	s_mov_b32 s84, 0
	s_xor_b32 exec_lo, exec_lo, s83
; %bb.179:                              ;   in Loop: Header=BB33_6 Depth=1
	v_subrev_nc_u32_e32 v33, s17, v33
	v_mov_b32_e32 v3, 0
	s_mov_b32 s84, exec_lo
; %bb.180:                              ;   in Loop: Header=BB33_6 Depth=1
	s_or_b32 exec_lo, exec_lo, s83
	v_mov_b32_e32 v32, v33
	s_and_b32 s86, s84, exec_lo
.LBB33_181:                             ;   in Loop: Header=BB33_6 Depth=1
	s_or_b32 exec_lo, exec_lo, s82
	s_mov_b32 s83, -1
                                        ; implicit-def: $sgpr85
                                        ; implicit-def: $sgpr84
	s_and_saveexec_b32 s82, s86
	s_cbranch_execz .LBB33_220
; %bb.182:                              ;   in Loop: Header=BB33_6 Depth=1
	v_cmp_eq_u32_e32 vcc_lo, 1, v32
	s_cmp_eq_u32 s18, 1
	s_mov_b32 s87, -1
	s_cselect_b32 s83, -1, 0
                                        ; implicit-def: $sgpr85
                                        ; implicit-def: $sgpr84
	s_and_b32 s83, s83, vcc_lo
	s_and_saveexec_b32 s86, s83
	s_cbranch_execz .LBB33_208
; %bb.183:                              ;   in Loop: Header=BB33_6 Depth=1
	ds_read_b32 v1, v9 offset:4096
	s_waitcnt lgkmcnt(0)
	s_barrier
	buffer_gl0_inv
	v_readfirstlane_b32 s88, v1
	s_and_saveexec_b32 s84, s6
; %bb.184:                              ;   in Loop: Header=BB33_6 Depth=1
	ds_write_b32 v21, v9
; %bb.185:                              ;   in Loop: Header=BB33_6 Depth=1
	s_or_b32 exec_lo, exec_lo, s84
	v_or_b32_e32 v4, s14, v4
	v_or_b32_e32 v10, s14, v10
	s_mov_b32 s84, -1
	s_mov_b32 s85, 0
	s_cmp_eq_u32 s88, 0
	s_mov_b32 s87, 0
	s_mov_b32 s89, -1
	s_waitcnt lgkmcnt(0)
	s_barrier
	buffer_gl0_inv
                                        ; implicit-def: $vgpr2
	s_cbranch_scc1 .LBB33_196
; %bb.186:                              ;   in Loop: Header=BB33_6 Depth=1
	s_add_i32 s87, s88, s60
                                        ; implicit-def: $vgpr2
	s_mul_hi_u32 s89, s87, s66
	s_mul_i32 s89, s89, s46
	s_sub_i32 s89, s87, s89
	s_sub_i32 s90, s89, s46
	s_cmp_ge_u32 s89, s46
	s_cselect_b32 s89, s90, s89
	s_sub_i32 s90, s89, s46
	s_cmp_ge_u32 s89, s46
	s_cselect_b32 s89, s90, s89
	s_mov_b32 s90, exec_lo
	s_sub_i32 s91, s87, s89
	s_mov_b32 s89, 0
	s_mov_b32 s87, 0
	v_cmpx_gt_u32_e64 s91, v0
	s_cbranch_execz .LBB33_195
; %bb.187:                              ;   in Loop: Header=BB33_6 Depth=1
	v_mov_b32_e32 v8, v19
	v_mov_b32_e32 v33, v0
                                        ; implicit-def: $sgpr92
	s_inst_prefetch 0x1
	s_branch .LBB33_190
	.p2align	6
.LBB33_188:                             ;   in Loop: Header=BB33_190 Depth=2
	s_or_b32 exec_lo, exec_lo, s93
	s_waitcnt lgkmcnt(0)
	s_barrier
	buffer_gl0_inv
	ds_read_b64 v[1:2], v9 offset:3072
	s_mov_b32 s93, -1
	s_mov_b32 s94, -1
	s_waitcnt lgkmcnt(0)
	s_barrier
	buffer_gl0_inv
	v_cmp_ne_u32_e32 vcc_lo, 0, v1
	s_cbranch_vccz .LBB33_193
.LBB33_189:                             ;   in Loop: Header=BB33_190 Depth=2
	s_and_b32 s93, exec_lo, s93
	s_or_b32 s87, s93, s87
	s_andn2_b32 s92, s92, exec_lo
	s_and_b32 s93, s94, exec_lo
	s_or_b32 s92, s92, s93
	s_andn2_b32 exec_lo, exec_lo, s87
	s_cbranch_execz .LBB33_194
.LBB33_190:                             ;   Parent Loop BB33_6 Depth=1
                                        ; =>  This Inner Loop Header: Depth=2
	s_mov_b32 s93, exec_lo
	v_cmpx_gt_u32_e64 s88, v33
	s_cbranch_execz .LBB33_188
; %bb.191:                              ;   in Loop: Header=BB33_190 Depth=2
	ds_read_b32 v16, v8
	s_waitcnt lgkmcnt(0)
	v_xor_b32_e32 v1, 0x80000000, v16
	v_and_b32_e32 v1, v1, v10
	v_cmp_eq_u32_e32 vcc_lo, v1, v4
	s_and_b32 exec_lo, exec_lo, vcc_lo
	s_cbranch_execz .LBB33_188
; %bb.192:                              ;   in Loop: Header=BB33_190 Depth=2
	ds_write_b64 v9, v[15:16] offset:3072
	s_branch .LBB33_188
	.p2align	6
.LBB33_193:                             ;   in Loop: Header=BB33_190 Depth=2
	v_add_nc_u32_e32 v33, s46, v33
	v_add_nc_u32_e32 v8, s55, v8
	s_mov_b32 s94, 0
	v_cmp_le_u32_e32 vcc_lo, s91, v33
	s_orn2_b32 s93, vcc_lo, exec_lo
	s_branch .LBB33_189
.LBB33_194:                             ;   in Loop: Header=BB33_6 Depth=1
	s_inst_prefetch 0x2
	s_or_b32 exec_lo, exec_lo, s87
	s_and_b32 s87, s92, exec_lo
.LBB33_195:                             ;   in Loop: Header=BB33_6 Depth=1
	s_or_b32 exec_lo, exec_lo, s90
.LBB33_196:                             ;   in Loop: Header=BB33_6 Depth=1
	s_and_b32 vcc_lo, exec_lo, s89
	s_cbranch_vccz .LBB33_207
; %bb.197:                              ;   in Loop: Header=BB33_6 Depth=1
                                        ; implicit-def: $vgpr2
	s_and_saveexec_b32 s84, s9
	s_cbranch_execz .LBB33_206
; %bb.198:                              ;   in Loop: Header=BB33_6 Depth=1
	v_mov_b32_e32 v8, v7
	v_mov_b32_e32 v33, v0
	s_mov_b32 s85, 0
                                        ; implicit-def: $sgpr88
	s_inst_prefetch 0x1
	s_branch .LBB33_201
	.p2align	6
.LBB33_199:                             ;   in Loop: Header=BB33_201 Depth=2
	s_or_b32 exec_lo, exec_lo, s89
	s_waitcnt lgkmcnt(0)
	s_barrier
	buffer_gl0_inv
	ds_read_b64 v[1:2], v9 offset:3072
	s_mov_b32 s89, -1
	s_mov_b32 s90, -1
	s_waitcnt lgkmcnt(0)
	s_barrier
	buffer_gl0_inv
	v_cmp_eq_u32_e32 vcc_lo, 0, v1
	s_cbranch_vccnz .LBB33_204
.LBB33_200:                             ;   in Loop: Header=BB33_201 Depth=2
	s_and_b32 s89, exec_lo, s89
	s_or_b32 s85, s89, s85
	s_andn2_b32 s88, s88, exec_lo
	s_and_b32 s89, s90, exec_lo
	s_or_b32 s88, s88, s89
	s_andn2_b32 exec_lo, exec_lo, s85
	s_cbranch_execz .LBB33_205
.LBB33_201:                             ;   Parent Loop BB33_6 Depth=1
                                        ; =>  This Inner Loop Header: Depth=2
	s_mov_b32 s89, exec_lo
	v_cmpx_gt_u32_e64 s36, v33
	s_cbranch_execz .LBB33_199
; %bb.202:                              ;   in Loop: Header=BB33_201 Depth=2
	v_lshlrev_b64 v[1:2], 2, v[8:9]
	v_add_co_u32 v1, vcc_lo, s31, v1
	v_add_co_ci_u32_e64 v2, null, s33, v2, vcc_lo
	global_load_dword v16, v[1:2], off
	s_waitcnt vmcnt(0)
	v_xor_b32_e32 v1, 0x80000000, v16
	v_and_b32_e32 v1, v1, v10
	v_cmp_eq_u32_e32 vcc_lo, v1, v4
	s_and_b32 exec_lo, exec_lo, vcc_lo
	s_cbranch_execz .LBB33_199
; %bb.203:                              ;   in Loop: Header=BB33_201 Depth=2
	ds_write_b64 v9, v[15:16] offset:3072
	s_branch .LBB33_199
.LBB33_204:                             ;   in Loop: Header=BB33_201 Depth=2
	v_add_nc_u32_e32 v33, s46, v33
	v_add_nc_u32_e32 v8, s48, v8
	s_mov_b32 s90, 0
	v_cmp_le_u32_e32 vcc_lo, s67, v33
	s_orn2_b32 s89, vcc_lo, exec_lo
	s_branch .LBB33_200
.LBB33_205:                             ;   in Loop: Header=BB33_6 Depth=1
	s_inst_prefetch 0x2
	s_or_b32 exec_lo, exec_lo, s85
	s_andn2_b32 s85, s87, exec_lo
	s_and_b32 s87, s88, exec_lo
	s_or_b32 s87, s85, s87
.LBB33_206:                             ;   in Loop: Header=BB33_6 Depth=1
	s_or_b32 exec_lo, exec_lo, s84
	s_mov_b32 s84, 0
	s_mov_b32 s85, -1
.LBB33_207:                             ;   in Loop: Header=BB33_6 Depth=1
	s_orn2_b32 s87, s87, exec_lo
.LBB33_208:                             ;   in Loop: Header=BB33_6 Depth=1
	s_or_b32 exec_lo, exec_lo, s86
	s_mov_b32 s88, 0
	s_and_saveexec_b32 s86, s87
	s_cbranch_execz .LBB33_219
; %bb.209:                              ;   in Loop: Header=BB33_6 Depth=1
	v_mov_b32_e32 v3, 1
	v_mov_b32_e32 v1, 1
	s_xor_b32 s87, s83, -1
	s_and_saveexec_b32 s83, s87
	s_cbranch_execz .LBB33_218
; %bb.210:                              ;   in Loop: Header=BB33_6 Depth=1
	s_mov_b32 s87, exec_lo
	v_cmpx_ge_u32_e64 s18, v32
	s_xor_b32 s87, exec_lo, s87
	s_cbranch_execz .LBB33_215
; %bb.211:                              ;   in Loop: Header=BB33_6 Depth=1
	ds_read_b32 v1, v9 offset:4096
	v_or_b32_e32 v4, s14, v4
	v_or_b32_e32 v10, s14, v10
	s_waitcnt lgkmcnt(0)
	v_cmp_ne_u32_e32 vcc_lo, 0, v1
	s_cbranch_vccnz .LBB33_215
; %bb.212:                              ;   in Loop: Header=BB33_6 Depth=1
	s_and_saveexec_b32 s88, s3
; %bb.213:                              ;   in Loop: Header=BB33_6 Depth=1
	v_mov_b32_e32 v1, s18
	ds_write_b32 v9, v1 offset:4100
; %bb.214:                              ;   in Loop: Header=BB33_6 Depth=1
	s_or_b32 exec_lo, exec_lo, s88
	s_waitcnt lgkmcnt(0)
	s_barrier
	buffer_gl0_inv
.LBB33_215:                             ;   in Loop: Header=BB33_6 Depth=1
	s_andn2_saveexec_b32 s87, s87
; %bb.216:                              ;   in Loop: Header=BB33_6 Depth=1
	v_subrev_nc_u32_e32 v32, s18, v32
; %bb.217:                              ;   in Loop: Header=BB33_6 Depth=1
	s_or_b32 exec_lo, exec_lo, s87
	v_mov_b32_e32 v3, 8
	v_mov_b32_e32 v1, v32
.LBB33_218:                             ;   in Loop: Header=BB33_6 Depth=1
	s_or_b32 exec_lo, exec_lo, s83
	v_mov_b32_e32 v32, v1
	s_mov_b32 s88, exec_lo
.LBB33_219:                             ;   in Loop: Header=BB33_6 Depth=1
	s_or_b32 exec_lo, exec_lo, s86
	s_orn2_b32 s83, s88, exec_lo
.LBB33_220:                             ;   in Loop: Header=BB33_6 Depth=1
	s_or_b32 exec_lo, exec_lo, s82
	v_mov_b32_e32 v33, v32
	s_andn2_b32 s28, s28, exec_lo
	s_and_b32 s82, s85, exec_lo
	s_andn2_b32 s27, s27, exec_lo
	s_and_b32 s84, s84, exec_lo
	s_or_b32 s28, s28, s82
	s_or_b32 s27, s27, s84
	s_and_b32 s84, s83, exec_lo
.LBB33_221:                             ;   in Loop: Header=BB33_6 Depth=1
	s_or_b32 exec_lo, exec_lo, s29
	s_orn2_b32 s29, s84, exec_lo
.LBB33_222:                             ;   in Loop: Header=BB33_6 Depth=1
	s_or_b32 exec_lo, exec_lo, s26
	v_mov_b32_e32 v32, v33
	s_andn2_b32 s24, s24, exec_lo
	s_and_b32 s26, s28, exec_lo
	s_andn2_b32 s19, s19, exec_lo
	s_and_b32 s27, s27, exec_lo
	s_or_b32 s24, s24, s26
	s_or_b32 s19, s19, s27
	s_and_b32 s28, s29, exec_lo
.LBB33_223:                             ;   in Loop: Header=BB33_6 Depth=1
	s_or_b32 exec_lo, exec_lo, s25
	s_orn2_b32 s25, s28, exec_lo
.LBB33_224:                             ;   in Loop: Header=BB33_6 Depth=1
	s_or_b32 exec_lo, exec_lo, s11
	s_mov_b32 s26, 0
	s_mov_b32 s27, 0
	s_and_saveexec_b32 s11, s25
	s_xor_b32 s25, exec_lo, s11
; %bb.225:                              ;   in Loop: Header=BB33_6 Depth=1
	v_cmp_ne_u32_e32 vcc_lo, 8, v3
	v_cmp_eq_u32_e64 s11, 8, v3
	s_and_b32 s27, vcc_lo, exec_lo
	s_and_b32 s26, s11, exec_lo
; %bb.226:                              ;   in Loop: Header=BB33_6 Depth=1
	s_or_b32 exec_lo, exec_lo, s25
	s_andn2_b32 s11, s21, exec_lo
	s_and_b32 s21, s24, exec_lo
	s_andn2_b32 s20, s20, exec_lo
	s_and_b32 s19, s19, exec_lo
	s_or_b32 s21, s11, s21
	s_or_b32 s20, s20, s19
	s_and_b32 s11, s27, exec_lo
	s_and_b32 s19, s26, exec_lo
.LBB33_227:                             ;   in Loop: Header=BB33_6 Depth=1
	s_or_b32 exec_lo, exec_lo, s23
.LBB33_228:                             ;   in Loop: Header=BB33_6 Depth=1
	s_and_b32 vcc_lo, exec_lo, s22
	s_cbranch_vccz .LBB33_241
; %bb.229:                              ;   in Loop: Header=BB33_6 Depth=1
	s_cmp_eq_u32 s18, 1
	s_mov_b32 s21, -1
	s_cselect_b32 s12, -1, 0
                                        ; implicit-def: $sgpr22
	s_and_b32 s10, s12, s10
                                        ; implicit-def: $sgpr12
	s_and_saveexec_b32 s20, s10
	s_cbranch_execz .LBB33_256
; %bb.230:                              ;   in Loop: Header=BB33_6 Depth=1
	ds_read_b32 v1, v9 offset:4096
	s_waitcnt lgkmcnt(0)
	s_barrier
	buffer_gl0_inv
	v_readfirstlane_b32 s23, v1
	s_and_saveexec_b32 s12, s6
; %bb.231:                              ;   in Loop: Header=BB33_6 Depth=1
	ds_write_b32 v21, v9
; %bb.232:                              ;   in Loop: Header=BB33_6 Depth=1
	s_or_b32 exec_lo, exec_lo, s12
	v_or_b32_e32 v23, s14, v23
	v_or_b32_e32 v30, s14, v30
	s_mov_b32 s12, -1
	s_mov_b32 s22, 0
	s_cmp_eq_u32 s23, 0
	s_mov_b32 s21, 0
	s_mov_b32 s24, -1
	s_waitcnt lgkmcnt(0)
	s_barrier
	buffer_gl0_inv
                                        ; implicit-def: $vgpr11
	s_cbranch_scc1 .LBB33_244
; %bb.233:                              ;   in Loop: Header=BB33_6 Depth=1
	s_add_i32 s21, s23, s60
                                        ; implicit-def: $vgpr11
	s_mul_hi_u32 s24, s21, s66
	s_mul_i32 s24, s24, s46
	s_sub_i32 s24, s21, s24
	s_sub_i32 s25, s24, s46
	s_cmp_ge_u32 s24, s46
	s_cselect_b32 s24, s25, s24
	s_sub_i32 s25, s24, s46
	s_cmp_ge_u32 s24, s46
	s_cselect_b32 s24, s25, s24
	s_mov_b32 s25, exec_lo
	s_sub_i32 s26, s21, s24
	s_mov_b32 s24, 0
	s_mov_b32 s21, 0
	v_cmpx_gt_u32_e64 s26, v0
	s_cbranch_execz .LBB33_243
; %bb.234:                              ;   in Loop: Header=BB33_6 Depth=1
	v_mov_b32_e32 v1, v19
	v_mov_b32_e32 v2, v0
                                        ; implicit-def: $sgpr27
	s_inst_prefetch 0x1
	s_branch .LBB33_237
	.p2align	6
.LBB33_235:                             ;   in Loop: Header=BB33_237 Depth=2
	s_or_b32 exec_lo, exec_lo, s28
	s_waitcnt lgkmcnt(0)
	s_barrier
	buffer_gl0_inv
	ds_read_b64 v[10:11], v9 offset:3072
	s_mov_b32 s28, -1
	s_mov_b32 s29, -1
	s_waitcnt lgkmcnt(0)
	s_barrier
	buffer_gl0_inv
	v_cmp_ne_u32_e32 vcc_lo, 0, v10
	s_cbranch_vccz .LBB33_240
.LBB33_236:                             ;   in Loop: Header=BB33_237 Depth=2
	s_and_b32 s28, exec_lo, s28
	s_or_b32 s21, s28, s21
	s_andn2_b32 s27, s27, exec_lo
	s_and_b32 s28, s29, exec_lo
	s_or_b32 s27, s27, s28
	s_andn2_b32 exec_lo, exec_lo, s21
	s_cbranch_execz .LBB33_242
.LBB33_237:                             ;   Parent Loop BB33_6 Depth=1
                                        ; =>  This Inner Loop Header: Depth=2
	s_mov_b32 s28, exec_lo
	v_cmpx_gt_u32_e64 s23, v2
	s_cbranch_execz .LBB33_235
; %bb.238:                              ;   in Loop: Header=BB33_237 Depth=2
	ds_read_b32 v16, v1
	s_waitcnt lgkmcnt(0)
	v_xor_b32_e32 v3, 0x80000000, v16
	v_and_b32_e32 v3, v3, v30
	v_cmp_eq_u32_e32 vcc_lo, v3, v23
	s_and_b32 exec_lo, exec_lo, vcc_lo
	s_cbranch_execz .LBB33_235
; %bb.239:                              ;   in Loop: Header=BB33_237 Depth=2
	ds_write_b64 v9, v[15:16] offset:3072
	s_branch .LBB33_235
	.p2align	6
.LBB33_240:                             ;   in Loop: Header=BB33_237 Depth=2
	v_add_nc_u32_e32 v2, s46, v2
	v_add_nc_u32_e32 v1, s55, v1
	s_mov_b32 s29, 0
	v_cmp_le_u32_e32 vcc_lo, s26, v2
	s_orn2_b32 s28, vcc_lo, exec_lo
	s_branch .LBB33_236
.LBB33_241:                             ;   in Loop: Header=BB33_6 Depth=1
	v_mov_b32_e32 v23, v4
	v_mov_b32_e32 v30, v10
	;; [unrolled: 1-line block ×3, first 2 shown]
	s_mov_b32 s22, 0
	s_and_saveexec_b32 s10, s19
	s_cbranch_execnz .LBB33_387
	s_branch .LBB33_388
.LBB33_242:                             ;   in Loop: Header=BB33_6 Depth=1
	s_inst_prefetch 0x2
	s_or_b32 exec_lo, exec_lo, s21
	s_and_b32 s21, s27, exec_lo
.LBB33_243:                             ;   in Loop: Header=BB33_6 Depth=1
	s_or_b32 exec_lo, exec_lo, s25
.LBB33_244:                             ;   in Loop: Header=BB33_6 Depth=1
	s_and_b32 vcc_lo, exec_lo, s24
	s_cbranch_vccz .LBB33_255
; %bb.245:                              ;   in Loop: Header=BB33_6 Depth=1
                                        ; implicit-def: $vgpr11
	s_and_saveexec_b32 s12, s9
	s_cbranch_execz .LBB33_254
; %bb.246:                              ;   in Loop: Header=BB33_6 Depth=1
	v_mov_b32_e32 v8, v7
	v_mov_b32_e32 v1, v0
	s_mov_b32 s22, 0
                                        ; implicit-def: $sgpr23
	s_inst_prefetch 0x1
	s_branch .LBB33_249
	.p2align	6
.LBB33_247:                             ;   in Loop: Header=BB33_249 Depth=2
	s_or_b32 exec_lo, exec_lo, s24
	s_waitcnt lgkmcnt(0)
	s_barrier
	buffer_gl0_inv
	ds_read_b64 v[10:11], v9 offset:3072
	s_mov_b32 s24, -1
	s_mov_b32 s25, -1
	s_waitcnt lgkmcnt(0)
	s_barrier
	buffer_gl0_inv
	v_cmp_ne_u32_e32 vcc_lo, 0, v10
	s_cbranch_vccz .LBB33_252
.LBB33_248:                             ;   in Loop: Header=BB33_249 Depth=2
	s_and_b32 s24, exec_lo, s24
	s_or_b32 s22, s24, s22
	s_andn2_b32 s23, s23, exec_lo
	s_and_b32 s24, s25, exec_lo
	s_or_b32 s23, s23, s24
	s_andn2_b32 exec_lo, exec_lo, s22
	s_cbranch_execz .LBB33_253
.LBB33_249:                             ;   Parent Loop BB33_6 Depth=1
                                        ; =>  This Inner Loop Header: Depth=2
	s_mov_b32 s24, exec_lo
	v_cmpx_gt_u32_e64 s36, v1
	s_cbranch_execz .LBB33_247
; %bb.250:                              ;   in Loop: Header=BB33_249 Depth=2
	v_lshlrev_b64 v[2:3], 2, v[8:9]
	v_add_co_u32 v2, vcc_lo, s31, v2
	v_add_co_ci_u32_e64 v3, null, s33, v3, vcc_lo
	global_load_dword v16, v[2:3], off
	s_waitcnt vmcnt(0)
	v_xor_b32_e32 v2, 0x80000000, v16
	v_and_b32_e32 v2, v2, v30
	v_cmp_eq_u32_e32 vcc_lo, v2, v23
	s_and_b32 exec_lo, exec_lo, vcc_lo
	s_cbranch_execz .LBB33_247
; %bb.251:                              ;   in Loop: Header=BB33_249 Depth=2
	ds_write_b64 v9, v[15:16] offset:3072
	s_branch .LBB33_247
.LBB33_252:                             ;   in Loop: Header=BB33_249 Depth=2
	v_add_nc_u32_e32 v1, s46, v1
	v_add_nc_u32_e32 v8, s48, v8
	s_mov_b32 s25, 0
	v_cmp_le_u32_e32 vcc_lo, s67, v1
	s_orn2_b32 s24, vcc_lo, exec_lo
	s_branch .LBB33_248
.LBB33_253:                             ;   in Loop: Header=BB33_6 Depth=1
	s_inst_prefetch 0x2
	s_or_b32 exec_lo, exec_lo, s22
	s_andn2_b32 s21, s21, exec_lo
	s_and_b32 s22, s23, exec_lo
	s_or_b32 s21, s21, s22
.LBB33_254:                             ;   in Loop: Header=BB33_6 Depth=1
	s_or_b32 exec_lo, exec_lo, s12
	s_mov_b32 s12, 0
	s_mov_b32 s22, -1
.LBB33_255:                             ;   in Loop: Header=BB33_6 Depth=1
	s_orn2_b32 s21, s21, exec_lo
.LBB33_256:                             ;   in Loop: Header=BB33_6 Depth=1
	s_or_b32 exec_lo, exec_lo, s20
                                        ; implicit-def: $vgpr32
                                        ; implicit-def: $vgpr3
	s_and_saveexec_b32 s20, s21
	s_cbranch_execz .LBB33_386
; %bb.257:                              ;   in Loop: Header=BB33_6 Depth=1
	v_mov_b32_e32 v32, 1
	v_mov_b32_e32 v3, 1
	s_xor_b32 s21, s10, -1
	s_mov_b32 s24, 0
	s_and_saveexec_b32 s10, s21
	s_cbranch_execz .LBB33_266
; %bb.258:                              ;   in Loop: Header=BB33_6 Depth=1
	s_mov_b32 s21, exec_lo
	v_cmpx_ge_u32_e64 s18, v31
	s_xor_b32 s21, exec_lo, s21
	s_cbranch_execz .LBB33_263
; %bb.259:                              ;   in Loop: Header=BB33_6 Depth=1
	ds_read_b32 v1, v9 offset:4096
	v_or_b32_e32 v23, s14, v23
	v_or_b32_e32 v30, s14, v30
	s_waitcnt lgkmcnt(0)
	v_cmp_ne_u32_e32 vcc_lo, 0, v1
	s_cbranch_vccnz .LBB33_263
; %bb.260:                              ;   in Loop: Header=BB33_6 Depth=1
	s_and_saveexec_b32 s23, s3
; %bb.261:                              ;   in Loop: Header=BB33_6 Depth=1
	v_mov_b32_e32 v1, s18
	ds_write_b32 v9, v1 offset:4100
; %bb.262:                              ;   in Loop: Header=BB33_6 Depth=1
	s_or_b32 exec_lo, exec_lo, s23
	s_waitcnt lgkmcnt(0)
	s_barrier
	buffer_gl0_inv
.LBB33_263:                             ;   in Loop: Header=BB33_6 Depth=1
	s_or_saveexec_b32 s21, s21
	v_mov_b32_e32 v3, 5
	s_mov_b32 s23, 0
	s_xor_b32 exec_lo, exec_lo, s21
; %bb.264:                              ;   in Loop: Header=BB33_6 Depth=1
	v_subrev_nc_u32_e32 v31, s18, v31
	v_mov_b32_e32 v3, 0
	s_mov_b32 s23, exec_lo
; %bb.265:                              ;   in Loop: Header=BB33_6 Depth=1
	s_or_b32 exec_lo, exec_lo, s21
	v_mov_b32_e32 v32, v31
	s_and_b32 s24, s23, exec_lo
.LBB33_266:                             ;   in Loop: Header=BB33_6 Depth=1
	s_or_b32 exec_lo, exec_lo, s10
	s_mov_b32 s23, -1
                                        ; implicit-def: $sgpr18
                                        ; implicit-def: $sgpr21
	s_and_saveexec_b32 s10, s24
	s_xor_b32 s10, exec_lo, s10
	s_cbranch_execz .LBB33_383
; %bb.267:                              ;   in Loop: Header=BB33_6 Depth=1
	v_cmp_eq_u32_e32 vcc_lo, 1, v32
	s_cmp_eq_u32 s17, 1
	s_mov_b32 s25, -1
	s_cselect_b32 s18, -1, 0
                                        ; implicit-def: $sgpr21
	s_and_b32 s24, s18, vcc_lo
                                        ; implicit-def: $sgpr18
	s_and_saveexec_b32 s23, s24
	s_cbranch_execz .LBB33_293
; %bb.268:                              ;   in Loop: Header=BB33_6 Depth=1
	ds_read_b32 v1, v9 offset:4096
	s_waitcnt lgkmcnt(0)
	s_barrier
	buffer_gl0_inv
	v_readfirstlane_b32 s26, v1
	s_and_saveexec_b32 s18, s6
; %bb.269:                              ;   in Loop: Header=BB33_6 Depth=1
	ds_write_b32 v21, v9
; %bb.270:                              ;   in Loop: Header=BB33_6 Depth=1
	s_or_b32 exec_lo, exec_lo, s18
	s_lshl_b32 s18, 2, s75
	v_or_b32_e32 v30, s14, v30
	v_and_or_b32 v23, v23, s15, s18
	s_mov_b32 s18, -1
	s_mov_b32 s21, 0
	s_cmp_eq_u32 s26, 0
	s_mov_b32 s25, 0
	s_mov_b32 s27, -1
	s_waitcnt lgkmcnt(0)
	s_barrier
	buffer_gl0_inv
                                        ; implicit-def: $vgpr11
	s_cbranch_scc1 .LBB33_281
; %bb.271:                              ;   in Loop: Header=BB33_6 Depth=1
	s_add_i32 s25, s26, s60
                                        ; implicit-def: $vgpr11
	s_mul_hi_u32 s27, s25, s66
	s_mul_i32 s27, s27, s46
	s_sub_i32 s27, s25, s27
	s_sub_i32 s28, s27, s46
	s_cmp_ge_u32 s27, s46
	s_cselect_b32 s27, s28, s27
	s_sub_i32 s28, s27, s46
	s_cmp_ge_u32 s27, s46
	s_cselect_b32 s27, s28, s27
	s_mov_b32 s28, exec_lo
	s_sub_i32 s29, s25, s27
	s_mov_b32 s27, 0
	s_mov_b32 s25, 0
	v_cmpx_gt_u32_e64 s29, v0
	s_cbranch_execz .LBB33_280
; %bb.272:                              ;   in Loop: Header=BB33_6 Depth=1
	v_mov_b32_e32 v1, v19
	v_mov_b32_e32 v2, v0
                                        ; implicit-def: $sgpr82
	s_inst_prefetch 0x1
	s_branch .LBB33_275
	.p2align	6
.LBB33_273:                             ;   in Loop: Header=BB33_275 Depth=2
	s_or_b32 exec_lo, exec_lo, s83
	s_waitcnt lgkmcnt(0)
	s_barrier
	buffer_gl0_inv
	ds_read_b64 v[10:11], v9 offset:3072
	s_mov_b32 s83, -1
	s_mov_b32 s84, -1
	s_waitcnt lgkmcnt(0)
	s_barrier
	buffer_gl0_inv
	v_cmp_ne_u32_e32 vcc_lo, 0, v10
	s_cbranch_vccz .LBB33_278
.LBB33_274:                             ;   in Loop: Header=BB33_275 Depth=2
	s_and_b32 s83, exec_lo, s83
	s_or_b32 s25, s83, s25
	s_andn2_b32 s82, s82, exec_lo
	s_and_b32 s83, s84, exec_lo
	s_or_b32 s82, s82, s83
	s_andn2_b32 exec_lo, exec_lo, s25
	s_cbranch_execz .LBB33_279
.LBB33_275:                             ;   Parent Loop BB33_6 Depth=1
                                        ; =>  This Inner Loop Header: Depth=2
	s_mov_b32 s83, exec_lo
	v_cmpx_gt_u32_e64 s26, v2
	s_cbranch_execz .LBB33_273
; %bb.276:                              ;   in Loop: Header=BB33_275 Depth=2
	ds_read_b32 v16, v1
	s_waitcnt lgkmcnt(0)
	v_xor_b32_e32 v4, 0x80000000, v16
	v_and_b32_e32 v4, v4, v30
	v_cmp_eq_u32_e32 vcc_lo, v4, v23
	s_and_b32 exec_lo, exec_lo, vcc_lo
	s_cbranch_execz .LBB33_273
; %bb.277:                              ;   in Loop: Header=BB33_275 Depth=2
	ds_write_b64 v9, v[15:16] offset:3072
	s_branch .LBB33_273
	.p2align	6
.LBB33_278:                             ;   in Loop: Header=BB33_275 Depth=2
	v_add_nc_u32_e32 v2, s46, v2
	v_add_nc_u32_e32 v1, s55, v1
	s_mov_b32 s84, 0
	v_cmp_le_u32_e32 vcc_lo, s29, v2
	s_orn2_b32 s83, vcc_lo, exec_lo
	s_branch .LBB33_274
.LBB33_279:                             ;   in Loop: Header=BB33_6 Depth=1
	s_inst_prefetch 0x2
	s_or_b32 exec_lo, exec_lo, s25
	s_and_b32 s25, s82, exec_lo
.LBB33_280:                             ;   in Loop: Header=BB33_6 Depth=1
	s_or_b32 exec_lo, exec_lo, s28
.LBB33_281:                             ;   in Loop: Header=BB33_6 Depth=1
	s_and_b32 vcc_lo, exec_lo, s27
	s_cbranch_vccz .LBB33_292
; %bb.282:                              ;   in Loop: Header=BB33_6 Depth=1
                                        ; implicit-def: $vgpr11
	s_and_saveexec_b32 s18, s9
	s_cbranch_execz .LBB33_291
; %bb.283:                              ;   in Loop: Header=BB33_6 Depth=1
	v_mov_b32_e32 v8, v7
	v_mov_b32_e32 v1, v0
	s_mov_b32 s21, 0
                                        ; implicit-def: $sgpr26
	s_inst_prefetch 0x1
	s_branch .LBB33_286
	.p2align	6
.LBB33_284:                             ;   in Loop: Header=BB33_286 Depth=2
	s_or_b32 exec_lo, exec_lo, s27
	s_waitcnt lgkmcnt(0)
	s_barrier
	buffer_gl0_inv
	ds_read_b64 v[10:11], v9 offset:3072
	s_mov_b32 s27, -1
	s_mov_b32 s28, -1
	s_waitcnt lgkmcnt(0)
	s_barrier
	buffer_gl0_inv
	v_cmp_eq_u32_e32 vcc_lo, 0, v10
	s_cbranch_vccnz .LBB33_289
.LBB33_285:                             ;   in Loop: Header=BB33_286 Depth=2
	s_and_b32 s27, exec_lo, s27
	s_or_b32 s21, s27, s21
	s_andn2_b32 s26, s26, exec_lo
	s_and_b32 s27, s28, exec_lo
	s_or_b32 s26, s26, s27
	s_andn2_b32 exec_lo, exec_lo, s21
	s_cbranch_execz .LBB33_290
.LBB33_286:                             ;   Parent Loop BB33_6 Depth=1
                                        ; =>  This Inner Loop Header: Depth=2
	s_mov_b32 s27, exec_lo
	v_cmpx_gt_u32_e64 s36, v1
	s_cbranch_execz .LBB33_284
; %bb.287:                              ;   in Loop: Header=BB33_286 Depth=2
	v_lshlrev_b64 v[10:11], 2, v[8:9]
	v_add_co_u32 v10, vcc_lo, s31, v10
	v_add_co_ci_u32_e64 v11, null, s33, v11, vcc_lo
	global_load_dword v16, v[10:11], off
	s_waitcnt vmcnt(0)
	v_xor_b32_e32 v2, 0x80000000, v16
	v_and_b32_e32 v2, v2, v30
	v_cmp_eq_u32_e32 vcc_lo, v2, v23
	s_and_b32 exec_lo, exec_lo, vcc_lo
	s_cbranch_execz .LBB33_284
; %bb.288:                              ;   in Loop: Header=BB33_286 Depth=2
	ds_write_b64 v9, v[15:16] offset:3072
	s_branch .LBB33_284
.LBB33_289:                             ;   in Loop: Header=BB33_286 Depth=2
	v_add_nc_u32_e32 v1, s46, v1
	v_add_nc_u32_e32 v8, s48, v8
	s_mov_b32 s28, 0
	v_cmp_le_u32_e32 vcc_lo, s67, v1
	s_orn2_b32 s27, vcc_lo, exec_lo
	s_branch .LBB33_285
.LBB33_290:                             ;   in Loop: Header=BB33_6 Depth=1
	s_inst_prefetch 0x2
	s_or_b32 exec_lo, exec_lo, s21
	s_andn2_b32 s21, s25, exec_lo
	s_and_b32 s25, s26, exec_lo
	s_or_b32 s25, s21, s25
.LBB33_291:                             ;   in Loop: Header=BB33_6 Depth=1
	s_or_b32 exec_lo, exec_lo, s18
	s_mov_b32 s18, 0
	s_mov_b32 s21, -1
.LBB33_292:                             ;   in Loop: Header=BB33_6 Depth=1
	s_orn2_b32 s25, s25, exec_lo
.LBB33_293:                             ;   in Loop: Header=BB33_6 Depth=1
	s_or_b32 exec_lo, exec_lo, s23
	s_mov_b32 s26, 0
	s_and_saveexec_b32 s23, s25
	s_cbranch_execz .LBB33_382
; %bb.294:                              ;   in Loop: Header=BB33_6 Depth=1
	v_mov_b32_e32 v1, 1
	v_mov_b32_e32 v3, 1
	s_xor_b32 s25, s24, -1
	s_mov_b32 s27, 0
	s_and_saveexec_b32 s24, s25
	s_cbranch_execz .LBB33_303
; %bb.295:                              ;   in Loop: Header=BB33_6 Depth=1
	s_mov_b32 s25, exec_lo
	v_cmpx_ge_u32_e64 s17, v32
	s_xor_b32 s25, exec_lo, s25
	s_cbranch_execz .LBB33_300
; %bb.296:                              ;   in Loop: Header=BB33_6 Depth=1
	ds_read_b32 v1, v9 offset:4096
	s_lshl_b32 s26, 2, s75
	v_or_b32_e32 v30, s14, v30
	v_and_or_b32 v23, v23, s15, s26
	s_waitcnt lgkmcnt(0)
	v_cmp_ne_u32_e32 vcc_lo, 0, v1
	s_cbranch_vccnz .LBB33_300
; %bb.297:                              ;   in Loop: Header=BB33_6 Depth=1
	s_and_saveexec_b32 s26, s3
; %bb.298:                              ;   in Loop: Header=BB33_6 Depth=1
	v_mov_b32_e32 v1, s17
	ds_write_b32 v9, v1 offset:4100
; %bb.299:                              ;   in Loop: Header=BB33_6 Depth=1
	s_or_b32 exec_lo, exec_lo, s26
	s_waitcnt lgkmcnt(0)
	s_barrier
	buffer_gl0_inv
.LBB33_300:                             ;   in Loop: Header=BB33_6 Depth=1
	s_or_saveexec_b32 s25, s25
	v_mov_b32_e32 v3, 5
	s_mov_b32 s26, 0
	s_xor_b32 exec_lo, exec_lo, s25
; %bb.301:                              ;   in Loop: Header=BB33_6 Depth=1
	v_subrev_nc_u32_e32 v32, s17, v32
	v_mov_b32_e32 v3, 0
	s_mov_b32 s26, exec_lo
; %bb.302:                              ;   in Loop: Header=BB33_6 Depth=1
	s_or_b32 exec_lo, exec_lo, s25
	v_mov_b32_e32 v1, v32
	s_and_b32 s27, s26, exec_lo
.LBB33_303:                             ;   in Loop: Header=BB33_6 Depth=1
	s_or_b32 exec_lo, exec_lo, s24
	s_mov_b32 s26, -1
                                        ; implicit-def: $sgpr24
                                        ; implicit-def: $sgpr25
	s_and_saveexec_b32 s17, s27
	s_cbranch_execz .LBB33_381
; %bb.304:                              ;   in Loop: Header=BB33_6 Depth=1
	v_cmp_eq_u32_e32 vcc_lo, 1, v1
	s_cmp_eq_u32 s16, 1
	s_mov_b32 s28, -1
	s_cselect_b32 s24, -1, 0
                                        ; implicit-def: $sgpr25
	s_and_b32 s27, s24, vcc_lo
                                        ; implicit-def: $sgpr24
	s_and_saveexec_b32 s26, s27
	s_cbranch_execz .LBB33_330
; %bb.305:                              ;   in Loop: Header=BB33_6 Depth=1
	ds_read_b32 v2, v9 offset:4096
	s_waitcnt lgkmcnt(0)
	s_barrier
	buffer_gl0_inv
	v_readfirstlane_b32 s29, v2
	s_and_saveexec_b32 s24, s6
; %bb.306:                              ;   in Loop: Header=BB33_6 Depth=1
	ds_write_b32 v21, v9
; %bb.307:                              ;   in Loop: Header=BB33_6 Depth=1
	s_or_b32 exec_lo, exec_lo, s24
	s_lshl_b32 s24, 1, s75
	v_or_b32_e32 v30, s14, v30
	v_and_or_b32 v23, v23, s15, s24
	s_mov_b32 s24, -1
	s_mov_b32 s25, 0
	s_cmp_eq_u32 s29, 0
	s_mov_b32 s28, 0
	s_mov_b32 s82, -1
	s_waitcnt lgkmcnt(0)
	s_barrier
	buffer_gl0_inv
                                        ; implicit-def: $vgpr11
	s_cbranch_scc1 .LBB33_318
; %bb.308:                              ;   in Loop: Header=BB33_6 Depth=1
	s_add_i32 s28, s29, s60
                                        ; implicit-def: $vgpr11
	s_mul_hi_u32 s82, s28, s66
	s_mul_i32 s82, s82, s46
	s_sub_i32 s82, s28, s82
	s_sub_i32 s83, s82, s46
	s_cmp_ge_u32 s82, s46
	s_cselect_b32 s82, s83, s82
	s_sub_i32 s83, s82, s46
	s_cmp_ge_u32 s82, s46
	s_cselect_b32 s82, s83, s82
	s_mov_b32 s83, exec_lo
	s_sub_i32 s84, s28, s82
	s_mov_b32 s82, 0
	s_mov_b32 s28, 0
	v_cmpx_gt_u32_e64 s84, v0
	s_cbranch_execz .LBB33_317
; %bb.309:                              ;   in Loop: Header=BB33_6 Depth=1
	v_mov_b32_e32 v2, v19
	v_mov_b32_e32 v4, v0
                                        ; implicit-def: $sgpr85
	s_inst_prefetch 0x1
	s_branch .LBB33_312
	.p2align	6
.LBB33_310:                             ;   in Loop: Header=BB33_312 Depth=2
	s_or_b32 exec_lo, exec_lo, s86
	s_waitcnt lgkmcnt(0)
	s_barrier
	buffer_gl0_inv
	ds_read_b64 v[10:11], v9 offset:3072
	s_mov_b32 s86, -1
	s_mov_b32 s87, -1
	s_waitcnt lgkmcnt(0)
	s_barrier
	buffer_gl0_inv
	v_cmp_ne_u32_e32 vcc_lo, 0, v10
	s_cbranch_vccz .LBB33_315
.LBB33_311:                             ;   in Loop: Header=BB33_312 Depth=2
	s_and_b32 s86, exec_lo, s86
	s_or_b32 s28, s86, s28
	s_andn2_b32 s85, s85, exec_lo
	s_and_b32 s86, s87, exec_lo
	s_or_b32 s85, s85, s86
	s_andn2_b32 exec_lo, exec_lo, s28
	s_cbranch_execz .LBB33_316
.LBB33_312:                             ;   Parent Loop BB33_6 Depth=1
                                        ; =>  This Inner Loop Header: Depth=2
	s_mov_b32 s86, exec_lo
	v_cmpx_gt_u32_e64 s29, v4
	s_cbranch_execz .LBB33_310
; %bb.313:                              ;   in Loop: Header=BB33_312 Depth=2
	ds_read_b32 v16, v2
	s_waitcnt lgkmcnt(0)
	v_xor_b32_e32 v8, 0x80000000, v16
	v_and_b32_e32 v8, v8, v30
	v_cmp_eq_u32_e32 vcc_lo, v8, v23
	s_and_b32 exec_lo, exec_lo, vcc_lo
	s_cbranch_execz .LBB33_310
; %bb.314:                              ;   in Loop: Header=BB33_312 Depth=2
	ds_write_b64 v9, v[15:16] offset:3072
	s_branch .LBB33_310
	.p2align	6
.LBB33_315:                             ;   in Loop: Header=BB33_312 Depth=2
	v_add_nc_u32_e32 v4, s46, v4
	v_add_nc_u32_e32 v2, s55, v2
	s_mov_b32 s87, 0
	v_cmp_le_u32_e32 vcc_lo, s84, v4
	s_orn2_b32 s86, vcc_lo, exec_lo
	s_branch .LBB33_311
.LBB33_316:                             ;   in Loop: Header=BB33_6 Depth=1
	s_inst_prefetch 0x2
	s_or_b32 exec_lo, exec_lo, s28
	s_and_b32 s28, s85, exec_lo
.LBB33_317:                             ;   in Loop: Header=BB33_6 Depth=1
	s_or_b32 exec_lo, exec_lo, s83
.LBB33_318:                             ;   in Loop: Header=BB33_6 Depth=1
	s_and_b32 vcc_lo, exec_lo, s82
	s_cbranch_vccz .LBB33_329
; %bb.319:                              ;   in Loop: Header=BB33_6 Depth=1
                                        ; implicit-def: $vgpr11
	s_and_saveexec_b32 s24, s9
	s_cbranch_execz .LBB33_328
; %bb.320:                              ;   in Loop: Header=BB33_6 Depth=1
	v_mov_b32_e32 v8, v7
	v_mov_b32_e32 v2, v0
	s_mov_b32 s25, 0
                                        ; implicit-def: $sgpr29
	s_inst_prefetch 0x1
	s_branch .LBB33_323
	.p2align	6
.LBB33_321:                             ;   in Loop: Header=BB33_323 Depth=2
	s_or_b32 exec_lo, exec_lo, s82
	s_waitcnt lgkmcnt(0)
	s_barrier
	buffer_gl0_inv
	ds_read_b64 v[10:11], v9 offset:3072
	s_mov_b32 s82, -1
	s_mov_b32 s83, -1
	s_waitcnt lgkmcnt(0)
	s_barrier
	buffer_gl0_inv
	v_cmp_eq_u32_e32 vcc_lo, 0, v10
	s_cbranch_vccnz .LBB33_326
.LBB33_322:                             ;   in Loop: Header=BB33_323 Depth=2
	s_and_b32 s82, exec_lo, s82
	s_or_b32 s25, s82, s25
	s_andn2_b32 s29, s29, exec_lo
	s_and_b32 s82, s83, exec_lo
	s_or_b32 s29, s29, s82
	s_andn2_b32 exec_lo, exec_lo, s25
	s_cbranch_execz .LBB33_327
.LBB33_323:                             ;   Parent Loop BB33_6 Depth=1
                                        ; =>  This Inner Loop Header: Depth=2
	s_mov_b32 s82, exec_lo
	v_cmpx_gt_u32_e64 s36, v2
	s_cbranch_execz .LBB33_321
; %bb.324:                              ;   in Loop: Header=BB33_323 Depth=2
	v_lshlrev_b64 v[10:11], 2, v[8:9]
	v_add_co_u32 v10, vcc_lo, s31, v10
	v_add_co_ci_u32_e64 v11, null, s33, v11, vcc_lo
	global_load_dword v16, v[10:11], off
	s_waitcnt vmcnt(0)
	v_xor_b32_e32 v4, 0x80000000, v16
	v_and_b32_e32 v4, v4, v30
	v_cmp_eq_u32_e32 vcc_lo, v4, v23
	s_and_b32 exec_lo, exec_lo, vcc_lo
	s_cbranch_execz .LBB33_321
; %bb.325:                              ;   in Loop: Header=BB33_323 Depth=2
	ds_write_b64 v9, v[15:16] offset:3072
	s_branch .LBB33_321
.LBB33_326:                             ;   in Loop: Header=BB33_323 Depth=2
	v_add_nc_u32_e32 v2, s46, v2
	v_add_nc_u32_e32 v8, s48, v8
	s_mov_b32 s83, 0
	v_cmp_le_u32_e32 vcc_lo, s67, v2
	s_orn2_b32 s82, vcc_lo, exec_lo
	s_branch .LBB33_322
.LBB33_327:                             ;   in Loop: Header=BB33_6 Depth=1
	s_inst_prefetch 0x2
	s_or_b32 exec_lo, exec_lo, s25
	s_andn2_b32 s25, s28, exec_lo
	s_and_b32 s28, s29, exec_lo
	s_or_b32 s28, s25, s28
.LBB33_328:                             ;   in Loop: Header=BB33_6 Depth=1
	s_or_b32 exec_lo, exec_lo, s24
	s_mov_b32 s24, 0
	s_mov_b32 s25, -1
.LBB33_329:                             ;   in Loop: Header=BB33_6 Depth=1
	s_orn2_b32 s28, s28, exec_lo
.LBB33_330:                             ;   in Loop: Header=BB33_6 Depth=1
	s_or_b32 exec_lo, exec_lo, s26
	s_mov_b32 s29, 0
	s_and_saveexec_b32 s26, s28
	s_cbranch_execz .LBB33_380
; %bb.331:                              ;   in Loop: Header=BB33_6 Depth=1
	v_mov_b32_e32 v2, 1
	v_mov_b32_e32 v3, 1
	s_xor_b32 s28, s27, -1
	s_mov_b32 s82, 0
	s_and_saveexec_b32 s27, s28
	s_cbranch_execz .LBB33_340
; %bb.332:                              ;   in Loop: Header=BB33_6 Depth=1
	s_mov_b32 s28, exec_lo
	v_cmpx_ge_u32_e64 s16, v1
	s_xor_b32 s28, exec_lo, s28
	s_cbranch_execz .LBB33_337
; %bb.333:                              ;   in Loop: Header=BB33_6 Depth=1
	ds_read_b32 v2, v9 offset:4096
	s_lshl_b32 s29, 1, s75
	v_or_b32_e32 v30, s14, v30
	v_and_or_b32 v23, v23, s15, s29
	s_waitcnt lgkmcnt(0)
	v_cmp_ne_u32_e32 vcc_lo, 0, v2
	s_cbranch_vccnz .LBB33_337
; %bb.334:                              ;   in Loop: Header=BB33_6 Depth=1
	s_and_saveexec_b32 s29, s3
; %bb.335:                              ;   in Loop: Header=BB33_6 Depth=1
	v_mov_b32_e32 v2, s16
	ds_write_b32 v9, v2 offset:4100
; %bb.336:                              ;   in Loop: Header=BB33_6 Depth=1
	s_or_b32 exec_lo, exec_lo, s29
	s_waitcnt lgkmcnt(0)
	s_barrier
	buffer_gl0_inv
.LBB33_337:                             ;   in Loop: Header=BB33_6 Depth=1
	s_or_saveexec_b32 s28, s28
	v_mov_b32_e32 v3, 5
	s_mov_b32 s29, 0
	s_xor_b32 exec_lo, exec_lo, s28
; %bb.338:                              ;   in Loop: Header=BB33_6 Depth=1
	v_subrev_nc_u32_e32 v1, s16, v1
	v_mov_b32_e32 v3, 0
	s_mov_b32 s29, exec_lo
; %bb.339:                              ;   in Loop: Header=BB33_6 Depth=1
	s_or_b32 exec_lo, exec_lo, s28
	v_mov_b32_e32 v2, v1
	s_and_b32 s82, s29, exec_lo
.LBB33_340:                             ;   in Loop: Header=BB33_6 Depth=1
	s_or_b32 exec_lo, exec_lo, s27
	s_mov_b32 s27, -1
                                        ; implicit-def: $sgpr29
                                        ; implicit-def: $sgpr28
	s_and_saveexec_b32 s16, s82
	s_cbranch_execz .LBB33_379
; %bb.341:                              ;   in Loop: Header=BB33_6 Depth=1
	v_cmp_eq_u32_e32 vcc_lo, 1, v2
	s_cmp_eq_u32 s13, 1
	s_mov_b32 s83, -1
	s_cselect_b32 s27, -1, 0
                                        ; implicit-def: $sgpr29
                                        ; implicit-def: $sgpr28
	s_and_b32 s27, s27, vcc_lo
	s_and_saveexec_b32 s82, s27
	s_cbranch_execz .LBB33_367
; %bb.342:                              ;   in Loop: Header=BB33_6 Depth=1
	ds_read_b32 v1, v9 offset:4096
	s_waitcnt lgkmcnt(0)
	s_barrier
	buffer_gl0_inv
	v_readfirstlane_b32 s84, v1
	s_and_saveexec_b32 s28, s6
; %bb.343:                              ;   in Loop: Header=BB33_6 Depth=1
	ds_write_b32 v21, v9
; %bb.344:                              ;   in Loop: Header=BB33_6 Depth=1
	s_or_b32 exec_lo, exec_lo, s28
	v_and_b32_e32 v23, s15, v23
	v_or_b32_e32 v30, s14, v30
	s_mov_b32 s28, -1
	s_mov_b32 s29, 0
	s_cmp_eq_u32 s84, 0
	s_mov_b32 s83, 0
	s_mov_b32 s85, -1
	s_waitcnt lgkmcnt(0)
	s_barrier
	buffer_gl0_inv
                                        ; implicit-def: $vgpr11
	s_cbranch_scc1 .LBB33_355
; %bb.345:                              ;   in Loop: Header=BB33_6 Depth=1
	s_add_i32 s83, s84, s60
                                        ; implicit-def: $vgpr11
	s_mul_hi_u32 s85, s83, s66
	s_mul_i32 s85, s85, s46
	s_sub_i32 s85, s83, s85
	s_sub_i32 s86, s85, s46
	s_cmp_ge_u32 s85, s46
	s_cselect_b32 s85, s86, s85
	s_sub_i32 s86, s85, s46
	s_cmp_ge_u32 s85, s46
	s_cselect_b32 s85, s86, s85
	s_mov_b32 s86, exec_lo
	s_sub_i32 s87, s83, s85
	s_mov_b32 s85, 0
	s_mov_b32 s83, 0
	v_cmpx_gt_u32_e64 s87, v0
	s_cbranch_execz .LBB33_354
; %bb.346:                              ;   in Loop: Header=BB33_6 Depth=1
	v_mov_b32_e32 v1, v19
	v_mov_b32_e32 v4, v0
                                        ; implicit-def: $sgpr88
	s_inst_prefetch 0x1
	s_branch .LBB33_349
	.p2align	6
.LBB33_347:                             ;   in Loop: Header=BB33_349 Depth=2
	s_or_b32 exec_lo, exec_lo, s89
	s_waitcnt lgkmcnt(0)
	s_barrier
	buffer_gl0_inv
	ds_read_b64 v[10:11], v9 offset:3072
	s_mov_b32 s89, -1
	s_mov_b32 s90, -1
	s_waitcnt lgkmcnt(0)
	s_barrier
	buffer_gl0_inv
	v_cmp_ne_u32_e32 vcc_lo, 0, v10
	s_cbranch_vccz .LBB33_352
.LBB33_348:                             ;   in Loop: Header=BB33_349 Depth=2
	s_and_b32 s89, exec_lo, s89
	s_or_b32 s83, s89, s83
	s_andn2_b32 s88, s88, exec_lo
	s_and_b32 s89, s90, exec_lo
	s_or_b32 s88, s88, s89
	s_andn2_b32 exec_lo, exec_lo, s83
	s_cbranch_execz .LBB33_353
.LBB33_349:                             ;   Parent Loop BB33_6 Depth=1
                                        ; =>  This Inner Loop Header: Depth=2
	s_mov_b32 s89, exec_lo
	v_cmpx_gt_u32_e64 s84, v4
	s_cbranch_execz .LBB33_347
; %bb.350:                              ;   in Loop: Header=BB33_349 Depth=2
	ds_read_b32 v16, v1
	s_waitcnt lgkmcnt(0)
	v_xor_b32_e32 v8, 0x80000000, v16
	v_and_b32_e32 v8, v8, v30
	v_cmp_eq_u32_e32 vcc_lo, v8, v23
	s_and_b32 exec_lo, exec_lo, vcc_lo
	s_cbranch_execz .LBB33_347
; %bb.351:                              ;   in Loop: Header=BB33_349 Depth=2
	ds_write_b64 v9, v[15:16] offset:3072
	s_branch .LBB33_347
	.p2align	6
.LBB33_352:                             ;   in Loop: Header=BB33_349 Depth=2
	v_add_nc_u32_e32 v4, s46, v4
	v_add_nc_u32_e32 v1, s55, v1
	s_mov_b32 s90, 0
	v_cmp_le_u32_e32 vcc_lo, s87, v4
	s_orn2_b32 s89, vcc_lo, exec_lo
	s_branch .LBB33_348
.LBB33_353:                             ;   in Loop: Header=BB33_6 Depth=1
	s_inst_prefetch 0x2
	s_or_b32 exec_lo, exec_lo, s83
	s_and_b32 s83, s88, exec_lo
.LBB33_354:                             ;   in Loop: Header=BB33_6 Depth=1
	s_or_b32 exec_lo, exec_lo, s86
.LBB33_355:                             ;   in Loop: Header=BB33_6 Depth=1
	s_and_b32 vcc_lo, exec_lo, s85
	s_cbranch_vccz .LBB33_366
; %bb.356:                              ;   in Loop: Header=BB33_6 Depth=1
                                        ; implicit-def: $vgpr11
	s_and_saveexec_b32 s28, s9
	s_cbranch_execz .LBB33_365
; %bb.357:                              ;   in Loop: Header=BB33_6 Depth=1
	v_mov_b32_e32 v8, v7
	v_mov_b32_e32 v1, v0
	s_mov_b32 s29, 0
                                        ; implicit-def: $sgpr84
	s_inst_prefetch 0x1
	s_branch .LBB33_360
	.p2align	6
.LBB33_358:                             ;   in Loop: Header=BB33_360 Depth=2
	s_or_b32 exec_lo, exec_lo, s85
	s_waitcnt lgkmcnt(0)
	s_barrier
	buffer_gl0_inv
	ds_read_b64 v[10:11], v9 offset:3072
	s_mov_b32 s85, -1
	s_mov_b32 s86, -1
	s_waitcnt lgkmcnt(0)
	s_barrier
	buffer_gl0_inv
	v_cmp_eq_u32_e32 vcc_lo, 0, v10
	s_cbranch_vccnz .LBB33_363
.LBB33_359:                             ;   in Loop: Header=BB33_360 Depth=2
	s_and_b32 s85, exec_lo, s85
	s_or_b32 s29, s85, s29
	s_andn2_b32 s84, s84, exec_lo
	s_and_b32 s85, s86, exec_lo
	s_or_b32 s84, s84, s85
	s_andn2_b32 exec_lo, exec_lo, s29
	s_cbranch_execz .LBB33_364
.LBB33_360:                             ;   Parent Loop BB33_6 Depth=1
                                        ; =>  This Inner Loop Header: Depth=2
	s_mov_b32 s85, exec_lo
	v_cmpx_gt_u32_e64 s36, v1
	s_cbranch_execz .LBB33_358
; %bb.361:                              ;   in Loop: Header=BB33_360 Depth=2
	v_lshlrev_b64 v[10:11], 2, v[8:9]
	v_add_co_u32 v10, vcc_lo, s31, v10
	v_add_co_ci_u32_e64 v11, null, s33, v11, vcc_lo
	global_load_dword v16, v[10:11], off
	s_waitcnt vmcnt(0)
	v_xor_b32_e32 v4, 0x80000000, v16
	v_and_b32_e32 v4, v4, v30
	v_cmp_eq_u32_e32 vcc_lo, v4, v23
	s_and_b32 exec_lo, exec_lo, vcc_lo
	s_cbranch_execz .LBB33_358
; %bb.362:                              ;   in Loop: Header=BB33_360 Depth=2
	ds_write_b64 v9, v[15:16] offset:3072
	s_branch .LBB33_358
.LBB33_363:                             ;   in Loop: Header=BB33_360 Depth=2
	v_add_nc_u32_e32 v1, s46, v1
	v_add_nc_u32_e32 v8, s48, v8
	s_mov_b32 s86, 0
	v_cmp_le_u32_e32 vcc_lo, s67, v1
	s_orn2_b32 s85, vcc_lo, exec_lo
	s_branch .LBB33_359
.LBB33_364:                             ;   in Loop: Header=BB33_6 Depth=1
	s_inst_prefetch 0x2
	s_or_b32 exec_lo, exec_lo, s29
	s_andn2_b32 s29, s83, exec_lo
	s_and_b32 s83, s84, exec_lo
	s_or_b32 s83, s29, s83
.LBB33_365:                             ;   in Loop: Header=BB33_6 Depth=1
	s_or_b32 exec_lo, exec_lo, s28
	s_mov_b32 s28, 0
	s_mov_b32 s29, -1
.LBB33_366:                             ;   in Loop: Header=BB33_6 Depth=1
	s_orn2_b32 s83, s83, exec_lo
.LBB33_367:                             ;   in Loop: Header=BB33_6 Depth=1
	s_or_b32 exec_lo, exec_lo, s82
	s_mov_b32 s84, 0
	s_and_saveexec_b32 s82, s83
	s_cbranch_execz .LBB33_378
; %bb.368:                              ;   in Loop: Header=BB33_6 Depth=1
	v_mov_b32_e32 v3, 1
	v_mov_b32_e32 v1, 1
	s_xor_b32 s83, s27, -1
	s_and_saveexec_b32 s27, s83
	s_cbranch_execz .LBB33_377
; %bb.369:                              ;   in Loop: Header=BB33_6 Depth=1
	s_mov_b32 s83, exec_lo
	v_cmpx_ge_u32_e64 s13, v2
	s_xor_b32 s83, exec_lo, s83
	s_cbranch_execz .LBB33_374
; %bb.370:                              ;   in Loop: Header=BB33_6 Depth=1
	ds_read_b32 v1, v9 offset:4096
	v_and_b32_e32 v23, s15, v23
	v_or_b32_e32 v30, s14, v30
	s_waitcnt lgkmcnt(0)
	v_cmp_ne_u32_e32 vcc_lo, 0, v1
	s_cbranch_vccnz .LBB33_374
; %bb.371:                              ;   in Loop: Header=BB33_6 Depth=1
	s_and_saveexec_b32 s14, s3
; %bb.372:                              ;   in Loop: Header=BB33_6 Depth=1
	v_mov_b32_e32 v1, s13
	ds_write_b32 v9, v1 offset:4100
; %bb.373:                              ;   in Loop: Header=BB33_6 Depth=1
	s_or_b32 exec_lo, exec_lo, s14
	s_waitcnt lgkmcnt(0)
	s_barrier
	buffer_gl0_inv
.LBB33_374:                             ;   in Loop: Header=BB33_6 Depth=1
	s_andn2_saveexec_b32 s14, s83
; %bb.375:                              ;   in Loop: Header=BB33_6 Depth=1
	v_subrev_nc_u32_e32 v2, s13, v2
; %bb.376:                              ;   in Loop: Header=BB33_6 Depth=1
	s_or_b32 exec_lo, exec_lo, s14
	v_mov_b32_e32 v3, 5
	v_mov_b32_e32 v1, v2
.LBB33_377:                             ;   in Loop: Header=BB33_6 Depth=1
	s_or_b32 exec_lo, exec_lo, s27
	v_mov_b32_e32 v2, v1
	s_mov_b32 s84, exec_lo
.LBB33_378:                             ;   in Loop: Header=BB33_6 Depth=1
	s_or_b32 exec_lo, exec_lo, s82
	s_orn2_b32 s27, s84, exec_lo
.LBB33_379:                             ;   in Loop: Header=BB33_6 Depth=1
	s_or_b32 exec_lo, exec_lo, s16
	v_mov_b32_e32 v1, v2
	s_andn2_b32 s13, s25, exec_lo
	s_and_b32 s14, s29, exec_lo
	s_andn2_b32 s15, s24, exec_lo
	s_and_b32 s16, s28, exec_lo
	s_or_b32 s25, s13, s14
	s_or_b32 s24, s15, s16
	s_and_b32 s29, s27, exec_lo
.LBB33_380:                             ;   in Loop: Header=BB33_6 Depth=1
	s_or_b32 exec_lo, exec_lo, s26
	s_orn2_b32 s26, s29, exec_lo
.LBB33_381:                             ;   in Loop: Header=BB33_6 Depth=1
	s_or_b32 exec_lo, exec_lo, s17
	v_mov_b32_e32 v32, v1
	s_andn2_b32 s13, s21, exec_lo
	s_and_b32 s14, s25, exec_lo
	s_andn2_b32 s15, s18, exec_lo
	s_and_b32 s16, s24, exec_lo
	s_or_b32 s21, s13, s14
	s_or_b32 s18, s15, s16
	s_and_b32 s26, s26, exec_lo
.LBB33_382:                             ;   in Loop: Header=BB33_6 Depth=1
	s_or_b32 exec_lo, exec_lo, s23
	s_orn2_b32 s23, s26, exec_lo
.LBB33_383:                             ;   in Loop: Header=BB33_6 Depth=1
	s_or_b32 exec_lo, exec_lo, s10
	s_mov_b32 s10, s19
	s_mov_b32 s13, s11
	s_and_saveexec_b32 s14, s23
; %bb.384:                              ;   in Loop: Header=BB33_6 Depth=1
	v_cmp_ne_u32_e32 vcc_lo, 5, v3
	v_cmp_eq_u32_e64 s10, 5, v3
	s_andn2_b32 s13, s11, exec_lo
	s_andn2_b32 s15, s19, exec_lo
	s_and_b32 s16, vcc_lo, exec_lo
	s_and_b32 s10, s10, exec_lo
	s_or_b32 s13, s13, s16
	s_or_b32 s10, s15, s10
; %bb.385:                              ;   in Loop: Header=BB33_6 Depth=1
	s_or_b32 exec_lo, exec_lo, s14
	s_andn2_b32 s14, s22, exec_lo
	s_and_b32 s15, s21, exec_lo
	s_andn2_b32 s12, s12, exec_lo
	s_and_b32 s16, s18, exec_lo
	s_or_b32 s22, s14, s15
	s_andn2_b32 s11, s11, exec_lo
	s_and_b32 s13, s13, exec_lo
	s_andn2_b32 s14, s19, exec_lo
	s_and_b32 s10, s10, exec_lo
	s_or_b32 s12, s12, s16
	s_or_b32 s11, s11, s13
	;; [unrolled: 1-line block ×3, first 2 shown]
.LBB33_386:                             ;   in Loop: Header=BB33_6 Depth=1
	s_or_b32 exec_lo, exec_lo, s20
	s_mov_b32 s20, 0
	s_mov_b32 s21, 0
	s_and_saveexec_b32 s10, s19
.LBB33_387:                             ;   in Loop: Header=BB33_6 Depth=1
	v_mov_b32_e32 v3, 0
	s_or_b32 s11, s11, exec_lo
.LBB33_388:                             ;   in Loop: Header=BB33_6 Depth=1
	s_or_b32 exec_lo, exec_lo, s10
	s_andn2_b32 s10, s79, exec_lo
	s_and_b32 s14, s22, exec_lo
	s_andn2_b32 s15, s77, exec_lo
	s_and_b32 s12, s12, exec_lo
	v_mov_b32_e32 v31, v32
	s_or_b32 s79, s10, s14
	s_or_b32 s77, s15, s12
	s_andn2_b32 s10, s81, exec_lo
	s_and_b32 s12, s21, exec_lo
	s_andn2_b32 s14, s80, exec_lo
	s_and_b32 s15, s20, exec_lo
	s_mov_b32 s13, -1
	s_andn2_b32 s78, s78, exec_lo
	s_or_b32 s81, s10, s12
	s_or_b32 s80, s14, s15
	s_and_saveexec_b32 s10, s11
	s_xor_b32 s10, exec_lo, s10
	s_cbranch_execz .LBB33_5
; %bb.389:                              ;   in Loop: Header=BB33_6 Depth=1
	s_mov_b32 s11, -1
	s_mov_b32 s12, -1
	s_mov_b32 s13, exec_lo
	v_cmpx_eq_u32_e32 0, v3
	s_cbranch_execz .LBB33_4
; %bb.390:                              ;   in Loop: Header=BB33_6 Depth=1
	s_xor_b32 s71, s71, 1
	s_add_i32 s14, s75, -2
	s_cmp_eq_u32 s75, 0
	s_mov_b32 s75, s14
	s_cselect_b32 s11, -1, 0
	s_xor_b32 s12, exec_lo, -1
	s_orn2_b32 s11, s11, exec_lo
	s_branch .LBB33_4
.LBB33_391:
	s_or_b32 exec_lo, exec_lo, s47
	s_xor_b32 s7, s76, -1
	s_xor_b32 s12, s73, -1
	s_xor_b32 s11, s74, -1
	s_xor_b32 s8, s70, -1
	s_xor_b32 s6, s72, -1
	s_mov_b32 s9, 0
	s_and_saveexec_b32 s10, s8
	s_xor_b32 s8, exec_lo, s10
	s_cbranch_execnz .LBB33_396
; %bb.392:
	s_andn2_saveexec_b32 s0, s8
	s_cbranch_execnz .LBB33_415
.LBB33_393:
	s_or_b32 exec_lo, exec_lo, s0
	s_and_saveexec_b32 s0, s9
.LBB33_394:
	; divergent unreachable
.LBB33_395:
	s_endpgm
.LBB33_396:
	s_mov_b32 s10, 0
	s_and_saveexec_b32 s9, s11
	s_xor_b32 s9, exec_lo, s9
	s_cbranch_execz .LBB33_413
; %bb.397:
	s_mov_b32 s11, 0
	s_and_saveexec_b32 s10, s12
	s_xor_b32 s10, exec_lo, s10
	s_cbranch_execz .LBB33_411
; %bb.398:
	;; [unrolled: 5-line block ×3, first 2 shown]
	s_and_saveexec_b32 s7, s6
	s_xor_b32 s6, exec_lo, s7
; %bb.400:
	v_xor_b32_e32 v11, 0x80000000, v23
; %bb.401:
	s_or_b32 exec_lo, exec_lo, s6
	s_and_saveexec_b32 s6, s3
; %bb.402:
	v_mov_b32_e32 v1, 0
	ds_write_b32 v1, v1 offset:4108
; %bb.403:
	s_or_b32 exec_lo, exec_lo, s6
	v_mov_b32_e32 v7, 0
	s_waitcnt lgkmcnt(0)
	s_barrier
	buffer_gl0_inv
	s_and_saveexec_b32 s3, s2
	s_cbranch_execz .LBB33_405
; %bb.404:
	global_load_dword v7, v[5:6], off
.LBB33_405:
	s_or_b32 exec_lo, exec_lo, s3
	s_mul_i32 s3, s53, s51
	s_add_i32 s12, s36, 31
	s_sub_i32 s3, s49, s3
	s_andn2_b32 s12, s12, 31
	s_add_i32 s6, s53, 1
	s_sub_i32 s7, s3, s51
	s_cmp_ge_u32 s3, s51
	v_cmp_gt_u32_e32 vcc_lo, s12, v0
	s_cselect_b32 s6, s6, s53
	s_cselect_b32 s3, s7, s3
	s_add_i32 s7, s6, 1
	s_cmp_ge_u32 s3, s51
	s_mul_i32 s3, s52, s50
	s_cselect_b32 s6, s7, s6
	s_sub_i32 s3, s49, s3
	s_mul_i32 s7, s6, s51
	s_mul_i32 s6, s6, s44
	s_sub_i32 s7, s49, s7
	s_add_i32 s13, s52, 1
	s_mul_i32 s7, s7, s45
	s_sub_i32 s14, s3, s50
	s_add_i32 s6, s6, s7
	s_cmp_ge_u32 s3, s50
	s_mov_b32 s18, -1
	s_cselect_b32 s7, s13, s52
	s_clause 0x1
	s_load_dword s13, s[4:5], 0x1c8
	s_load_dword s5, s[4:5], 0x2a8
	s_cselect_b32 s3, s14, s3
	s_add_i32 s14, s7, 1
	s_cmp_ge_u32 s3, s50
	s_cselect_b32 s3, s14, s7
	s_mov_b32 s7, 0
	s_mul_i32 s4, s3, s50
	s_mul_i32 s3, s3, s42
	s_sub_i32 s4, s49, s4
	s_lshl_b64 s[14:15], s[6:7], 2
	s_mul_i32 s4, s4, s43
	s_mov_b32 s17, s7
	s_add_i32 s16, s3, s4
	s_add_u32 s6, s34, s14
	s_addc_u32 s14, s35, s15
	s_lshl_b64 s[16:17], s[16:17], 3
	s_mov_b32 s3, 0
	s_add_u32 s15, s40, s16
	s_addc_u32 s16, s41, s17
	s_and_saveexec_b32 s17, vcc_lo
	s_cbranch_execnz .LBB33_416
; %bb.406:
	s_or_b32 exec_lo, exec_lo, s17
	s_and_saveexec_b32 s4, s18
	s_cbranch_execnz .LBB33_431
.LBB33_407:
	s_or_b32 exec_lo, exec_lo, s4
	s_and_saveexec_b32 s0, s3
	s_xor_b32 s0, exec_lo, s0
	s_cbranch_execnz .LBB33_454
.LBB33_408:
	s_or_b32 exec_lo, exec_lo, s0
	s_and_b32 s12, s7, exec_lo
.LBB33_409:
	s_andn2_saveexec_b32 s0, s11
	s_cbranch_execnz .LBB33_456
.LBB33_410:
	s_or_b32 exec_lo, exec_lo, s0
	s_and_b32 s11, s12, exec_lo
.LBB33_411:
	s_andn2_saveexec_b32 s0, s10
	s_cbranch_execnz .LBB33_455
.LBB33_412:
	s_or_b32 exec_lo, exec_lo, s0
	s_and_b32 s10, s11, exec_lo
.LBB33_413:
	s_andn2_saveexec_b32 s0, s9
	s_cbranch_execnz .LBB33_450
.LBB33_414:
	s_or_b32 exec_lo, exec_lo, s0
	s_and_b32 s9, s10, exec_lo
	s_andn2_saveexec_b32 s0, s8
	s_cbranch_execz .LBB33_393
.LBB33_415:
	s_or_b32 s9, s9, exec_lo
	s_trap 2
	s_or_b32 exec_lo, exec_lo, s0
	s_and_saveexec_b32 s0, s9
	s_cbranch_execnz .LBB33_394
	s_branch .LBB33_395
.LBB33_416:
	v_add_nc_u32_e32 v1, s46, v0
	v_xor_b32_e32 v8, 0x80000000, v11
	v_mov_b32_e32 v2, 0
	v_mov_b32_e32 v3, v0
	s_mov_b32 s18, 0
	v_mul_lo_u32 v1, s30, v1
                                        ; implicit-def: $sgpr19
                                        ; implicit-def: $vgpr10
	s_branch .LBB33_418
.LBB33_417:                             ;   in Loop: Header=BB33_418 Depth=1
	s_or_b32 exec_lo, exec_lo, s21
	s_xor_b32 s3, s20, -1
	s_and_b32 s4, exec_lo, s4
	v_mov_b32_e32 v7, v12
	s_or_b32 s18, s4, s18
	v_mov_b32_e32 v3, v9
	s_andn2_b32 s4, s19, exec_lo
	s_and_b32 s3, s3, exec_lo
	s_or_b32 s19, s4, s3
	s_andn2_b32 exec_lo, exec_lo, s18
	s_cbranch_execz .LBB33_430
.LBB33_418:                             ; =>This Inner Loop Header: Depth=1
	v_add_nc_u32_e32 v9, s46, v3
	v_mov_b32_e32 v12, 0
	s_mov_b32 s4, exec_lo
	v_cmpx_gt_u32_e64 s36, v9
	s_cbranch_execz .LBB33_420
; %bb.419:                              ;   in Loop: Header=BB33_418 Depth=1
	v_lshlrev_b64 v[12:13], 2, v[1:2]
	v_add_co_u32 v12, s3, s31, v12
	v_add_co_ci_u32_e64 v13, null, s33, v13, s3
	global_load_dword v12, v[12:13], off
.LBB33_420:                             ;   in Loop: Header=BB33_418 Depth=1
	s_or_b32 exec_lo, exec_lo, s4
	s_waitcnt vmcnt(0)
	v_xor_b32_e32 v4, 0x80000000, v7
	v_cmp_gt_u32_e64 s3, v4, v8
	v_cndmask_b32_e64 v13, 0, 1, s3
	v_cmp_lt_u32_e64 s3, v4, v8
	v_cndmask_b32_e64 v4, 0, 1, s3
	v_cmp_gt_u32_e64 s3, s36, v3
	v_cndmask_b32_e64 v4, v4, v13, s1
	v_and_b32_e32 v4, 1, v4
	v_cmp_eq_u32_e64 s4, 1, v4
	s_and_b32 s21, s3, s4
	v_cndmask_b32_e64 v4, 0, 1, s21
	v_cmp_ne_u32_e64 s3, 0, v4
	s_cmp_lg_u32 s3, 0
	s_cselect_b32 s4, -1, 0
	s_and_b32 s4, s0, s4
	s_and_saveexec_b32 s20, s4
	s_cbranch_execz .LBB33_424
; %bb.421:                              ;   in Loop: Header=BB33_418 Depth=1
	s_mov_b32 s24, exec_lo
	s_bcnt1_i32_b32 s22, s3
	v_mbcnt_lo_u32_b32 v4, s24, 0
	s_mov_b32 s23, exec_lo
                                        ; implicit-def: $vgpr10
	v_cmpx_eq_u32_e32 0, v4
	s_cbranch_execz .LBB33_423
; %bb.422:                              ;   in Loop: Header=BB33_418 Depth=1
	s_bcnt1_i32_b32 s4, s24
	s_mul_i32 s4, s22, s4
	s_waitcnt lgkmcnt(0)
	v_mov_b32_e32 v10, s4
	ds_add_rtn_u32 v10, v2, v10 offset:4108
.LBB33_423:                             ;   in Loop: Header=BB33_418 Depth=1
	s_or_b32 exec_lo, exec_lo, s23
	s_waitcnt lgkmcnt(0)
	v_readfirstlane_b32 s4, v10
	v_mad_u32_u24 v10, s22, v4, s4
.LBB33_424:                             ;   in Loop: Header=BB33_418 Depth=1
	s_or_b32 exec_lo, exec_lo, s20
	s_waitcnt lgkmcnt(0)
	ds_bpermute_b32 v10, v2, v10
	s_mov_b32 s4, -1
	s_mov_b32 s22, -1
	s_and_saveexec_b32 s20, s21
	s_cbranch_execz .LBB33_428
; %bb.425:                              ;   in Loop: Header=BB33_418 Depth=1
	v_and_b32_e32 v4, s3, v17
	s_mov_b32 s21, 0
	s_mov_b32 s22, exec_lo
	s_waitcnt lgkmcnt(0)
	v_bcnt_u32_b32 v4, v4, v10
	v_cmpx_gt_u32_e64 s37, v4
; %bb.426:                              ;   in Loop: Header=BB33_418 Depth=1
	v_mul_lo_u32 v13, v4, s13
	v_mul_lo_u32 v15, v4, s5
	v_mov_b32_e32 v14, v2
	v_mov_b32_e32 v16, v2
	;; [unrolled: 1-line block ×3, first 2 shown]
	s_mov_b32 s21, exec_lo
	v_lshlrev_b64 v[13:14], 2, v[13:14]
	v_lshlrev_b64 v[15:16], 3, v[15:16]
	v_add_co_u32 v13, s3, s6, v13
	v_add_co_ci_u32_e64 v14, null, s14, v14, s3
	v_add_co_u32 v15, s3, s15, v15
	v_add_co_ci_u32_e64 v16, null, s16, v16, s3
	global_store_dword v[13:14], v7, off
	global_store_dwordx2 v[15:16], v[3:4], off
; %bb.427:                              ;   in Loop: Header=BB33_418 Depth=1
	s_or_b32 exec_lo, exec_lo, s22
	s_orn2_b32 s22, s21, exec_lo
.LBB33_428:                             ;   in Loop: Header=BB33_418 Depth=1
	s_or_b32 exec_lo, exec_lo, s20
	s_mov_b32 s20, -1
	s_and_saveexec_b32 s21, s22
	s_cbranch_execz .LBB33_417
; %bb.429:                              ;   in Loop: Header=BB33_418 Depth=1
	v_cmp_le_u32_e64 s3, s12, v9
	v_add_nc_u32_e32 v1, s48, v1
	s_xor_b32 s20, exec_lo, -1
	s_orn2_b32 s4, s3, exec_lo
	s_branch .LBB33_417
.LBB33_430:
	s_or_b32 exec_lo, exec_lo, s18
	s_mov_b32 s3, exec_lo
	s_orn2_b32 s18, s19, exec_lo
	s_or_b32 exec_lo, exec_lo, s17
	s_and_saveexec_b32 s4, s18
	s_cbranch_execz .LBB33_407
.LBB33_431:
	v_mov_b32_e32 v1, 0
	s_waitcnt vmcnt(0) lgkmcnt(0)
	s_waitcnt_vscnt null, 0x0
	s_barrier
	buffer_gl0_inv
	s_and_saveexec_b32 s1, s2
	s_cbranch_execz .LBB33_433
; %bb.432:
	global_load_dword v1, v[5:6], off
.LBB33_433:
	s_or_b32 exec_lo, exec_lo, s1
	s_mov_b32 s1, 0
	s_and_saveexec_b32 s2, vcc_lo
	s_cbranch_execz .LBB33_453
; %bb.434:
	v_add_nc_u32_e32 v2, s46, v0
	v_mov_b32_e32 v3, 0
	s_mov_b32 s7, 0
                                        ; implicit-def: $sgpr17
                                        ; implicit-def: $vgpr5
	v_mul_lo_u32 v2, s30, v2
	s_branch .LBB33_437
.LBB33_435:                             ;   in Loop: Header=BB33_437 Depth=1
	s_or_b32 exec_lo, exec_lo, s19
	s_orn2_b32 s20, s21, exec_lo
	s_orn2_b32 s18, s18, exec_lo
.LBB33_436:                             ;   in Loop: Header=BB33_437 Depth=1
	s_or_b32 exec_lo, exec_lo, s1
	s_xor_b32 s1, s20, -1
	s_and_b32 s18, exec_lo, s18
	v_mov_b32_e32 v0, v4
	s_or_b32 s7, s18, s7
	v_mov_b32_e32 v1, v6
	s_andn2_b32 s17, s17, exec_lo
	s_and_b32 s1, s1, exec_lo
	s_or_b32 s17, s17, s1
	s_andn2_b32 exec_lo, exec_lo, s7
	s_cbranch_execz .LBB33_451
.LBB33_437:                             ; =>This Inner Loop Header: Depth=1
	v_add_nc_u32_e32 v4, s46, v0
	v_mov_b32_e32 v6, 0
	s_mov_b32 s1, exec_lo
	v_cmpx_gt_u32_e64 s36, v4
	s_cbranch_execz .LBB33_439
; %bb.438:                              ;   in Loop: Header=BB33_437 Depth=1
	v_lshlrev_b64 v[6:7], 2, v[2:3]
	v_add_co_u32 v6, vcc_lo, s31, v6
	v_add_co_ci_u32_e64 v7, null, s33, v7, vcc_lo
	global_load_dword v6, v[6:7], off
.LBB33_439:                             ;   in Loop: Header=BB33_437 Depth=1
	s_or_b32 exec_lo, exec_lo, s1
	v_cmp_gt_u32_e32 vcc_lo, s36, v0
	s_waitcnt vmcnt(0)
	v_cmp_eq_u32_e64 s1, v1, v11
	s_and_b32 s19, vcc_lo, s1
	v_cndmask_b32_e64 v1, 0, 1, s19
	v_cmp_ne_u32_e32 vcc_lo, 0, v1
	s_cmp_lg_u32 vcc_lo, 0
	s_cselect_b32 s1, -1, 0
	s_and_b32 s1, s0, s1
	s_and_saveexec_b32 s18, s1
	s_cbranch_execz .LBB33_443
; %bb.440:                              ;   in Loop: Header=BB33_437 Depth=1
	s_mov_b32 s22, exec_lo
	s_bcnt1_i32_b32 s20, vcc_lo
	v_mbcnt_lo_u32_b32 v1, s22, 0
	s_mov_b32 s21, exec_lo
                                        ; implicit-def: $vgpr5
	v_cmpx_eq_u32_e32 0, v1
; %bb.441:                              ;   in Loop: Header=BB33_437 Depth=1
	s_bcnt1_i32_b32 s1, s22
	s_mul_i32 s1, s20, s1
	v_mov_b32_e32 v5, s1
	ds_add_rtn_u32 v5, v3, v5 offset:4108
; %bb.442:                              ;   in Loop: Header=BB33_437 Depth=1
	s_or_b32 exec_lo, exec_lo, s21
	s_waitcnt lgkmcnt(0)
	v_readfirstlane_b32 s1, v5
	v_mad_u32_u24 v5, s20, v1, s1
.LBB33_443:                             ;   in Loop: Header=BB33_437 Depth=1
	s_or_b32 exec_lo, exec_lo, s18
	ds_bpermute_b32 v5, v3, v5
	s_cmp_eq_u32 vcc_lo, 0
	s_mov_b32 s18, -1
	s_cselect_b32 s20, -1, 0
	s_waitcnt lgkmcnt(0)
	v_cmp_gt_u32_e64 s1, s37, v5
	s_or_b32 s21, s20, s1
	s_mov_b32 s20, -1
	s_and_saveexec_b32 s1, s21
	s_cbranch_execz .LBB33_436
; %bb.444:                              ;   in Loop: Header=BB33_437 Depth=1
	v_and_b32_e32 v1, vcc_lo, v17
	v_sub_nc_u32_e32 v7, s37, v5
	s_mov_b32 s21, -1
	v_bcnt_u32_b32 v1, v1, 0
	v_bcnt_u32_b32 v1, 0, v1
	v_cmp_gt_u32_e32 vcc_lo, v7, v1
	s_and_b32 s22, s19, vcc_lo
	s_and_saveexec_b32 s19, s22
	s_cbranch_execz .LBB33_448
; %bb.445:                              ;   in Loop: Header=BB33_437 Depth=1
	v_add_nc_u32_e32 v1, v5, v1
	s_mov_b32 s20, 0
	s_mov_b32 s21, exec_lo
	v_cmpx_gt_u32_e64 s37, v1
; %bb.446:                              ;   in Loop: Header=BB33_437 Depth=1
	v_mul_lo_u32 v7, v1, s13
	v_mul_lo_u32 v9, v1, s5
	v_mov_b32_e32 v8, v3
	v_mov_b32_e32 v10, v3
	v_mov_b32_e32 v1, v3
	s_mov_b32 s20, exec_lo
	v_lshlrev_b64 v[7:8], 2, v[7:8]
	v_lshlrev_b64 v[9:10], 3, v[9:10]
	v_add_co_u32 v7, vcc_lo, s6, v7
	v_add_co_ci_u32_e64 v8, null, s14, v8, vcc_lo
	v_add_co_u32 v9, vcc_lo, s15, v9
	v_add_co_ci_u32_e64 v10, null, s16, v10, vcc_lo
	global_store_dword v[7:8], v11, off
	global_store_dwordx2 v[9:10], v[0:1], off
; %bb.447:                              ;   in Loop: Header=BB33_437 Depth=1
	s_or_b32 exec_lo, exec_lo, s21
	s_xor_b32 s21, exec_lo, -1
	s_orn2_b32 s20, s20, exec_lo
.LBB33_448:                             ;   in Loop: Header=BB33_437 Depth=1
	s_or_b32 exec_lo, exec_lo, s19
	s_and_saveexec_b32 s19, s20
	s_cbranch_execz .LBB33_435
; %bb.449:                              ;   in Loop: Header=BB33_437 Depth=1
	v_cmp_le_u32_e32 vcc_lo, s12, v4
	v_add_nc_u32_e32 v2, s48, v2
	s_or_b32 s21, s21, exec_lo
	s_orn2_b32 s18, vcc_lo, exec_lo
	s_branch .LBB33_435
.LBB33_450:
	s_or_b32 s10, s10, exec_lo
	s_trap 2
	s_branch .LBB33_414
.LBB33_451:
	s_or_b32 exec_lo, exec_lo, s7
	s_mov_b32 s0, 0
	s_and_saveexec_b32 s1, s17
	s_xor_b32 s1, exec_lo, s1
	s_cbranch_execnz .LBB33_457
.LBB33_452:
	s_or_b32 exec_lo, exec_lo, s1
	s_and_b32 s1, s0, exec_lo
.LBB33_453:
	s_or_b32 exec_lo, exec_lo, s2
	s_and_b32 s7, s1, exec_lo
	s_andn2_b32 s3, s3, exec_lo
	s_or_b32 exec_lo, exec_lo, s4
	s_and_saveexec_b32 s0, s3
	s_xor_b32 s0, exec_lo, s0
	s_cbranch_execz .LBB33_408
.LBB33_454:
	s_or_b32 s7, s7, exec_lo
	s_trap 2
	s_branch .LBB33_408
.LBB33_455:
	s_or_b32 s11, s11, exec_lo
	s_trap 2
	s_branch .LBB33_412
.LBB33_456:
	s_or_b32 s12, s12, exec_lo
	s_trap 2
	s_branch .LBB33_410
.LBB33_457:
	s_mov_b32 s0, exec_lo
	s_trap 2
	s_branch .LBB33_452
	.section	.rodata,"a",@progbits
	.p2align	6, 0x0
	.amdhsa_kernel _ZN2at6native6sbtopk10gatherTopKIijLi2ELb0EEEvNS_4cuda6detail10TensorInfoIKT_T0_EES8_S8_bS8_S8_NS5_IS6_S8_EES8_NS5_IlS8_EES8_PS6_
		.amdhsa_group_segment_fixed_size 4112
		.amdhsa_private_segment_fixed_size 0
		.amdhsa_kernarg_size 952
		.amdhsa_user_sgpr_count 6
		.amdhsa_user_sgpr_private_segment_buffer 1
		.amdhsa_user_sgpr_dispatch_ptr 0
		.amdhsa_user_sgpr_queue_ptr 0
		.amdhsa_user_sgpr_kernarg_segment_ptr 1
		.amdhsa_user_sgpr_dispatch_id 0
		.amdhsa_user_sgpr_flat_scratch_init 0
		.amdhsa_user_sgpr_private_segment_size 0
		.amdhsa_wavefront_size32 1
		.amdhsa_uses_dynamic_stack 0
		.amdhsa_system_sgpr_private_segment_wavefront_offset 0
		.amdhsa_system_sgpr_workgroup_id_x 1
		.amdhsa_system_sgpr_workgroup_id_y 1
		.amdhsa_system_sgpr_workgroup_id_z 1
		.amdhsa_system_sgpr_workgroup_info 0
		.amdhsa_system_vgpr_workitem_id 0
		.amdhsa_next_free_vgpr 43
		.amdhsa_next_free_sgpr 95
		.amdhsa_reserve_vcc 1
		.amdhsa_reserve_flat_scratch 0
		.amdhsa_float_round_mode_32 0
		.amdhsa_float_round_mode_16_64 0
		.amdhsa_float_denorm_mode_32 3
		.amdhsa_float_denorm_mode_16_64 3
		.amdhsa_dx10_clamp 1
		.amdhsa_ieee_mode 1
		.amdhsa_fp16_overflow 0
		.amdhsa_workgroup_processor_mode 1
		.amdhsa_memory_ordered 1
		.amdhsa_forward_progress 1
		.amdhsa_shared_vgpr_count 0
		.amdhsa_exception_fp_ieee_invalid_op 0
		.amdhsa_exception_fp_denorm_src 0
		.amdhsa_exception_fp_ieee_div_zero 0
		.amdhsa_exception_fp_ieee_overflow 0
		.amdhsa_exception_fp_ieee_underflow 0
		.amdhsa_exception_fp_ieee_inexact 0
		.amdhsa_exception_int_div_zero 0
	.end_amdhsa_kernel
	.section	.text._ZN2at6native6sbtopk10gatherTopKIijLi2ELb0EEEvNS_4cuda6detail10TensorInfoIKT_T0_EES8_S8_bS8_S8_NS5_IS6_S8_EES8_NS5_IlS8_EES8_PS6_,"axG",@progbits,_ZN2at6native6sbtopk10gatherTopKIijLi2ELb0EEEvNS_4cuda6detail10TensorInfoIKT_T0_EES8_S8_bS8_S8_NS5_IS6_S8_EES8_NS5_IlS8_EES8_PS6_,comdat
.Lfunc_end33:
	.size	_ZN2at6native6sbtopk10gatherTopKIijLi2ELb0EEEvNS_4cuda6detail10TensorInfoIKT_T0_EES8_S8_bS8_S8_NS5_IS6_S8_EES8_NS5_IlS8_EES8_PS6_, .Lfunc_end33-_ZN2at6native6sbtopk10gatherTopKIijLi2ELb0EEEvNS_4cuda6detail10TensorInfoIKT_T0_EES8_S8_bS8_S8_NS5_IS6_S8_EES8_NS5_IlS8_EES8_PS6_
                                        ; -- End function
	.set _ZN2at6native6sbtopk10gatherTopKIijLi2ELb0EEEvNS_4cuda6detail10TensorInfoIKT_T0_EES8_S8_bS8_S8_NS5_IS6_S8_EES8_NS5_IlS8_EES8_PS6_.num_vgpr, 43
	.set _ZN2at6native6sbtopk10gatherTopKIijLi2ELb0EEEvNS_4cuda6detail10TensorInfoIKT_T0_EES8_S8_bS8_S8_NS5_IS6_S8_EES8_NS5_IlS8_EES8_PS6_.num_agpr, 0
	.set _ZN2at6native6sbtopk10gatherTopKIijLi2ELb0EEEvNS_4cuda6detail10TensorInfoIKT_T0_EES8_S8_bS8_S8_NS5_IS6_S8_EES8_NS5_IlS8_EES8_PS6_.numbered_sgpr, 95
	.set _ZN2at6native6sbtopk10gatherTopKIijLi2ELb0EEEvNS_4cuda6detail10TensorInfoIKT_T0_EES8_S8_bS8_S8_NS5_IS6_S8_EES8_NS5_IlS8_EES8_PS6_.num_named_barrier, 0
	.set _ZN2at6native6sbtopk10gatherTopKIijLi2ELb0EEEvNS_4cuda6detail10TensorInfoIKT_T0_EES8_S8_bS8_S8_NS5_IS6_S8_EES8_NS5_IlS8_EES8_PS6_.private_seg_size, 0
	.set _ZN2at6native6sbtopk10gatherTopKIijLi2ELb0EEEvNS_4cuda6detail10TensorInfoIKT_T0_EES8_S8_bS8_S8_NS5_IS6_S8_EES8_NS5_IlS8_EES8_PS6_.uses_vcc, 1
	.set _ZN2at6native6sbtopk10gatherTopKIijLi2ELb0EEEvNS_4cuda6detail10TensorInfoIKT_T0_EES8_S8_bS8_S8_NS5_IS6_S8_EES8_NS5_IlS8_EES8_PS6_.uses_flat_scratch, 0
	.set _ZN2at6native6sbtopk10gatherTopKIijLi2ELb0EEEvNS_4cuda6detail10TensorInfoIKT_T0_EES8_S8_bS8_S8_NS5_IS6_S8_EES8_NS5_IlS8_EES8_PS6_.has_dyn_sized_stack, 0
	.set _ZN2at6native6sbtopk10gatherTopKIijLi2ELb0EEEvNS_4cuda6detail10TensorInfoIKT_T0_EES8_S8_bS8_S8_NS5_IS6_S8_EES8_NS5_IlS8_EES8_PS6_.has_recursion, 0
	.set _ZN2at6native6sbtopk10gatherTopKIijLi2ELb0EEEvNS_4cuda6detail10TensorInfoIKT_T0_EES8_S8_bS8_S8_NS5_IS6_S8_EES8_NS5_IlS8_EES8_PS6_.has_indirect_call, 0
	.section	.AMDGPU.csdata,"",@progbits
; Kernel info:
; codeLenInByte = 14644
; TotalNumSgprs: 97
; NumVgprs: 43
; ScratchSize: 0
; MemoryBound: 0
; FloatMode: 240
; IeeeMode: 1
; LDSByteSize: 4112 bytes/workgroup (compile time only)
; SGPRBlocks: 0
; VGPRBlocks: 5
; NumSGPRsForWavesPerEU: 97
; NumVGPRsForWavesPerEU: 43
; Occupancy: 16
; WaveLimiterHint : 1
; COMPUTE_PGM_RSRC2:SCRATCH_EN: 0
; COMPUTE_PGM_RSRC2:USER_SGPR: 6
; COMPUTE_PGM_RSRC2:TRAP_HANDLER: 0
; COMPUTE_PGM_RSRC2:TGID_X_EN: 1
; COMPUTE_PGM_RSRC2:TGID_Y_EN: 1
; COMPUTE_PGM_RSRC2:TGID_Z_EN: 1
; COMPUTE_PGM_RSRC2:TIDIG_COMP_CNT: 0
	.section	.text._ZN2at6native6mbtopk23computeBlockDigitCountsIijjLi3EEEvNS_4cuda6detail10TensorInfoIKT_T0_EEjPjjS8_iijT1_PSB_Ps,"axG",@progbits,_ZN2at6native6mbtopk23computeBlockDigitCountsIijjLi3EEEvNS_4cuda6detail10TensorInfoIKT_T0_EEjPjjS8_iijT1_PSB_Ps,comdat
	.protected	_ZN2at6native6mbtopk23computeBlockDigitCountsIijjLi3EEEvNS_4cuda6detail10TensorInfoIKT_T0_EEjPjjS8_iijT1_PSB_Ps ; -- Begin function _ZN2at6native6mbtopk23computeBlockDigitCountsIijjLi3EEEvNS_4cuda6detail10TensorInfoIKT_T0_EEjPjjS8_iijT1_PSB_Ps
	.globl	_ZN2at6native6mbtopk23computeBlockDigitCountsIijjLi3EEEvNS_4cuda6detail10TensorInfoIKT_T0_EEjPjjS8_iijT1_PSB_Ps
	.p2align	8
	.type	_ZN2at6native6mbtopk23computeBlockDigitCountsIijjLi3EEEvNS_4cuda6detail10TensorInfoIKT_T0_EEjPjjS8_iijT1_PSB_Ps,@function
_ZN2at6native6mbtopk23computeBlockDigitCountsIijjLi3EEEvNS_4cuda6detail10TensorInfoIKT_T0_EEjPjjS8_iijT1_PSB_Ps: ; @_ZN2at6native6mbtopk23computeBlockDigitCountsIijjLi3EEEvNS_4cuda6detail10TensorInfoIKT_T0_EEjPjjS8_iijT1_PSB_Ps
; %bb.0:
	s_clause 0x2
	s_load_dwordx2 s[10:11], s[4:5], 0xf8
	s_load_dwordx4 s[12:15], s[4:5], 0xe8
	s_load_dwordx2 s[0:1], s[4:5], 0x110
	s_mov_b32 s9, 0
	s_waitcnt lgkmcnt(0)
	v_cvt_f32_u32_e32 v1, s10
	s_sub_i32 s3, 0, s10
	s_mul_i32 s1, s1, s8
	s_add_i32 s1, s1, s7
	v_rcp_iflag_f32_e32 v1, v1
	s_mul_i32 s18, s1, s0
	s_add_i32 s18, s18, s6
	v_mul_f32_e32 v1, 0x4f7ffffe, v1
	v_cvt_u32_f32_e32 v1, v1
	v_readfirstlane_b32 s2, v1
	s_mul_i32 s3, s3, s2
	s_mul_hi_u32 s0, s2, s3
	s_add_i32 s2, s2, s0
	s_mul_hi_u32 s0, s18, s2
	s_mul_i32 s1, s0, s10
	s_add_i32 s2, s0, 1
	s_sub_i32 s1, s18, s1
	s_sub_i32 s3, s1, s10
	s_cmp_ge_u32 s1, s10
	s_cselect_b32 s0, s2, s0
	s_cselect_b32 s1, s3, s1
	s_add_i32 s2, s0, 1
	s_cmp_ge_u32 s1, s10
	s_cselect_b32 s8, s2, s0
	s_cmp_ge_u32 s8, s12
	s_cbranch_scc1 .LBB34_27
; %bb.1:
	s_clause 0x1
	s_load_dwordx2 s[6:7], s[4:5], 0xc
	s_load_dwordx4 s[0:3], s[4:5], 0x100
	s_lshl_b64 s[16:17], s[8:9], 2
	v_cmp_gt_u32_e32 vcc_lo, 0x100, v0
	v_lshlrev_b32_e32 v3, 2, v0
	s_waitcnt lgkmcnt(0)
	v_cvt_f32_u32_e32 v1, s7
	v_cvt_f32_u32_e32 v2, s6
	s_add_u32 s16, s0, s16
	s_addc_u32 s17, s1, s17
	s_sub_i32 s0, 0, s7
	v_rcp_iflag_f32_e32 v1, v1
	v_rcp_iflag_f32_e32 v2, v2
	v_mul_f32_e32 v1, 0x4f7ffffe, v1
	v_cvt_u32_f32_e32 v1, v1
	v_readfirstlane_b32 s9, v1
	v_mul_f32_e32 v1, 0x4f7ffffe, v2
	s_mul_i32 s0, s0, s9
	v_cvt_u32_f32_e32 v1, v1
	s_mul_hi_u32 s0, s9, s0
	s_add_i32 s9, s9, s0
	v_readfirstlane_b32 s19, v1
	s_mul_hi_u32 s0, s8, s9
	s_mul_i32 s1, s0, s7
	s_add_i32 s9, s0, 1
	s_sub_i32 s1, s8, s1
	s_sub_i32 s12, s1, s7
	s_cmp_ge_u32 s1, s7
	s_cselect_b32 s0, s9, s0
	s_cselect_b32 s1, s12, s1
	s_add_i32 s9, s0, 1
	s_cmp_ge_u32 s1, s7
	s_cselect_b32 s0, s9, s0
	s_and_saveexec_b32 s1, vcc_lo
; %bb.2:
	v_mov_b32_e32 v1, 0
	ds_write_b32 v3, v1
; %bb.3:
	s_or_b32 exec_lo, exec_lo, s1
	s_load_dword s9, s[4:5], 0xd8
	s_mul_i32 s1, s8, s10
	s_waitcnt lgkmcnt(0)
	s_sub_i32 s1, s18, s1
	s_barrier
	s_mul_i32 s12, s15, s1
	s_add_i32 s1, s1, 1
	s_lshl_b32 s12, s12, 8
	buffer_gl0_inv
	s_sub_i32 s20, s9, s12
	s_add_u32 s20, s20, 0xff
	s_addc_u32 s21, 0, 0
	s_lshr_b64 s[20:21], s[20:21], 8
	s_cmp_lt_u32 s1, s10
	s_mov_b32 s1, 0
	s_cselect_b32 s10, s15, s20
	s_cmp_lt_i32 s10, 1
	s_cbranch_scc1 .LBB34_25
; %bb.4:
	s_sub_i32 s15, 0, s6
	s_clause 0x1
	s_load_dwordx4 s[20:23], s[4:5], 0x6c
	s_load_dwordx2 s[24:25], s[4:5], 0x0
	s_mul_i32 s15, s15, s19
	s_mul_i32 s7, s0, s7
	s_mul_hi_u32 s15, s19, s15
	s_sub_i32 s7, s8, s7
	s_add_i32 s19, s19, s15
	s_mul_hi_u32 s15, s0, s19
	s_mul_i32 s19, s15, s6
	s_sub_i32 s8, s0, s19
	s_add_i32 s19, s15, 1
	s_waitcnt lgkmcnt(0)
	s_sub_i32 s23, s8, s6
	s_cmp_ge_u32 s8, s6
	s_cselect_b32 s5, s19, s15
	s_cselect_b32 s4, s23, s8
	s_add_i32 s8, s5, 1
	s_cmp_ge_u32 s4, s6
	s_load_dword s4, s[16:17], 0x0
	s_cselect_b32 s5, s8, s5
	s_mul_i32 s7, s7, s22
	s_mul_i32 s6, s5, s6
	;; [unrolled: 1-line block ×3, first 2 shown]
	s_sub_i32 s0, s0, s6
	s_mul_i32 s0, s0, s21
	s_add_i32 s0, s0, s7
	s_add_i32 s0, s0, s5
	s_lshl_b64 s[6:7], s[0:1], 2
	s_add_u32 s5, s24, s6
	s_addc_u32 s6, s25, s7
	s_and_b32 s7, s14, 0xff
	s_cmp_lt_u32 s10, 4
	s_cbranch_scc1 .LBB34_19
; %bb.5:
	v_add_nc_u32_e32 v1, s12, v0
	v_mov_b32_e32 v9, 1
	s_and_b32 s1, s10, 0x7ffffffc
	s_lshl_b32 s8, s13, 10
	s_mov_b32 s14, 0
	v_add_nc_u32_e32 v4, 0x300, v1
	v_add_nc_u32_e32 v2, 0x200, v1
	;; [unrolled: 1-line block ×3, first 2 shown]
	v_mul_lo_u32 v8, s13, v1
	s_mov_b32 s15, 0
	v_mul_lo_u32 v5, s13, v4
	v_mul_lo_u32 v6, s13, v2
	;; [unrolled: 1-line block ×3, first 2 shown]
	v_mov_b32_e32 v2, 0
	s_branch .LBB34_7
.LBB34_6:                               ;   in Loop: Header=BB34_7 Depth=1
	s_or_b32 exec_lo, exec_lo, s16
	v_add_nc_u32_e32 v4, 0x400, v4
	s_add_i32 s15, s15, 4
	s_add_i32 s14, s14, s8
	s_cmp_eq_u32 s1, s15
	s_cbranch_scc1 .LBB34_19
.LBB34_7:                               ; =>This Inner Loop Header: Depth=1
	v_add_nc_u32_e32 v1, 0xfffffd00, v4
	s_mov_b32 s16, exec_lo
	v_cmpx_gt_u32_e64 s9, v1
	s_cbranch_execz .LBB34_10
; %bb.8:                                ;   in Loop: Header=BB34_7 Depth=1
	v_add_nc_u32_e32 v1, s14, v8
	v_lshlrev_b64 v[10:11], 2, v[1:2]
	v_add_co_u32 v10, s0, s5, v10
	v_add_co_ci_u32_e64 v11, null, s6, v11, s0
	global_load_dword v1, v[10:11], off
	s_waitcnt vmcnt(0)
	v_xor_b32_e32 v1, 0x80000000, v1
	s_waitcnt lgkmcnt(0)
	v_xor_b32_e32 v10, s4, v1
	v_and_b32_e32 v10, s11, v10
	v_cmp_eq_u32_e64 s0, 0, v10
	s_and_b32 exec_lo, exec_lo, s0
; %bb.9:                                ;   in Loop: Header=BB34_7 Depth=1
	v_bfe_u32 v1, v1, s7, 8
	v_lshlrev_b32_e32 v1, 2, v1
	ds_add_u32 v1, v9
.LBB34_10:                              ;   in Loop: Header=BB34_7 Depth=1
	s_or_b32 exec_lo, exec_lo, s16
	v_add_nc_u32_e32 v1, 0xfffffe00, v4
	s_mov_b32 s16, exec_lo
	v_cmpx_gt_u32_e64 s9, v1
	s_cbranch_execz .LBB34_13
; %bb.11:                               ;   in Loop: Header=BB34_7 Depth=1
	v_add_nc_u32_e32 v1, s14, v7
	v_lshlrev_b64 v[10:11], 2, v[1:2]
	v_add_co_u32 v10, s0, s5, v10
	v_add_co_ci_u32_e64 v11, null, s6, v11, s0
	global_load_dword v1, v[10:11], off
	s_waitcnt vmcnt(0)
	v_xor_b32_e32 v1, 0x80000000, v1
	s_waitcnt lgkmcnt(0)
	v_xor_b32_e32 v10, s4, v1
	v_and_b32_e32 v10, s11, v10
	v_cmp_eq_u32_e64 s0, 0, v10
	s_and_b32 exec_lo, exec_lo, s0
; %bb.12:                               ;   in Loop: Header=BB34_7 Depth=1
	v_bfe_u32 v1, v1, s7, 8
	v_lshlrev_b32_e32 v1, 2, v1
	ds_add_u32 v1, v9
.LBB34_13:                              ;   in Loop: Header=BB34_7 Depth=1
	s_or_b32 exec_lo, exec_lo, s16
	v_add_nc_u32_e32 v1, 0xffffff00, v4
	s_mov_b32 s16, exec_lo
	v_cmpx_gt_u32_e64 s9, v1
	s_cbranch_execz .LBB34_16
; %bb.14:                               ;   in Loop: Header=BB34_7 Depth=1
	v_add_nc_u32_e32 v1, s14, v6
	v_lshlrev_b64 v[10:11], 2, v[1:2]
	v_add_co_u32 v10, s0, s5, v10
	v_add_co_ci_u32_e64 v11, null, s6, v11, s0
	global_load_dword v1, v[10:11], off
	s_waitcnt vmcnt(0)
	v_xor_b32_e32 v1, 0x80000000, v1
	s_waitcnt lgkmcnt(0)
	v_xor_b32_e32 v10, s4, v1
	v_and_b32_e32 v10, s11, v10
	v_cmp_eq_u32_e64 s0, 0, v10
	s_and_b32 exec_lo, exec_lo, s0
; %bb.15:                               ;   in Loop: Header=BB34_7 Depth=1
	v_bfe_u32 v1, v1, s7, 8
	v_lshlrev_b32_e32 v1, 2, v1
	ds_add_u32 v1, v9
.LBB34_16:                              ;   in Loop: Header=BB34_7 Depth=1
	s_or_b32 exec_lo, exec_lo, s16
	s_mov_b32 s16, exec_lo
	v_cmpx_gt_u32_e64 s9, v4
	s_cbranch_execz .LBB34_6
; %bb.17:                               ;   in Loop: Header=BB34_7 Depth=1
	v_add_nc_u32_e32 v1, s14, v5
	v_lshlrev_b64 v[10:11], 2, v[1:2]
	v_add_co_u32 v10, s0, s5, v10
	v_add_co_ci_u32_e64 v11, null, s6, v11, s0
	global_load_dword v1, v[10:11], off
	s_waitcnt vmcnt(0)
	v_xor_b32_e32 v1, 0x80000000, v1
	s_waitcnt lgkmcnt(0)
	v_xor_b32_e32 v10, s4, v1
	v_and_b32_e32 v10, s11, v10
	v_cmp_eq_u32_e64 s0, 0, v10
	s_and_b32 exec_lo, exec_lo, s0
	s_cbranch_execz .LBB34_6
; %bb.18:                               ;   in Loop: Header=BB34_7 Depth=1
	v_bfe_u32 v1, v1, s7, 8
	v_lshlrev_b32_e32 v1, 2, v1
	ds_add_u32 v1, v9
	s_branch .LBB34_6
.LBB34_19:
	s_and_b32 s8, s10, 3
	s_cmp_eq_u32 s8, 0
	s_cbranch_scc1 .LBB34_25
; %bb.20:
	s_lshl_b32 s0, s1, 8
	v_mov_b32_e32 v2, 0
	v_add3_u32 v4, s0, s12, v0
	v_mov_b32_e32 v5, 1
	s_lshl_b32 s1, s13, 8
	v_mul_lo_u32 v1, s13, v4
	s_inst_prefetch 0x1
	s_branch .LBB34_22
	.p2align	6
.LBB34_21:                              ;   in Loop: Header=BB34_22 Depth=1
	s_or_b32 exec_lo, exec_lo, s10
	v_add_nc_u32_e32 v1, s1, v1
	v_add_nc_u32_e32 v4, 0x100, v4
	s_add_i32 s8, s8, -1
	s_cmp_lg_u32 s8, 0
	s_cbranch_scc0 .LBB34_25
.LBB34_22:                              ; =>This Inner Loop Header: Depth=1
	s_mov_b32 s10, exec_lo
	v_cmpx_gt_u32_e64 s9, v4
	s_cbranch_execz .LBB34_21
; %bb.23:                               ;   in Loop: Header=BB34_22 Depth=1
	v_lshlrev_b64 v[6:7], 2, v[1:2]
	v_add_co_u32 v6, s0, s5, v6
	v_add_co_ci_u32_e64 v7, null, s6, v7, s0
	global_load_dword v6, v[6:7], off
	s_waitcnt vmcnt(0)
	v_xor_b32_e32 v6, 0x80000000, v6
	s_waitcnt lgkmcnt(0)
	v_xor_b32_e32 v7, s4, v6
	v_and_b32_e32 v7, s11, v7
	v_cmp_eq_u32_e64 s0, 0, v7
	s_and_b32 exec_lo, exec_lo, s0
	s_cbranch_execz .LBB34_21
; %bb.24:                               ;   in Loop: Header=BB34_22 Depth=1
	v_bfe_u32 v6, v6, s7, 8
	v_lshlrev_b32_e32 v6, 2, v6
	ds_add_u32 v6, v5
	s_branch .LBB34_21
.LBB34_25:
	s_inst_prefetch 0x2
	s_waitcnt lgkmcnt(0)
	s_barrier
	buffer_gl0_inv
	s_and_saveexec_b32 s0, vcc_lo
	s_cbranch_execz .LBB34_27
; %bb.26:
	ds_read_b32 v2, v3
	v_lshl_or_b32 v0, s18, 8, v0
	v_mov_b32_e32 v1, 0
	v_lshlrev_b64 v[0:1], 1, v[0:1]
	v_add_co_u32 v0, vcc_lo, s2, v0
	v_add_co_ci_u32_e64 v1, null, s3, v1, vcc_lo
	s_waitcnt lgkmcnt(0)
	global_store_short v[0:1], v2, off
.LBB34_27:
	s_endpgm
	.section	.rodata,"a",@progbits
	.p2align	6, 0x0
	.amdhsa_kernel _ZN2at6native6mbtopk23computeBlockDigitCountsIijjLi3EEEvNS_4cuda6detail10TensorInfoIKT_T0_EEjPjjS8_iijT1_PSB_Ps
		.amdhsa_group_segment_fixed_size 1024
		.amdhsa_private_segment_fixed_size 0
		.amdhsa_kernarg_size 528
		.amdhsa_user_sgpr_count 6
		.amdhsa_user_sgpr_private_segment_buffer 1
		.amdhsa_user_sgpr_dispatch_ptr 0
		.amdhsa_user_sgpr_queue_ptr 0
		.amdhsa_user_sgpr_kernarg_segment_ptr 1
		.amdhsa_user_sgpr_dispatch_id 0
		.amdhsa_user_sgpr_flat_scratch_init 0
		.amdhsa_user_sgpr_private_segment_size 0
		.amdhsa_wavefront_size32 1
		.amdhsa_uses_dynamic_stack 0
		.amdhsa_system_sgpr_private_segment_wavefront_offset 0
		.amdhsa_system_sgpr_workgroup_id_x 1
		.amdhsa_system_sgpr_workgroup_id_y 1
		.amdhsa_system_sgpr_workgroup_id_z 1
		.amdhsa_system_sgpr_workgroup_info 0
		.amdhsa_system_vgpr_workitem_id 0
		.amdhsa_next_free_vgpr 12
		.amdhsa_next_free_sgpr 26
		.amdhsa_reserve_vcc 1
		.amdhsa_reserve_flat_scratch 0
		.amdhsa_float_round_mode_32 0
		.amdhsa_float_round_mode_16_64 0
		.amdhsa_float_denorm_mode_32 3
		.amdhsa_float_denorm_mode_16_64 3
		.amdhsa_dx10_clamp 1
		.amdhsa_ieee_mode 1
		.amdhsa_fp16_overflow 0
		.amdhsa_workgroup_processor_mode 1
		.amdhsa_memory_ordered 1
		.amdhsa_forward_progress 1
		.amdhsa_shared_vgpr_count 0
		.amdhsa_exception_fp_ieee_invalid_op 0
		.amdhsa_exception_fp_denorm_src 0
		.amdhsa_exception_fp_ieee_div_zero 0
		.amdhsa_exception_fp_ieee_overflow 0
		.amdhsa_exception_fp_ieee_underflow 0
		.amdhsa_exception_fp_ieee_inexact 0
		.amdhsa_exception_int_div_zero 0
	.end_amdhsa_kernel
	.section	.text._ZN2at6native6mbtopk23computeBlockDigitCountsIijjLi3EEEvNS_4cuda6detail10TensorInfoIKT_T0_EEjPjjS8_iijT1_PSB_Ps,"axG",@progbits,_ZN2at6native6mbtopk23computeBlockDigitCountsIijjLi3EEEvNS_4cuda6detail10TensorInfoIKT_T0_EEjPjjS8_iijT1_PSB_Ps,comdat
.Lfunc_end34:
	.size	_ZN2at6native6mbtopk23computeBlockDigitCountsIijjLi3EEEvNS_4cuda6detail10TensorInfoIKT_T0_EEjPjjS8_iijT1_PSB_Ps, .Lfunc_end34-_ZN2at6native6mbtopk23computeBlockDigitCountsIijjLi3EEEvNS_4cuda6detail10TensorInfoIKT_T0_EEjPjjS8_iijT1_PSB_Ps
                                        ; -- End function
	.set _ZN2at6native6mbtopk23computeBlockDigitCountsIijjLi3EEEvNS_4cuda6detail10TensorInfoIKT_T0_EEjPjjS8_iijT1_PSB_Ps.num_vgpr, 12
	.set _ZN2at6native6mbtopk23computeBlockDigitCountsIijjLi3EEEvNS_4cuda6detail10TensorInfoIKT_T0_EEjPjjS8_iijT1_PSB_Ps.num_agpr, 0
	.set _ZN2at6native6mbtopk23computeBlockDigitCountsIijjLi3EEEvNS_4cuda6detail10TensorInfoIKT_T0_EEjPjjS8_iijT1_PSB_Ps.numbered_sgpr, 26
	.set _ZN2at6native6mbtopk23computeBlockDigitCountsIijjLi3EEEvNS_4cuda6detail10TensorInfoIKT_T0_EEjPjjS8_iijT1_PSB_Ps.num_named_barrier, 0
	.set _ZN2at6native6mbtopk23computeBlockDigitCountsIijjLi3EEEvNS_4cuda6detail10TensorInfoIKT_T0_EEjPjjS8_iijT1_PSB_Ps.private_seg_size, 0
	.set _ZN2at6native6mbtopk23computeBlockDigitCountsIijjLi3EEEvNS_4cuda6detail10TensorInfoIKT_T0_EEjPjjS8_iijT1_PSB_Ps.uses_vcc, 1
	.set _ZN2at6native6mbtopk23computeBlockDigitCountsIijjLi3EEEvNS_4cuda6detail10TensorInfoIKT_T0_EEjPjjS8_iijT1_PSB_Ps.uses_flat_scratch, 0
	.set _ZN2at6native6mbtopk23computeBlockDigitCountsIijjLi3EEEvNS_4cuda6detail10TensorInfoIKT_T0_EEjPjjS8_iijT1_PSB_Ps.has_dyn_sized_stack, 0
	.set _ZN2at6native6mbtopk23computeBlockDigitCountsIijjLi3EEEvNS_4cuda6detail10TensorInfoIKT_T0_EEjPjjS8_iijT1_PSB_Ps.has_recursion, 0
	.set _ZN2at6native6mbtopk23computeBlockDigitCountsIijjLi3EEEvNS_4cuda6detail10TensorInfoIKT_T0_EEjPjjS8_iijT1_PSB_Ps.has_indirect_call, 0
	.section	.AMDGPU.csdata,"",@progbits
; Kernel info:
; codeLenInByte = 1444
; TotalNumSgprs: 28
; NumVgprs: 12
; ScratchSize: 0
; MemoryBound: 0
; FloatMode: 240
; IeeeMode: 1
; LDSByteSize: 1024 bytes/workgroup (compile time only)
; SGPRBlocks: 0
; VGPRBlocks: 1
; NumSGPRsForWavesPerEU: 28
; NumVGPRsForWavesPerEU: 12
; Occupancy: 16
; WaveLimiterHint : 1
; COMPUTE_PGM_RSRC2:SCRATCH_EN: 0
; COMPUTE_PGM_RSRC2:USER_SGPR: 6
; COMPUTE_PGM_RSRC2:TRAP_HANDLER: 0
; COMPUTE_PGM_RSRC2:TGID_X_EN: 1
; COMPUTE_PGM_RSRC2:TGID_Y_EN: 1
; COMPUTE_PGM_RSRC2:TGID_Z_EN: 1
; COMPUTE_PGM_RSRC2:TIDIG_COMP_CNT: 0
	.section	.text._ZN2at6native6mbtopk10gatherTopKIijLi3EEEvNS_4cuda6detail10TensorInfoIKT_T0_EES8_S8_bjS8_NS5_IS6_S8_EES8_NS5_IlS8_EES8_jjPS6_PjSD_j,"axG",@progbits,_ZN2at6native6mbtopk10gatherTopKIijLi3EEEvNS_4cuda6detail10TensorInfoIKT_T0_EES8_S8_bjS8_NS5_IS6_S8_EES8_NS5_IlS8_EES8_jjPS6_PjSD_j,comdat
	.protected	_ZN2at6native6mbtopk10gatherTopKIijLi3EEEvNS_4cuda6detail10TensorInfoIKT_T0_EES8_S8_bjS8_NS5_IS6_S8_EES8_NS5_IlS8_EES8_jjPS6_PjSD_j ; -- Begin function _ZN2at6native6mbtopk10gatherTopKIijLi3EEEvNS_4cuda6detail10TensorInfoIKT_T0_EES8_S8_bjS8_NS5_IS6_S8_EES8_NS5_IlS8_EES8_jjPS6_PjSD_j
	.globl	_ZN2at6native6mbtopk10gatherTopKIijLi3EEEvNS_4cuda6detail10TensorInfoIKT_T0_EES8_S8_bjS8_NS5_IS6_S8_EES8_NS5_IlS8_EES8_jjPS6_PjSD_j
	.p2align	8
	.type	_ZN2at6native6mbtopk10gatherTopKIijLi3EEEvNS_4cuda6detail10TensorInfoIKT_T0_EES8_S8_bjS8_NS5_IS6_S8_EES8_NS5_IlS8_EES8_jjPS6_PjSD_j,@function
_ZN2at6native6mbtopk10gatherTopKIijLi3EEEvNS_4cuda6detail10TensorInfoIKT_T0_EES8_S8_bjS8_NS5_IS6_S8_EES8_NS5_IlS8_EES8_jjPS6_PjSD_j: ; @_ZN2at6native6mbtopk10gatherTopKIijLi3EEEvNS_4cuda6detail10TensorInfoIKT_T0_EES8_S8_bjS8_NS5_IS6_S8_EES8_NS5_IlS8_EES8_jjPS6_PjSD_j
; %bb.0:
	s_clause 0x1
	s_load_dwordx2 s[0:1], s[4:5], 0x2d8
	s_load_dword s2, s[4:5], 0x2d0
	s_waitcnt lgkmcnt(0)
	s_mul_i32 s1, s1, s8
	s_add_i32 s1, s1, s7
	s_mul_i32 s0, s1, s0
	s_add_i32 s0, s0, s6
	s_cmp_ge_u32 s0, s2
	s_cbranch_scc1 .LBB35_40
; %bb.1:
	s_clause 0x6
	s_load_dwordx8 s[8:15], s[4:5], 0x2a8
	s_load_dwordx2 s[38:39], s[4:5], 0xc
	s_load_dwordx2 s[36:37], s[4:5], 0xfc
	;; [unrolled: 1-line block ×4, first 2 shown]
	s_load_dwordx4 s[20:23], s[4:5], 0x15c
	s_load_dwordx2 s[2:3], s[4:5], 0x1d0
	s_mov_b32 s41, 0
	s_waitcnt lgkmcnt(0)
	v_cvt_f32_u32_e32 v1, s10
	v_cvt_f32_u32_e32 v2, s39
	s_sub_i32 s1, 0, s10
	v_cvt_f32_u32_e32 v4, s37
	v_cvt_f32_u32_e32 v3, s38
	v_rcp_iflag_f32_e32 v1, v1
	v_rcp_iflag_f32_e32 v2, v2
	v_cvt_f32_u32_e32 v5, s36
	v_rcp_iflag_f32_e32 v4, v4
	v_rcp_iflag_f32_e32 v3, v3
	;; [unrolled: 3-line block ×3, first 2 shown]
	v_mul_f32_e32 v1, 0x4f7ffffe, v1
	v_mul_f32_e32 v2, 0x4f7ffffe, v2
	v_mul_f32_e32 v3, 0x4f7ffffe, v3
	v_cvt_u32_f32_e32 v1, v1
	v_cvt_u32_f32_e32 v2, v2
	;; [unrolled: 1-line block ×3, first 2 shown]
	v_readfirstlane_b32 s11, v1
	v_readfirstlane_b32 s18, v2
	v_mul_f32_e32 v2, 0x4f7ffffe, v4
	v_mul_f32_e32 v4, 0x4f7ffffe, v5
	;; [unrolled: 1-line block ×3, first 2 shown]
	s_mul_i32 s1, s1, s11
	v_cvt_f32_u32_e32 v1, s34
	s_mul_hi_u32 s1, s11, s1
	v_cvt_u32_f32_e32 v2, v2
	s_add_i32 s11, s11, s1
	s_mul_hi_u32 s1, s0, s11
	v_rcp_iflag_f32_e32 v1, v1
	s_mul_i32 s11, s1, s10
	s_add_i32 s16, s1, 1
	s_sub_i32 s11, s0, s11
	s_sub_i32 s17, s11, s10
	s_cmp_ge_u32 s11, s10
	s_cselect_b32 s1, s16, s1
	s_cselect_b32 s11, s17, s11
	s_add_i32 s16, s1, 1
	s_cmp_ge_u32 s11, s10
	v_mul_f32_e32 v1, 0x4f7ffffe, v1
	s_cselect_b32 s40, s16, s1
	s_sub_i32 s1, 0, s39
	s_mul_i32 s28, s40, s10
	s_mul_i32 s1, s1, s18
	s_sub_i32 s11, s0, s28
	s_mul_hi_u32 s1, s18, s1
	v_cvt_u32_f32_e32 v1, v1
	s_add_i32 s18, s18, s1
	s_mul_hi_u32 s1, s40, s18
	v_readfirstlane_b32 s18, v2
	s_mul_i32 s16, s1, s39
	v_cvt_u32_f32_e32 v2, v4
	s_sub_i32 s0, s40, s16
	s_add_i32 s16, s1, 1
	s_sub_i32 s17, s0, s39
	s_cmp_ge_u32 s0, s39
	v_readfirstlane_b32 s24, v1
	s_cselect_b32 s1, s16, s1
	s_cselect_b32 s0, s17, s0
	s_add_i32 s16, s1, 1
	s_cmp_ge_u32 s0, s39
	s_cselect_b32 s48, s16, s1
	s_sub_i32 s0, 0, s37
	v_readfirstlane_b32 s1, v3
	s_mul_i32 s0, s0, s18
	s_sub_i32 s16, 0, s38
	s_mul_hi_u32 s0, s18, s0
	v_cvt_u32_f32_e32 v3, v5
	s_add_i32 s18, s18, s0
	s_mul_i32 s16, s16, s1
	s_mul_hi_u32 s0, s40, s18
	s_mul_hi_u32 s16, s1, s16
	s_mul_i32 s17, s0, s37
	s_add_i32 s29, s1, s16
	s_sub_i32 s1, s40, s17
	s_add_i32 s16, s0, 1
	s_sub_i32 s17, s1, s37
	s_cmp_ge_u32 s1, s37
	v_readfirstlane_b32 s18, v3
	s_cselect_b32 s0, s16, s0
	s_cselect_b32 s1, s17, s1
	s_add_i32 s16, s0, 1
	s_cmp_ge_u32 s1, s37
	v_readfirstlane_b32 s1, v2
	s_cselect_b32 s33, s16, s0
	s_sub_i32 s0, 0, s35
	s_sub_i32 s16, 0, s36
	s_mul_i32 s0, s0, s18
	s_mul_i32 s16, s16, s1
	s_mul_hi_u32 s0, s18, s0
	s_mul_hi_u32 s16, s1, s16
	s_add_i32 s18, s18, s0
	s_add_i32 s30, s1, s16
	s_mul_hi_u32 s0, s40, s18
	s_mul_hi_u32 s50, s48, s29
	s_mul_i32 s17, s0, s35
	s_add_i32 s16, s0, 1
	s_sub_i32 s1, s40, s17
	s_mul_hi_u32 s49, s33, s30
	s_sub_i32 s17, s1, s35
	s_cmp_ge_u32 s1, s35
	s_cselect_b32 s0, s16, s0
	s_cselect_b32 s1, s17, s1
	s_add_i32 s16, s0, 1
	s_cmp_ge_u32 s1, s35
	s_cselect_b32 s23, s16, s0
	s_sub_i32 s0, 0, s34
	s_load_dwordx4 s[16:19], s[4:5], 0x23c
	s_mul_i32 s0, s0, s24
	s_waitcnt lgkmcnt(0)
	s_mul_hi_u32 s19, s24, s0
	s_lshl_b64 s[0:1], s[40:41], 2
	s_add_i32 s31, s24, s19
	s_add_u32 s0, s12, s0
	s_addc_u32 s1, s13, s1
	s_clause 0x1
	s_load_dwordx2 s[42:43], s[4:5], 0xf0
	s_load_dwordx4 s[24:27], s[4:5], 0x6c
	s_load_dword s19, s[0:1], 0x0
	v_cmp_ne_u32_e64 s0, 0, v0
	v_cmp_eq_u32_e64 s1, 0, v0
	s_waitcnt lgkmcnt(0)
	s_mul_hi_u32 s27, s23, s31
	s_and_saveexec_b32 s51, s1
	s_cbranch_execz .LBB35_17
; %bb.2:
	s_load_dwordx2 s[12:13], s[4:5], 0x2c8
	s_mov_b32 s29, s41
	s_lshl_b64 s[44:45], s[28:29], 2
	s_add_u32 s28, s14, s44
	s_addc_u32 s29, s15, s45
	s_waitcnt lgkmcnt(0)
	s_add_u32 s30, s12, s44
	s_addc_u32 s31, s13, s45
	s_cmp_lt_u32 s10, 4
	s_cbranch_scc1 .LBB35_14
; %bb.3:
	s_mov_b32 s52, s41
	s_mov_b32 s53, s41
	;; [unrolled: 1-line block ×3, first 2 shown]
.LBB35_4:                               ; =>This Inner Loop Header: Depth=1
	s_add_u32 s28, s14, s44
	s_addc_u32 s29, s15, s45
	s_add_u32 s46, s12, s44
	s_load_dwordx4 s[28:31], s[28:29], 0x0
	s_addc_u32 s47, s13, s45
	s_cmp_ge_u32 s54, s11
	s_cbranch_scc0 .LBB35_11
; %bb.5:                                ;   in Loop: Header=BB35_4 Depth=1
	s_add_i32 s55, s54, 1
	s_cmp_ge_u32 s55, s11
	s_cbranch_scc0 .LBB35_12
.LBB35_6:                               ;   in Loop: Header=BB35_4 Depth=1
	s_add_i32 s55, s55, 1
	s_cmp_ge_u32 s55, s11
	s_cbranch_scc0 .LBB35_13
.LBB35_7:                               ;   in Loop: Header=BB35_4 Depth=1
	s_add_i32 s55, s55, 1
	s_cmp_ge_u32 s55, s11
	s_cbranch_scc1 .LBB35_9
.LBB35_8:                               ;   in Loop: Header=BB35_4 Depth=1
	s_load_dword s46, s[46:47], 0xc
	s_waitcnt lgkmcnt(0)
	s_add_i32 s41, s41, s31
	s_add_i32 s52, s46, s52
.LBB35_9:                               ;   in Loop: Header=BB35_4 Depth=1
	s_waitcnt lgkmcnt(0)
	s_add_i32 s28, s28, s53
	s_add_i32 s28, s28, s29
	s_add_i32 s28, s28, s30
	s_add_i32 s53, s28, s31
	s_add_u32 s14, s14, 16
	s_addc_u32 s15, s15, 0
	s_add_u32 s12, s12, 16
	s_addc_u32 s13, s13, 0
	s_add_i32 s47, s55, 4
	s_add_u32 s30, s12, s44
	s_addc_u32 s31, s13, s45
	s_add_u32 s28, s14, s44
	s_addc_u32 s29, s15, s45
	s_add_i32 s46, s55, 1
	s_cmp_ge_u32 s47, s10
	s_cbranch_scc1 .LBB35_15
; %bb.10:                               ;   in Loop: Header=BB35_4 Depth=1
	s_mov_b32 s54, s46
	s_branch .LBB35_4
.LBB35_11:                              ;   in Loop: Header=BB35_4 Depth=1
	s_load_dword s55, s[46:47], 0x0
	s_waitcnt lgkmcnt(0)
	s_add_i32 s41, s28, s41
	s_add_i32 s52, s55, s52
	;; [unrolled: 1-line block ×3, first 2 shown]
	s_cmp_ge_u32 s55, s11
	s_cbranch_scc1 .LBB35_6
.LBB35_12:                              ;   in Loop: Header=BB35_4 Depth=1
	s_load_dword s56, s[46:47], 0x4
	s_waitcnt lgkmcnt(0)
	s_add_i32 s41, s41, s29
	s_add_i32 s52, s56, s52
	;; [unrolled: 1-line block ×3, first 2 shown]
	s_cmp_ge_u32 s55, s11
	s_cbranch_scc1 .LBB35_7
.LBB35_13:                              ;   in Loop: Header=BB35_4 Depth=1
	s_load_dword s56, s[46:47], 0x8
	s_waitcnt lgkmcnt(0)
	s_add_i32 s41, s41, s30
	s_add_i32 s52, s56, s52
	;; [unrolled: 1-line block ×3, first 2 shown]
	s_cmp_ge_u32 s55, s11
	s_cbranch_scc0 .LBB35_8
	s_branch .LBB35_9
.LBB35_14:
	s_mov_b32 s52, 0
	s_mov_b32 s53, 0
	;; [unrolled: 1-line block ×3, first 2 shown]
	s_cmp_ge_u32 s12, s10
	s_cbranch_scc0 .LBB35_38
	s_branch .LBB35_16
.LBB35_15:
	s_add_i32 s12, s54, 4
	s_cmp_ge_u32 s12, s10
	s_cbranch_scc0 .LBB35_38
.LBB35_16:
	v_mov_b32_e32 v1, s52
	v_mov_b32_e32 v2, s53
	;; [unrolled: 1-line block ×4, first 2 shown]
	ds_write_b96 v4, v[1:3] offset:1056
.LBB35_17:
	s_or_b32 exec_lo, exec_lo, s51
	s_load_dwordx4 s[12:15], s[4:5], 0xd8
	s_waitcnt lgkmcnt(0)
	s_mul_i32 s15, s9, s11
	s_add_i32 s11, s11, 1
	s_lshl_b32 s28, s15, 8
	s_barrier
	buffer_gl0_inv
	s_sub_i32 s15, s12, s28
	s_add_u32 s30, s15, 0xff
	s_addc_u32 s31, 0, 0
	s_lshr_b64 s[30:31], s[30:31], 8
	s_cmp_lt_u32 s11, s10
	s_mov_b32 s11, 0
	s_cselect_b32 s9, s9, s30
	s_cmp_eq_u32 s9, 0
	s_cbranch_scc1 .LBB35_40
; %bb.18:
	s_mul_i32 s15, s50, s38
	s_mul_i32 s10, s48, s39
	s_sub_i32 s15, s48, s15
	s_sub_i32 s10, s40, s10
	s_add_i32 s29, s50, 1
	s_sub_i32 s30, s15, s38
	s_cmp_ge_u32 s15, s38
	s_mul_i32 s10, s10, s26
	s_cselect_b32 s29, s29, s50
	s_cselect_b32 s15, s30, s15
	s_add_i32 s30, s29, 1
	s_cmp_ge_u32 s15, s38
	s_mul_i32 s15, s33, s37
	s_cselect_b32 s29, s30, s29
	s_mul_i32 s30, s49, s36
	s_mul_i32 s31, s29, s38
	;; [unrolled: 1-line block ×3, first 2 shown]
	s_sub_i32 s26, s48, s31
	s_sub_i32 s24, s33, s30
	s_mul_i32 s25, s26, s25
	s_sub_i32 s15, s40, s15
	s_add_i32 s10, s25, s10
	s_add_i32 s25, s49, 1
	;; [unrolled: 1-line block ×3, first 2 shown]
	s_sub_i32 s26, s24, s36
	s_cmp_ge_u32 s24, s36
	s_mul_i32 s15, s15, s22
	s_cselect_b32 s25, s25, s49
	s_cselect_b32 s24, s26, s24
	s_add_i32 s26, s25, 1
	s_cmp_ge_u32 s24, s36
	s_mul_i32 s29, s27, s34
	s_cselect_b32 s24, s26, s25
	s_mul_i32 s25, s23, s35
	s_mul_i32 s26, s24, s36
	;; [unrolled: 1-line block ×3, first 2 shown]
	s_sub_i32 s26, s33, s26
	s_add_i32 s22, s27, 1
	s_mul_i32 s21, s26, s21
	v_mov_b32_e32 v5, 0
	s_add_i32 s15, s21, s15
	s_sub_i32 s21, s40, s25
	s_add_i32 s20, s15, s24
	s_sub_i32 s15, s23, s29
	ds_read_b96 v[1:3], v5 offset:1056
	s_sub_i32 s24, s15, s34
	s_cmp_ge_u32 s15, s34
	s_mul_i32 s21, s21, s18
	s_cselect_b32 s22, s22, s27
	s_cselect_b32 s15, s24, s15
	s_add_i32 s24, s22, 1
	s_cmp_ge_u32 s15, s34
	v_lshrrev_b32_e32 v4, 3, v0
	s_cselect_b32 s15, s24, s22
	v_add_nc_u32_e32 v9, -1, v0
	s_mul_i32 s22, s15, s34
	s_mul_i32 s15, s15, s16
	s_sub_i32 s22, s23, s22
	v_and_b32_e32 v4, 28, v4
	s_mul_i32 s17, s22, s17
	v_lshrrev_b32_e32 v8, 3, v9
	s_add_i32 s18, s17, s21
	s_lshl_b64 s[16:17], s[10:11], 2
	s_add_i32 s22, s18, s15
	s_clause 0x1
	s_load_dword s18, s[4:5], 0xe8
	s_load_dword s4, s[4:5], 0x1c8
	s_mov_b32 s21, s11
	s_add_u32 s6, s6, s16
	s_addc_u32 s7, s7, s17
	s_lshl_b64 s[16:17], s[20:21], 2
	s_waitcnt lgkmcnt(0)
	v_add_nc_u32_e32 v6, v1, v2
	v_lshl_add_u32 v7, v0, 2, v4
	v_and_b32_e32 v4, 0x1ffffffc, v8
	v_add_nc_u32_e32 v1, s28, v0
	s_mov_b32 s23, s11
	s_add_u32 s10, s42, s16
	s_addc_u32 s15, s43, s17
	s_lshl_b64 s[16:17], s[22:23], 3
	v_and_b32_e32 v2, 0xfc, v0
	v_lshlrev_b32_e32 v10, 5, v0
	v_mbcnt_lo_u32_b32 v8, -1, 0
	s_add_u32 s11, s2, s16
	v_cmp_gt_u32_e64 s2, 32, v0
	v_lshl_add_u32 v0, v9, 2, v4
	v_mul_lo_u32 v4, s18, v1
	s_addc_u32 s16, s3, s17
	s_xor_b32 s17, s19, 0x80000000
	v_add_nc_u32_e32 v9, v2, v10
	v_and_b32_e32 v10, 15, v8
	v_bfe_i32 v11, v8, 4, 1
	v_add_nc_u32_e32 v12, -1, v8
	s_bitcmp1_b32 s14, 0
                                        ; implicit-def: $vgpr13
	s_cselect_b32 s3, -1, 0
	s_lshl_b32 s5, s18, 8
	s_branch .LBB35_21
.LBB35_19:                              ;   in Loop: Header=BB35_21 Depth=1
	s_or_b32 exec_lo, exec_lo, s14
	v_add_nc_u32_e32 v6, v16, v6
.LBB35_20:                              ;   in Loop: Header=BB35_21 Depth=1
	v_add_nc_u32_e32 v3, v15, v3
	v_add_nc_u32_e32 v4, s5, v4
	;; [unrolled: 1-line block ×3, first 2 shown]
	s_add_i32 s9, s9, -1
	s_cmp_lg_u32 s9, 0
	s_cbranch_scc0 .LBB35_40
.LBB35_21:                              ; =>This Inner Loop Header: Depth=1
	v_mov_b32_e32 v2, 0
	v_mov_b32_e32 v14, 0
	s_mov_b32 s14, exec_lo
	v_cmpx_gt_u32_e64 s12, v1
	s_cbranch_execz .LBB35_23
; %bb.22:                               ;   in Loop: Header=BB35_21 Depth=1
	v_lshlrev_b64 v[13:14], 2, v[4:5]
	v_add_co_u32 v13, vcc_lo, s6, v13
	v_add_co_ci_u32_e64 v14, null, s7, v14, vcc_lo
	global_load_dword v13, v[13:14], off
	s_waitcnt vmcnt(0)
	v_xor_b32_e32 v2, 0x80000000, v13
	v_cmp_lt_u32_e32 vcc_lo, s17, v2
	v_cndmask_b32_e64 v14, 0, 1, vcc_lo
	v_cmp_gt_u32_e32 vcc_lo, s17, v2
	v_cndmask_b32_e64 v2, 0, 1, vcc_lo
	v_cmp_eq_u32_e32 vcc_lo, s19, v13
	v_cndmask_b32_e64 v2, v2, v14, s3
	v_cndmask_b32_e64 v14, 0, 1, vcc_lo
	v_and_b32_e32 v2, 1, v2
.LBB35_23:                              ;   in Loop: Header=BB35_21 Depth=1
	s_or_b32 exec_lo, exec_lo, s14
	ds_write_b32 v7, v2
	s_waitcnt lgkmcnt(0)
	s_barrier
	buffer_gl0_inv
	s_and_saveexec_b32 s14, s2
	s_cbranch_execz .LBB35_25
; %bb.24:                               ;   in Loop: Header=BB35_21 Depth=1
	ds_read2_b32 v[15:16], v9 offset1:1
	ds_read2_b32 v[17:18], v9 offset0:2 offset1:3
	ds_read2_b32 v[19:20], v9 offset0:4 offset1:5
	;; [unrolled: 1-line block ×3, first 2 shown]
	v_cmp_ne_u32_e32 vcc_lo, 0, v10
	; wave barrier
	s_waitcnt lgkmcnt(3)
	v_add_nc_u32_e32 v16, v16, v15
	s_waitcnt lgkmcnt(2)
	v_add3_u32 v16, v16, v17, v18
	s_waitcnt lgkmcnt(1)
	v_add3_u32 v16, v16, v19, v20
	;; [unrolled: 2-line block ×3, first 2 shown]
	v_mov_b32_dpp v17, v16 row_shr:1 row_mask:0xf bank_mask:0xf
	v_cndmask_b32_e32 v17, 0, v17, vcc_lo
	v_cmp_lt_u32_e32 vcc_lo, 1, v10
	v_add_nc_u32_e32 v16, v17, v16
	v_mov_b32_dpp v17, v16 row_shr:2 row_mask:0xf bank_mask:0xf
	v_cndmask_b32_e32 v17, 0, v17, vcc_lo
	v_cmp_lt_u32_e32 vcc_lo, 3, v10
	v_add_nc_u32_e32 v16, v16, v17
	;; [unrolled: 4-line block ×3, first 2 shown]
	v_mov_b32_dpp v17, v16 row_shr:8 row_mask:0xf bank_mask:0xf
	v_cndmask_b32_e32 v17, 0, v17, vcc_lo
	v_cmp_gt_i32_e32 vcc_lo, 0, v12
	v_add_nc_u32_e32 v16, v16, v17
	v_cndmask_b32_e32 v18, v12, v8, vcc_lo
	ds_swizzle_b32 v17, v16 offset:swizzle(BROADCAST,32,15)
	v_lshlrev_b32_e32 v18, 2, v18
	s_waitcnt lgkmcnt(0)
	v_and_b32_e32 v17, v11, v17
	v_add_nc_u32_e32 v16, v16, v17
	ds_bpermute_b32 v16, v18, v16
	s_waitcnt lgkmcnt(0)
	v_add_nc_u32_e32 v15, v16, v15
	v_cndmask_b32_e64 v21, v15, v2, s1
	ds_write_b32 v9, v21
	; wave barrier
	ds_read2_b32 v[15:16], v9 offset0:1 offset1:2
	ds_read2_b32 v[17:18], v9 offset0:3 offset1:4
	;; [unrolled: 1-line block ×3, first 2 shown]
	ds_read_b32 v22, v9 offset:28
	s_waitcnt lgkmcnt(3)
	v_add_nc_u32_e32 v15, v15, v21
	v_add_nc_u32_e32 v16, v16, v15
	s_waitcnt lgkmcnt(2)
	v_add_nc_u32_e32 v17, v17, v16
	v_add_nc_u32_e32 v18, v18, v17
	;; [unrolled: 3-line block ×3, first 2 shown]
	s_waitcnt lgkmcnt(0)
	v_add_nc_u32_e32 v21, v22, v20
	ds_write2_b32 v9, v15, v16 offset0:1 offset1:2
	ds_write2_b32 v9, v17, v18 offset0:3 offset1:4
	;; [unrolled: 1-line block ×3, first 2 shown]
	ds_write_b32 v9, v21 offset:28
.LBB35_25:                              ;   in Loop: Header=BB35_21 Depth=1
	s_or_b32 exec_lo, exec_lo, s14
	v_mov_b32_e32 v16, 0
	s_waitcnt lgkmcnt(0)
	s_barrier
	buffer_gl0_inv
	s_and_saveexec_b32 s14, s0
; %bb.26:                               ;   in Loop: Header=BB35_21 Depth=1
	ds_read_b32 v16, v0
; %bb.27:                               ;   in Loop: Header=BB35_21 Depth=1
	s_or_b32 exec_lo, exec_lo, s14
	ds_read_b32 v15, v5 offset:1048
	s_mov_b32 s14, exec_lo
	s_waitcnt lgkmcnt(0)
	s_barrier
	buffer_gl0_inv
	v_cmpx_ne_u32_e32 0, v2
	s_cbranch_execz .LBB35_29
; %bb.28:                               ;   in Loop: Header=BB35_21 Depth=1
	v_add_nc_u32_e32 v2, v16, v3
	v_mov_b32_e32 v17, v5
	v_mov_b32_e32 v19, v5
	v_mul_lo_u32 v16, v2, s4
	v_mul_lo_u32 v18, v2, s8
	v_mov_b32_e32 v2, v5
	v_lshlrev_b64 v[16:17], 2, v[16:17]
	v_lshlrev_b64 v[18:19], 3, v[18:19]
	v_add_co_u32 v16, vcc_lo, s10, v16
	v_add_co_ci_u32_e64 v17, null, s15, v17, vcc_lo
	v_add_co_u32 v18, vcc_lo, s11, v18
	v_add_co_ci_u32_e64 v19, null, s16, v19, vcc_lo
	global_store_dword v[16:17], v13, off
	global_store_dwordx2 v[18:19], v[1:2], off
.LBB35_29:                              ;   in Loop: Header=BB35_21 Depth=1
	s_or_b32 exec_lo, exec_lo, s14
	v_cmp_le_u32_e32 vcc_lo, s13, v6
	s_cbranch_vccnz .LBB35_20
; %bb.30:                               ;   in Loop: Header=BB35_21 Depth=1
	ds_write_b32 v7, v14
	s_waitcnt lgkmcnt(0)
	s_waitcnt_vscnt null, 0x0
	s_barrier
	buffer_gl0_inv
	s_and_saveexec_b32 s14, s2
	s_cbranch_execz .LBB35_32
; %bb.31:                               ;   in Loop: Header=BB35_21 Depth=1
	ds_read2_b32 v[16:17], v9 offset1:1
	ds_read2_b32 v[18:19], v9 offset0:2 offset1:3
	ds_read2_b32 v[20:21], v9 offset0:4 offset1:5
	;; [unrolled: 1-line block ×3, first 2 shown]
	v_cmp_ne_u32_e32 vcc_lo, 0, v10
	; wave barrier
	s_waitcnt lgkmcnt(3)
	v_add_nc_u32_e32 v2, v17, v16
	s_waitcnt lgkmcnt(2)
	v_add3_u32 v2, v2, v18, v19
	s_waitcnt lgkmcnt(1)
	v_add3_u32 v2, v2, v20, v21
	;; [unrolled: 2-line block ×3, first 2 shown]
	v_mov_b32_dpp v17, v2 row_shr:1 row_mask:0xf bank_mask:0xf
	v_cndmask_b32_e32 v17, 0, v17, vcc_lo
	v_cmp_lt_u32_e32 vcc_lo, 1, v10
	v_add_nc_u32_e32 v2, v17, v2
	v_mov_b32_dpp v17, v2 row_shr:2 row_mask:0xf bank_mask:0xf
	v_cndmask_b32_e32 v17, 0, v17, vcc_lo
	v_cmp_lt_u32_e32 vcc_lo, 3, v10
	v_add_nc_u32_e32 v2, v2, v17
	;; [unrolled: 4-line block ×3, first 2 shown]
	v_mov_b32_dpp v17, v2 row_shr:8 row_mask:0xf bank_mask:0xf
	v_cndmask_b32_e32 v17, 0, v17, vcc_lo
	v_cmp_gt_i32_e32 vcc_lo, 0, v12
	v_add_nc_u32_e32 v2, v2, v17
	v_cndmask_b32_e32 v18, v12, v8, vcc_lo
	ds_swizzle_b32 v17, v2 offset:swizzle(BROADCAST,32,15)
	v_lshlrev_b32_e32 v18, 2, v18
	s_waitcnt lgkmcnt(0)
	v_and_b32_e32 v17, v11, v17
	v_add_nc_u32_e32 v2, v2, v17
	ds_bpermute_b32 v2, v18, v2
	s_waitcnt lgkmcnt(0)
	v_add_nc_u32_e32 v2, v2, v16
	v_cndmask_b32_e64 v2, v2, v14, s1
	ds_write_b32 v9, v2
	; wave barrier
	ds_read2_b32 v[16:17], v9 offset0:1 offset1:2
	ds_read2_b32 v[18:19], v9 offset0:3 offset1:4
	;; [unrolled: 1-line block ×3, first 2 shown]
	ds_read_b32 v22, v9 offset:28
	s_waitcnt lgkmcnt(3)
	v_add_nc_u32_e32 v2, v16, v2
	v_add_nc_u32_e32 v16, v17, v2
	s_waitcnt lgkmcnt(2)
	v_add_nc_u32_e32 v17, v18, v16
	v_add_nc_u32_e32 v18, v19, v17
	;; [unrolled: 3-line block ×3, first 2 shown]
	s_waitcnt lgkmcnt(0)
	v_add_nc_u32_e32 v21, v22, v20
	ds_write2_b32 v9, v2, v16 offset0:1 offset1:2
	ds_write2_b32 v9, v17, v18 offset0:3 offset1:4
	;; [unrolled: 1-line block ×3, first 2 shown]
	ds_write_b32 v9, v21 offset:28
.LBB35_32:                              ;   in Loop: Header=BB35_21 Depth=1
	s_or_b32 exec_lo, exec_lo, s14
	v_mov_b32_e32 v2, 0
	s_waitcnt lgkmcnt(0)
	s_barrier
	buffer_gl0_inv
	s_and_saveexec_b32 s14, s0
; %bb.33:                               ;   in Loop: Header=BB35_21 Depth=1
	ds_read_b32 v2, v0
; %bb.34:                               ;   in Loop: Header=BB35_21 Depth=1
	s_or_b32 exec_lo, exec_lo, s14
	ds_read_b32 v16, v5 offset:1048
	s_mov_b32 s14, exec_lo
	s_waitcnt lgkmcnt(0)
	s_barrier
	buffer_gl0_inv
	v_cmpx_ne_u32_e32 0, v14
	s_cbranch_execz .LBB35_19
; %bb.35:                               ;   in Loop: Header=BB35_21 Depth=1
	v_add_nc_u32_e32 v2, v2, v6
	v_cmp_gt_u32_e32 vcc_lo, s13, v2
	s_and_b32 exec_lo, exec_lo, vcc_lo
	s_cbranch_execz .LBB35_19
; %bb.36:                               ;   in Loop: Header=BB35_21 Depth=1
	v_mul_lo_u32 v17, v2, s4
	v_mul_lo_u32 v19, v2, s8
	v_mov_b32_e32 v18, v5
	v_mov_b32_e32 v20, v5
	;; [unrolled: 1-line block ×3, first 2 shown]
	v_lshlrev_b64 v[17:18], 2, v[17:18]
	v_lshlrev_b64 v[19:20], 3, v[19:20]
	v_add_co_u32 v17, vcc_lo, s10, v17
	v_add_co_ci_u32_e64 v18, null, s15, v18, vcc_lo
	v_add_co_u32 v19, vcc_lo, s11, v19
	v_add_co_ci_u32_e64 v20, null, s16, v20, vcc_lo
	global_store_dword v[17:18], v13, off
	global_store_dwordx2 v[19:20], v[1:2], off
	s_branch .LBB35_19
	.p2align	6
.LBB35_37:                              ;   in Loop: Header=BB35_38 Depth=1
	s_add_u32 s28, s28, 4
	s_addc_u32 s29, s29, 0
	s_waitcnt lgkmcnt(0)
	s_add_i32 s53, s13, s53
	s_add_u32 s30, s30, 4
	s_addc_u32 s31, s31, 0
	s_add_i32 s12, s12, 1
	s_cmp_lt_u32 s12, s10
	s_cbranch_scc0 .LBB35_16
.LBB35_38:                              ; =>This Inner Loop Header: Depth=1
	s_load_dword s13, s[28:29], 0x0
	s_cmp_ge_u32 s12, s11
	s_cbranch_scc1 .LBB35_37
; %bb.39:                               ;   in Loop: Header=BB35_38 Depth=1
	s_load_dword s14, s[30:31], 0x0
	s_waitcnt lgkmcnt(0)
	s_add_i32 s41, s13, s41
	s_add_i32 s52, s14, s52
	s_branch .LBB35_37
.LBB35_40:
	s_endpgm
	.section	.rodata,"a",@progbits
	.p2align	6, 0x0
	.amdhsa_kernel _ZN2at6native6mbtopk10gatherTopKIijLi3EEEvNS_4cuda6detail10TensorInfoIKT_T0_EES8_S8_bjS8_NS5_IS6_S8_EES8_NS5_IlS8_EES8_jjPS6_PjSD_j
		.amdhsa_group_segment_fixed_size 1068
		.amdhsa_private_segment_fixed_size 0
		.amdhsa_kernarg_size 984
		.amdhsa_user_sgpr_count 6
		.amdhsa_user_sgpr_private_segment_buffer 1
		.amdhsa_user_sgpr_dispatch_ptr 0
		.amdhsa_user_sgpr_queue_ptr 0
		.amdhsa_user_sgpr_kernarg_segment_ptr 1
		.amdhsa_user_sgpr_dispatch_id 0
		.amdhsa_user_sgpr_flat_scratch_init 0
		.amdhsa_user_sgpr_private_segment_size 0
		.amdhsa_wavefront_size32 1
		.amdhsa_uses_dynamic_stack 0
		.amdhsa_system_sgpr_private_segment_wavefront_offset 0
		.amdhsa_system_sgpr_workgroup_id_x 1
		.amdhsa_system_sgpr_workgroup_id_y 1
		.amdhsa_system_sgpr_workgroup_id_z 1
		.amdhsa_system_sgpr_workgroup_info 0
		.amdhsa_system_vgpr_workitem_id 0
		.amdhsa_next_free_vgpr 24
		.amdhsa_next_free_sgpr 57
		.amdhsa_reserve_vcc 1
		.amdhsa_reserve_flat_scratch 0
		.amdhsa_float_round_mode_32 0
		.amdhsa_float_round_mode_16_64 0
		.amdhsa_float_denorm_mode_32 3
		.amdhsa_float_denorm_mode_16_64 3
		.amdhsa_dx10_clamp 1
		.amdhsa_ieee_mode 1
		.amdhsa_fp16_overflow 0
		.amdhsa_workgroup_processor_mode 1
		.amdhsa_memory_ordered 1
		.amdhsa_forward_progress 1
		.amdhsa_shared_vgpr_count 0
		.amdhsa_exception_fp_ieee_invalid_op 0
		.amdhsa_exception_fp_denorm_src 0
		.amdhsa_exception_fp_ieee_div_zero 0
		.amdhsa_exception_fp_ieee_overflow 0
		.amdhsa_exception_fp_ieee_underflow 0
		.amdhsa_exception_fp_ieee_inexact 0
		.amdhsa_exception_int_div_zero 0
	.end_amdhsa_kernel
	.section	.text._ZN2at6native6mbtopk10gatherTopKIijLi3EEEvNS_4cuda6detail10TensorInfoIKT_T0_EES8_S8_bjS8_NS5_IS6_S8_EES8_NS5_IlS8_EES8_jjPS6_PjSD_j,"axG",@progbits,_ZN2at6native6mbtopk10gatherTopKIijLi3EEEvNS_4cuda6detail10TensorInfoIKT_T0_EES8_S8_bjS8_NS5_IS6_S8_EES8_NS5_IlS8_EES8_jjPS6_PjSD_j,comdat
.Lfunc_end35:
	.size	_ZN2at6native6mbtopk10gatherTopKIijLi3EEEvNS_4cuda6detail10TensorInfoIKT_T0_EES8_S8_bjS8_NS5_IS6_S8_EES8_NS5_IlS8_EES8_jjPS6_PjSD_j, .Lfunc_end35-_ZN2at6native6mbtopk10gatherTopKIijLi3EEEvNS_4cuda6detail10TensorInfoIKT_T0_EES8_S8_bjS8_NS5_IS6_S8_EES8_NS5_IlS8_EES8_jjPS6_PjSD_j
                                        ; -- End function
	.set _ZN2at6native6mbtopk10gatherTopKIijLi3EEEvNS_4cuda6detail10TensorInfoIKT_T0_EES8_S8_bjS8_NS5_IS6_S8_EES8_NS5_IlS8_EES8_jjPS6_PjSD_j.num_vgpr, 24
	.set _ZN2at6native6mbtopk10gatherTopKIijLi3EEEvNS_4cuda6detail10TensorInfoIKT_T0_EES8_S8_bjS8_NS5_IS6_S8_EES8_NS5_IlS8_EES8_jjPS6_PjSD_j.num_agpr, 0
	.set _ZN2at6native6mbtopk10gatherTopKIijLi3EEEvNS_4cuda6detail10TensorInfoIKT_T0_EES8_S8_bjS8_NS5_IS6_S8_EES8_NS5_IlS8_EES8_jjPS6_PjSD_j.numbered_sgpr, 57
	.set _ZN2at6native6mbtopk10gatherTopKIijLi3EEEvNS_4cuda6detail10TensorInfoIKT_T0_EES8_S8_bjS8_NS5_IS6_S8_EES8_NS5_IlS8_EES8_jjPS6_PjSD_j.num_named_barrier, 0
	.set _ZN2at6native6mbtopk10gatherTopKIijLi3EEEvNS_4cuda6detail10TensorInfoIKT_T0_EES8_S8_bjS8_NS5_IS6_S8_EES8_NS5_IlS8_EES8_jjPS6_PjSD_j.private_seg_size, 0
	.set _ZN2at6native6mbtopk10gatherTopKIijLi3EEEvNS_4cuda6detail10TensorInfoIKT_T0_EES8_S8_bjS8_NS5_IS6_S8_EES8_NS5_IlS8_EES8_jjPS6_PjSD_j.uses_vcc, 1
	.set _ZN2at6native6mbtopk10gatherTopKIijLi3EEEvNS_4cuda6detail10TensorInfoIKT_T0_EES8_S8_bjS8_NS5_IS6_S8_EES8_NS5_IlS8_EES8_jjPS6_PjSD_j.uses_flat_scratch, 0
	.set _ZN2at6native6mbtopk10gatherTopKIijLi3EEEvNS_4cuda6detail10TensorInfoIKT_T0_EES8_S8_bjS8_NS5_IS6_S8_EES8_NS5_IlS8_EES8_jjPS6_PjSD_j.has_dyn_sized_stack, 0
	.set _ZN2at6native6mbtopk10gatherTopKIijLi3EEEvNS_4cuda6detail10TensorInfoIKT_T0_EES8_S8_bjS8_NS5_IS6_S8_EES8_NS5_IlS8_EES8_jjPS6_PjSD_j.has_recursion, 0
	.set _ZN2at6native6mbtopk10gatherTopKIijLi3EEEvNS_4cuda6detail10TensorInfoIKT_T0_EES8_S8_bjS8_NS5_IS6_S8_EES8_NS5_IlS8_EES8_jjPS6_PjSD_j.has_indirect_call, 0
	.section	.AMDGPU.csdata,"",@progbits
; Kernel info:
; codeLenInByte = 2960
; TotalNumSgprs: 59
; NumVgprs: 24
; ScratchSize: 0
; MemoryBound: 0
; FloatMode: 240
; IeeeMode: 1
; LDSByteSize: 1068 bytes/workgroup (compile time only)
; SGPRBlocks: 0
; VGPRBlocks: 2
; NumSGPRsForWavesPerEU: 59
; NumVGPRsForWavesPerEU: 24
; Occupancy: 16
; WaveLimiterHint : 1
; COMPUTE_PGM_RSRC2:SCRATCH_EN: 0
; COMPUTE_PGM_RSRC2:USER_SGPR: 6
; COMPUTE_PGM_RSRC2:TRAP_HANDLER: 0
; COMPUTE_PGM_RSRC2:TGID_X_EN: 1
; COMPUTE_PGM_RSRC2:TGID_Y_EN: 1
; COMPUTE_PGM_RSRC2:TGID_Z_EN: 1
; COMPUTE_PGM_RSRC2:TIDIG_COMP_CNT: 0
	.section	.text._ZN2at6native6sbtopk10gatherTopKIijLi3ELb0EEEvNS_4cuda6detail10TensorInfoIKT_T0_EES8_S8_bS8_S8_NS5_IS6_S8_EES8_NS5_IlS8_EES8_PS6_,"axG",@progbits,_ZN2at6native6sbtopk10gatherTopKIijLi3ELb0EEEvNS_4cuda6detail10TensorInfoIKT_T0_EES8_S8_bS8_S8_NS5_IS6_S8_EES8_NS5_IlS8_EES8_PS6_,comdat
	.protected	_ZN2at6native6sbtopk10gatherTopKIijLi3ELb0EEEvNS_4cuda6detail10TensorInfoIKT_T0_EES8_S8_bS8_S8_NS5_IS6_S8_EES8_NS5_IlS8_EES8_PS6_ ; -- Begin function _ZN2at6native6sbtopk10gatherTopKIijLi3ELb0EEEvNS_4cuda6detail10TensorInfoIKT_T0_EES8_S8_bS8_S8_NS5_IS6_S8_EES8_NS5_IlS8_EES8_PS6_
	.globl	_ZN2at6native6sbtopk10gatherTopKIijLi3ELb0EEEvNS_4cuda6detail10TensorInfoIKT_T0_EES8_S8_bS8_S8_NS5_IS6_S8_EES8_NS5_IlS8_EES8_PS6_
	.p2align	8
	.type	_ZN2at6native6sbtopk10gatherTopKIijLi3ELb0EEEvNS_4cuda6detail10TensorInfoIKT_T0_EES8_S8_bS8_S8_NS5_IS6_S8_EES8_NS5_IlS8_EES8_PS6_,@function
_ZN2at6native6sbtopk10gatherTopKIijLi3ELb0EEEvNS_4cuda6detail10TensorInfoIKT_T0_EES8_S8_bS8_S8_NS5_IS6_S8_EES8_NS5_IlS8_EES8_PS6_: ; @_ZN2at6native6sbtopk10gatherTopKIijLi3ELb0EEEvNS_4cuda6detail10TensorInfoIKT_T0_EES8_S8_bS8_S8_NS5_IS6_S8_EES8_NS5_IlS8_EES8_PS6_
; %bb.0:
	s_clause 0x1
	s_load_dwordx2 s[12:13], s[4:5], 0x2b8
	s_load_dwordx4 s[36:39], s[4:5], 0xd8
	s_add_u32 s10, s4, 0x2b8
	s_addc_u32 s11, s5, 0
	s_waitcnt lgkmcnt(0)
	s_mul_i32 s0, s13, s8
	s_add_i32 s0, s0, s7
	s_mul_i32 s56, s0, s12
	s_add_i32 s56, s56, s6
	s_cmp_ge_u32 s56, s39
	s_cbranch_scc1 .LBB36_395
; %bb.1:
	s_clause 0x9
	s_load_dwordx2 s[14:15], s[4:5], 0xc
	s_load_dwordx2 s[52:53], s[4:5], 0xfc
	;; [unrolled: 1-line block ×4, first 2 shown]
	s_load_dwordx4 s[40:43], s[4:5], 0x23c
	s_load_dwordx2 s[34:35], s[4:5], 0x1d0
	s_load_dwordx4 s[44:47], s[4:5], 0x15c
	s_load_dwordx2 s[48:49], s[4:5], 0xf0
	s_load_dword s30, s[4:5], 0xe8
	s_load_dwordx4 s[0:3], s[4:5], 0x6c
	s_mov_b32 s55, 0
	s_waitcnt lgkmcnt(0)
	v_cvt_f32_u32_e32 v1, s15
	v_cvt_f32_u32_e32 v3, s53
	;; [unrolled: 1-line block ×3, first 2 shown]
	s_sub_i32 s3, 0, s15
	v_cvt_f32_u32_e32 v5, s51
	v_rcp_iflag_f32_e32 v1, v1
	v_rcp_iflag_f32_e32 v3, v3
	;; [unrolled: 1-line block ×3, first 2 shown]
	v_cvt_f32_u32_e32 v4, s52
	v_rcp_iflag_f32_e32 v5, v5
	v_cvt_f32_u32_e32 v6, s50
	v_rcp_iflag_f32_e32 v4, v4
	v_mul_f32_e32 v1, 0x4f7ffffe, v1
	v_mul_f32_e32 v3, 0x4f7ffffe, v3
	;; [unrolled: 1-line block ×4, first 2 shown]
	v_cvt_u32_f32_e32 v1, v1
	v_cvt_u32_f32_e32 v3, v3
	;; [unrolled: 1-line block ×3, first 2 shown]
	v_mul_f32_e32 v4, 0x4f7ffffe, v4
	v_readfirstlane_b32 s7, v1
	v_readfirstlane_b32 s17, v3
	v_rcp_iflag_f32_e32 v1, v6
	v_cvt_u32_f32_e32 v3, v4
	s_mul_i32 s3, s3, s7
	s_mul_hi_u32 s3, s7, s3
	s_add_i32 s7, s7, s3
	s_mul_hi_u32 s3, s56, s7
	v_mul_f32_e32 v1, 0x4f7ffffe, v1
	s_mul_i32 s7, s3, s15
	s_add_i32 s13, s3, 1
	s_sub_i32 s7, s56, s7
	v_cvt_u32_f32_e32 v1, v1
	s_sub_i32 s16, s7, s15
	s_cmp_ge_u32 s7, s15
	s_cselect_b32 s3, s13, s3
	s_cselect_b32 s7, s16, s7
	s_add_i32 s13, s3, 1
	s_cmp_ge_u32 s7, s15
	v_readfirstlane_b32 s20, v1
	s_cselect_b32 s7, s13, s3
	s_sub_i32 s3, 0, s53
	v_readfirstlane_b32 s13, v2
	s_mul_i32 s3, s3, s17
	s_sub_i32 s16, 0, s14
	s_mul_hi_u32 s3, s17, s3
	v_cvt_u32_f32_e32 v2, v5
	s_add_i32 s17, s17, s3
	s_mul_i32 s16, s16, s13
	s_mul_hi_u32 s3, s56, s17
	s_mul_hi_u32 s16, s13, s16
	s_mul_i32 s17, s3, s53
	s_add_i32 s13, s13, s16
	s_sub_i32 s16, s56, s17
	s_add_i32 s17, s3, 1
	s_sub_i32 s18, s16, s53
	s_cmp_ge_u32 s16, s53
	v_readfirstlane_b32 s19, v2
	s_cselect_b32 s3, s17, s3
	s_cselect_b32 s16, s18, s16
	s_add_i32 s17, s3, 1
	s_cmp_ge_u32 s16, s53
	v_readfirstlane_b32 s16, v3
	s_cselect_b32 s57, s17, s3
	s_sub_i32 s3, 0, s51
	s_sub_i32 s17, 0, s52
	s_mul_i32 s3, s3, s19
	s_mul_i32 s17, s17, s16
	s_mul_hi_u32 s3, s19, s3
	s_mul_hi_u32 s17, s16, s17
	s_add_i32 s19, s19, s3
	s_add_i32 s16, s16, s17
	s_mul_hi_u32 s3, s56, s19
	s_mul_hi_u32 s13, s7, s13
	s_mul_i32 s18, s3, s51
	s_mul_hi_u32 s60, s57, s16
	s_sub_i32 s17, s56, s18
	s_add_i32 s18, s3, 1
	s_sub_i32 s19, s17, s51
	s_cmp_ge_u32 s17, s51
	s_cselect_b32 s3, s18, s3
	s_cselect_b32 s17, s19, s17
	s_add_i32 s18, s3, 1
	s_cmp_ge_u32 s17, s51
	s_cselect_b32 s58, s18, s3
	s_sub_i32 s3, 0, s50
	s_mul_i32 s3, s3, s20
	s_mul_hi_u32 s17, s20, s3
	v_cmp_eq_u32_e64 s3, 0, v0
	s_add_i32 s20, s20, s17
	s_mul_hi_u32 s59, s58, s20
	s_and_saveexec_b32 s16, s3
	s_cbranch_execz .LBB36_3
; %bb.2:
	v_mov_b32_e32 v1, 0
	v_mov_b32_e32 v2, s36
	;; [unrolled: 1-line block ×3, first 2 shown]
	ds_write_b96 v1, v[1:3] offset:4096
.LBB36_3:
	s_or_b32 exec_lo, exec_lo, s16
	s_mul_i32 s16, s13, s14
	s_mul_i32 s15, s7, s15
	s_sub_i32 s16, s7, s16
	s_sub_i32 s15, s56, s15
	s_add_i32 s17, s13, 1
	s_sub_i32 s18, s16, s14
	s_cmp_ge_u32 s16, s14
	s_waitcnt lgkmcnt(0)
	s_cselect_b32 s13, s17, s13
	s_cselect_b32 s16, s18, s16
	s_add_i32 s17, s13, 1
	s_cmp_ge_u32 s16, s14
	s_barrier
	buffer_gl0_inv
	s_load_dword s16, s[10:11], 0xc
	s_cselect_b32 s13, s17, s13
	s_mul_i32 s15, s15, s2
	s_mul_i32 s14, s13, s14
	;; [unrolled: 1-line block ×3, first 2 shown]
	s_sub_i32 s7, s7, s14
	v_mbcnt_lo_u32_b32 v18, -1, 0
	s_mul_i32 s1, s7, s1
	v_cmp_gt_u32_e32 vcc_lo, 32, v0
	s_add_i32 s0, s1, s15
	v_mov_b32_e32 v9, 0
	s_add_i32 s54, s0, s13
	v_mul_lo_u32 v7, s30, v0
	s_lshl_b64 s[0:1], s[54:55], 2
	v_lshlrev_b32_e32 v19, 2, v0
	s_add_u32 s31, s8, s0
	s_addc_u32 s33, s9, s1
	s_bitcmp1_b32 s38, 0
	v_cmp_gt_i32_e64 s0, 4, v18
	s_cselect_b32 s1, -1, 0
	s_waitcnt lgkmcnt(0)
	s_and_b32 s43, s16, 0xffff
	s_xor_b32 s54, s1, -1
	s_lshl_b32 s61, s43, 2
	s_bfe_u32 s2, s43, 0x80008
	v_cvt_f32_u32_e32 v1, s61
	s_lshl_b32 s62, s2, 3
	s_bfe_u32 s2, s16, 0xb0005
	s_and_b32 s63, vcc_lo, s0
	s_cmpk_gt_u32 s36, 0x300
	v_rcp_iflag_f32_e32 v1, v1
	s_cselect_b32 s64, -1, 0
	s_cmp_gt_u32 s43, 31
	v_mov_b32_e32 v8, v9
	s_cselect_b32 s65, -1, 0
	s_add_i32 s66, s43, -1
	v_mad_u64_u32 v[14:15], null, s30, v19, s[30:31]
	s_add_i32 s9, s66, s36
	s_cmp_lt_u32 s6, s12
	v_mul_f32_e32 v1, 0x4f7ffffe, v1
	s_cselect_b32 s0, 12, 18
	v_add_nc_u32_e32 v21, 0xc00, v19
	s_add_u32 s38, s10, s0
	s_addc_u32 s39, s11, 0
	s_add_i32 s2, s2, -1
	v_cvt_u32_f32_e32 v1, v1
	s_and_b32 s0, s2, 0xffff
	s_bfe_u32 s67, s43, 0x30005
	s_cmp_gt_u32 s0, 6
	v_lshlrev_b32_e32 v26, 2, v7
	v_readfirstlane_b32 s0, v1
	s_cselect_b32 s68, -1, 0
	s_cmp_lg_u32 s67, 0
	v_cvt_f32_u32_e32 v1, s43
	s_cselect_b32 s69, -1, 0
	s_sub_i32 s2, 0, s61
	v_lshlrev_b32_e32 v28, 4, v0
	s_mul_i32 s2, s2, s0
	v_rcp_iflag_f32_e32 v3, v1
	s_mul_hi_u32 s2, s0, s2
	v_lshlrev_b64 v[1:2], 2, v[7:8]
	s_add_i32 s70, s0, s2
	v_cmp_eq_u32_e64 s0, 0, v18
	s_mul_hi_u32 s2, s36, s70
	v_lshl_or_b32 v29, v18, 2, 0xc00
	s_mul_i32 s6, s2, s61
	v_add_co_u32 v5, vcc_lo, s31, v1
	s_sub_i32 s6, s36, s6
	v_mul_f32_e32 v3, 0x4f7ffffe, v3
	s_sub_i32 s7, s6, s61
	s_cmp_ge_u32 s6, s61
	v_add_co_ci_u32_e64 v6, null, s33, v2, vcc_lo
	s_cselect_b32 s7, s7, s6
	v_cvt_u32_f32_e32 v1, v3
	s_sub_i32 s8, s7, s61
	s_cmp_ge_u32 s7, s61
	v_or_b32_e32 v3, 3, v19
	s_cselect_b32 s11, s8, s7
	v_readfirstlane_b32 s10, v1
	s_sub_i32 s71, s36, s11
	v_lshlrev_b64 v[1:2], v18, -1
	v_add_nc_u32_e32 v20, s71, v0
	s_sub_i32 s7, 0, s43
	s_movk_i32 s8, 0x1f0
	s_mul_i32 s7, s7, s10
	v_mul_lo_u32 v25, s30, v3
	v_mul_lo_u32 v8, v20, s30
	v_not_b32_e32 v17, v1
	v_lshrrev_b32_e32 v1, 1, v0
	s_mul_hi_u32 s7, s10, s7
	v_cmp_gt_u32_e64 s2, s36, v0
	s_add_i32 s72, s10, s7
	v_cmp_gt_u32_e64 s6, 2, v0
	v_and_or_b32 v22, v1, s8, 0xc00
	v_lshlrev_b64 v[1:2], 2, v[8:9]
	s_mul_hi_u32 s7, s9, s72
	v_mov_b32_e32 v31, s37
	s_mul_i32 s7, s7, s43
	v_mov_b32_e32 v15, 1
	s_sub_i32 s7, s9, s7
	v_add_co_u32 v12, vcc_lo, s31, v1
	v_add3_u32 v1, s43, s36, v0
	s_sub_i32 s10, s7, s43
	s_cmp_ge_u32 s7, s43
	v_add_co_ci_u32_e64 v13, null, s33, v2, vcc_lo
	s_cselect_b32 s8, s10, s7
	v_or_b32_e32 v2, 2, v19
	v_subrev_nc_u32_e32 v1, s11, v1
	s_sub_i32 s10, s8, s43
	s_cmp_ge_u32 s8, s43
	v_cmp_gt_u32_e64 s7, s71, v19
	s_cselect_b32 s10, s10, s8
	v_mul_lo_u32 v24, s30, v2
	v_mul_lo_u32 v27, s30, v1
	s_sub_i32 s73, s9, s10
	v_cmp_gt_u32_e64 s8, s36, v20
	v_cmp_gt_u32_e64 s9, s73, v0
	v_mov_b32_e32 v11, 0
	v_mov_b32_e32 v23, 0
	;; [unrolled: 1-line block ×3, first 2 shown]
	s_mul_i32 s47, s30, s43
	s_lshl_b32 s75, s43, 4
	s_lshl_b32 s74, s47, 2
	s_mov_b32 s81, 30
	s_mov_b32 s77, 0
                                        ; implicit-def: $sgpr76
                                        ; implicit-def: $sgpr80
                                        ; implicit-def: $sgpr79
                                        ; implicit-def: $sgpr82
                                        ; implicit-def: $sgpr78
                                        ; implicit-def: $sgpr86
                                        ; implicit-def: $sgpr87
                                        ; implicit-def: $sgpr83
                                        ; implicit-def: $sgpr85
                                        ; implicit-def: $sgpr84
	s_branch .LBB36_6
.LBB36_4:                               ;   in Loop: Header=BB36_6 Depth=1
	s_or_b32 exec_lo, exec_lo, s13
	v_mov_b32_e32 v31, v32
	s_andn2_b32 s13, s84, exec_lo
	s_and_b32 s12, s12, exec_lo
	s_andn2_b32 s85, s85, exec_lo
	s_or_b32 s84, s13, s12
	s_andn2_b32 s83, s83, exec_lo
	s_andn2_b32 s87, s87, exec_lo
	;; [unrolled: 1-line block ×3, first 2 shown]
	s_orn2_b32 s13, s11, exec_lo
.LBB36_5:                               ;   in Loop: Header=BB36_6 Depth=1
	s_or_b32 exec_lo, exec_lo, s10
	s_and_b32 s10, exec_lo, s13
	s_or_b32 s55, s10, s55
	s_andn2_b32 s10, s78, exec_lo
	s_and_b32 s11, s84, exec_lo
	s_andn2_b32 s12, s82, exec_lo
	s_or_b32 s78, s10, s11
	s_and_b32 s10, s85, exec_lo
	s_andn2_b32 s11, s79, exec_lo
	s_and_b32 s13, s83, exec_lo
	s_or_b32 s82, s12, s10
	s_or_b32 s79, s11, s13
	s_andn2_b32 s10, s80, exec_lo
	s_and_b32 s11, s87, exec_lo
	s_andn2_b32 s12, s76, exec_lo
	s_and_b32 s13, s86, exec_lo
	s_or_b32 s80, s10, s11
	s_or_b32 s76, s12, s13
	s_andn2_b32 exec_lo, exec_lo, s55
	s_cbranch_execz .LBB36_391
.LBB36_6:                               ; =>This Loop Header: Depth=1
                                        ;     Child Loop BB36_12 Depth 2
                                        ;     Child Loop BB36_25 Depth 2
	;; [unrolled: 1-line block ×24, first 2 shown]
	ds_read_b64 v[1:2], v9 offset:4096
	s_waitcnt lgkmcnt(0)
	v_readfirstlane_b32 s88, v1
	s_cmp_lg_u32 s88, 0
	s_cbranch_scc1 .LBB36_33
; %bb.7:                                ;   in Loop: Header=BB36_6 Depth=1
	s_and_b32 vcc_lo, exec_lo, s64
	s_cbranch_vccz .LBB36_20
; %bb.8:                                ;   in Loop: Header=BB36_6 Depth=1
	v_cmp_gt_u32_e32 vcc_lo, 0x301, v2
	s_mov_b32 s12, 0
	s_mov_b32 s10, 0
	s_cbranch_vccz .LBB36_21
; %bb.9:                                ;   in Loop: Header=BB36_6 Depth=1
	s_and_saveexec_b32 s13, s2
	s_cbranch_execz .LBB36_80
; %bb.10:                               ;   in Loop: Header=BB36_6 Depth=1
	global_load_ushort v1, v9, s[38:39]
	global_load_dword v3, v[5:6], off
	v_mov_b32_e32 v4, v0
	s_mov_b32 s14, 0
	s_waitcnt vmcnt(1)
	v_add_nc_u32_e32 v2, v0, v1
	v_mul_lo_u32 v8, s30, v2
	v_mul_lo_u32 v2, s30, v1
	s_branch .LBB36_12
.LBB36_11:                              ;   in Loop: Header=BB36_12 Depth=2
	s_or_b32 exec_lo, exec_lo, s11
	v_add_nc_u32_e32 v8, v8, v2
	v_mov_b32_e32 v3, v10
	s_andn2_b32 exec_lo, exec_lo, s14
	s_cbranch_execz .LBB36_80
.LBB36_12:                              ;   Parent Loop BB36_6 Depth=1
                                        ; =>  This Inner Loop Header: Depth=2
	v_add_nc_u32_e32 v4, v4, v1
	s_waitcnt lgkmcnt(0)
	v_mov_b32_e32 v16, 0
	v_mov_b32_e32 v10, 0
	s_mov_b32 s11, exec_lo
	v_cmp_le_u32_e32 vcc_lo, s36, v4
	v_cmpx_gt_u32_e64 s36, v4
	s_cbranch_execz .LBB36_14
; %bb.13:                               ;   in Loop: Header=BB36_12 Depth=2
	v_lshlrev_b64 v[32:33], 2, v[8:9]
	v_add_co_u32 v32, s10, s31, v32
	v_add_co_ci_u32_e64 v33, null, s33, v33, s10
	global_load_dword v10, v[32:33], off
.LBB36_14:                              ;   in Loop: Header=BB36_12 Depth=2
	s_or_b32 exec_lo, exec_lo, s11
	s_waitcnt vmcnt(0)
	v_xor_b32_e32 v32, 0x80000000, v3
	v_and_b32_e32 v32, v32, v30
	v_cmp_eq_u32_e64 s10, v32, v23
	s_cmp_lg_u32 s10, 0
	s_cselect_b32 s11, -1, 0
	s_and_b32 s11, s0, s11
	s_and_saveexec_b32 s15, s11
	s_cbranch_execz .LBB36_18
; %bb.15:                               ;   in Loop: Header=BB36_12 Depth=2
	s_mov_b32 s18, exec_lo
	s_bcnt1_i32_b32 s16, s10
	v_mbcnt_lo_u32_b32 v16, s18, 0
	s_mov_b32 s17, exec_lo
                                        ; implicit-def: $vgpr32
	v_cmpx_eq_u32_e32 0, v16
; %bb.16:                               ;   in Loop: Header=BB36_12 Depth=2
	s_bcnt1_i32_b32 s11, s18
	s_mul_i32 s11, s16, s11
	v_mov_b32_e32 v32, s11
	ds_add_rtn_u32 v32, v9, v32 offset:4104
; %bb.17:                               ;   in Loop: Header=BB36_12 Depth=2
	s_or_b32 exec_lo, exec_lo, s17
	s_waitcnt lgkmcnt(0)
	v_readfirstlane_b32 s11, v32
	v_mad_u32_u24 v16, s16, v16, s11
.LBB36_18:                              ;   in Loop: Header=BB36_12 Depth=2
	s_or_b32 exec_lo, exec_lo, s15
	ds_bpermute_b32 v16, v9, v16
	s_and_b32 s11, exec_lo, vcc_lo
	s_or_b32 s14, s11, s14
	s_and_saveexec_b32 s11, s10
	s_cbranch_execz .LBB36_11
; %bb.19:                               ;   in Loop: Header=BB36_12 Depth=2
	v_and_b32_e32 v32, s10, v17
	v_bcnt_u32_b32 v32, v32, 0
	v_lshlrev_b32_e32 v32, 2, v32
	s_waitcnt lgkmcnt(0)
	v_lshl_add_u32 v16, v16, 2, v32
	ds_write_b32 v16, v3
	s_branch .LBB36_11
.LBB36_20:                              ;   in Loop: Header=BB36_6 Depth=1
	s_mov_b32 s12, -1
	s_mov_b32 s10, 0
.LBB36_21:                              ;   in Loop: Header=BB36_6 Depth=1
	s_and_b32 vcc_lo, exec_lo, s12
	s_cbranch_vccz .LBB36_31
.LBB36_22:                              ;   in Loop: Header=BB36_6 Depth=1
	s_and_saveexec_b32 s10, s2
	s_cbranch_execz .LBB36_28
; %bb.23:                               ;   in Loop: Header=BB36_6 Depth=1
	global_load_ushort v1, v9, s[38:39]
	global_load_dword v3, v[5:6], off
	v_mov_b32_e32 v2, v0
	s_mov_b32 s11, exec_lo
	s_waitcnt vmcnt(1)
	v_add_nc_u32_e32 v4, v0, v1
	v_cmpx_gt_u32_e64 s36, v4
	s_cbranch_execz .LBB36_27
; %bb.24:                               ;   in Loop: Header=BB36_6 Depth=1
	v_mul_lo_u32 v8, s30, v4
	v_mul_lo_u32 v4, s30, v1
	v_lshlrev_b32_e32 v10, 2, v1
	v_mov_b32_e32 v16, v19
	v_mov_b32_e32 v2, v0
	s_mov_b32 s12, 0
	.p2align	6
.LBB36_25:                              ;   Parent Loop BB36_6 Depth=1
                                        ; =>  This Inner Loop Header: Depth=2
	v_lshlrev_b64 v[32:33], 2, v[8:9]
	v_add_nc_u32_e32 v2, v2, v1
	s_waitcnt vmcnt(0)
	ds_write_b32 v16, v3
	v_add_nc_u32_e32 v16, v16, v10
	v_add_nc_u32_e32 v8, v8, v4
	v_add_co_u32 v32, vcc_lo, s31, v32
	v_add_co_ci_u32_e64 v33, null, s33, v33, vcc_lo
	global_load_dword v32, v[32:33], off
	v_add_nc_u32_e32 v33, v1, v2
	v_cmp_le_u32_e32 vcc_lo, s36, v33
	s_or_b32 s12, vcc_lo, s12
	s_waitcnt vmcnt(0)
	v_mov_b32_e32 v3, v32
	s_andn2_b32 exec_lo, exec_lo, s12
	s_cbranch_execnz .LBB36_25
; %bb.26:                               ;   in Loop: Header=BB36_6 Depth=1
	s_or_b32 exec_lo, exec_lo, s12
	v_mov_b32_e32 v3, v32
.LBB36_27:                              ;   in Loop: Header=BB36_6 Depth=1
	s_or_b32 exec_lo, exec_lo, s11
	v_lshlrev_b32_e32 v1, 2, v2
	s_waitcnt vmcnt(0)
	ds_write_b32 v1, v3
.LBB36_28:                              ;   in Loop: Header=BB36_6 Depth=1
	s_or_b32 exec_lo, exec_lo, s10
	s_waitcnt lgkmcnt(0)
	s_barrier
	buffer_gl0_inv
	s_and_saveexec_b32 s10, s3
; %bb.29:                               ;   in Loop: Header=BB36_6 Depth=1
	v_mov_b32_e32 v1, s36
	ds_write_b32 v9, v1 offset:4096
; %bb.30:                               ;   in Loop: Header=BB36_6 Depth=1
	s_or_b32 exec_lo, exec_lo, s10
	s_mov_b32 s10, -1
	s_waitcnt lgkmcnt(0)
	s_barrier
.LBB36_31:                              ;   in Loop: Header=BB36_6 Depth=1
	s_and_b32 vcc_lo, exec_lo, s10
	s_mov_b32 s88, 0
	s_cbranch_vccz .LBB36_33
; %bb.32:                               ;   in Loop: Header=BB36_6 Depth=1
	buffer_gl0_inv
	ds_read_b32 v1, v9 offset:4096
	s_waitcnt lgkmcnt(0)
	v_readfirstlane_b32 s88, v1
.LBB36_33:                              ;   in Loop: Header=BB36_6 Depth=1
	s_cmp_lt_i32 s88, 1
	s_mov_b32 s10, -1
                                        ; implicit-def: $vgpr4
	s_cbranch_scc1 .LBB36_43
; %bb.34:                               ;   in Loop: Header=BB36_6 Depth=1
	s_and_b32 vcc_lo, exec_lo, s10
	s_cbranch_vccnz .LBB36_54
.LBB36_35:                              ;   in Loop: Header=BB36_6 Depth=1
	s_lshl_b32 s10, s77, 7
	s_and_saveexec_b32 s11, s0
.LBB36_36:                              ;   in Loop: Header=BB36_6 Depth=1
	v_lshl_add_u32 v8, s10, 2, v22
	ds_write_b128 v8, v[1:4]
.LBB36_37:                              ;   in Loop: Header=BB36_6 Depth=1
	s_or_b32 exec_lo, exec_lo, s11
	s_waitcnt lgkmcnt(0)
	s_barrier
	buffer_gl0_inv
	s_and_saveexec_b32 s11, s63
	s_cbranch_execz .LBB36_67
; %bb.38:                               ;   in Loop: Header=BB36_6 Depth=1
	v_mov_b32_e32 v1, 0
	s_andn2_b32 vcc_lo, exec_lo, s65
	s_cbranch_vccnz .LBB36_66
; %bb.39:                               ;   in Loop: Header=BB36_6 Depth=1
	s_andn2_b32 vcc_lo, exec_lo, s68
	s_cbranch_vccnz .LBB36_63
; %bb.40:                               ;   in Loop: Header=BB36_6 Depth=1
	v_lshl_add_u32 v2, s77, 9, v29
	v_mov_b32_e32 v1, 0
	s_mov_b32 s12, 0
	.p2align	6
.LBB36_41:                              ;   Parent Loop BB36_6 Depth=1
                                        ; =>  This Inner Loop Header: Depth=2
	ds_read2_b32 v[3:4], v2 offset1:4
	ds_read2_b32 v[32:33], v2 offset0:8 offset1:12
	ds_read2_b32 v[34:35], v2 offset0:16 offset1:20
	;; [unrolled: 1-line block ×3, first 2 shown]
	v_add_nc_u32_e32 v2, 0x80, v2
	s_add_i32 s12, s12, 8
	s_cmp_eq_u32 s62, s12
	s_waitcnt lgkmcnt(3)
	v_add3_u32 v1, v3, v1, v4
	s_waitcnt lgkmcnt(2)
	v_add3_u32 v1, v32, v1, v33
	;; [unrolled: 2-line block ×4, first 2 shown]
	s_cbranch_scc0 .LBB36_41
; %bb.42:                               ;   in Loop: Header=BB36_6 Depth=1
	s_mov_b32 s12, s62
	s_andn2_b32 vcc_lo, exec_lo, s69
	s_cbranch_vccz .LBB36_64
	s_branch .LBB36_66
.LBB36_43:                              ;   in Loop: Header=BB36_6 Depth=1
	v_mov_b32_e32 v1, 0
	v_mov_b32_e32 v2, 0
	v_mov_b32_e32 v3, 0
	v_mov_b32_e32 v4, 0
	s_and_saveexec_b32 s21, s7
	s_cbranch_execz .LBB36_47
; %bb.44:                               ;   in Loop: Header=BB36_6 Depth=1
	v_mov_b32_e32 v10, v19
	s_mov_b32 s22, 0
	s_mov_b32 s23, 0
	;; [unrolled: 1-line block ×6, first 2 shown]
.LBB36_45:                              ;   Parent Loop BB36_6 Depth=1
                                        ; =>  This Inner Loop Header: Depth=2
	v_add_nc_u32_e32 v8, s23, v26
	v_add_nc_u32_e32 v10, s61, v10
	v_lshlrev_b64 v[1:2], 2, v[8:9]
	v_add_nc_u32_e32 v8, s23, v14
	v_lshlrev_b64 v[3:4], 2, v[8:9]
	v_add_nc_u32_e32 v8, s23, v24
	v_add_co_u32 v1, vcc_lo, s31, v1
	v_add_co_ci_u32_e64 v2, null, s33, v2, vcc_lo
	v_lshlrev_b64 v[32:33], 2, v[8:9]
	v_add_nc_u32_e32 v8, s23, v25
	s_add_i32 s23, s23, s74
	global_load_dword v16, v[1:2], off
	v_add_co_u32 v1, vcc_lo, s31, v3
	v_add_co_ci_u32_e64 v2, null, s33, v4, vcc_lo
	v_add_co_u32 v32, vcc_lo, s31, v32
	v_add_co_ci_u32_e64 v33, null, s33, v33, vcc_lo
	v_lshlrev_b64 v[3:4], 2, v[8:9]
	s_clause 0x1
	global_load_dword v8, v[1:2], off
	global_load_dword v32, v[32:33], off
	v_add_co_u32 v1, vcc_lo, s31, v3
	v_add_co_ci_u32_e64 v2, null, s33, v4, vcc_lo
	v_cmp_le_u32_e32 vcc_lo, s71, v10
	global_load_dword v1, v[1:2], off
	s_waitcnt vmcnt(3)
	v_xor_b32_e32 v2, 0x80000000, v16
	v_and_b32_e32 v3, v2, v30
	v_bfe_u32 v2, v2, s81, 2
	s_waitcnt vmcnt(2)
	v_xor_b32_e32 v4, 0x80000000, v8
	v_cmp_eq_u32_e64 s10, v3, v23
	v_cmp_eq_u32_e64 s11, 0, v2
	s_waitcnt vmcnt(1)
	v_xor_b32_e32 v8, 0x80000000, v32
	v_cmp_eq_u32_e64 s12, 1, v2
	v_and_b32_e32 v3, v4, v30
	v_bfe_u32 v4, v4, s81, 2
	v_cmp_eq_u32_e64 s13, 2, v2
	s_and_b32 s11, s10, s11
	v_cmp_eq_u32_e64 s14, 3, v2
	v_cmp_eq_u32_e64 s15, v3, v23
	v_and_b32_e32 v2, v8, v30
	v_bfe_u32 v3, v8, s81, 2
	v_cmp_eq_u32_e64 s16, 0, v4
	v_cndmask_b32_e64 v8, 0, 1, s11
	v_cmp_eq_u32_e64 s11, 1, v4
	s_and_b32 s12, s10, s12
	s_and_b32 s13, s10, s13
	v_cndmask_b32_e64 v16, 0, 1, s12
	v_cmp_eq_u32_e64 s12, 2, v4
	s_waitcnt vmcnt(0)
	v_xor_b32_e32 v1, 0x80000000, v1
	v_cndmask_b32_e64 v32, 0, 1, s13
	s_and_b32 s10, s10, s14
	s_and_b32 s16, s15, s16
	;; [unrolled: 1-line block ×3, first 2 shown]
	v_cmp_eq_u32_e64 s13, 3, v4
	v_cndmask_b32_e64 v4, 0, 1, s10
	v_cmp_eq_u32_e64 s10, v2, v23
	v_cmp_eq_u32_e64 s14, 0, v3
	v_cmp_ne_u32_e64 s17, 0, v8
	v_cndmask_b32_e64 v8, 0, 1, s16
	v_cmp_eq_u32_e64 s16, 1, v3
	v_cmp_ne_u32_e64 s18, 0, v16
	v_cndmask_b32_e64 v16, 0, 1, s11
	v_cmp_eq_u32_e64 s11, 2, v3
	s_and_b32 s12, s15, s12
	v_and_b32_e32 v2, v1, v30
	v_bfe_u32 v1, v1, s81, 2
	v_cmp_ne_u32_e64 s19, 0, v32
	v_cndmask_b32_e64 v32, 0, 1, s12
	v_cmp_eq_u32_e64 s12, 3, v3
	s_and_b32 s13, s15, s13
	s_and_b32 s14, s10, s14
	;; [unrolled: 1-line block ×4, first 2 shown]
	v_cmp_ne_u32_e64 s20, 0, v4
	v_cndmask_b32_e64 v3, 0, 1, s13
	v_cmp_eq_u32_e64 s13, v2, v23
	v_cmp_eq_u32_e64 s15, 0, v1
	s_bcnt1_i32_b32 s28, s17
	v_cmp_ne_u32_e64 s17, 0, v8
	v_cndmask_b32_e64 v2, 0, 1, s14
	v_cmp_eq_u32_e64 s14, 1, v1
	v_cndmask_b32_e64 v4, 0, 1, s16
	v_cmp_eq_u32_e64 s16, 2, v1
	;; [unrolled: 2-line block ×3, first 2 shown]
	s_and_b32 s10, s10, s12
	s_bcnt1_i32_b32 s90, s20
	v_cndmask_b32_e64 v1, 0, 1, s10
	v_cmp_ne_u32_e64 s20, 0, v3
	s_and_b32 s12, s13, s15
	s_and_b32 s14, s13, s14
	;; [unrolled: 1-line block ×4, first 2 shown]
	v_cmp_ne_u32_e64 s10, 0, v2
	v_cndmask_b32_e64 v2, 0, 1, s12
	v_cmp_ne_u32_e64 s12, 0, v4
	v_cndmask_b32_e64 v3, 0, 1, s14
	v_cndmask_b32_e64 v4, 0, 1, s15
	v_cmp_ne_u32_e64 s15, 0, v1
	v_cndmask_b32_e64 v1, 0, 1, s11
	s_bcnt1_i32_b32 s29, s18
	v_cmp_ne_u32_e64 s18, 0, v16
	s_bcnt1_i32_b32 s89, s19
	v_cmp_ne_u32_e64 s19, 0, v32
	s_add_i32 s24, s90, s24
	v_cmp_ne_u32_e64 s14, 0, v8
	s_bcnt1_i32_b32 s16, s20
	s_bcnt1_i32_b32 s20, s10
	s_add_i32 s16, s24, s16
	v_cmp_ne_u32_e64 s10, 0, v2
	s_bcnt1_i32_b32 s24, s12
	v_cmp_ne_u32_e64 s11, 0, v3
	v_cmp_ne_u32_e64 s12, 0, v4
	;; [unrolled: 1-line block ×3, first 2 shown]
	s_add_i32 s27, s28, s27
	s_add_i32 s26, s29, s26
	;; [unrolled: 1-line block ×3, first 2 shown]
	s_bcnt1_i32_b32 s17, s17
	s_bcnt1_i32_b32 s18, s18
	;; [unrolled: 1-line block ×3, first 2 shown]
	s_add_i32 s17, s27, s17
	s_add_i32 s18, s26, s18
	;; [unrolled: 1-line block ×3, first 2 shown]
	s_bcnt1_i32_b32 s14, s14
	s_bcnt1_i32_b32 s15, s15
	s_add_i32 s17, s17, s20
	s_add_i32 s18, s18, s24
	;; [unrolled: 1-line block ×4, first 2 shown]
	s_bcnt1_i32_b32 s10, s10
	s_bcnt1_i32_b32 s11, s11
	;; [unrolled: 1-line block ×4, first 2 shown]
	s_add_i32 s27, s17, s10
	s_add_i32 s26, s18, s11
	;; [unrolled: 1-line block ×4, first 2 shown]
	v_mov_b32_e32 v1, s27
	v_mov_b32_e32 v2, s26
	;; [unrolled: 1-line block ×4, first 2 shown]
	s_or_b32 s22, vcc_lo, s22
	s_andn2_b32 exec_lo, exec_lo, s22
	s_cbranch_execnz .LBB36_45
; %bb.46:                               ;   in Loop: Header=BB36_6 Depth=1
	s_or_b32 exec_lo, exec_lo, s22
.LBB36_47:                              ;   in Loop: Header=BB36_6 Depth=1
	s_or_b32 exec_lo, exec_lo, s21
	s_and_saveexec_b32 s14, s8
	s_cbranch_execz .LBB36_53
; %bb.48:                               ;   in Loop: Header=BB36_6 Depth=1
	global_load_dword v32, v[12:13], off
	v_mov_b32_e32 v8, v27
	v_mov_b32_e32 v10, v20
	s_mov_b32 s15, 0
	s_branch .LBB36_50
.LBB36_49:                              ;   in Loop: Header=BB36_50 Depth=2
	s_or_b32 exec_lo, exec_lo, s11
	s_waitcnt vmcnt(0)
	v_xor_b32_e32 v32, 0x80000000, v32
	s_and_b32 s11, exec_lo, vcc_lo
	v_add_nc_u32_e32 v8, s47, v8
	s_or_b32 s15, s11, s15
	v_and_b32_e32 v33, v32, v30
	v_bfe_u32 v32, v32, s81, 2
	v_cmp_eq_u32_e32 vcc_lo, v33, v23
	v_cmp_eq_u32_e64 s10, 0, v32
	v_cmp_eq_u32_e64 s11, 1, v32
	;; [unrolled: 1-line block ×4, first 2 shown]
	s_and_b32 s10, vcc_lo, s10
	v_cndmask_b32_e64 v32, 0, 1, s10
	s_and_b32 s10, vcc_lo, s11
	v_cndmask_b32_e64 v33, 0, 1, s10
	;; [unrolled: 2-line block ×3, first 2 shown]
	s_and_b32 s10, vcc_lo, s13
	v_cmp_ne_u32_e32 vcc_lo, 0, v32
	v_cndmask_b32_e64 v35, 0, 1, s10
	v_cmp_ne_u32_e64 s10, 0, v33
	v_cmp_ne_u32_e64 s11, 0, v34
	v_mov_b32_e32 v32, v16
	s_bcnt1_i32_b32 s13, vcc_lo
	v_cmp_ne_u32_e64 s12, 0, v35
	s_bcnt1_i32_b32 s10, s10
	s_bcnt1_i32_b32 s11, s11
	v_add_nc_u32_e32 v1, s13, v1
	v_add_nc_u32_e32 v2, s10, v2
	s_bcnt1_i32_b32 s12, s12
	v_add_nc_u32_e32 v3, s11, v3
	v_add_nc_u32_e32 v4, s12, v4
	s_andn2_b32 exec_lo, exec_lo, s15
	s_cbranch_execz .LBB36_52
.LBB36_50:                              ;   Parent Loop BB36_6 Depth=1
                                        ; =>  This Inner Loop Header: Depth=2
	v_add_nc_u32_e32 v10, s43, v10
	v_mov_b32_e32 v16, 0
	s_mov_b32 s11, exec_lo
	v_cmp_le_u32_e32 vcc_lo, s36, v10
	v_cmpx_gt_u32_e64 s36, v10
	s_cbranch_execz .LBB36_49
; %bb.51:                               ;   in Loop: Header=BB36_50 Depth=2
	v_lshlrev_b64 v[33:34], 2, v[8:9]
	v_add_co_u32 v33, s10, s31, v33
	v_add_co_ci_u32_e64 v34, null, s33, v34, s10
	global_load_dword v16, v[33:34], off
	s_branch .LBB36_49
.LBB36_52:                              ;   in Loop: Header=BB36_6 Depth=1
	s_or_b32 exec_lo, exec_lo, s15
.LBB36_53:                              ;   in Loop: Header=BB36_6 Depth=1
	s_or_b32 exec_lo, exec_lo, s14
	s_branch .LBB36_35
.LBB36_54:                              ;   in Loop: Header=BB36_6 Depth=1
	s_mul_hi_u32 s10, s88, s70
	v_mov_b32_e32 v1, 0
	s_mul_i32 s10, s10, s61
	v_mov_b32_e32 v2, 0
	s_sub_i32 s10, s88, s10
	v_mov_b32_e32 v3, 0
	s_sub_i32 s11, s10, s61
	s_cmp_ge_u32 s10, s61
	v_mov_b32_e32 v4, 0
	s_cselect_b32 s10, s11, s10
	s_mov_b32 s90, exec_lo
	s_sub_i32 s11, s10, s61
	s_cmp_ge_u32 s10, s61
	s_cselect_b32 s10, s11, s10
	s_sub_i32 s89, s88, s10
	v_cmpx_gt_u32_e64 s89, v19
	s_cbranch_execz .LBB36_58
; %bb.55:                               ;   in Loop: Header=BB36_6 Depth=1
	v_mov_b32_e32 v8, v28
	v_mov_b32_e32 v10, v19
	s_mov_b32 s91, 0
	s_mov_b32 s92, 0
	;; [unrolled: 1-line block ×5, first 2 shown]
.LBB36_56:                              ;   Parent Loop BB36_6 Depth=1
                                        ; =>  This Inner Loop Header: Depth=2
	ds_read_b128 v[1:4], v8
	v_add_nc_u32_e32 v10, s61, v10
	v_add_nc_u32_e32 v8, s75, v8
	v_cmp_le_u32_e32 vcc_lo, s89, v10
	s_waitcnt lgkmcnt(0)
	v_xor_b32_e32 v1, 0x80000000, v1
	v_xor_b32_e32 v2, 0x80000000, v2
	;; [unrolled: 1-line block ×4, first 2 shown]
	v_and_b32_e32 v16, v1, v30
	v_bfe_u32 v1, v1, s81, 2
	v_and_b32_e32 v32, v2, v30
	v_bfe_u32 v2, v2, s81, 2
	;; [unrolled: 2-line block ×3, first 2 shown]
	v_cmp_eq_u32_e64 s10, v16, v23
	v_cmp_eq_u32_e64 s14, 0, v1
	v_and_b32_e32 v34, v4, v30
	v_bfe_u32 v4, v4, s81, 2
	v_cmp_eq_u32_e64 s11, v32, v23
	v_cmp_eq_u32_e64 s15, 0, v2
	;; [unrolled: 1-line block ×4, first 2 shown]
	s_and_b32 s14, s10, s14
	v_cmp_eq_u32_e64 s13, v34, v23
	v_cmp_eq_u32_e64 s17, 0, v4
	;; [unrolled: 1-line block ×5, first 2 shown]
	v_cndmask_b32_e64 v1, 0, 1, s14
	s_and_b32 s14, s11, s15
	v_cmp_eq_u32_e64 s19, 1, v2
	v_cmp_eq_u32_e64 s23, 2, v2
	v_cmp_eq_u32_e64 s27, 3, v2
	v_cndmask_b32_e64 v2, 0, 1, s14
	s_and_b32 s14, s12, s16
	v_cmp_eq_u32_e64 s20, 1, v3
	v_cmp_eq_u32_e64 s24, 2, v3
	v_cmp_eq_u32_e64 s28, 3, v3
	;; [unrolled: 5-line block ×3, first 2 shown]
	v_cndmask_b32_e64 v4, 0, 1, s14
	s_and_b32 s14, s10, s18
	v_cndmask_b32_e64 v16, 0, 1, s14
	s_and_b32 s14, s11, s19
	;; [unrolled: 2-line block ×4, first 2 shown]
	v_cmp_ne_u32_e64 s15, 0, v32
	v_cndmask_b32_e64 v34, 0, 1, s14
	s_and_b32 s14, s10, s22
	s_and_b32 s10, s10, s26
	v_cndmask_b32_e64 v35, 0, 1, s14
	s_and_b32 s14, s11, s23
	v_cndmask_b32_e64 v39, 0, 1, s10
	;; [unrolled: 2-line block ×7, first 2 shown]
	v_cndmask_b32_e64 v42, 0, 1, s10
	v_cmp_ne_u32_e64 s10, 0, v1
	v_cmp_ne_u32_e64 s14, 0, v16
	;; [unrolled: 1-line block ×11, first 2 shown]
	s_bcnt1_i32_b32 s10, s10
	s_bcnt1_i32_b32 s14, s14
	;; [unrolled: 1-line block ×4, first 2 shown]
	v_cmp_ne_u32_e64 s13, 0, v4
	v_cmp_ne_u32_e64 s17, 0, v34
	v_cmp_ne_u32_e64 s21, 0, v38
	v_cmp_ne_u32_e64 s25, 0, v42
	s_bcnt1_i32_b32 s11, s11
	s_bcnt1_i32_b32 s15, s15
	s_bcnt1_i32_b32 s19, s19
	s_bcnt1_i32_b32 s23, s23
	s_add_i32 s10, s10, s95
	s_add_i32 s14, s14, s94
	s_add_i32 s18, s18, s93
	s_add_i32 s22, s22, s92
	s_bcnt1_i32_b32 s12, s12
	s_bcnt1_i32_b32 s16, s16
	s_bcnt1_i32_b32 s20, s20
	s_bcnt1_i32_b32 s24, s24
	s_add_i32 s10, s10, s11
	s_add_i32 s11, s14, s15
	s_add_i32 s14, s18, s19
	s_add_i32 s15, s22, s23
	;; [unrolled: 8-line block ×3, first 2 shown]
	s_add_i32 s95, s10, s13
	s_add_i32 s94, s11, s17
	;; [unrolled: 1-line block ×4, first 2 shown]
	v_mov_b32_e32 v1, s95
	v_mov_b32_e32 v2, s94
	;; [unrolled: 1-line block ×4, first 2 shown]
	s_or_b32 s91, vcc_lo, s91
	s_andn2_b32 exec_lo, exec_lo, s91
	s_cbranch_execnz .LBB36_56
; %bb.57:                               ;   in Loop: Header=BB36_6 Depth=1
	s_or_b32 exec_lo, exec_lo, s91
.LBB36_58:                              ;   in Loop: Header=BB36_6 Depth=1
	s_or_b32 exec_lo, exec_lo, s90
	v_add_nc_u32_e32 v8, s89, v0
	s_mov_b32 s15, exec_lo
	v_cmpx_gt_u32_e64 s88, v8
	s_cbranch_execz .LBB36_62
; %bb.59:                               ;   in Loop: Header=BB36_6 Depth=1
	v_lshlrev_b32_e32 v10, 2, v8
	s_mov_b32 s16, 0
.LBB36_60:                              ;   Parent Loop BB36_6 Depth=1
                                        ; =>  This Inner Loop Header: Depth=2
	ds_read_b32 v16, v10
	v_add_nc_u32_e32 v8, s43, v8
	v_add_nc_u32_e32 v10, s61, v10
	v_cmp_le_u32_e32 vcc_lo, s88, v8
	s_waitcnt lgkmcnt(0)
	v_xor_b32_e32 v16, 0x80000000, v16
	v_and_b32_e32 v32, v16, v30
	v_bfe_u32 v16, v16, s81, 2
	v_cmp_eq_u32_e64 s10, v32, v23
	v_cmp_eq_u32_e64 s11, 0, v16
	;; [unrolled: 1-line block ×5, first 2 shown]
	s_and_b32 s11, s10, s11
	v_cndmask_b32_e64 v16, 0, 1, s11
	s_and_b32 s11, s10, s12
	v_cndmask_b32_e64 v32, 0, 1, s11
	s_and_b32 s11, s10, s13
	s_and_b32 s10, s10, s14
	v_cndmask_b32_e64 v33, 0, 1, s11
	v_cndmask_b32_e64 v34, 0, 1, s10
	v_cmp_ne_u32_e64 s10, 0, v16
	v_cmp_ne_u32_e64 s11, 0, v32
	;; [unrolled: 1-line block ×4, first 2 shown]
	s_bcnt1_i32_b32 s10, s10
	s_bcnt1_i32_b32 s11, s11
	v_add_nc_u32_e32 v1, s10, v1
	s_bcnt1_i32_b32 s12, s12
	s_bcnt1_i32_b32 s13, s13
	v_add_nc_u32_e32 v2, s11, v2
	v_add_nc_u32_e32 v3, s12, v3
	v_add_nc_u32_e32 v4, s13, v4
	s_or_b32 s16, vcc_lo, s16
	s_andn2_b32 exec_lo, exec_lo, s16
	s_cbranch_execnz .LBB36_60
; %bb.61:                               ;   in Loop: Header=BB36_6 Depth=1
	s_or_b32 exec_lo, exec_lo, s16
.LBB36_62:                              ;   in Loop: Header=BB36_6 Depth=1
	s_or_b32 exec_lo, exec_lo, s15
	s_lshl_b32 s10, s77, 7
	s_and_saveexec_b32 s11, s0
	s_cbranch_execnz .LBB36_36
	s_branch .LBB36_37
.LBB36_63:                              ;   in Loop: Header=BB36_6 Depth=1
	v_mov_b32_e32 v1, 0
	s_mov_b32 s12, 0
	s_andn2_b32 vcc_lo, exec_lo, s69
	s_cbranch_vccnz .LBB36_66
.LBB36_64:                              ;   in Loop: Header=BB36_6 Depth=1
	s_lshl_b32 s13, s77, 9
	s_lshl_b32 s12, s12, 4
	v_add3_u32 v2, s13, s12, v29
	s_mov_b32 s12, s67
.LBB36_65:                              ;   Parent Loop BB36_6 Depth=1
                                        ; =>  This Inner Loop Header: Depth=2
	ds_read_b32 v3, v2
	v_add_nc_u32_e32 v2, 16, v2
	s_add_i32 s12, s12, -1
	s_cmp_lg_u32 s12, 0
	s_waitcnt lgkmcnt(0)
	v_add_nc_u32_e32 v1, v3, v1
	s_cbranch_scc1 .LBB36_65
.LBB36_66:                              ;   in Loop: Header=BB36_6 Depth=1
	v_add_lshl_u32 v2, s10, v18, 2
	ds_write_b32 v2, v1 offset:3072
.LBB36_67:                              ;   in Loop: Header=BB36_6 Depth=1
	s_or_b32 exec_lo, exec_lo, s11
	s_lshl_b32 s10, s10, 2
	s_waitcnt lgkmcnt(0)
	v_mov_b32_e32 v1, s10
	s_barrier
	buffer_gl0_inv
	v_cmp_eq_u32_e64 s10, 1, v31
	s_lshl_b32 s14, 3, s81
	ds_read_b128 v[1:4], v1 offset:3072
	s_mov_b32 s22, -1
	s_not_b32 s15, s14
	s_mov_b32 s12, 0
	s_andn2_b32 vcc_lo, exec_lo, s54
	s_mov_b32 s19, 0
	s_mov_b32 s11, 0
                                        ; implicit-def: $sgpr20
                                        ; implicit-def: $sgpr21
                                        ; implicit-def: $vgpr32
                                        ; implicit-def: $vgpr10
	s_waitcnt lgkmcnt(0)
	v_readfirstlane_b32 s13, v1
	v_readfirstlane_b32 s16, v2
	;; [unrolled: 1-line block ×4, first 2 shown]
                                        ; implicit-def: $vgpr3
                                        ; implicit-def: $vgpr4
                                        ; implicit-def: $vgpr2
	s_cbranch_vccnz .LBB36_228
; %bb.68:                               ;   in Loop: Header=BB36_6 Depth=1
	s_cmp_eq_u32 s13, 1
	v_mov_b32_e32 v4, v23
	v_mov_b32_e32 v10, v30
	;; [unrolled: 1-line block ×3, first 2 shown]
	s_cselect_b32 s11, -1, 0
	s_mov_b32 s25, -1
	s_and_b32 s24, s11, s10
                                        ; implicit-def: $sgpr21
                                        ; implicit-def: $sgpr20
	s_and_saveexec_b32 s11, s24
	s_cbranch_execz .LBB36_97
; %bb.69:                               ;   in Loop: Header=BB36_6 Depth=1
	ds_read_b32 v1, v9 offset:4096
	s_waitcnt lgkmcnt(0)
	s_barrier
	buffer_gl0_inv
	v_readfirstlane_b32 s22, v1
	s_and_saveexec_b32 s19, s6
; %bb.70:                               ;   in Loop: Header=BB36_6 Depth=1
	ds_write_b32 v21, v9
; %bb.71:                               ;   in Loop: Header=BB36_6 Depth=1
	s_or_b32 exec_lo, exec_lo, s19
	v_and_b32_e32 v4, s15, v23
	v_or_b32_e32 v10, s14, v30
	s_mov_b32 s20, -1
	s_mov_b32 s21, 0
	s_cmp_eq_u32 s22, 0
	s_mov_b32 s19, 0
	s_mov_b32 s23, -1
	s_waitcnt lgkmcnt(0)
	s_barrier
	buffer_gl0_inv
                                        ; implicit-def: $vgpr2
	s_cbranch_scc1 .LBB36_85
; %bb.72:                               ;   in Loop: Header=BB36_6 Depth=1
	s_add_i32 s19, s22, s66
                                        ; implicit-def: $vgpr2
	s_mul_hi_u32 s23, s19, s72
	s_mul_i32 s23, s23, s43
	s_sub_i32 s23, s19, s23
	s_sub_i32 s25, s23, s43
	s_cmp_ge_u32 s23, s43
	s_cselect_b32 s23, s25, s23
	s_sub_i32 s25, s23, s43
	s_cmp_ge_u32 s23, s43
	s_cselect_b32 s23, s25, s23
	s_mov_b32 s25, exec_lo
	s_sub_i32 s26, s19, s23
	s_mov_b32 s23, 0
	s_mov_b32 s19, 0
	v_cmpx_gt_u32_e64 s26, v0
	s_cbranch_execz .LBB36_84
; %bb.73:                               ;   in Loop: Header=BB36_6 Depth=1
	v_mov_b32_e32 v3, v19
	v_mov_b32_e32 v8, v0
                                        ; implicit-def: $sgpr27
	s_inst_prefetch 0x1
	s_branch .LBB36_76
	.p2align	6
.LBB36_74:                              ;   in Loop: Header=BB36_76 Depth=2
	s_or_b32 exec_lo, exec_lo, s28
	s_waitcnt lgkmcnt(0)
	s_barrier
	buffer_gl0_inv
	ds_read_b64 v[1:2], v9 offset:3072
	s_mov_b32 s28, -1
	s_mov_b32 s29, -1
	s_waitcnt lgkmcnt(0)
	s_barrier
	buffer_gl0_inv
	v_cmp_ne_u32_e32 vcc_lo, 0, v1
	s_cbranch_vccz .LBB36_79
.LBB36_75:                              ;   in Loop: Header=BB36_76 Depth=2
	s_and_b32 s28, exec_lo, s28
	s_or_b32 s19, s28, s19
	s_andn2_b32 s27, s27, exec_lo
	s_and_b32 s28, s29, exec_lo
	s_or_b32 s27, s27, s28
	s_andn2_b32 exec_lo, exec_lo, s19
	s_cbranch_execz .LBB36_83
.LBB36_76:                              ;   Parent Loop BB36_6 Depth=1
                                        ; =>  This Inner Loop Header: Depth=2
	s_mov_b32 s28, exec_lo
	v_cmpx_gt_u32_e64 s22, v8
	s_cbranch_execz .LBB36_74
; %bb.77:                               ;   in Loop: Header=BB36_76 Depth=2
	ds_read_b32 v16, v3
	s_waitcnt lgkmcnt(0)
	v_xor_b32_e32 v1, 0x80000000, v16
	v_and_b32_e32 v1, v1, v10
	v_cmp_eq_u32_e32 vcc_lo, v1, v4
	s_and_b32 exec_lo, exec_lo, vcc_lo
	s_cbranch_execz .LBB36_74
; %bb.78:                               ;   in Loop: Header=BB36_76 Depth=2
	ds_write_b64 v9, v[15:16] offset:3072
	s_branch .LBB36_74
	.p2align	6
.LBB36_79:                              ;   in Loop: Header=BB36_76 Depth=2
	v_add_nc_u32_e32 v8, s43, v8
	v_add_nc_u32_e32 v3, s61, v3
	s_mov_b32 s29, 0
	v_cmp_le_u32_e32 vcc_lo, s26, v8
	s_orn2_b32 s28, vcc_lo, exec_lo
	s_branch .LBB36_75
.LBB36_80:                              ;   in Loop: Header=BB36_6 Depth=1
	s_or_b32 exec_lo, exec_lo, s13
	s_waitcnt lgkmcnt(0)
	s_barrier
	buffer_gl0_inv
	s_and_saveexec_b32 s10, s3
	s_cbranch_execz .LBB36_82
; %bb.81:                               ;   in Loop: Header=BB36_6 Depth=1
	ds_read_b32 v1, v9 offset:4104
	s_waitcnt lgkmcnt(0)
	ds_write_b32 v9, v1 offset:4096
.LBB36_82:                              ;   in Loop: Header=BB36_6 Depth=1
	s_or_b32 exec_lo, exec_lo, s10
	s_waitcnt lgkmcnt(0)
	s_mov_b32 s10, -1
	s_barrier
	s_and_b32 vcc_lo, exec_lo, s12
	s_cbranch_vccnz .LBB36_22
	s_branch .LBB36_31
.LBB36_83:                              ;   in Loop: Header=BB36_6 Depth=1
	s_inst_prefetch 0x2
	s_or_b32 exec_lo, exec_lo, s19
	s_and_b32 s19, s27, exec_lo
.LBB36_84:                              ;   in Loop: Header=BB36_6 Depth=1
	s_or_b32 exec_lo, exec_lo, s25
.LBB36_85:                              ;   in Loop: Header=BB36_6 Depth=1
	s_and_b32 vcc_lo, exec_lo, s23
	s_cbranch_vccz .LBB36_96
; %bb.86:                               ;   in Loop: Header=BB36_6 Depth=1
                                        ; implicit-def: $vgpr2
	s_and_saveexec_b32 s20, s9
	s_cbranch_execz .LBB36_95
; %bb.87:                               ;   in Loop: Header=BB36_6 Depth=1
	v_mov_b32_e32 v8, v7
	v_mov_b32_e32 v3, v0
	s_mov_b32 s21, 0
                                        ; implicit-def: $sgpr22
	s_inst_prefetch 0x1
	s_branch .LBB36_90
	.p2align	6
.LBB36_88:                              ;   in Loop: Header=BB36_90 Depth=2
	s_or_b32 exec_lo, exec_lo, s23
	s_waitcnt lgkmcnt(0)
	s_barrier
	buffer_gl0_inv
	ds_read_b64 v[1:2], v9 offset:3072
	s_mov_b32 s23, -1
	s_mov_b32 s25, -1
	s_waitcnt lgkmcnt(0)
	s_barrier
	buffer_gl0_inv
	v_cmp_ne_u32_e32 vcc_lo, 0, v1
	s_cbranch_vccz .LBB36_93
.LBB36_89:                              ;   in Loop: Header=BB36_90 Depth=2
	s_and_b32 s23, exec_lo, s23
	s_or_b32 s21, s23, s21
	s_andn2_b32 s22, s22, exec_lo
	s_and_b32 s23, s25, exec_lo
	s_or_b32 s22, s22, s23
	s_andn2_b32 exec_lo, exec_lo, s21
	s_cbranch_execz .LBB36_94
.LBB36_90:                              ;   Parent Loop BB36_6 Depth=1
                                        ; =>  This Inner Loop Header: Depth=2
	s_mov_b32 s23, exec_lo
	v_cmpx_gt_u32_e64 s36, v3
	s_cbranch_execz .LBB36_88
; %bb.91:                               ;   in Loop: Header=BB36_90 Depth=2
	v_lshlrev_b64 v[1:2], 2, v[8:9]
	v_add_co_u32 v1, vcc_lo, s31, v1
	v_add_co_ci_u32_e64 v2, null, s33, v2, vcc_lo
	global_load_dword v16, v[1:2], off
	s_waitcnt vmcnt(0)
	v_xor_b32_e32 v1, 0x80000000, v16
	v_and_b32_e32 v1, v1, v10
	v_cmp_eq_u32_e32 vcc_lo, v1, v4
	s_and_b32 exec_lo, exec_lo, vcc_lo
	s_cbranch_execz .LBB36_88
; %bb.92:                               ;   in Loop: Header=BB36_90 Depth=2
	ds_write_b64 v9, v[15:16] offset:3072
	s_branch .LBB36_88
.LBB36_93:                              ;   in Loop: Header=BB36_90 Depth=2
	v_add_nc_u32_e32 v3, s43, v3
	v_add_nc_u32_e32 v8, s47, v8
	s_mov_b32 s25, 0
	v_cmp_le_u32_e32 vcc_lo, s73, v3
	s_orn2_b32 s23, vcc_lo, exec_lo
	s_branch .LBB36_89
.LBB36_94:                              ;   in Loop: Header=BB36_6 Depth=1
	s_inst_prefetch 0x2
	s_or_b32 exec_lo, exec_lo, s21
	s_andn2_b32 s19, s19, exec_lo
	s_and_b32 s21, s22, exec_lo
	s_or_b32 s19, s19, s21
.LBB36_95:                              ;   in Loop: Header=BB36_6 Depth=1
	s_or_b32 exec_lo, exec_lo, s20
	s_mov_b32 s20, 0
	s_mov_b32 s21, -1
.LBB36_96:                              ;   in Loop: Header=BB36_6 Depth=1
	s_orn2_b32 s25, s19, exec_lo
.LBB36_97:                              ;   in Loop: Header=BB36_6 Depth=1
	s_or_b32 exec_lo, exec_lo, s11
	s_mov_b32 s22, 0
	s_mov_b32 s19, 0
	;; [unrolled: 1-line block ×3, first 2 shown]
                                        ; implicit-def: $vgpr32
                                        ; implicit-def: $vgpr3
	s_and_saveexec_b32 s23, s25
	s_cbranch_execz .LBB36_227
; %bb.98:                               ;   in Loop: Header=BB36_6 Depth=1
	v_mov_b32_e32 v32, 1
	v_mov_b32_e32 v3, 1
	s_xor_b32 s19, s24, -1
	s_mov_b32 s26, 0
	s_and_saveexec_b32 s11, s19
	s_cbranch_execz .LBB36_107
; %bb.99:                               ;   in Loop: Header=BB36_6 Depth=1
	s_mov_b32 s19, exec_lo
	v_cmpx_ge_u32_e64 s13, v31
	s_xor_b32 s19, exec_lo, s19
	s_cbranch_execz .LBB36_104
; %bb.100:                              ;   in Loop: Header=BB36_6 Depth=1
	ds_read_b32 v1, v9 offset:4096
	v_and_b32_e32 v4, s15, v4
	v_or_b32_e32 v10, s14, v10
	s_waitcnt lgkmcnt(0)
	v_cmp_ne_u32_e32 vcc_lo, 0, v1
	s_cbranch_vccnz .LBB36_104
; %bb.101:                              ;   in Loop: Header=BB36_6 Depth=1
	s_and_saveexec_b32 s24, s3
; %bb.102:                              ;   in Loop: Header=BB36_6 Depth=1
	v_mov_b32_e32 v1, s13
	ds_write_b32 v9, v1 offset:4100
; %bb.103:                              ;   in Loop: Header=BB36_6 Depth=1
	s_or_b32 exec_lo, exec_lo, s24
	s_waitcnt lgkmcnt(0)
	s_barrier
	buffer_gl0_inv
.LBB36_104:                             ;   in Loop: Header=BB36_6 Depth=1
	s_or_saveexec_b32 s19, s19
	v_mov_b32_e32 v3, 8
	v_mov_b32_e32 v32, v31
	s_mov_b32 s24, 0
	s_xor_b32 exec_lo, exec_lo, s19
; %bb.105:                              ;   in Loop: Header=BB36_6 Depth=1
	v_subrev_nc_u32_e32 v32, s13, v31
	v_mov_b32_e32 v3, 0
	s_mov_b32 s24, exec_lo
; %bb.106:                              ;   in Loop: Header=BB36_6 Depth=1
	s_or_b32 exec_lo, exec_lo, s19
	s_and_b32 s26, s24, exec_lo
.LBB36_107:                             ;   in Loop: Header=BB36_6 Depth=1
	s_or_b32 exec_lo, exec_lo, s11
	s_mov_b32 s25, -1
                                        ; implicit-def: $sgpr19
                                        ; implicit-def: $sgpr24
	s_and_saveexec_b32 s11, s26
	s_xor_b32 s11, exec_lo, s11
	s_cbranch_execz .LBB36_224
; %bb.108:                              ;   in Loop: Header=BB36_6 Depth=1
	v_cmp_eq_u32_e32 vcc_lo, 1, v32
	s_cmp_eq_u32 s16, 1
	s_mov_b32 s27, -1
	s_cselect_b32 s19, -1, 0
                                        ; implicit-def: $sgpr24
	s_and_b32 s26, s19, vcc_lo
                                        ; implicit-def: $sgpr19
	s_and_saveexec_b32 s25, s26
	s_cbranch_execz .LBB36_134
; %bb.109:                              ;   in Loop: Header=BB36_6 Depth=1
	ds_read_b32 v1, v9 offset:4096
	s_waitcnt lgkmcnt(0)
	s_barrier
	buffer_gl0_inv
	v_readfirstlane_b32 s28, v1
	s_and_saveexec_b32 s19, s6
; %bb.110:                              ;   in Loop: Header=BB36_6 Depth=1
	ds_write_b32 v21, v9
; %bb.111:                              ;   in Loop: Header=BB36_6 Depth=1
	s_or_b32 exec_lo, exec_lo, s19
	s_lshl_b32 s19, 1, s81
	v_or_b32_e32 v10, s14, v10
	v_and_or_b32 v4, v4, s15, s19
	s_mov_b32 s19, -1
	s_mov_b32 s24, 0
	s_cmp_eq_u32 s28, 0
	s_mov_b32 s27, 0
	s_mov_b32 s29, -1
	s_waitcnt lgkmcnt(0)
	s_barrier
	buffer_gl0_inv
                                        ; implicit-def: $vgpr2
	s_cbranch_scc1 .LBB36_122
; %bb.112:                              ;   in Loop: Header=BB36_6 Depth=1
	s_add_i32 s27, s28, s66
                                        ; implicit-def: $vgpr2
	s_mul_hi_u32 s29, s27, s72
	s_mul_i32 s29, s29, s43
	s_sub_i32 s29, s27, s29
	s_sub_i32 s88, s29, s43
	s_cmp_ge_u32 s29, s43
	s_cselect_b32 s29, s88, s29
	s_sub_i32 s88, s29, s43
	s_cmp_ge_u32 s29, s43
	s_cselect_b32 s29, s88, s29
	s_mov_b32 s88, exec_lo
	s_sub_i32 s89, s27, s29
	s_mov_b32 s29, 0
	s_mov_b32 s27, 0
	v_cmpx_gt_u32_e64 s89, v0
	s_cbranch_execz .LBB36_121
; %bb.113:                              ;   in Loop: Header=BB36_6 Depth=1
	v_mov_b32_e32 v8, v19
	v_mov_b32_e32 v33, v0
                                        ; implicit-def: $sgpr90
	s_inst_prefetch 0x1
	s_branch .LBB36_116
	.p2align	6
.LBB36_114:                             ;   in Loop: Header=BB36_116 Depth=2
	s_or_b32 exec_lo, exec_lo, s91
	s_waitcnt lgkmcnt(0)
	s_barrier
	buffer_gl0_inv
	ds_read_b64 v[1:2], v9 offset:3072
	s_mov_b32 s91, -1
	s_mov_b32 s92, -1
	s_waitcnt lgkmcnt(0)
	s_barrier
	buffer_gl0_inv
	v_cmp_ne_u32_e32 vcc_lo, 0, v1
	s_cbranch_vccz .LBB36_119
.LBB36_115:                             ;   in Loop: Header=BB36_116 Depth=2
	s_and_b32 s91, exec_lo, s91
	s_or_b32 s27, s91, s27
	s_andn2_b32 s90, s90, exec_lo
	s_and_b32 s91, s92, exec_lo
	s_or_b32 s90, s90, s91
	s_andn2_b32 exec_lo, exec_lo, s27
	s_cbranch_execz .LBB36_120
.LBB36_116:                             ;   Parent Loop BB36_6 Depth=1
                                        ; =>  This Inner Loop Header: Depth=2
	s_mov_b32 s91, exec_lo
	v_cmpx_gt_u32_e64 s28, v33
	s_cbranch_execz .LBB36_114
; %bb.117:                              ;   in Loop: Header=BB36_116 Depth=2
	ds_read_b32 v16, v8
	s_waitcnt lgkmcnt(0)
	v_xor_b32_e32 v1, 0x80000000, v16
	v_and_b32_e32 v1, v1, v10
	v_cmp_eq_u32_e32 vcc_lo, v1, v4
	s_and_b32 exec_lo, exec_lo, vcc_lo
	s_cbranch_execz .LBB36_114
; %bb.118:                              ;   in Loop: Header=BB36_116 Depth=2
	ds_write_b64 v9, v[15:16] offset:3072
	s_branch .LBB36_114
	.p2align	6
.LBB36_119:                             ;   in Loop: Header=BB36_116 Depth=2
	v_add_nc_u32_e32 v33, s43, v33
	v_add_nc_u32_e32 v8, s61, v8
	s_mov_b32 s92, 0
	v_cmp_le_u32_e32 vcc_lo, s89, v33
	s_orn2_b32 s91, vcc_lo, exec_lo
	s_branch .LBB36_115
.LBB36_120:                             ;   in Loop: Header=BB36_6 Depth=1
	s_inst_prefetch 0x2
	s_or_b32 exec_lo, exec_lo, s27
	s_and_b32 s27, s90, exec_lo
.LBB36_121:                             ;   in Loop: Header=BB36_6 Depth=1
	s_or_b32 exec_lo, exec_lo, s88
.LBB36_122:                             ;   in Loop: Header=BB36_6 Depth=1
	s_and_b32 vcc_lo, exec_lo, s29
	s_cbranch_vccz .LBB36_133
; %bb.123:                              ;   in Loop: Header=BB36_6 Depth=1
                                        ; implicit-def: $vgpr2
	s_and_saveexec_b32 s19, s9
	s_cbranch_execz .LBB36_132
; %bb.124:                              ;   in Loop: Header=BB36_6 Depth=1
	v_mov_b32_e32 v8, v7
	v_mov_b32_e32 v33, v0
	s_mov_b32 s24, 0
                                        ; implicit-def: $sgpr28
	s_inst_prefetch 0x1
	s_branch .LBB36_127
	.p2align	6
.LBB36_125:                             ;   in Loop: Header=BB36_127 Depth=2
	s_or_b32 exec_lo, exec_lo, s29
	s_waitcnt lgkmcnt(0)
	s_barrier
	buffer_gl0_inv
	ds_read_b64 v[1:2], v9 offset:3072
	s_mov_b32 s29, -1
	s_mov_b32 s88, -1
	s_waitcnt lgkmcnt(0)
	s_barrier
	buffer_gl0_inv
	v_cmp_eq_u32_e32 vcc_lo, 0, v1
	s_cbranch_vccnz .LBB36_130
.LBB36_126:                             ;   in Loop: Header=BB36_127 Depth=2
	s_and_b32 s29, exec_lo, s29
	s_or_b32 s24, s29, s24
	s_andn2_b32 s28, s28, exec_lo
	s_and_b32 s29, s88, exec_lo
	s_or_b32 s28, s28, s29
	s_andn2_b32 exec_lo, exec_lo, s24
	s_cbranch_execz .LBB36_131
.LBB36_127:                             ;   Parent Loop BB36_6 Depth=1
                                        ; =>  This Inner Loop Header: Depth=2
	s_mov_b32 s29, exec_lo
	v_cmpx_gt_u32_e64 s36, v33
	s_cbranch_execz .LBB36_125
; %bb.128:                              ;   in Loop: Header=BB36_127 Depth=2
	v_lshlrev_b64 v[1:2], 2, v[8:9]
	v_add_co_u32 v1, vcc_lo, s31, v1
	v_add_co_ci_u32_e64 v2, null, s33, v2, vcc_lo
	global_load_dword v16, v[1:2], off
	s_waitcnt vmcnt(0)
	v_xor_b32_e32 v1, 0x80000000, v16
	v_and_b32_e32 v1, v1, v10
	v_cmp_eq_u32_e32 vcc_lo, v1, v4
	s_and_b32 exec_lo, exec_lo, vcc_lo
	s_cbranch_execz .LBB36_125
; %bb.129:                              ;   in Loop: Header=BB36_127 Depth=2
	ds_write_b64 v9, v[15:16] offset:3072
	s_branch .LBB36_125
.LBB36_130:                             ;   in Loop: Header=BB36_127 Depth=2
	v_add_nc_u32_e32 v33, s43, v33
	v_add_nc_u32_e32 v8, s47, v8
	s_mov_b32 s88, 0
	v_cmp_le_u32_e32 vcc_lo, s73, v33
	s_orn2_b32 s29, vcc_lo, exec_lo
	s_branch .LBB36_126
.LBB36_131:                             ;   in Loop: Header=BB36_6 Depth=1
	s_inst_prefetch 0x2
	s_or_b32 exec_lo, exec_lo, s24
	s_andn2_b32 s24, s27, exec_lo
	s_and_b32 s27, s28, exec_lo
	s_or_b32 s27, s24, s27
.LBB36_132:                             ;   in Loop: Header=BB36_6 Depth=1
	s_or_b32 exec_lo, exec_lo, s19
	s_mov_b32 s19, 0
	s_mov_b32 s24, -1
.LBB36_133:                             ;   in Loop: Header=BB36_6 Depth=1
	s_orn2_b32 s27, s27, exec_lo
.LBB36_134:                             ;   in Loop: Header=BB36_6 Depth=1
	s_or_b32 exec_lo, exec_lo, s25
	s_mov_b32 s28, 0
	s_and_saveexec_b32 s25, s27
	s_cbranch_execz .LBB36_223
; %bb.135:                              ;   in Loop: Header=BB36_6 Depth=1
	v_mov_b32_e32 v33, 1
	v_mov_b32_e32 v3, 1
	s_xor_b32 s27, s26, -1
	s_mov_b32 s88, 0
	s_and_saveexec_b32 s26, s27
	s_cbranch_execz .LBB36_144
; %bb.136:                              ;   in Loop: Header=BB36_6 Depth=1
	s_mov_b32 s27, exec_lo
	v_cmpx_ge_u32_e64 s16, v32
	s_xor_b32 s27, exec_lo, s27
	s_cbranch_execz .LBB36_141
; %bb.137:                              ;   in Loop: Header=BB36_6 Depth=1
	ds_read_b32 v1, v9 offset:4096
	s_lshl_b32 s28, 1, s81
	v_or_b32_e32 v10, s14, v10
	v_and_or_b32 v4, v4, s15, s28
	s_waitcnt lgkmcnt(0)
	v_cmp_ne_u32_e32 vcc_lo, 0, v1
	s_cbranch_vccnz .LBB36_141
; %bb.138:                              ;   in Loop: Header=BB36_6 Depth=1
	s_and_saveexec_b32 s28, s3
; %bb.139:                              ;   in Loop: Header=BB36_6 Depth=1
	v_mov_b32_e32 v1, s16
	ds_write_b32 v9, v1 offset:4100
; %bb.140:                              ;   in Loop: Header=BB36_6 Depth=1
	s_or_b32 exec_lo, exec_lo, s28
	s_waitcnt lgkmcnt(0)
	s_barrier
	buffer_gl0_inv
.LBB36_141:                             ;   in Loop: Header=BB36_6 Depth=1
	s_or_saveexec_b32 s27, s27
	v_mov_b32_e32 v3, 8
	s_mov_b32 s28, 0
	s_xor_b32 exec_lo, exec_lo, s27
; %bb.142:                              ;   in Loop: Header=BB36_6 Depth=1
	v_subrev_nc_u32_e32 v32, s16, v32
	v_mov_b32_e32 v3, 0
	s_mov_b32 s28, exec_lo
; %bb.143:                              ;   in Loop: Header=BB36_6 Depth=1
	s_or_b32 exec_lo, exec_lo, s27
	v_mov_b32_e32 v33, v32
	s_and_b32 s88, s28, exec_lo
.LBB36_144:                             ;   in Loop: Header=BB36_6 Depth=1
	s_or_b32 exec_lo, exec_lo, s26
	s_mov_b32 s29, -1
                                        ; implicit-def: $sgpr27
                                        ; implicit-def: $sgpr28
	s_and_saveexec_b32 s26, s88
	s_cbranch_execz .LBB36_222
; %bb.145:                              ;   in Loop: Header=BB36_6 Depth=1
	v_cmp_eq_u32_e32 vcc_lo, 1, v33
	s_cmp_eq_u32 s17, 1
	s_mov_b32 s89, -1
	s_cselect_b32 s27, -1, 0
                                        ; implicit-def: $sgpr28
	s_and_b32 s88, s27, vcc_lo
                                        ; implicit-def: $sgpr27
	s_and_saveexec_b32 s29, s88
	s_cbranch_execz .LBB36_171
; %bb.146:                              ;   in Loop: Header=BB36_6 Depth=1
	ds_read_b32 v1, v9 offset:4096
	s_waitcnt lgkmcnt(0)
	s_barrier
	buffer_gl0_inv
	v_readfirstlane_b32 s90, v1
	s_and_saveexec_b32 s27, s6
; %bb.147:                              ;   in Loop: Header=BB36_6 Depth=1
	ds_write_b32 v21, v9
; %bb.148:                              ;   in Loop: Header=BB36_6 Depth=1
	s_or_b32 exec_lo, exec_lo, s27
	s_lshl_b32 s27, 2, s81
	v_or_b32_e32 v10, s14, v10
	v_and_or_b32 v4, v4, s15, s27
	s_mov_b32 s27, -1
	s_mov_b32 s28, 0
	s_cmp_eq_u32 s90, 0
	s_mov_b32 s89, 0
	s_mov_b32 s91, -1
	s_waitcnt lgkmcnt(0)
	s_barrier
	buffer_gl0_inv
                                        ; implicit-def: $vgpr2
	s_cbranch_scc1 .LBB36_159
; %bb.149:                              ;   in Loop: Header=BB36_6 Depth=1
	s_add_i32 s89, s90, s66
                                        ; implicit-def: $vgpr2
	s_mul_hi_u32 s91, s89, s72
	s_mul_i32 s91, s91, s43
	s_sub_i32 s91, s89, s91
	s_sub_i32 s92, s91, s43
	s_cmp_ge_u32 s91, s43
	s_cselect_b32 s91, s92, s91
	s_sub_i32 s92, s91, s43
	s_cmp_ge_u32 s91, s43
	s_cselect_b32 s91, s92, s91
	s_mov_b32 s92, exec_lo
	s_sub_i32 s93, s89, s91
	s_mov_b32 s91, 0
	s_mov_b32 s89, 0
	v_cmpx_gt_u32_e64 s93, v0
	s_cbranch_execz .LBB36_158
; %bb.150:                              ;   in Loop: Header=BB36_6 Depth=1
	v_mov_b32_e32 v8, v19
	v_mov_b32_e32 v32, v0
                                        ; implicit-def: $sgpr94
	s_inst_prefetch 0x1
	s_branch .LBB36_153
	.p2align	6
.LBB36_151:                             ;   in Loop: Header=BB36_153 Depth=2
	s_or_b32 exec_lo, exec_lo, s95
	s_waitcnt lgkmcnt(0)
	s_barrier
	buffer_gl0_inv
	ds_read_b64 v[1:2], v9 offset:3072
	s_mov_b32 s95, -1
	s_mov_b32 s96, -1
	s_waitcnt lgkmcnt(0)
	s_barrier
	buffer_gl0_inv
	v_cmp_ne_u32_e32 vcc_lo, 0, v1
	s_cbranch_vccz .LBB36_156
.LBB36_152:                             ;   in Loop: Header=BB36_153 Depth=2
	s_and_b32 s95, exec_lo, s95
	s_or_b32 s89, s95, s89
	s_andn2_b32 s94, s94, exec_lo
	s_and_b32 s95, s96, exec_lo
	s_or_b32 s94, s94, s95
	s_andn2_b32 exec_lo, exec_lo, s89
	s_cbranch_execz .LBB36_157
.LBB36_153:                             ;   Parent Loop BB36_6 Depth=1
                                        ; =>  This Inner Loop Header: Depth=2
	s_mov_b32 s95, exec_lo
	v_cmpx_gt_u32_e64 s90, v32
	s_cbranch_execz .LBB36_151
; %bb.154:                              ;   in Loop: Header=BB36_153 Depth=2
	ds_read_b32 v16, v8
	s_waitcnt lgkmcnt(0)
	v_xor_b32_e32 v1, 0x80000000, v16
	v_and_b32_e32 v1, v1, v10
	v_cmp_eq_u32_e32 vcc_lo, v1, v4
	s_and_b32 exec_lo, exec_lo, vcc_lo
	s_cbranch_execz .LBB36_151
; %bb.155:                              ;   in Loop: Header=BB36_153 Depth=2
	ds_write_b64 v9, v[15:16] offset:3072
	s_branch .LBB36_151
	.p2align	6
.LBB36_156:                             ;   in Loop: Header=BB36_153 Depth=2
	v_add_nc_u32_e32 v32, s43, v32
	v_add_nc_u32_e32 v8, s61, v8
	s_mov_b32 s96, 0
	v_cmp_le_u32_e32 vcc_lo, s93, v32
	s_orn2_b32 s95, vcc_lo, exec_lo
	s_branch .LBB36_152
.LBB36_157:                             ;   in Loop: Header=BB36_6 Depth=1
	s_inst_prefetch 0x2
	s_or_b32 exec_lo, exec_lo, s89
	s_and_b32 s89, s94, exec_lo
.LBB36_158:                             ;   in Loop: Header=BB36_6 Depth=1
	s_or_b32 exec_lo, exec_lo, s92
.LBB36_159:                             ;   in Loop: Header=BB36_6 Depth=1
	s_and_b32 vcc_lo, exec_lo, s91
	s_cbranch_vccz .LBB36_170
; %bb.160:                              ;   in Loop: Header=BB36_6 Depth=1
                                        ; implicit-def: $vgpr2
	s_and_saveexec_b32 s27, s9
	s_cbranch_execz .LBB36_169
; %bb.161:                              ;   in Loop: Header=BB36_6 Depth=1
	v_mov_b32_e32 v8, v7
	v_mov_b32_e32 v32, v0
	s_mov_b32 s28, 0
                                        ; implicit-def: $sgpr90
	s_inst_prefetch 0x1
	s_branch .LBB36_164
	.p2align	6
.LBB36_162:                             ;   in Loop: Header=BB36_164 Depth=2
	s_or_b32 exec_lo, exec_lo, s91
	s_waitcnt lgkmcnt(0)
	s_barrier
	buffer_gl0_inv
	ds_read_b64 v[1:2], v9 offset:3072
	s_mov_b32 s91, -1
	s_mov_b32 s92, -1
	s_waitcnt lgkmcnt(0)
	s_barrier
	buffer_gl0_inv
	v_cmp_eq_u32_e32 vcc_lo, 0, v1
	s_cbranch_vccnz .LBB36_167
.LBB36_163:                             ;   in Loop: Header=BB36_164 Depth=2
	s_and_b32 s91, exec_lo, s91
	s_or_b32 s28, s91, s28
	s_andn2_b32 s90, s90, exec_lo
	s_and_b32 s91, s92, exec_lo
	s_or_b32 s90, s90, s91
	s_andn2_b32 exec_lo, exec_lo, s28
	s_cbranch_execz .LBB36_168
.LBB36_164:                             ;   Parent Loop BB36_6 Depth=1
                                        ; =>  This Inner Loop Header: Depth=2
	s_mov_b32 s91, exec_lo
	v_cmpx_gt_u32_e64 s36, v32
	s_cbranch_execz .LBB36_162
; %bb.165:                              ;   in Loop: Header=BB36_164 Depth=2
	v_lshlrev_b64 v[1:2], 2, v[8:9]
	v_add_co_u32 v1, vcc_lo, s31, v1
	v_add_co_ci_u32_e64 v2, null, s33, v2, vcc_lo
	global_load_dword v16, v[1:2], off
	s_waitcnt vmcnt(0)
	v_xor_b32_e32 v1, 0x80000000, v16
	v_and_b32_e32 v1, v1, v10
	v_cmp_eq_u32_e32 vcc_lo, v1, v4
	s_and_b32 exec_lo, exec_lo, vcc_lo
	s_cbranch_execz .LBB36_162
; %bb.166:                              ;   in Loop: Header=BB36_164 Depth=2
	ds_write_b64 v9, v[15:16] offset:3072
	s_branch .LBB36_162
.LBB36_167:                             ;   in Loop: Header=BB36_164 Depth=2
	v_add_nc_u32_e32 v32, s43, v32
	v_add_nc_u32_e32 v8, s47, v8
	s_mov_b32 s92, 0
	v_cmp_le_u32_e32 vcc_lo, s73, v32
	s_orn2_b32 s91, vcc_lo, exec_lo
	s_branch .LBB36_163
.LBB36_168:                             ;   in Loop: Header=BB36_6 Depth=1
	s_inst_prefetch 0x2
	s_or_b32 exec_lo, exec_lo, s28
	s_andn2_b32 s28, s89, exec_lo
	s_and_b32 s89, s90, exec_lo
	s_or_b32 s89, s28, s89
.LBB36_169:                             ;   in Loop: Header=BB36_6 Depth=1
	s_or_b32 exec_lo, exec_lo, s27
	s_mov_b32 s27, 0
	s_mov_b32 s28, -1
.LBB36_170:                             ;   in Loop: Header=BB36_6 Depth=1
	s_orn2_b32 s89, s89, exec_lo
.LBB36_171:                             ;   in Loop: Header=BB36_6 Depth=1
	s_or_b32 exec_lo, exec_lo, s29
	s_mov_b32 s90, 0
	s_and_saveexec_b32 s29, s89
	s_cbranch_execz .LBB36_221
; %bb.172:                              ;   in Loop: Header=BB36_6 Depth=1
	v_mov_b32_e32 v32, 1
	v_mov_b32_e32 v3, 1
	s_xor_b32 s89, s88, -1
	s_mov_b32 s92, 0
	s_and_saveexec_b32 s88, s89
	s_cbranch_execz .LBB36_181
; %bb.173:                              ;   in Loop: Header=BB36_6 Depth=1
	s_mov_b32 s89, exec_lo
	v_cmpx_ge_u32_e64 s17, v33
	s_xor_b32 s89, exec_lo, s89
	s_cbranch_execz .LBB36_178
; %bb.174:                              ;   in Loop: Header=BB36_6 Depth=1
	ds_read_b32 v1, v9 offset:4096
	s_lshl_b32 s90, 2, s81
	v_or_b32_e32 v10, s14, v10
	v_and_or_b32 v4, v4, s15, s90
	s_waitcnt lgkmcnt(0)
	v_cmp_ne_u32_e32 vcc_lo, 0, v1
	s_cbranch_vccnz .LBB36_178
; %bb.175:                              ;   in Loop: Header=BB36_6 Depth=1
	s_and_saveexec_b32 s90, s3
; %bb.176:                              ;   in Loop: Header=BB36_6 Depth=1
	v_mov_b32_e32 v1, s17
	ds_write_b32 v9, v1 offset:4100
; %bb.177:                              ;   in Loop: Header=BB36_6 Depth=1
	s_or_b32 exec_lo, exec_lo, s90
	s_waitcnt lgkmcnt(0)
	s_barrier
	buffer_gl0_inv
.LBB36_178:                             ;   in Loop: Header=BB36_6 Depth=1
	s_or_saveexec_b32 s89, s89
	v_mov_b32_e32 v3, 8
	s_mov_b32 s90, 0
	s_xor_b32 exec_lo, exec_lo, s89
; %bb.179:                              ;   in Loop: Header=BB36_6 Depth=1
	v_subrev_nc_u32_e32 v33, s17, v33
	v_mov_b32_e32 v3, 0
	s_mov_b32 s90, exec_lo
; %bb.180:                              ;   in Loop: Header=BB36_6 Depth=1
	s_or_b32 exec_lo, exec_lo, s89
	v_mov_b32_e32 v32, v33
	s_and_b32 s92, s90, exec_lo
.LBB36_181:                             ;   in Loop: Header=BB36_6 Depth=1
	s_or_b32 exec_lo, exec_lo, s88
	s_mov_b32 s89, -1
                                        ; implicit-def: $sgpr91
                                        ; implicit-def: $sgpr90
	s_and_saveexec_b32 s88, s92
	s_cbranch_execz .LBB36_220
; %bb.182:                              ;   in Loop: Header=BB36_6 Depth=1
	v_cmp_eq_u32_e32 vcc_lo, 1, v32
	s_cmp_eq_u32 s18, 1
	s_mov_b32 s93, -1
	s_cselect_b32 s89, -1, 0
                                        ; implicit-def: $sgpr91
                                        ; implicit-def: $sgpr90
	s_and_b32 s89, s89, vcc_lo
	s_and_saveexec_b32 s92, s89
	s_cbranch_execz .LBB36_208
; %bb.183:                              ;   in Loop: Header=BB36_6 Depth=1
	ds_read_b32 v1, v9 offset:4096
	s_waitcnt lgkmcnt(0)
	s_barrier
	buffer_gl0_inv
	v_readfirstlane_b32 s94, v1
	s_and_saveexec_b32 s90, s6
; %bb.184:                              ;   in Loop: Header=BB36_6 Depth=1
	ds_write_b32 v21, v9
; %bb.185:                              ;   in Loop: Header=BB36_6 Depth=1
	s_or_b32 exec_lo, exec_lo, s90
	v_or_b32_e32 v4, s14, v4
	v_or_b32_e32 v10, s14, v10
	s_mov_b32 s90, -1
	s_mov_b32 s91, 0
	s_cmp_eq_u32 s94, 0
	s_mov_b32 s93, 0
	s_mov_b32 s95, -1
	s_waitcnt lgkmcnt(0)
	s_barrier
	buffer_gl0_inv
                                        ; implicit-def: $vgpr2
	s_cbranch_scc1 .LBB36_196
; %bb.186:                              ;   in Loop: Header=BB36_6 Depth=1
	s_add_i32 s93, s94, s66
                                        ; implicit-def: $vgpr2
	s_mul_hi_u32 s95, s93, s72
	s_mul_i32 s95, s95, s43
	s_sub_i32 s95, s93, s95
	s_sub_i32 s96, s95, s43
	s_cmp_ge_u32 s95, s43
	s_cselect_b32 s95, s96, s95
	s_sub_i32 s96, s95, s43
	s_cmp_ge_u32 s95, s43
	s_cselect_b32 s95, s96, s95
	s_mov_b32 s96, exec_lo
	s_sub_i32 s97, s93, s95
	s_mov_b32 s95, 0
	s_mov_b32 s93, 0
	v_cmpx_gt_u32_e64 s97, v0
	s_cbranch_execz .LBB36_195
; %bb.187:                              ;   in Loop: Header=BB36_6 Depth=1
	v_mov_b32_e32 v8, v19
	v_mov_b32_e32 v33, v0
                                        ; implicit-def: $sgpr98
	s_inst_prefetch 0x1
	s_branch .LBB36_190
	.p2align	6
.LBB36_188:                             ;   in Loop: Header=BB36_190 Depth=2
	s_or_b32 exec_lo, exec_lo, s99
	s_waitcnt lgkmcnt(0)
	s_barrier
	buffer_gl0_inv
	ds_read_b64 v[1:2], v9 offset:3072
	s_mov_b32 s99, -1
	s_mov_b32 s104, -1
	s_waitcnt lgkmcnt(0)
	s_barrier
	buffer_gl0_inv
	v_cmp_ne_u32_e32 vcc_lo, 0, v1
	s_cbranch_vccz .LBB36_193
.LBB36_189:                             ;   in Loop: Header=BB36_190 Depth=2
	s_and_b32 s99, exec_lo, s99
	s_or_b32 s93, s99, s93
	s_andn2_b32 s98, s98, exec_lo
	s_and_b32 s99, s104, exec_lo
	s_or_b32 s98, s98, s99
	s_andn2_b32 exec_lo, exec_lo, s93
	s_cbranch_execz .LBB36_194
.LBB36_190:                             ;   Parent Loop BB36_6 Depth=1
                                        ; =>  This Inner Loop Header: Depth=2
	s_mov_b32 s99, exec_lo
	v_cmpx_gt_u32_e64 s94, v33
	s_cbranch_execz .LBB36_188
; %bb.191:                              ;   in Loop: Header=BB36_190 Depth=2
	ds_read_b32 v16, v8
	s_waitcnt lgkmcnt(0)
	v_xor_b32_e32 v1, 0x80000000, v16
	v_and_b32_e32 v1, v1, v10
	v_cmp_eq_u32_e32 vcc_lo, v1, v4
	s_and_b32 exec_lo, exec_lo, vcc_lo
	s_cbranch_execz .LBB36_188
; %bb.192:                              ;   in Loop: Header=BB36_190 Depth=2
	ds_write_b64 v9, v[15:16] offset:3072
	s_branch .LBB36_188
	.p2align	6
.LBB36_193:                             ;   in Loop: Header=BB36_190 Depth=2
	v_add_nc_u32_e32 v33, s43, v33
	v_add_nc_u32_e32 v8, s61, v8
	s_mov_b32 s104, 0
	v_cmp_le_u32_e32 vcc_lo, s97, v33
	s_orn2_b32 s99, vcc_lo, exec_lo
	s_branch .LBB36_189
.LBB36_194:                             ;   in Loop: Header=BB36_6 Depth=1
	s_inst_prefetch 0x2
	s_or_b32 exec_lo, exec_lo, s93
	s_and_b32 s93, s98, exec_lo
.LBB36_195:                             ;   in Loop: Header=BB36_6 Depth=1
	s_or_b32 exec_lo, exec_lo, s96
.LBB36_196:                             ;   in Loop: Header=BB36_6 Depth=1
	s_and_b32 vcc_lo, exec_lo, s95
	s_cbranch_vccz .LBB36_207
; %bb.197:                              ;   in Loop: Header=BB36_6 Depth=1
                                        ; implicit-def: $vgpr2
	s_and_saveexec_b32 s90, s9
	s_cbranch_execz .LBB36_206
; %bb.198:                              ;   in Loop: Header=BB36_6 Depth=1
	v_mov_b32_e32 v8, v7
	v_mov_b32_e32 v33, v0
	s_mov_b32 s91, 0
                                        ; implicit-def: $sgpr94
	s_inst_prefetch 0x1
	s_branch .LBB36_201
	.p2align	6
.LBB36_199:                             ;   in Loop: Header=BB36_201 Depth=2
	s_or_b32 exec_lo, exec_lo, s95
	s_waitcnt lgkmcnt(0)
	s_barrier
	buffer_gl0_inv
	ds_read_b64 v[1:2], v9 offset:3072
	s_mov_b32 s95, -1
	s_mov_b32 s96, -1
	s_waitcnt lgkmcnt(0)
	s_barrier
	buffer_gl0_inv
	v_cmp_eq_u32_e32 vcc_lo, 0, v1
	s_cbranch_vccnz .LBB36_204
.LBB36_200:                             ;   in Loop: Header=BB36_201 Depth=2
	s_and_b32 s95, exec_lo, s95
	s_or_b32 s91, s95, s91
	s_andn2_b32 s94, s94, exec_lo
	s_and_b32 s95, s96, exec_lo
	s_or_b32 s94, s94, s95
	s_andn2_b32 exec_lo, exec_lo, s91
	s_cbranch_execz .LBB36_205
.LBB36_201:                             ;   Parent Loop BB36_6 Depth=1
                                        ; =>  This Inner Loop Header: Depth=2
	s_mov_b32 s95, exec_lo
	v_cmpx_gt_u32_e64 s36, v33
	s_cbranch_execz .LBB36_199
; %bb.202:                              ;   in Loop: Header=BB36_201 Depth=2
	v_lshlrev_b64 v[1:2], 2, v[8:9]
	v_add_co_u32 v1, vcc_lo, s31, v1
	v_add_co_ci_u32_e64 v2, null, s33, v2, vcc_lo
	global_load_dword v16, v[1:2], off
	s_waitcnt vmcnt(0)
	v_xor_b32_e32 v1, 0x80000000, v16
	v_and_b32_e32 v1, v1, v10
	v_cmp_eq_u32_e32 vcc_lo, v1, v4
	s_and_b32 exec_lo, exec_lo, vcc_lo
	s_cbranch_execz .LBB36_199
; %bb.203:                              ;   in Loop: Header=BB36_201 Depth=2
	ds_write_b64 v9, v[15:16] offset:3072
	s_branch .LBB36_199
.LBB36_204:                             ;   in Loop: Header=BB36_201 Depth=2
	v_add_nc_u32_e32 v33, s43, v33
	v_add_nc_u32_e32 v8, s47, v8
	s_mov_b32 s96, 0
	v_cmp_le_u32_e32 vcc_lo, s73, v33
	s_orn2_b32 s95, vcc_lo, exec_lo
	s_branch .LBB36_200
.LBB36_205:                             ;   in Loop: Header=BB36_6 Depth=1
	s_inst_prefetch 0x2
	s_or_b32 exec_lo, exec_lo, s91
	s_andn2_b32 s91, s93, exec_lo
	s_and_b32 s93, s94, exec_lo
	s_or_b32 s93, s91, s93
.LBB36_206:                             ;   in Loop: Header=BB36_6 Depth=1
	s_or_b32 exec_lo, exec_lo, s90
	s_mov_b32 s90, 0
	s_mov_b32 s91, -1
.LBB36_207:                             ;   in Loop: Header=BB36_6 Depth=1
	s_orn2_b32 s93, s93, exec_lo
.LBB36_208:                             ;   in Loop: Header=BB36_6 Depth=1
	s_or_b32 exec_lo, exec_lo, s92
	s_mov_b32 s94, 0
	s_and_saveexec_b32 s92, s93
	s_cbranch_execz .LBB36_219
; %bb.209:                              ;   in Loop: Header=BB36_6 Depth=1
	v_mov_b32_e32 v3, 1
	v_mov_b32_e32 v1, 1
	s_xor_b32 s93, s89, -1
	s_and_saveexec_b32 s89, s93
	s_cbranch_execz .LBB36_218
; %bb.210:                              ;   in Loop: Header=BB36_6 Depth=1
	s_mov_b32 s93, exec_lo
	v_cmpx_ge_u32_e64 s18, v32
	s_xor_b32 s93, exec_lo, s93
	s_cbranch_execz .LBB36_215
; %bb.211:                              ;   in Loop: Header=BB36_6 Depth=1
	ds_read_b32 v1, v9 offset:4096
	v_or_b32_e32 v4, s14, v4
	v_or_b32_e32 v10, s14, v10
	s_waitcnt lgkmcnt(0)
	v_cmp_ne_u32_e32 vcc_lo, 0, v1
	s_cbranch_vccnz .LBB36_215
; %bb.212:                              ;   in Loop: Header=BB36_6 Depth=1
	s_and_saveexec_b32 s94, s3
; %bb.213:                              ;   in Loop: Header=BB36_6 Depth=1
	v_mov_b32_e32 v1, s18
	ds_write_b32 v9, v1 offset:4100
; %bb.214:                              ;   in Loop: Header=BB36_6 Depth=1
	s_or_b32 exec_lo, exec_lo, s94
	s_waitcnt lgkmcnt(0)
	s_barrier
	buffer_gl0_inv
.LBB36_215:                             ;   in Loop: Header=BB36_6 Depth=1
	s_andn2_saveexec_b32 s93, s93
; %bb.216:                              ;   in Loop: Header=BB36_6 Depth=1
	v_subrev_nc_u32_e32 v32, s18, v32
; %bb.217:                              ;   in Loop: Header=BB36_6 Depth=1
	s_or_b32 exec_lo, exec_lo, s93
	v_mov_b32_e32 v3, 8
	v_mov_b32_e32 v1, v32
.LBB36_218:                             ;   in Loop: Header=BB36_6 Depth=1
	s_or_b32 exec_lo, exec_lo, s89
	v_mov_b32_e32 v32, v1
	s_mov_b32 s94, exec_lo
.LBB36_219:                             ;   in Loop: Header=BB36_6 Depth=1
	s_or_b32 exec_lo, exec_lo, s92
	s_orn2_b32 s89, s94, exec_lo
.LBB36_220:                             ;   in Loop: Header=BB36_6 Depth=1
	s_or_b32 exec_lo, exec_lo, s88
	v_mov_b32_e32 v33, v32
	s_andn2_b32 s28, s28, exec_lo
	s_and_b32 s88, s91, exec_lo
	s_andn2_b32 s27, s27, exec_lo
	s_and_b32 s90, s90, exec_lo
	s_or_b32 s28, s28, s88
	s_or_b32 s27, s27, s90
	s_and_b32 s90, s89, exec_lo
.LBB36_221:                             ;   in Loop: Header=BB36_6 Depth=1
	s_or_b32 exec_lo, exec_lo, s29
	s_orn2_b32 s29, s90, exec_lo
.LBB36_222:                             ;   in Loop: Header=BB36_6 Depth=1
	s_or_b32 exec_lo, exec_lo, s26
	v_mov_b32_e32 v32, v33
	s_andn2_b32 s24, s24, exec_lo
	s_and_b32 s26, s28, exec_lo
	s_andn2_b32 s19, s19, exec_lo
	s_and_b32 s27, s27, exec_lo
	s_or_b32 s24, s24, s26
	s_or_b32 s19, s19, s27
	s_and_b32 s28, s29, exec_lo
.LBB36_223:                             ;   in Loop: Header=BB36_6 Depth=1
	s_or_b32 exec_lo, exec_lo, s25
	s_orn2_b32 s25, s28, exec_lo
.LBB36_224:                             ;   in Loop: Header=BB36_6 Depth=1
	s_or_b32 exec_lo, exec_lo, s11
	s_mov_b32 s26, 0
	s_mov_b32 s27, 0
	s_and_saveexec_b32 s11, s25
	s_xor_b32 s25, exec_lo, s11
; %bb.225:                              ;   in Loop: Header=BB36_6 Depth=1
	v_cmp_ne_u32_e32 vcc_lo, 8, v3
	v_cmp_eq_u32_e64 s11, 8, v3
	s_and_b32 s27, vcc_lo, exec_lo
	s_and_b32 s26, s11, exec_lo
; %bb.226:                              ;   in Loop: Header=BB36_6 Depth=1
	s_or_b32 exec_lo, exec_lo, s25
	s_andn2_b32 s11, s21, exec_lo
	s_and_b32 s21, s24, exec_lo
	s_andn2_b32 s20, s20, exec_lo
	s_and_b32 s19, s19, exec_lo
	s_or_b32 s21, s11, s21
	s_or_b32 s20, s20, s19
	s_and_b32 s11, s27, exec_lo
	s_and_b32 s19, s26, exec_lo
.LBB36_227:                             ;   in Loop: Header=BB36_6 Depth=1
	s_or_b32 exec_lo, exec_lo, s23
.LBB36_228:                             ;   in Loop: Header=BB36_6 Depth=1
	s_and_b32 vcc_lo, exec_lo, s22
	s_cbranch_vccz .LBB36_241
; %bb.229:                              ;   in Loop: Header=BB36_6 Depth=1
	s_cmp_eq_u32 s18, 1
	s_mov_b32 s21, -1
	s_cselect_b32 s12, -1, 0
                                        ; implicit-def: $sgpr22
	s_and_b32 s10, s12, s10
                                        ; implicit-def: $sgpr12
	s_and_saveexec_b32 s20, s10
	s_cbranch_execz .LBB36_256
; %bb.230:                              ;   in Loop: Header=BB36_6 Depth=1
	ds_read_b32 v1, v9 offset:4096
	s_waitcnt lgkmcnt(0)
	s_barrier
	buffer_gl0_inv
	v_readfirstlane_b32 s23, v1
	s_and_saveexec_b32 s12, s6
; %bb.231:                              ;   in Loop: Header=BB36_6 Depth=1
	ds_write_b32 v21, v9
; %bb.232:                              ;   in Loop: Header=BB36_6 Depth=1
	s_or_b32 exec_lo, exec_lo, s12
	v_or_b32_e32 v23, s14, v23
	v_or_b32_e32 v30, s14, v30
	s_mov_b32 s12, -1
	s_mov_b32 s22, 0
	s_cmp_eq_u32 s23, 0
	s_mov_b32 s21, 0
	s_mov_b32 s24, -1
	s_waitcnt lgkmcnt(0)
	s_barrier
	buffer_gl0_inv
                                        ; implicit-def: $vgpr11
	s_cbranch_scc1 .LBB36_244
; %bb.233:                              ;   in Loop: Header=BB36_6 Depth=1
	s_add_i32 s21, s23, s66
                                        ; implicit-def: $vgpr11
	s_mul_hi_u32 s24, s21, s72
	s_mul_i32 s24, s24, s43
	s_sub_i32 s24, s21, s24
	s_sub_i32 s25, s24, s43
	s_cmp_ge_u32 s24, s43
	s_cselect_b32 s24, s25, s24
	s_sub_i32 s25, s24, s43
	s_cmp_ge_u32 s24, s43
	s_cselect_b32 s24, s25, s24
	s_mov_b32 s25, exec_lo
	s_sub_i32 s26, s21, s24
	s_mov_b32 s24, 0
	s_mov_b32 s21, 0
	v_cmpx_gt_u32_e64 s26, v0
	s_cbranch_execz .LBB36_243
; %bb.234:                              ;   in Loop: Header=BB36_6 Depth=1
	v_mov_b32_e32 v1, v19
	v_mov_b32_e32 v2, v0
                                        ; implicit-def: $sgpr27
	s_inst_prefetch 0x1
	s_branch .LBB36_237
	.p2align	6
.LBB36_235:                             ;   in Loop: Header=BB36_237 Depth=2
	s_or_b32 exec_lo, exec_lo, s28
	s_waitcnt lgkmcnt(0)
	s_barrier
	buffer_gl0_inv
	ds_read_b64 v[10:11], v9 offset:3072
	s_mov_b32 s28, -1
	s_mov_b32 s29, -1
	s_waitcnt lgkmcnt(0)
	s_barrier
	buffer_gl0_inv
	v_cmp_ne_u32_e32 vcc_lo, 0, v10
	s_cbranch_vccz .LBB36_240
.LBB36_236:                             ;   in Loop: Header=BB36_237 Depth=2
	s_and_b32 s28, exec_lo, s28
	s_or_b32 s21, s28, s21
	s_andn2_b32 s27, s27, exec_lo
	s_and_b32 s28, s29, exec_lo
	s_or_b32 s27, s27, s28
	s_andn2_b32 exec_lo, exec_lo, s21
	s_cbranch_execz .LBB36_242
.LBB36_237:                             ;   Parent Loop BB36_6 Depth=1
                                        ; =>  This Inner Loop Header: Depth=2
	s_mov_b32 s28, exec_lo
	v_cmpx_gt_u32_e64 s23, v2
	s_cbranch_execz .LBB36_235
; %bb.238:                              ;   in Loop: Header=BB36_237 Depth=2
	ds_read_b32 v16, v1
	s_waitcnt lgkmcnt(0)
	v_xor_b32_e32 v3, 0x80000000, v16
	v_and_b32_e32 v3, v3, v30
	v_cmp_eq_u32_e32 vcc_lo, v3, v23
	s_and_b32 exec_lo, exec_lo, vcc_lo
	s_cbranch_execz .LBB36_235
; %bb.239:                              ;   in Loop: Header=BB36_237 Depth=2
	ds_write_b64 v9, v[15:16] offset:3072
	s_branch .LBB36_235
	.p2align	6
.LBB36_240:                             ;   in Loop: Header=BB36_237 Depth=2
	v_add_nc_u32_e32 v2, s43, v2
	v_add_nc_u32_e32 v1, s61, v1
	s_mov_b32 s29, 0
	v_cmp_le_u32_e32 vcc_lo, s26, v2
	s_orn2_b32 s28, vcc_lo, exec_lo
	s_branch .LBB36_236
.LBB36_241:                             ;   in Loop: Header=BB36_6 Depth=1
	v_mov_b32_e32 v23, v4
	v_mov_b32_e32 v30, v10
	;; [unrolled: 1-line block ×3, first 2 shown]
	s_mov_b32 s22, 0
	s_and_saveexec_b32 s10, s19
	s_cbranch_execnz .LBB36_387
	s_branch .LBB36_388
.LBB36_242:                             ;   in Loop: Header=BB36_6 Depth=1
	s_inst_prefetch 0x2
	s_or_b32 exec_lo, exec_lo, s21
	s_and_b32 s21, s27, exec_lo
.LBB36_243:                             ;   in Loop: Header=BB36_6 Depth=1
	s_or_b32 exec_lo, exec_lo, s25
.LBB36_244:                             ;   in Loop: Header=BB36_6 Depth=1
	s_and_b32 vcc_lo, exec_lo, s24
	s_cbranch_vccz .LBB36_255
; %bb.245:                              ;   in Loop: Header=BB36_6 Depth=1
                                        ; implicit-def: $vgpr11
	s_and_saveexec_b32 s12, s9
	s_cbranch_execz .LBB36_254
; %bb.246:                              ;   in Loop: Header=BB36_6 Depth=1
	v_mov_b32_e32 v8, v7
	v_mov_b32_e32 v1, v0
	s_mov_b32 s22, 0
                                        ; implicit-def: $sgpr23
	s_inst_prefetch 0x1
	s_branch .LBB36_249
	.p2align	6
.LBB36_247:                             ;   in Loop: Header=BB36_249 Depth=2
	s_or_b32 exec_lo, exec_lo, s24
	s_waitcnt lgkmcnt(0)
	s_barrier
	buffer_gl0_inv
	ds_read_b64 v[10:11], v9 offset:3072
	s_mov_b32 s24, -1
	s_mov_b32 s25, -1
	s_waitcnt lgkmcnt(0)
	s_barrier
	buffer_gl0_inv
	v_cmp_ne_u32_e32 vcc_lo, 0, v10
	s_cbranch_vccz .LBB36_252
.LBB36_248:                             ;   in Loop: Header=BB36_249 Depth=2
	s_and_b32 s24, exec_lo, s24
	s_or_b32 s22, s24, s22
	s_andn2_b32 s23, s23, exec_lo
	s_and_b32 s24, s25, exec_lo
	s_or_b32 s23, s23, s24
	s_andn2_b32 exec_lo, exec_lo, s22
	s_cbranch_execz .LBB36_253
.LBB36_249:                             ;   Parent Loop BB36_6 Depth=1
                                        ; =>  This Inner Loop Header: Depth=2
	s_mov_b32 s24, exec_lo
	v_cmpx_gt_u32_e64 s36, v1
	s_cbranch_execz .LBB36_247
; %bb.250:                              ;   in Loop: Header=BB36_249 Depth=2
	v_lshlrev_b64 v[2:3], 2, v[8:9]
	v_add_co_u32 v2, vcc_lo, s31, v2
	v_add_co_ci_u32_e64 v3, null, s33, v3, vcc_lo
	global_load_dword v16, v[2:3], off
	s_waitcnt vmcnt(0)
	v_xor_b32_e32 v2, 0x80000000, v16
	v_and_b32_e32 v2, v2, v30
	v_cmp_eq_u32_e32 vcc_lo, v2, v23
	s_and_b32 exec_lo, exec_lo, vcc_lo
	s_cbranch_execz .LBB36_247
; %bb.251:                              ;   in Loop: Header=BB36_249 Depth=2
	ds_write_b64 v9, v[15:16] offset:3072
	s_branch .LBB36_247
.LBB36_252:                             ;   in Loop: Header=BB36_249 Depth=2
	v_add_nc_u32_e32 v1, s43, v1
	v_add_nc_u32_e32 v8, s47, v8
	s_mov_b32 s25, 0
	v_cmp_le_u32_e32 vcc_lo, s73, v1
	s_orn2_b32 s24, vcc_lo, exec_lo
	s_branch .LBB36_248
.LBB36_253:                             ;   in Loop: Header=BB36_6 Depth=1
	s_inst_prefetch 0x2
	s_or_b32 exec_lo, exec_lo, s22
	s_andn2_b32 s21, s21, exec_lo
	s_and_b32 s22, s23, exec_lo
	s_or_b32 s21, s21, s22
.LBB36_254:                             ;   in Loop: Header=BB36_6 Depth=1
	s_or_b32 exec_lo, exec_lo, s12
	s_mov_b32 s12, 0
	s_mov_b32 s22, -1
.LBB36_255:                             ;   in Loop: Header=BB36_6 Depth=1
	s_orn2_b32 s21, s21, exec_lo
.LBB36_256:                             ;   in Loop: Header=BB36_6 Depth=1
	s_or_b32 exec_lo, exec_lo, s20
                                        ; implicit-def: $vgpr32
                                        ; implicit-def: $vgpr3
	s_and_saveexec_b32 s20, s21
	s_cbranch_execz .LBB36_386
; %bb.257:                              ;   in Loop: Header=BB36_6 Depth=1
	v_mov_b32_e32 v32, 1
	v_mov_b32_e32 v3, 1
	s_xor_b32 s21, s10, -1
	s_mov_b32 s24, 0
	s_and_saveexec_b32 s10, s21
	s_cbranch_execz .LBB36_266
; %bb.258:                              ;   in Loop: Header=BB36_6 Depth=1
	s_mov_b32 s21, exec_lo
	v_cmpx_ge_u32_e64 s18, v31
	s_xor_b32 s21, exec_lo, s21
	s_cbranch_execz .LBB36_263
; %bb.259:                              ;   in Loop: Header=BB36_6 Depth=1
	ds_read_b32 v1, v9 offset:4096
	v_or_b32_e32 v23, s14, v23
	v_or_b32_e32 v30, s14, v30
	s_waitcnt lgkmcnt(0)
	v_cmp_ne_u32_e32 vcc_lo, 0, v1
	s_cbranch_vccnz .LBB36_263
; %bb.260:                              ;   in Loop: Header=BB36_6 Depth=1
	s_and_saveexec_b32 s23, s3
; %bb.261:                              ;   in Loop: Header=BB36_6 Depth=1
	v_mov_b32_e32 v1, s18
	ds_write_b32 v9, v1 offset:4100
; %bb.262:                              ;   in Loop: Header=BB36_6 Depth=1
	s_or_b32 exec_lo, exec_lo, s23
	s_waitcnt lgkmcnt(0)
	s_barrier
	buffer_gl0_inv
.LBB36_263:                             ;   in Loop: Header=BB36_6 Depth=1
	s_or_saveexec_b32 s21, s21
	v_mov_b32_e32 v3, 5
	s_mov_b32 s23, 0
	s_xor_b32 exec_lo, exec_lo, s21
; %bb.264:                              ;   in Loop: Header=BB36_6 Depth=1
	v_subrev_nc_u32_e32 v31, s18, v31
	v_mov_b32_e32 v3, 0
	s_mov_b32 s23, exec_lo
; %bb.265:                              ;   in Loop: Header=BB36_6 Depth=1
	s_or_b32 exec_lo, exec_lo, s21
	v_mov_b32_e32 v32, v31
	s_and_b32 s24, s23, exec_lo
.LBB36_266:                             ;   in Loop: Header=BB36_6 Depth=1
	s_or_b32 exec_lo, exec_lo, s10
	s_mov_b32 s23, -1
                                        ; implicit-def: $sgpr18
                                        ; implicit-def: $sgpr21
	s_and_saveexec_b32 s10, s24
	s_xor_b32 s10, exec_lo, s10
	s_cbranch_execz .LBB36_383
; %bb.267:                              ;   in Loop: Header=BB36_6 Depth=1
	v_cmp_eq_u32_e32 vcc_lo, 1, v32
	s_cmp_eq_u32 s17, 1
	s_mov_b32 s25, -1
	s_cselect_b32 s18, -1, 0
                                        ; implicit-def: $sgpr21
	s_and_b32 s24, s18, vcc_lo
                                        ; implicit-def: $sgpr18
	s_and_saveexec_b32 s23, s24
	s_cbranch_execz .LBB36_293
; %bb.268:                              ;   in Loop: Header=BB36_6 Depth=1
	ds_read_b32 v1, v9 offset:4096
	s_waitcnt lgkmcnt(0)
	s_barrier
	buffer_gl0_inv
	v_readfirstlane_b32 s26, v1
	s_and_saveexec_b32 s18, s6
; %bb.269:                              ;   in Loop: Header=BB36_6 Depth=1
	ds_write_b32 v21, v9
; %bb.270:                              ;   in Loop: Header=BB36_6 Depth=1
	s_or_b32 exec_lo, exec_lo, s18
	s_lshl_b32 s18, 2, s81
	v_or_b32_e32 v30, s14, v30
	v_and_or_b32 v23, v23, s15, s18
	s_mov_b32 s18, -1
	s_mov_b32 s21, 0
	s_cmp_eq_u32 s26, 0
	s_mov_b32 s25, 0
	s_mov_b32 s27, -1
	s_waitcnt lgkmcnt(0)
	s_barrier
	buffer_gl0_inv
                                        ; implicit-def: $vgpr11
	s_cbranch_scc1 .LBB36_281
; %bb.271:                              ;   in Loop: Header=BB36_6 Depth=1
	s_add_i32 s25, s26, s66
                                        ; implicit-def: $vgpr11
	s_mul_hi_u32 s27, s25, s72
	s_mul_i32 s27, s27, s43
	s_sub_i32 s27, s25, s27
	s_sub_i32 s28, s27, s43
	s_cmp_ge_u32 s27, s43
	s_cselect_b32 s27, s28, s27
	s_sub_i32 s28, s27, s43
	s_cmp_ge_u32 s27, s43
	s_cselect_b32 s27, s28, s27
	s_mov_b32 s28, exec_lo
	s_sub_i32 s29, s25, s27
	s_mov_b32 s27, 0
	s_mov_b32 s25, 0
	v_cmpx_gt_u32_e64 s29, v0
	s_cbranch_execz .LBB36_280
; %bb.272:                              ;   in Loop: Header=BB36_6 Depth=1
	v_mov_b32_e32 v1, v19
	v_mov_b32_e32 v2, v0
                                        ; implicit-def: $sgpr88
	s_inst_prefetch 0x1
	s_branch .LBB36_275
	.p2align	6
.LBB36_273:                             ;   in Loop: Header=BB36_275 Depth=2
	s_or_b32 exec_lo, exec_lo, s89
	s_waitcnt lgkmcnt(0)
	s_barrier
	buffer_gl0_inv
	ds_read_b64 v[10:11], v9 offset:3072
	s_mov_b32 s89, -1
	s_mov_b32 s90, -1
	s_waitcnt lgkmcnt(0)
	s_barrier
	buffer_gl0_inv
	v_cmp_ne_u32_e32 vcc_lo, 0, v10
	s_cbranch_vccz .LBB36_278
.LBB36_274:                             ;   in Loop: Header=BB36_275 Depth=2
	s_and_b32 s89, exec_lo, s89
	s_or_b32 s25, s89, s25
	s_andn2_b32 s88, s88, exec_lo
	s_and_b32 s89, s90, exec_lo
	s_or_b32 s88, s88, s89
	s_andn2_b32 exec_lo, exec_lo, s25
	s_cbranch_execz .LBB36_279
.LBB36_275:                             ;   Parent Loop BB36_6 Depth=1
                                        ; =>  This Inner Loop Header: Depth=2
	s_mov_b32 s89, exec_lo
	v_cmpx_gt_u32_e64 s26, v2
	s_cbranch_execz .LBB36_273
; %bb.276:                              ;   in Loop: Header=BB36_275 Depth=2
	ds_read_b32 v16, v1
	s_waitcnt lgkmcnt(0)
	v_xor_b32_e32 v4, 0x80000000, v16
	v_and_b32_e32 v4, v4, v30
	v_cmp_eq_u32_e32 vcc_lo, v4, v23
	s_and_b32 exec_lo, exec_lo, vcc_lo
	s_cbranch_execz .LBB36_273
; %bb.277:                              ;   in Loop: Header=BB36_275 Depth=2
	ds_write_b64 v9, v[15:16] offset:3072
	s_branch .LBB36_273
	.p2align	6
.LBB36_278:                             ;   in Loop: Header=BB36_275 Depth=2
	v_add_nc_u32_e32 v2, s43, v2
	v_add_nc_u32_e32 v1, s61, v1
	s_mov_b32 s90, 0
	v_cmp_le_u32_e32 vcc_lo, s29, v2
	s_orn2_b32 s89, vcc_lo, exec_lo
	s_branch .LBB36_274
.LBB36_279:                             ;   in Loop: Header=BB36_6 Depth=1
	s_inst_prefetch 0x2
	s_or_b32 exec_lo, exec_lo, s25
	s_and_b32 s25, s88, exec_lo
.LBB36_280:                             ;   in Loop: Header=BB36_6 Depth=1
	s_or_b32 exec_lo, exec_lo, s28
.LBB36_281:                             ;   in Loop: Header=BB36_6 Depth=1
	s_and_b32 vcc_lo, exec_lo, s27
	s_cbranch_vccz .LBB36_292
; %bb.282:                              ;   in Loop: Header=BB36_6 Depth=1
                                        ; implicit-def: $vgpr11
	s_and_saveexec_b32 s18, s9
	s_cbranch_execz .LBB36_291
; %bb.283:                              ;   in Loop: Header=BB36_6 Depth=1
	v_mov_b32_e32 v8, v7
	v_mov_b32_e32 v1, v0
	s_mov_b32 s21, 0
                                        ; implicit-def: $sgpr26
	s_inst_prefetch 0x1
	s_branch .LBB36_286
	.p2align	6
.LBB36_284:                             ;   in Loop: Header=BB36_286 Depth=2
	s_or_b32 exec_lo, exec_lo, s27
	s_waitcnt lgkmcnt(0)
	s_barrier
	buffer_gl0_inv
	ds_read_b64 v[10:11], v9 offset:3072
	s_mov_b32 s27, -1
	s_mov_b32 s28, -1
	s_waitcnt lgkmcnt(0)
	s_barrier
	buffer_gl0_inv
	v_cmp_eq_u32_e32 vcc_lo, 0, v10
	s_cbranch_vccnz .LBB36_289
.LBB36_285:                             ;   in Loop: Header=BB36_286 Depth=2
	s_and_b32 s27, exec_lo, s27
	s_or_b32 s21, s27, s21
	s_andn2_b32 s26, s26, exec_lo
	s_and_b32 s27, s28, exec_lo
	s_or_b32 s26, s26, s27
	s_andn2_b32 exec_lo, exec_lo, s21
	s_cbranch_execz .LBB36_290
.LBB36_286:                             ;   Parent Loop BB36_6 Depth=1
                                        ; =>  This Inner Loop Header: Depth=2
	s_mov_b32 s27, exec_lo
	v_cmpx_gt_u32_e64 s36, v1
	s_cbranch_execz .LBB36_284
; %bb.287:                              ;   in Loop: Header=BB36_286 Depth=2
	v_lshlrev_b64 v[10:11], 2, v[8:9]
	v_add_co_u32 v10, vcc_lo, s31, v10
	v_add_co_ci_u32_e64 v11, null, s33, v11, vcc_lo
	global_load_dword v16, v[10:11], off
	s_waitcnt vmcnt(0)
	v_xor_b32_e32 v2, 0x80000000, v16
	v_and_b32_e32 v2, v2, v30
	v_cmp_eq_u32_e32 vcc_lo, v2, v23
	s_and_b32 exec_lo, exec_lo, vcc_lo
	s_cbranch_execz .LBB36_284
; %bb.288:                              ;   in Loop: Header=BB36_286 Depth=2
	ds_write_b64 v9, v[15:16] offset:3072
	s_branch .LBB36_284
.LBB36_289:                             ;   in Loop: Header=BB36_286 Depth=2
	v_add_nc_u32_e32 v1, s43, v1
	v_add_nc_u32_e32 v8, s47, v8
	s_mov_b32 s28, 0
	v_cmp_le_u32_e32 vcc_lo, s73, v1
	s_orn2_b32 s27, vcc_lo, exec_lo
	s_branch .LBB36_285
.LBB36_290:                             ;   in Loop: Header=BB36_6 Depth=1
	s_inst_prefetch 0x2
	s_or_b32 exec_lo, exec_lo, s21
	s_andn2_b32 s21, s25, exec_lo
	s_and_b32 s25, s26, exec_lo
	s_or_b32 s25, s21, s25
.LBB36_291:                             ;   in Loop: Header=BB36_6 Depth=1
	s_or_b32 exec_lo, exec_lo, s18
	s_mov_b32 s18, 0
	s_mov_b32 s21, -1
.LBB36_292:                             ;   in Loop: Header=BB36_6 Depth=1
	s_orn2_b32 s25, s25, exec_lo
.LBB36_293:                             ;   in Loop: Header=BB36_6 Depth=1
	s_or_b32 exec_lo, exec_lo, s23
	s_mov_b32 s26, 0
	s_and_saveexec_b32 s23, s25
	s_cbranch_execz .LBB36_382
; %bb.294:                              ;   in Loop: Header=BB36_6 Depth=1
	v_mov_b32_e32 v1, 1
	v_mov_b32_e32 v3, 1
	s_xor_b32 s25, s24, -1
	s_mov_b32 s27, 0
	s_and_saveexec_b32 s24, s25
	s_cbranch_execz .LBB36_303
; %bb.295:                              ;   in Loop: Header=BB36_6 Depth=1
	s_mov_b32 s25, exec_lo
	v_cmpx_ge_u32_e64 s17, v32
	s_xor_b32 s25, exec_lo, s25
	s_cbranch_execz .LBB36_300
; %bb.296:                              ;   in Loop: Header=BB36_6 Depth=1
	ds_read_b32 v1, v9 offset:4096
	s_lshl_b32 s26, 2, s81
	v_or_b32_e32 v30, s14, v30
	v_and_or_b32 v23, v23, s15, s26
	s_waitcnt lgkmcnt(0)
	v_cmp_ne_u32_e32 vcc_lo, 0, v1
	s_cbranch_vccnz .LBB36_300
; %bb.297:                              ;   in Loop: Header=BB36_6 Depth=1
	s_and_saveexec_b32 s26, s3
; %bb.298:                              ;   in Loop: Header=BB36_6 Depth=1
	v_mov_b32_e32 v1, s17
	ds_write_b32 v9, v1 offset:4100
; %bb.299:                              ;   in Loop: Header=BB36_6 Depth=1
	s_or_b32 exec_lo, exec_lo, s26
	s_waitcnt lgkmcnt(0)
	s_barrier
	buffer_gl0_inv
.LBB36_300:                             ;   in Loop: Header=BB36_6 Depth=1
	s_or_saveexec_b32 s25, s25
	v_mov_b32_e32 v3, 5
	s_mov_b32 s26, 0
	s_xor_b32 exec_lo, exec_lo, s25
; %bb.301:                              ;   in Loop: Header=BB36_6 Depth=1
	v_subrev_nc_u32_e32 v32, s17, v32
	v_mov_b32_e32 v3, 0
	s_mov_b32 s26, exec_lo
; %bb.302:                              ;   in Loop: Header=BB36_6 Depth=1
	s_or_b32 exec_lo, exec_lo, s25
	v_mov_b32_e32 v1, v32
	s_and_b32 s27, s26, exec_lo
.LBB36_303:                             ;   in Loop: Header=BB36_6 Depth=1
	s_or_b32 exec_lo, exec_lo, s24
	s_mov_b32 s26, -1
                                        ; implicit-def: $sgpr24
                                        ; implicit-def: $sgpr25
	s_and_saveexec_b32 s17, s27
	s_cbranch_execz .LBB36_381
; %bb.304:                              ;   in Loop: Header=BB36_6 Depth=1
	v_cmp_eq_u32_e32 vcc_lo, 1, v1
	s_cmp_eq_u32 s16, 1
	s_mov_b32 s28, -1
	s_cselect_b32 s24, -1, 0
                                        ; implicit-def: $sgpr25
	s_and_b32 s27, s24, vcc_lo
                                        ; implicit-def: $sgpr24
	s_and_saveexec_b32 s26, s27
	s_cbranch_execz .LBB36_330
; %bb.305:                              ;   in Loop: Header=BB36_6 Depth=1
	ds_read_b32 v2, v9 offset:4096
	s_waitcnt lgkmcnt(0)
	s_barrier
	buffer_gl0_inv
	v_readfirstlane_b32 s29, v2
	s_and_saveexec_b32 s24, s6
; %bb.306:                              ;   in Loop: Header=BB36_6 Depth=1
	ds_write_b32 v21, v9
; %bb.307:                              ;   in Loop: Header=BB36_6 Depth=1
	s_or_b32 exec_lo, exec_lo, s24
	s_lshl_b32 s24, 1, s81
	v_or_b32_e32 v30, s14, v30
	v_and_or_b32 v23, v23, s15, s24
	s_mov_b32 s24, -1
	s_mov_b32 s25, 0
	s_cmp_eq_u32 s29, 0
	s_mov_b32 s28, 0
	s_mov_b32 s88, -1
	s_waitcnt lgkmcnt(0)
	s_barrier
	buffer_gl0_inv
                                        ; implicit-def: $vgpr11
	s_cbranch_scc1 .LBB36_318
; %bb.308:                              ;   in Loop: Header=BB36_6 Depth=1
	s_add_i32 s28, s29, s66
                                        ; implicit-def: $vgpr11
	s_mul_hi_u32 s88, s28, s72
	s_mul_i32 s88, s88, s43
	s_sub_i32 s88, s28, s88
	s_sub_i32 s89, s88, s43
	s_cmp_ge_u32 s88, s43
	s_cselect_b32 s88, s89, s88
	s_sub_i32 s89, s88, s43
	s_cmp_ge_u32 s88, s43
	s_cselect_b32 s88, s89, s88
	s_mov_b32 s89, exec_lo
	s_sub_i32 s90, s28, s88
	s_mov_b32 s88, 0
	s_mov_b32 s28, 0
	v_cmpx_gt_u32_e64 s90, v0
	s_cbranch_execz .LBB36_317
; %bb.309:                              ;   in Loop: Header=BB36_6 Depth=1
	v_mov_b32_e32 v2, v19
	v_mov_b32_e32 v4, v0
                                        ; implicit-def: $sgpr91
	s_inst_prefetch 0x1
	s_branch .LBB36_312
	.p2align	6
.LBB36_310:                             ;   in Loop: Header=BB36_312 Depth=2
	s_or_b32 exec_lo, exec_lo, s92
	s_waitcnt lgkmcnt(0)
	s_barrier
	buffer_gl0_inv
	ds_read_b64 v[10:11], v9 offset:3072
	s_mov_b32 s92, -1
	s_mov_b32 s93, -1
	s_waitcnt lgkmcnt(0)
	s_barrier
	buffer_gl0_inv
	v_cmp_ne_u32_e32 vcc_lo, 0, v10
	s_cbranch_vccz .LBB36_315
.LBB36_311:                             ;   in Loop: Header=BB36_312 Depth=2
	s_and_b32 s92, exec_lo, s92
	s_or_b32 s28, s92, s28
	s_andn2_b32 s91, s91, exec_lo
	s_and_b32 s92, s93, exec_lo
	s_or_b32 s91, s91, s92
	s_andn2_b32 exec_lo, exec_lo, s28
	s_cbranch_execz .LBB36_316
.LBB36_312:                             ;   Parent Loop BB36_6 Depth=1
                                        ; =>  This Inner Loop Header: Depth=2
	s_mov_b32 s92, exec_lo
	v_cmpx_gt_u32_e64 s29, v4
	s_cbranch_execz .LBB36_310
; %bb.313:                              ;   in Loop: Header=BB36_312 Depth=2
	ds_read_b32 v16, v2
	s_waitcnt lgkmcnt(0)
	v_xor_b32_e32 v8, 0x80000000, v16
	v_and_b32_e32 v8, v8, v30
	v_cmp_eq_u32_e32 vcc_lo, v8, v23
	s_and_b32 exec_lo, exec_lo, vcc_lo
	s_cbranch_execz .LBB36_310
; %bb.314:                              ;   in Loop: Header=BB36_312 Depth=2
	ds_write_b64 v9, v[15:16] offset:3072
	s_branch .LBB36_310
	.p2align	6
.LBB36_315:                             ;   in Loop: Header=BB36_312 Depth=2
	v_add_nc_u32_e32 v4, s43, v4
	v_add_nc_u32_e32 v2, s61, v2
	s_mov_b32 s93, 0
	v_cmp_le_u32_e32 vcc_lo, s90, v4
	s_orn2_b32 s92, vcc_lo, exec_lo
	s_branch .LBB36_311
.LBB36_316:                             ;   in Loop: Header=BB36_6 Depth=1
	s_inst_prefetch 0x2
	s_or_b32 exec_lo, exec_lo, s28
	s_and_b32 s28, s91, exec_lo
.LBB36_317:                             ;   in Loop: Header=BB36_6 Depth=1
	s_or_b32 exec_lo, exec_lo, s89
.LBB36_318:                             ;   in Loop: Header=BB36_6 Depth=1
	s_and_b32 vcc_lo, exec_lo, s88
	s_cbranch_vccz .LBB36_329
; %bb.319:                              ;   in Loop: Header=BB36_6 Depth=1
                                        ; implicit-def: $vgpr11
	s_and_saveexec_b32 s24, s9
	s_cbranch_execz .LBB36_328
; %bb.320:                              ;   in Loop: Header=BB36_6 Depth=1
	v_mov_b32_e32 v8, v7
	v_mov_b32_e32 v2, v0
	s_mov_b32 s25, 0
                                        ; implicit-def: $sgpr29
	s_inst_prefetch 0x1
	s_branch .LBB36_323
	.p2align	6
.LBB36_321:                             ;   in Loop: Header=BB36_323 Depth=2
	s_or_b32 exec_lo, exec_lo, s88
	s_waitcnt lgkmcnt(0)
	s_barrier
	buffer_gl0_inv
	ds_read_b64 v[10:11], v9 offset:3072
	s_mov_b32 s88, -1
	s_mov_b32 s89, -1
	s_waitcnt lgkmcnt(0)
	s_barrier
	buffer_gl0_inv
	v_cmp_eq_u32_e32 vcc_lo, 0, v10
	s_cbranch_vccnz .LBB36_326
.LBB36_322:                             ;   in Loop: Header=BB36_323 Depth=2
	s_and_b32 s88, exec_lo, s88
	s_or_b32 s25, s88, s25
	s_andn2_b32 s29, s29, exec_lo
	s_and_b32 s88, s89, exec_lo
	s_or_b32 s29, s29, s88
	s_andn2_b32 exec_lo, exec_lo, s25
	s_cbranch_execz .LBB36_327
.LBB36_323:                             ;   Parent Loop BB36_6 Depth=1
                                        ; =>  This Inner Loop Header: Depth=2
	s_mov_b32 s88, exec_lo
	v_cmpx_gt_u32_e64 s36, v2
	s_cbranch_execz .LBB36_321
; %bb.324:                              ;   in Loop: Header=BB36_323 Depth=2
	v_lshlrev_b64 v[10:11], 2, v[8:9]
	v_add_co_u32 v10, vcc_lo, s31, v10
	v_add_co_ci_u32_e64 v11, null, s33, v11, vcc_lo
	global_load_dword v16, v[10:11], off
	s_waitcnt vmcnt(0)
	v_xor_b32_e32 v4, 0x80000000, v16
	v_and_b32_e32 v4, v4, v30
	v_cmp_eq_u32_e32 vcc_lo, v4, v23
	s_and_b32 exec_lo, exec_lo, vcc_lo
	s_cbranch_execz .LBB36_321
; %bb.325:                              ;   in Loop: Header=BB36_323 Depth=2
	ds_write_b64 v9, v[15:16] offset:3072
	s_branch .LBB36_321
.LBB36_326:                             ;   in Loop: Header=BB36_323 Depth=2
	v_add_nc_u32_e32 v2, s43, v2
	v_add_nc_u32_e32 v8, s47, v8
	s_mov_b32 s89, 0
	v_cmp_le_u32_e32 vcc_lo, s73, v2
	s_orn2_b32 s88, vcc_lo, exec_lo
	s_branch .LBB36_322
.LBB36_327:                             ;   in Loop: Header=BB36_6 Depth=1
	s_inst_prefetch 0x2
	s_or_b32 exec_lo, exec_lo, s25
	s_andn2_b32 s25, s28, exec_lo
	s_and_b32 s28, s29, exec_lo
	s_or_b32 s28, s25, s28
.LBB36_328:                             ;   in Loop: Header=BB36_6 Depth=1
	s_or_b32 exec_lo, exec_lo, s24
	s_mov_b32 s24, 0
	s_mov_b32 s25, -1
.LBB36_329:                             ;   in Loop: Header=BB36_6 Depth=1
	s_orn2_b32 s28, s28, exec_lo
.LBB36_330:                             ;   in Loop: Header=BB36_6 Depth=1
	s_or_b32 exec_lo, exec_lo, s26
	s_mov_b32 s29, 0
	s_and_saveexec_b32 s26, s28
	s_cbranch_execz .LBB36_380
; %bb.331:                              ;   in Loop: Header=BB36_6 Depth=1
	v_mov_b32_e32 v2, 1
	v_mov_b32_e32 v3, 1
	s_xor_b32 s28, s27, -1
	s_mov_b32 s88, 0
	s_and_saveexec_b32 s27, s28
	s_cbranch_execz .LBB36_340
; %bb.332:                              ;   in Loop: Header=BB36_6 Depth=1
	s_mov_b32 s28, exec_lo
	v_cmpx_ge_u32_e64 s16, v1
	s_xor_b32 s28, exec_lo, s28
	s_cbranch_execz .LBB36_337
; %bb.333:                              ;   in Loop: Header=BB36_6 Depth=1
	ds_read_b32 v2, v9 offset:4096
	s_lshl_b32 s29, 1, s81
	v_or_b32_e32 v30, s14, v30
	v_and_or_b32 v23, v23, s15, s29
	s_waitcnt lgkmcnt(0)
	v_cmp_ne_u32_e32 vcc_lo, 0, v2
	s_cbranch_vccnz .LBB36_337
; %bb.334:                              ;   in Loop: Header=BB36_6 Depth=1
	s_and_saveexec_b32 s29, s3
; %bb.335:                              ;   in Loop: Header=BB36_6 Depth=1
	v_mov_b32_e32 v2, s16
	ds_write_b32 v9, v2 offset:4100
; %bb.336:                              ;   in Loop: Header=BB36_6 Depth=1
	s_or_b32 exec_lo, exec_lo, s29
	s_waitcnt lgkmcnt(0)
	s_barrier
	buffer_gl0_inv
.LBB36_337:                             ;   in Loop: Header=BB36_6 Depth=1
	s_or_saveexec_b32 s28, s28
	v_mov_b32_e32 v3, 5
	s_mov_b32 s29, 0
	s_xor_b32 exec_lo, exec_lo, s28
; %bb.338:                              ;   in Loop: Header=BB36_6 Depth=1
	v_subrev_nc_u32_e32 v1, s16, v1
	v_mov_b32_e32 v3, 0
	s_mov_b32 s29, exec_lo
; %bb.339:                              ;   in Loop: Header=BB36_6 Depth=1
	s_or_b32 exec_lo, exec_lo, s28
	v_mov_b32_e32 v2, v1
	s_and_b32 s88, s29, exec_lo
.LBB36_340:                             ;   in Loop: Header=BB36_6 Depth=1
	s_or_b32 exec_lo, exec_lo, s27
	s_mov_b32 s27, -1
                                        ; implicit-def: $sgpr29
                                        ; implicit-def: $sgpr28
	s_and_saveexec_b32 s16, s88
	s_cbranch_execz .LBB36_379
; %bb.341:                              ;   in Loop: Header=BB36_6 Depth=1
	v_cmp_eq_u32_e32 vcc_lo, 1, v2
	s_cmp_eq_u32 s13, 1
	s_mov_b32 s89, -1
	s_cselect_b32 s27, -1, 0
                                        ; implicit-def: $sgpr29
                                        ; implicit-def: $sgpr28
	s_and_b32 s27, s27, vcc_lo
	s_and_saveexec_b32 s88, s27
	s_cbranch_execz .LBB36_367
; %bb.342:                              ;   in Loop: Header=BB36_6 Depth=1
	ds_read_b32 v1, v9 offset:4096
	s_waitcnt lgkmcnt(0)
	s_barrier
	buffer_gl0_inv
	v_readfirstlane_b32 s90, v1
	s_and_saveexec_b32 s28, s6
; %bb.343:                              ;   in Loop: Header=BB36_6 Depth=1
	ds_write_b32 v21, v9
; %bb.344:                              ;   in Loop: Header=BB36_6 Depth=1
	s_or_b32 exec_lo, exec_lo, s28
	v_and_b32_e32 v23, s15, v23
	v_or_b32_e32 v30, s14, v30
	s_mov_b32 s28, -1
	s_mov_b32 s29, 0
	s_cmp_eq_u32 s90, 0
	s_mov_b32 s89, 0
	s_mov_b32 s91, -1
	s_waitcnt lgkmcnt(0)
	s_barrier
	buffer_gl0_inv
                                        ; implicit-def: $vgpr11
	s_cbranch_scc1 .LBB36_355
; %bb.345:                              ;   in Loop: Header=BB36_6 Depth=1
	s_add_i32 s89, s90, s66
                                        ; implicit-def: $vgpr11
	s_mul_hi_u32 s91, s89, s72
	s_mul_i32 s91, s91, s43
	s_sub_i32 s91, s89, s91
	s_sub_i32 s92, s91, s43
	s_cmp_ge_u32 s91, s43
	s_cselect_b32 s91, s92, s91
	s_sub_i32 s92, s91, s43
	s_cmp_ge_u32 s91, s43
	s_cselect_b32 s91, s92, s91
	s_mov_b32 s92, exec_lo
	s_sub_i32 s93, s89, s91
	s_mov_b32 s91, 0
	s_mov_b32 s89, 0
	v_cmpx_gt_u32_e64 s93, v0
	s_cbranch_execz .LBB36_354
; %bb.346:                              ;   in Loop: Header=BB36_6 Depth=1
	v_mov_b32_e32 v1, v19
	v_mov_b32_e32 v4, v0
                                        ; implicit-def: $sgpr94
	s_inst_prefetch 0x1
	s_branch .LBB36_349
	.p2align	6
.LBB36_347:                             ;   in Loop: Header=BB36_349 Depth=2
	s_or_b32 exec_lo, exec_lo, s95
	s_waitcnt lgkmcnt(0)
	s_barrier
	buffer_gl0_inv
	ds_read_b64 v[10:11], v9 offset:3072
	s_mov_b32 s95, -1
	s_mov_b32 s96, -1
	s_waitcnt lgkmcnt(0)
	s_barrier
	buffer_gl0_inv
	v_cmp_ne_u32_e32 vcc_lo, 0, v10
	s_cbranch_vccz .LBB36_352
.LBB36_348:                             ;   in Loop: Header=BB36_349 Depth=2
	s_and_b32 s95, exec_lo, s95
	s_or_b32 s89, s95, s89
	s_andn2_b32 s94, s94, exec_lo
	s_and_b32 s95, s96, exec_lo
	s_or_b32 s94, s94, s95
	s_andn2_b32 exec_lo, exec_lo, s89
	s_cbranch_execz .LBB36_353
.LBB36_349:                             ;   Parent Loop BB36_6 Depth=1
                                        ; =>  This Inner Loop Header: Depth=2
	s_mov_b32 s95, exec_lo
	v_cmpx_gt_u32_e64 s90, v4
	s_cbranch_execz .LBB36_347
; %bb.350:                              ;   in Loop: Header=BB36_349 Depth=2
	ds_read_b32 v16, v1
	s_waitcnt lgkmcnt(0)
	v_xor_b32_e32 v8, 0x80000000, v16
	v_and_b32_e32 v8, v8, v30
	v_cmp_eq_u32_e32 vcc_lo, v8, v23
	s_and_b32 exec_lo, exec_lo, vcc_lo
	s_cbranch_execz .LBB36_347
; %bb.351:                              ;   in Loop: Header=BB36_349 Depth=2
	ds_write_b64 v9, v[15:16] offset:3072
	s_branch .LBB36_347
	.p2align	6
.LBB36_352:                             ;   in Loop: Header=BB36_349 Depth=2
	v_add_nc_u32_e32 v4, s43, v4
	v_add_nc_u32_e32 v1, s61, v1
	s_mov_b32 s96, 0
	v_cmp_le_u32_e32 vcc_lo, s93, v4
	s_orn2_b32 s95, vcc_lo, exec_lo
	s_branch .LBB36_348
.LBB36_353:                             ;   in Loop: Header=BB36_6 Depth=1
	s_inst_prefetch 0x2
	s_or_b32 exec_lo, exec_lo, s89
	s_and_b32 s89, s94, exec_lo
.LBB36_354:                             ;   in Loop: Header=BB36_6 Depth=1
	s_or_b32 exec_lo, exec_lo, s92
.LBB36_355:                             ;   in Loop: Header=BB36_6 Depth=1
	s_and_b32 vcc_lo, exec_lo, s91
	s_cbranch_vccz .LBB36_366
; %bb.356:                              ;   in Loop: Header=BB36_6 Depth=1
                                        ; implicit-def: $vgpr11
	s_and_saveexec_b32 s28, s9
	s_cbranch_execz .LBB36_365
; %bb.357:                              ;   in Loop: Header=BB36_6 Depth=1
	v_mov_b32_e32 v8, v7
	v_mov_b32_e32 v1, v0
	s_mov_b32 s29, 0
                                        ; implicit-def: $sgpr90
	s_inst_prefetch 0x1
	s_branch .LBB36_360
	.p2align	6
.LBB36_358:                             ;   in Loop: Header=BB36_360 Depth=2
	s_or_b32 exec_lo, exec_lo, s91
	s_waitcnt lgkmcnt(0)
	s_barrier
	buffer_gl0_inv
	ds_read_b64 v[10:11], v9 offset:3072
	s_mov_b32 s91, -1
	s_mov_b32 s92, -1
	s_waitcnt lgkmcnt(0)
	s_barrier
	buffer_gl0_inv
	v_cmp_eq_u32_e32 vcc_lo, 0, v10
	s_cbranch_vccnz .LBB36_363
.LBB36_359:                             ;   in Loop: Header=BB36_360 Depth=2
	s_and_b32 s91, exec_lo, s91
	s_or_b32 s29, s91, s29
	s_andn2_b32 s90, s90, exec_lo
	s_and_b32 s91, s92, exec_lo
	s_or_b32 s90, s90, s91
	s_andn2_b32 exec_lo, exec_lo, s29
	s_cbranch_execz .LBB36_364
.LBB36_360:                             ;   Parent Loop BB36_6 Depth=1
                                        ; =>  This Inner Loop Header: Depth=2
	s_mov_b32 s91, exec_lo
	v_cmpx_gt_u32_e64 s36, v1
	s_cbranch_execz .LBB36_358
; %bb.361:                              ;   in Loop: Header=BB36_360 Depth=2
	v_lshlrev_b64 v[10:11], 2, v[8:9]
	v_add_co_u32 v10, vcc_lo, s31, v10
	v_add_co_ci_u32_e64 v11, null, s33, v11, vcc_lo
	global_load_dword v16, v[10:11], off
	s_waitcnt vmcnt(0)
	v_xor_b32_e32 v4, 0x80000000, v16
	v_and_b32_e32 v4, v4, v30
	v_cmp_eq_u32_e32 vcc_lo, v4, v23
	s_and_b32 exec_lo, exec_lo, vcc_lo
	s_cbranch_execz .LBB36_358
; %bb.362:                              ;   in Loop: Header=BB36_360 Depth=2
	ds_write_b64 v9, v[15:16] offset:3072
	s_branch .LBB36_358
.LBB36_363:                             ;   in Loop: Header=BB36_360 Depth=2
	v_add_nc_u32_e32 v1, s43, v1
	v_add_nc_u32_e32 v8, s47, v8
	s_mov_b32 s92, 0
	v_cmp_le_u32_e32 vcc_lo, s73, v1
	s_orn2_b32 s91, vcc_lo, exec_lo
	s_branch .LBB36_359
.LBB36_364:                             ;   in Loop: Header=BB36_6 Depth=1
	s_inst_prefetch 0x2
	s_or_b32 exec_lo, exec_lo, s29
	s_andn2_b32 s29, s89, exec_lo
	s_and_b32 s89, s90, exec_lo
	s_or_b32 s89, s29, s89
.LBB36_365:                             ;   in Loop: Header=BB36_6 Depth=1
	s_or_b32 exec_lo, exec_lo, s28
	s_mov_b32 s28, 0
	s_mov_b32 s29, -1
.LBB36_366:                             ;   in Loop: Header=BB36_6 Depth=1
	s_orn2_b32 s89, s89, exec_lo
.LBB36_367:                             ;   in Loop: Header=BB36_6 Depth=1
	s_or_b32 exec_lo, exec_lo, s88
	s_mov_b32 s90, 0
	s_and_saveexec_b32 s88, s89
	s_cbranch_execz .LBB36_378
; %bb.368:                              ;   in Loop: Header=BB36_6 Depth=1
	v_mov_b32_e32 v3, 1
	v_mov_b32_e32 v1, 1
	s_xor_b32 s89, s27, -1
	s_and_saveexec_b32 s27, s89
	s_cbranch_execz .LBB36_377
; %bb.369:                              ;   in Loop: Header=BB36_6 Depth=1
	s_mov_b32 s89, exec_lo
	v_cmpx_ge_u32_e64 s13, v2
	s_xor_b32 s89, exec_lo, s89
	s_cbranch_execz .LBB36_374
; %bb.370:                              ;   in Loop: Header=BB36_6 Depth=1
	ds_read_b32 v1, v9 offset:4096
	v_and_b32_e32 v23, s15, v23
	v_or_b32_e32 v30, s14, v30
	s_waitcnt lgkmcnt(0)
	v_cmp_ne_u32_e32 vcc_lo, 0, v1
	s_cbranch_vccnz .LBB36_374
; %bb.371:                              ;   in Loop: Header=BB36_6 Depth=1
	s_and_saveexec_b32 s14, s3
; %bb.372:                              ;   in Loop: Header=BB36_6 Depth=1
	v_mov_b32_e32 v1, s13
	ds_write_b32 v9, v1 offset:4100
; %bb.373:                              ;   in Loop: Header=BB36_6 Depth=1
	s_or_b32 exec_lo, exec_lo, s14
	s_waitcnt lgkmcnt(0)
	s_barrier
	buffer_gl0_inv
.LBB36_374:                             ;   in Loop: Header=BB36_6 Depth=1
	s_andn2_saveexec_b32 s14, s89
; %bb.375:                              ;   in Loop: Header=BB36_6 Depth=1
	v_subrev_nc_u32_e32 v2, s13, v2
; %bb.376:                              ;   in Loop: Header=BB36_6 Depth=1
	s_or_b32 exec_lo, exec_lo, s14
	v_mov_b32_e32 v3, 5
	v_mov_b32_e32 v1, v2
.LBB36_377:                             ;   in Loop: Header=BB36_6 Depth=1
	s_or_b32 exec_lo, exec_lo, s27
	v_mov_b32_e32 v2, v1
	s_mov_b32 s90, exec_lo
.LBB36_378:                             ;   in Loop: Header=BB36_6 Depth=1
	s_or_b32 exec_lo, exec_lo, s88
	s_orn2_b32 s27, s90, exec_lo
.LBB36_379:                             ;   in Loop: Header=BB36_6 Depth=1
	s_or_b32 exec_lo, exec_lo, s16
	v_mov_b32_e32 v1, v2
	s_andn2_b32 s13, s25, exec_lo
	s_and_b32 s14, s29, exec_lo
	s_andn2_b32 s15, s24, exec_lo
	s_and_b32 s16, s28, exec_lo
	s_or_b32 s25, s13, s14
	s_or_b32 s24, s15, s16
	s_and_b32 s29, s27, exec_lo
.LBB36_380:                             ;   in Loop: Header=BB36_6 Depth=1
	s_or_b32 exec_lo, exec_lo, s26
	s_orn2_b32 s26, s29, exec_lo
.LBB36_381:                             ;   in Loop: Header=BB36_6 Depth=1
	s_or_b32 exec_lo, exec_lo, s17
	v_mov_b32_e32 v32, v1
	s_andn2_b32 s13, s21, exec_lo
	s_and_b32 s14, s25, exec_lo
	s_andn2_b32 s15, s18, exec_lo
	s_and_b32 s16, s24, exec_lo
	s_or_b32 s21, s13, s14
	s_or_b32 s18, s15, s16
	s_and_b32 s26, s26, exec_lo
.LBB36_382:                             ;   in Loop: Header=BB36_6 Depth=1
	s_or_b32 exec_lo, exec_lo, s23
	s_orn2_b32 s23, s26, exec_lo
.LBB36_383:                             ;   in Loop: Header=BB36_6 Depth=1
	s_or_b32 exec_lo, exec_lo, s10
	s_mov_b32 s10, s19
	s_mov_b32 s13, s11
	s_and_saveexec_b32 s14, s23
; %bb.384:                              ;   in Loop: Header=BB36_6 Depth=1
	v_cmp_ne_u32_e32 vcc_lo, 5, v3
	v_cmp_eq_u32_e64 s10, 5, v3
	s_andn2_b32 s13, s11, exec_lo
	s_andn2_b32 s15, s19, exec_lo
	s_and_b32 s16, vcc_lo, exec_lo
	s_and_b32 s10, s10, exec_lo
	s_or_b32 s13, s13, s16
	s_or_b32 s10, s15, s10
; %bb.385:                              ;   in Loop: Header=BB36_6 Depth=1
	s_or_b32 exec_lo, exec_lo, s14
	s_andn2_b32 s14, s22, exec_lo
	s_and_b32 s15, s21, exec_lo
	s_andn2_b32 s12, s12, exec_lo
	s_and_b32 s16, s18, exec_lo
	s_or_b32 s22, s14, s15
	s_andn2_b32 s11, s11, exec_lo
	s_and_b32 s13, s13, exec_lo
	s_andn2_b32 s14, s19, exec_lo
	s_and_b32 s10, s10, exec_lo
	s_or_b32 s12, s12, s16
	s_or_b32 s11, s11, s13
	;; [unrolled: 1-line block ×3, first 2 shown]
.LBB36_386:                             ;   in Loop: Header=BB36_6 Depth=1
	s_or_b32 exec_lo, exec_lo, s20
	s_mov_b32 s20, 0
	s_mov_b32 s21, 0
	s_and_saveexec_b32 s10, s19
.LBB36_387:                             ;   in Loop: Header=BB36_6 Depth=1
	v_mov_b32_e32 v3, 0
	s_or_b32 s11, s11, exec_lo
.LBB36_388:                             ;   in Loop: Header=BB36_6 Depth=1
	s_or_b32 exec_lo, exec_lo, s10
	s_andn2_b32 s10, s85, exec_lo
	s_and_b32 s14, s22, exec_lo
	s_andn2_b32 s15, s83, exec_lo
	s_and_b32 s12, s12, exec_lo
	v_mov_b32_e32 v31, v32
	s_or_b32 s85, s10, s14
	s_or_b32 s83, s15, s12
	s_andn2_b32 s10, s87, exec_lo
	s_and_b32 s12, s21, exec_lo
	s_andn2_b32 s14, s86, exec_lo
	s_and_b32 s15, s20, exec_lo
	s_mov_b32 s13, -1
	s_andn2_b32 s84, s84, exec_lo
	s_or_b32 s87, s10, s12
	s_or_b32 s86, s14, s15
	s_and_saveexec_b32 s10, s11
	s_xor_b32 s10, exec_lo, s10
	s_cbranch_execz .LBB36_5
; %bb.389:                              ;   in Loop: Header=BB36_6 Depth=1
	s_mov_b32 s11, -1
	s_mov_b32 s12, -1
	s_mov_b32 s13, exec_lo
	v_cmpx_eq_u32_e32 0, v3
	s_cbranch_execz .LBB36_4
; %bb.390:                              ;   in Loop: Header=BB36_6 Depth=1
	s_xor_b32 s77, s77, 1
	s_add_i32 s14, s81, -2
	s_cmp_eq_u32 s81, 0
	s_mov_b32 s81, s14
	s_cselect_b32 s11, -1, 0
	s_xor_b32 s12, exec_lo, -1
	s_orn2_b32 s11, s11, exec_lo
	s_branch .LBB36_4
.LBB36_391:
	s_or_b32 exec_lo, exec_lo, s55
	s_xor_b32 s7, s82, -1
	s_xor_b32 s12, s79, -1
	;; [unrolled: 1-line block ×5, first 2 shown]
	s_mov_b32 s9, 0
	s_and_saveexec_b32 s10, s8
	s_xor_b32 s8, exec_lo, s10
	s_cbranch_execnz .LBB36_396
; %bb.392:
	s_andn2_saveexec_b32 s0, s8
	s_cbranch_execnz .LBB36_415
.LBB36_393:
	s_or_b32 exec_lo, exec_lo, s0
	s_and_saveexec_b32 s0, s9
.LBB36_394:
	; divergent unreachable
.LBB36_395:
	s_endpgm
.LBB36_396:
	s_mov_b32 s10, 0
	s_and_saveexec_b32 s9, s11
	s_xor_b32 s9, exec_lo, s9
	s_cbranch_execz .LBB36_413
; %bb.397:
	s_mov_b32 s11, 0
	s_and_saveexec_b32 s10, s12
	s_xor_b32 s10, exec_lo, s10
	s_cbranch_execz .LBB36_411
; %bb.398:
	;; [unrolled: 5-line block ×3, first 2 shown]
	s_and_saveexec_b32 s7, s6
	s_xor_b32 s6, exec_lo, s7
; %bb.400:
	v_xor_b32_e32 v11, 0x80000000, v23
; %bb.401:
	s_or_b32 exec_lo, exec_lo, s6
	s_and_saveexec_b32 s6, s3
; %bb.402:
	v_mov_b32_e32 v1, 0
	ds_write_b32 v1, v1 offset:4108
; %bb.403:
	s_or_b32 exec_lo, exec_lo, s6
	v_mov_b32_e32 v7, 0
	s_waitcnt lgkmcnt(0)
	s_barrier
	buffer_gl0_inv
	s_and_saveexec_b32 s3, s2
	s_cbranch_execz .LBB36_405
; %bb.404:
	global_load_dword v7, v[5:6], off
.LBB36_405:
	s_or_b32 exec_lo, exec_lo, s3
	s_mul_i32 s6, s60, s52
	s_add_i32 s12, s36, 31
	s_mul_i32 s3, s57, s53
	s_sub_i32 s6, s57, s6
	s_andn2_b32 s12, s12, 31
	s_sub_i32 s3, s56, s3
	s_add_i32 s7, s60, 1
	s_sub_i32 s13, s6, s52
	s_cmp_ge_u32 s6, s52
	s_mul_i32 s3, s3, s46
	s_cselect_b32 s7, s7, s60
	s_cselect_b32 s6, s13, s6
	s_add_i32 s13, s7, 1
	s_cmp_ge_u32 s6, s52
	v_cmp_gt_u32_e32 vcc_lo, s12, v0
	s_cselect_b32 s6, s13, s7
	s_mul_i32 s13, s58, s51
	s_mul_i32 s7, s6, s52
	;; [unrolled: 1-line block ×3, first 2 shown]
	s_sub_i32 s7, s57, s7
	s_mov_b32 s18, -1
	s_mul_i32 s7, s7, s45
	s_add_i32 s3, s7, s3
	s_mul_i32 s7, s59, s50
	s_add_i32 s6, s3, s6
	s_sub_i32 s7, s58, s7
	s_sub_i32 s3, s56, s13
	s_add_i32 s13, s59, 1
	s_sub_i32 s14, s7, s50
	s_cmp_ge_u32 s7, s50
	s_mul_i32 s3, s3, s42
	s_cselect_b32 s13, s13, s59
	s_cselect_b32 s7, s14, s7
	s_add_i32 s14, s13, 1
	s_cmp_ge_u32 s7, s50
	s_cselect_b32 s14, s14, s13
	s_clause 0x1
	s_load_dword s13, s[4:5], 0x1c8
	s_load_dword s5, s[4:5], 0x2a8
	s_mul_i32 s7, s14, s50
	s_sub_i32 s7, s58, s7
	s_mul_i32 s4, s7, s41
	s_mov_b32 s7, 0
	s_add_i32 s3, s4, s3
	s_mul_i32 s4, s14, s40
	s_lshl_b64 s[14:15], s[6:7], 2
	s_add_i32 s16, s3, s4
	s_mov_b32 s17, s7
	s_add_u32 s6, s48, s14
	s_addc_u32 s14, s49, s15
	s_lshl_b64 s[16:17], s[16:17], 3
	s_mov_b32 s3, 0
	s_add_u32 s15, s34, s16
	s_addc_u32 s16, s35, s17
	s_and_saveexec_b32 s17, vcc_lo
	s_cbranch_execnz .LBB36_416
; %bb.406:
	s_or_b32 exec_lo, exec_lo, s17
	s_and_saveexec_b32 s4, s18
	s_cbranch_execnz .LBB36_431
.LBB36_407:
	s_or_b32 exec_lo, exec_lo, s4
	s_and_saveexec_b32 s0, s3
	s_xor_b32 s0, exec_lo, s0
	s_cbranch_execnz .LBB36_454
.LBB36_408:
	s_or_b32 exec_lo, exec_lo, s0
	s_and_b32 s12, s7, exec_lo
.LBB36_409:
	s_andn2_saveexec_b32 s0, s11
	s_cbranch_execnz .LBB36_456
.LBB36_410:
	s_or_b32 exec_lo, exec_lo, s0
	s_and_b32 s11, s12, exec_lo
.LBB36_411:
	s_andn2_saveexec_b32 s0, s10
	s_cbranch_execnz .LBB36_455
.LBB36_412:
	s_or_b32 exec_lo, exec_lo, s0
	s_and_b32 s10, s11, exec_lo
.LBB36_413:
	s_andn2_saveexec_b32 s0, s9
	s_cbranch_execnz .LBB36_450
.LBB36_414:
	s_or_b32 exec_lo, exec_lo, s0
	s_and_b32 s9, s10, exec_lo
	s_andn2_saveexec_b32 s0, s8
	s_cbranch_execz .LBB36_393
.LBB36_415:
	s_or_b32 s9, s9, exec_lo
	s_trap 2
	s_or_b32 exec_lo, exec_lo, s0
	s_and_saveexec_b32 s0, s9
	s_cbranch_execnz .LBB36_394
	s_branch .LBB36_395
.LBB36_416:
	v_add_nc_u32_e32 v1, s43, v0
	v_xor_b32_e32 v8, 0x80000000, v11
	v_mov_b32_e32 v2, 0
	v_mov_b32_e32 v3, v0
	s_mov_b32 s18, 0
	v_mul_lo_u32 v1, s30, v1
                                        ; implicit-def: $sgpr19
                                        ; implicit-def: $vgpr10
	s_branch .LBB36_418
.LBB36_417:                             ;   in Loop: Header=BB36_418 Depth=1
	s_or_b32 exec_lo, exec_lo, s21
	s_xor_b32 s3, s20, -1
	s_and_b32 s4, exec_lo, s4
	v_mov_b32_e32 v7, v12
	s_or_b32 s18, s4, s18
	v_mov_b32_e32 v3, v9
	s_andn2_b32 s4, s19, exec_lo
	s_and_b32 s3, s3, exec_lo
	s_or_b32 s19, s4, s3
	s_andn2_b32 exec_lo, exec_lo, s18
	s_cbranch_execz .LBB36_430
.LBB36_418:                             ; =>This Inner Loop Header: Depth=1
	v_add_nc_u32_e32 v9, s43, v3
	v_mov_b32_e32 v12, 0
	s_mov_b32 s4, exec_lo
	v_cmpx_gt_u32_e64 s36, v9
	s_cbranch_execz .LBB36_420
; %bb.419:                              ;   in Loop: Header=BB36_418 Depth=1
	v_lshlrev_b64 v[12:13], 2, v[1:2]
	v_add_co_u32 v12, s3, s31, v12
	v_add_co_ci_u32_e64 v13, null, s33, v13, s3
	global_load_dword v12, v[12:13], off
.LBB36_420:                             ;   in Loop: Header=BB36_418 Depth=1
	s_or_b32 exec_lo, exec_lo, s4
	s_waitcnt vmcnt(0)
	v_xor_b32_e32 v4, 0x80000000, v7
	v_cmp_gt_u32_e64 s3, v4, v8
	v_cndmask_b32_e64 v13, 0, 1, s3
	v_cmp_lt_u32_e64 s3, v4, v8
	v_cndmask_b32_e64 v4, 0, 1, s3
	v_cmp_gt_u32_e64 s3, s36, v3
	v_cndmask_b32_e64 v4, v4, v13, s1
	v_and_b32_e32 v4, 1, v4
	v_cmp_eq_u32_e64 s4, 1, v4
	s_and_b32 s21, s3, s4
	v_cndmask_b32_e64 v4, 0, 1, s21
	v_cmp_ne_u32_e64 s3, 0, v4
	s_cmp_lg_u32 s3, 0
	s_cselect_b32 s4, -1, 0
	s_and_b32 s4, s0, s4
	s_and_saveexec_b32 s20, s4
	s_cbranch_execz .LBB36_424
; %bb.421:                              ;   in Loop: Header=BB36_418 Depth=1
	s_mov_b32 s24, exec_lo
	s_bcnt1_i32_b32 s22, s3
	v_mbcnt_lo_u32_b32 v4, s24, 0
	s_mov_b32 s23, exec_lo
                                        ; implicit-def: $vgpr10
	v_cmpx_eq_u32_e32 0, v4
	s_cbranch_execz .LBB36_423
; %bb.422:                              ;   in Loop: Header=BB36_418 Depth=1
	s_bcnt1_i32_b32 s4, s24
	s_mul_i32 s4, s22, s4
	s_waitcnt lgkmcnt(0)
	v_mov_b32_e32 v10, s4
	ds_add_rtn_u32 v10, v2, v10 offset:4108
.LBB36_423:                             ;   in Loop: Header=BB36_418 Depth=1
	s_or_b32 exec_lo, exec_lo, s23
	s_waitcnt lgkmcnt(0)
	v_readfirstlane_b32 s4, v10
	v_mad_u32_u24 v10, s22, v4, s4
.LBB36_424:                             ;   in Loop: Header=BB36_418 Depth=1
	s_or_b32 exec_lo, exec_lo, s20
	s_waitcnt lgkmcnt(0)
	ds_bpermute_b32 v10, v2, v10
	s_mov_b32 s4, -1
	s_mov_b32 s22, -1
	s_and_saveexec_b32 s20, s21
	s_cbranch_execz .LBB36_428
; %bb.425:                              ;   in Loop: Header=BB36_418 Depth=1
	v_and_b32_e32 v4, s3, v17
	s_mov_b32 s21, 0
	s_mov_b32 s22, exec_lo
	s_waitcnt lgkmcnt(0)
	v_bcnt_u32_b32 v4, v4, v10
	v_cmpx_gt_u32_e64 s37, v4
; %bb.426:                              ;   in Loop: Header=BB36_418 Depth=1
	v_mul_lo_u32 v13, v4, s13
	v_mul_lo_u32 v15, v4, s5
	v_mov_b32_e32 v14, v2
	v_mov_b32_e32 v16, v2
	;; [unrolled: 1-line block ×3, first 2 shown]
	s_mov_b32 s21, exec_lo
	v_lshlrev_b64 v[13:14], 2, v[13:14]
	v_lshlrev_b64 v[15:16], 3, v[15:16]
	v_add_co_u32 v13, s3, s6, v13
	v_add_co_ci_u32_e64 v14, null, s14, v14, s3
	v_add_co_u32 v15, s3, s15, v15
	v_add_co_ci_u32_e64 v16, null, s16, v16, s3
	global_store_dword v[13:14], v7, off
	global_store_dwordx2 v[15:16], v[3:4], off
; %bb.427:                              ;   in Loop: Header=BB36_418 Depth=1
	s_or_b32 exec_lo, exec_lo, s22
	s_orn2_b32 s22, s21, exec_lo
.LBB36_428:                             ;   in Loop: Header=BB36_418 Depth=1
	s_or_b32 exec_lo, exec_lo, s20
	s_mov_b32 s20, -1
	s_and_saveexec_b32 s21, s22
	s_cbranch_execz .LBB36_417
; %bb.429:                              ;   in Loop: Header=BB36_418 Depth=1
	v_cmp_le_u32_e64 s3, s12, v9
	v_add_nc_u32_e32 v1, s47, v1
	s_xor_b32 s20, exec_lo, -1
	s_orn2_b32 s4, s3, exec_lo
	s_branch .LBB36_417
.LBB36_430:
	s_or_b32 exec_lo, exec_lo, s18
	s_mov_b32 s3, exec_lo
	s_orn2_b32 s18, s19, exec_lo
	s_or_b32 exec_lo, exec_lo, s17
	s_and_saveexec_b32 s4, s18
	s_cbranch_execz .LBB36_407
.LBB36_431:
	v_mov_b32_e32 v1, 0
	s_waitcnt vmcnt(0) lgkmcnt(0)
	s_waitcnt_vscnt null, 0x0
	s_barrier
	buffer_gl0_inv
	s_and_saveexec_b32 s1, s2
	s_cbranch_execz .LBB36_433
; %bb.432:
	global_load_dword v1, v[5:6], off
.LBB36_433:
	s_or_b32 exec_lo, exec_lo, s1
	s_mov_b32 s1, 0
	s_and_saveexec_b32 s2, vcc_lo
	s_cbranch_execz .LBB36_453
; %bb.434:
	v_add_nc_u32_e32 v2, s43, v0
	v_mov_b32_e32 v3, 0
	s_mov_b32 s7, 0
                                        ; implicit-def: $sgpr17
                                        ; implicit-def: $vgpr5
	v_mul_lo_u32 v2, s30, v2
	s_branch .LBB36_437
.LBB36_435:                             ;   in Loop: Header=BB36_437 Depth=1
	s_or_b32 exec_lo, exec_lo, s19
	s_orn2_b32 s20, s21, exec_lo
	s_orn2_b32 s18, s18, exec_lo
.LBB36_436:                             ;   in Loop: Header=BB36_437 Depth=1
	s_or_b32 exec_lo, exec_lo, s1
	s_xor_b32 s1, s20, -1
	s_and_b32 s18, exec_lo, s18
	v_mov_b32_e32 v0, v4
	s_or_b32 s7, s18, s7
	v_mov_b32_e32 v1, v6
	s_andn2_b32 s17, s17, exec_lo
	s_and_b32 s1, s1, exec_lo
	s_or_b32 s17, s17, s1
	s_andn2_b32 exec_lo, exec_lo, s7
	s_cbranch_execz .LBB36_451
.LBB36_437:                             ; =>This Inner Loop Header: Depth=1
	v_add_nc_u32_e32 v4, s43, v0
	v_mov_b32_e32 v6, 0
	s_mov_b32 s1, exec_lo
	v_cmpx_gt_u32_e64 s36, v4
	s_cbranch_execz .LBB36_439
; %bb.438:                              ;   in Loop: Header=BB36_437 Depth=1
	v_lshlrev_b64 v[6:7], 2, v[2:3]
	v_add_co_u32 v6, vcc_lo, s31, v6
	v_add_co_ci_u32_e64 v7, null, s33, v7, vcc_lo
	global_load_dword v6, v[6:7], off
.LBB36_439:                             ;   in Loop: Header=BB36_437 Depth=1
	s_or_b32 exec_lo, exec_lo, s1
	v_cmp_gt_u32_e32 vcc_lo, s36, v0
	s_waitcnt vmcnt(0)
	v_cmp_eq_u32_e64 s1, v1, v11
	s_and_b32 s19, vcc_lo, s1
	v_cndmask_b32_e64 v1, 0, 1, s19
	v_cmp_ne_u32_e32 vcc_lo, 0, v1
	s_cmp_lg_u32 vcc_lo, 0
	s_cselect_b32 s1, -1, 0
	s_and_b32 s1, s0, s1
	s_and_saveexec_b32 s18, s1
	s_cbranch_execz .LBB36_443
; %bb.440:                              ;   in Loop: Header=BB36_437 Depth=1
	s_mov_b32 s22, exec_lo
	s_bcnt1_i32_b32 s20, vcc_lo
	v_mbcnt_lo_u32_b32 v1, s22, 0
	s_mov_b32 s21, exec_lo
                                        ; implicit-def: $vgpr5
	v_cmpx_eq_u32_e32 0, v1
; %bb.441:                              ;   in Loop: Header=BB36_437 Depth=1
	s_bcnt1_i32_b32 s1, s22
	s_mul_i32 s1, s20, s1
	v_mov_b32_e32 v5, s1
	ds_add_rtn_u32 v5, v3, v5 offset:4108
; %bb.442:                              ;   in Loop: Header=BB36_437 Depth=1
	s_or_b32 exec_lo, exec_lo, s21
	s_waitcnt lgkmcnt(0)
	v_readfirstlane_b32 s1, v5
	v_mad_u32_u24 v5, s20, v1, s1
.LBB36_443:                             ;   in Loop: Header=BB36_437 Depth=1
	s_or_b32 exec_lo, exec_lo, s18
	ds_bpermute_b32 v5, v3, v5
	s_cmp_eq_u32 vcc_lo, 0
	s_mov_b32 s18, -1
	s_cselect_b32 s20, -1, 0
	s_waitcnt lgkmcnt(0)
	v_cmp_gt_u32_e64 s1, s37, v5
	s_or_b32 s21, s20, s1
	s_mov_b32 s20, -1
	s_and_saveexec_b32 s1, s21
	s_cbranch_execz .LBB36_436
; %bb.444:                              ;   in Loop: Header=BB36_437 Depth=1
	v_and_b32_e32 v1, vcc_lo, v17
	v_sub_nc_u32_e32 v7, s37, v5
	s_mov_b32 s21, -1
	v_bcnt_u32_b32 v1, v1, 0
	v_bcnt_u32_b32 v1, 0, v1
	v_cmp_gt_u32_e32 vcc_lo, v7, v1
	s_and_b32 s22, s19, vcc_lo
	s_and_saveexec_b32 s19, s22
	s_cbranch_execz .LBB36_448
; %bb.445:                              ;   in Loop: Header=BB36_437 Depth=1
	v_add_nc_u32_e32 v1, v5, v1
	s_mov_b32 s20, 0
	s_mov_b32 s21, exec_lo
	v_cmpx_gt_u32_e64 s37, v1
; %bb.446:                              ;   in Loop: Header=BB36_437 Depth=1
	v_mul_lo_u32 v7, v1, s13
	v_mul_lo_u32 v9, v1, s5
	v_mov_b32_e32 v8, v3
	v_mov_b32_e32 v10, v3
	;; [unrolled: 1-line block ×3, first 2 shown]
	s_mov_b32 s20, exec_lo
	v_lshlrev_b64 v[7:8], 2, v[7:8]
	v_lshlrev_b64 v[9:10], 3, v[9:10]
	v_add_co_u32 v7, vcc_lo, s6, v7
	v_add_co_ci_u32_e64 v8, null, s14, v8, vcc_lo
	v_add_co_u32 v9, vcc_lo, s15, v9
	v_add_co_ci_u32_e64 v10, null, s16, v10, vcc_lo
	global_store_dword v[7:8], v11, off
	global_store_dwordx2 v[9:10], v[0:1], off
; %bb.447:                              ;   in Loop: Header=BB36_437 Depth=1
	s_or_b32 exec_lo, exec_lo, s21
	s_xor_b32 s21, exec_lo, -1
	s_orn2_b32 s20, s20, exec_lo
.LBB36_448:                             ;   in Loop: Header=BB36_437 Depth=1
	s_or_b32 exec_lo, exec_lo, s19
	s_and_saveexec_b32 s19, s20
	s_cbranch_execz .LBB36_435
; %bb.449:                              ;   in Loop: Header=BB36_437 Depth=1
	v_cmp_le_u32_e32 vcc_lo, s12, v4
	v_add_nc_u32_e32 v2, s47, v2
	s_or_b32 s21, s21, exec_lo
	s_orn2_b32 s18, vcc_lo, exec_lo
	s_branch .LBB36_435
.LBB36_450:
	s_or_b32 s10, s10, exec_lo
	s_trap 2
	s_branch .LBB36_414
.LBB36_451:
	s_or_b32 exec_lo, exec_lo, s7
	s_mov_b32 s0, 0
	s_and_saveexec_b32 s1, s17
	s_xor_b32 s1, exec_lo, s1
	s_cbranch_execnz .LBB36_457
.LBB36_452:
	s_or_b32 exec_lo, exec_lo, s1
	s_and_b32 s1, s0, exec_lo
.LBB36_453:
	s_or_b32 exec_lo, exec_lo, s2
	s_and_b32 s7, s1, exec_lo
	s_andn2_b32 s3, s3, exec_lo
	s_or_b32 exec_lo, exec_lo, s4
	s_and_saveexec_b32 s0, s3
	s_xor_b32 s0, exec_lo, s0
	s_cbranch_execz .LBB36_408
.LBB36_454:
	s_or_b32 s7, s7, exec_lo
	s_trap 2
	s_branch .LBB36_408
.LBB36_455:
	s_or_b32 s11, s11, exec_lo
	s_trap 2
	s_branch .LBB36_412
.LBB36_456:
	s_or_b32 s12, s12, exec_lo
	s_trap 2
	s_branch .LBB36_410
.LBB36_457:
	s_mov_b32 s0, exec_lo
	s_trap 2
	s_branch .LBB36_452
	.section	.rodata,"a",@progbits
	.p2align	6, 0x0
	.amdhsa_kernel _ZN2at6native6sbtopk10gatherTopKIijLi3ELb0EEEvNS_4cuda6detail10TensorInfoIKT_T0_EES8_S8_bS8_S8_NS5_IS6_S8_EES8_NS5_IlS8_EES8_PS6_
		.amdhsa_group_segment_fixed_size 4112
		.amdhsa_private_segment_fixed_size 0
		.amdhsa_kernarg_size 952
		.amdhsa_user_sgpr_count 6
		.amdhsa_user_sgpr_private_segment_buffer 1
		.amdhsa_user_sgpr_dispatch_ptr 0
		.amdhsa_user_sgpr_queue_ptr 0
		.amdhsa_user_sgpr_kernarg_segment_ptr 1
		.amdhsa_user_sgpr_dispatch_id 0
		.amdhsa_user_sgpr_flat_scratch_init 0
		.amdhsa_user_sgpr_private_segment_size 0
		.amdhsa_wavefront_size32 1
		.amdhsa_uses_dynamic_stack 0
		.amdhsa_system_sgpr_private_segment_wavefront_offset 0
		.amdhsa_system_sgpr_workgroup_id_x 1
		.amdhsa_system_sgpr_workgroup_id_y 1
		.amdhsa_system_sgpr_workgroup_id_z 1
		.amdhsa_system_sgpr_workgroup_info 0
		.amdhsa_system_vgpr_workitem_id 0
		.amdhsa_next_free_vgpr 43
		.amdhsa_next_free_sgpr 105
		.amdhsa_reserve_vcc 1
		.amdhsa_reserve_flat_scratch 0
		.amdhsa_float_round_mode_32 0
		.amdhsa_float_round_mode_16_64 0
		.amdhsa_float_denorm_mode_32 3
		.amdhsa_float_denorm_mode_16_64 3
		.amdhsa_dx10_clamp 1
		.amdhsa_ieee_mode 1
		.amdhsa_fp16_overflow 0
		.amdhsa_workgroup_processor_mode 1
		.amdhsa_memory_ordered 1
		.amdhsa_forward_progress 1
		.amdhsa_shared_vgpr_count 0
		.amdhsa_exception_fp_ieee_invalid_op 0
		.amdhsa_exception_fp_denorm_src 0
		.amdhsa_exception_fp_ieee_div_zero 0
		.amdhsa_exception_fp_ieee_overflow 0
		.amdhsa_exception_fp_ieee_underflow 0
		.amdhsa_exception_fp_ieee_inexact 0
		.amdhsa_exception_int_div_zero 0
	.end_amdhsa_kernel
	.section	.text._ZN2at6native6sbtopk10gatherTopKIijLi3ELb0EEEvNS_4cuda6detail10TensorInfoIKT_T0_EES8_S8_bS8_S8_NS5_IS6_S8_EES8_NS5_IlS8_EES8_PS6_,"axG",@progbits,_ZN2at6native6sbtopk10gatherTopKIijLi3ELb0EEEvNS_4cuda6detail10TensorInfoIKT_T0_EES8_S8_bS8_S8_NS5_IS6_S8_EES8_NS5_IlS8_EES8_PS6_,comdat
.Lfunc_end36:
	.size	_ZN2at6native6sbtopk10gatherTopKIijLi3ELb0EEEvNS_4cuda6detail10TensorInfoIKT_T0_EES8_S8_bS8_S8_NS5_IS6_S8_EES8_NS5_IlS8_EES8_PS6_, .Lfunc_end36-_ZN2at6native6sbtopk10gatherTopKIijLi3ELb0EEEvNS_4cuda6detail10TensorInfoIKT_T0_EES8_S8_bS8_S8_NS5_IS6_S8_EES8_NS5_IlS8_EES8_PS6_
                                        ; -- End function
	.set _ZN2at6native6sbtopk10gatherTopKIijLi3ELb0EEEvNS_4cuda6detail10TensorInfoIKT_T0_EES8_S8_bS8_S8_NS5_IS6_S8_EES8_NS5_IlS8_EES8_PS6_.num_vgpr, 43
	.set _ZN2at6native6sbtopk10gatherTopKIijLi3ELb0EEEvNS_4cuda6detail10TensorInfoIKT_T0_EES8_S8_bS8_S8_NS5_IS6_S8_EES8_NS5_IlS8_EES8_PS6_.num_agpr, 0
	.set _ZN2at6native6sbtopk10gatherTopKIijLi3ELb0EEEvNS_4cuda6detail10TensorInfoIKT_T0_EES8_S8_bS8_S8_NS5_IS6_S8_EES8_NS5_IlS8_EES8_PS6_.numbered_sgpr, 105
	.set _ZN2at6native6sbtopk10gatherTopKIijLi3ELb0EEEvNS_4cuda6detail10TensorInfoIKT_T0_EES8_S8_bS8_S8_NS5_IS6_S8_EES8_NS5_IlS8_EES8_PS6_.num_named_barrier, 0
	.set _ZN2at6native6sbtopk10gatherTopKIijLi3ELb0EEEvNS_4cuda6detail10TensorInfoIKT_T0_EES8_S8_bS8_S8_NS5_IS6_S8_EES8_NS5_IlS8_EES8_PS6_.private_seg_size, 0
	.set _ZN2at6native6sbtopk10gatherTopKIijLi3ELb0EEEvNS_4cuda6detail10TensorInfoIKT_T0_EES8_S8_bS8_S8_NS5_IS6_S8_EES8_NS5_IlS8_EES8_PS6_.uses_vcc, 1
	.set _ZN2at6native6sbtopk10gatherTopKIijLi3ELb0EEEvNS_4cuda6detail10TensorInfoIKT_T0_EES8_S8_bS8_S8_NS5_IS6_S8_EES8_NS5_IlS8_EES8_PS6_.uses_flat_scratch, 0
	.set _ZN2at6native6sbtopk10gatherTopKIijLi3ELb0EEEvNS_4cuda6detail10TensorInfoIKT_T0_EES8_S8_bS8_S8_NS5_IS6_S8_EES8_NS5_IlS8_EES8_PS6_.has_dyn_sized_stack, 0
	.set _ZN2at6native6sbtopk10gatherTopKIijLi3ELb0EEEvNS_4cuda6detail10TensorInfoIKT_T0_EES8_S8_bS8_S8_NS5_IS6_S8_EES8_NS5_IlS8_EES8_PS6_.has_recursion, 0
	.set _ZN2at6native6sbtopk10gatherTopKIijLi3ELb0EEEvNS_4cuda6detail10TensorInfoIKT_T0_EES8_S8_bS8_S8_NS5_IS6_S8_EES8_NS5_IlS8_EES8_PS6_.has_indirect_call, 0
	.section	.AMDGPU.csdata,"",@progbits
; Kernel info:
; codeLenInByte = 14932
; TotalNumSgprs: 107
; NumVgprs: 43
; ScratchSize: 0
; MemoryBound: 0
; FloatMode: 240
; IeeeMode: 1
; LDSByteSize: 4112 bytes/workgroup (compile time only)
; SGPRBlocks: 0
; VGPRBlocks: 5
; NumSGPRsForWavesPerEU: 107
; NumVGPRsForWavesPerEU: 43
; Occupancy: 16
; WaveLimiterHint : 1
; COMPUTE_PGM_RSRC2:SCRATCH_EN: 0
; COMPUTE_PGM_RSRC2:USER_SGPR: 6
; COMPUTE_PGM_RSRC2:TRAP_HANDLER: 0
; COMPUTE_PGM_RSRC2:TGID_X_EN: 1
; COMPUTE_PGM_RSRC2:TGID_Y_EN: 1
; COMPUTE_PGM_RSRC2:TGID_Z_EN: 1
; COMPUTE_PGM_RSRC2:TIDIG_COMP_CNT: 0
	.section	.text._ZN2at6native6mbtopk23computeBlockDigitCountsIijjLin1EEEvNS_4cuda6detail10TensorInfoIKT_T0_EEjPjjS8_iijT1_PSB_Ps,"axG",@progbits,_ZN2at6native6mbtopk23computeBlockDigitCountsIijjLin1EEEvNS_4cuda6detail10TensorInfoIKT_T0_EEjPjjS8_iijT1_PSB_Ps,comdat
	.protected	_ZN2at6native6mbtopk23computeBlockDigitCountsIijjLin1EEEvNS_4cuda6detail10TensorInfoIKT_T0_EEjPjjS8_iijT1_PSB_Ps ; -- Begin function _ZN2at6native6mbtopk23computeBlockDigitCountsIijjLin1EEEvNS_4cuda6detail10TensorInfoIKT_T0_EEjPjjS8_iijT1_PSB_Ps
	.globl	_ZN2at6native6mbtopk23computeBlockDigitCountsIijjLin1EEEvNS_4cuda6detail10TensorInfoIKT_T0_EEjPjjS8_iijT1_PSB_Ps
	.p2align	8
	.type	_ZN2at6native6mbtopk23computeBlockDigitCountsIijjLin1EEEvNS_4cuda6detail10TensorInfoIKT_T0_EEjPjjS8_iijT1_PSB_Ps,@function
_ZN2at6native6mbtopk23computeBlockDigitCountsIijjLin1EEEvNS_4cuda6detail10TensorInfoIKT_T0_EEjPjjS8_iijT1_PSB_Ps: ; @_ZN2at6native6mbtopk23computeBlockDigitCountsIijjLin1EEEvNS_4cuda6detail10TensorInfoIKT_T0_EEjPjjS8_iijT1_PSB_Ps
; %bb.0:
	s_clause 0x2
	s_load_dwordx2 s[10:11], s[4:5], 0xf8
	s_load_dwordx4 s[12:15], s[4:5], 0xe8
	s_load_dwordx2 s[0:1], s[4:5], 0x110
	s_waitcnt lgkmcnt(0)
	v_cvt_f32_u32_e32 v1, s10
	s_sub_i32 s3, 0, s10
	s_mul_i32 s1, s1, s8
	s_add_i32 s1, s1, s7
	v_rcp_iflag_f32_e32 v1, v1
	s_mul_i32 s16, s1, s0
	s_mov_b32 s7, 0
	s_add_i32 s16, s16, s6
	v_mul_f32_e32 v1, 0x4f7ffffe, v1
	v_cvt_u32_f32_e32 v1, v1
	v_readfirstlane_b32 s2, v1
	s_mul_i32 s3, s3, s2
	s_mul_hi_u32 s0, s2, s3
	s_add_i32 s2, s2, s0
	s_mul_hi_u32 s0, s16, s2
	s_mul_i32 s1, s0, s10
	s_add_i32 s2, s0, 1
	s_sub_i32 s1, s16, s1
	s_sub_i32 s3, s1, s10
	s_cmp_ge_u32 s1, s10
	s_cselect_b32 s0, s2, s0
	s_cselect_b32 s1, s3, s1
	s_add_i32 s2, s0, 1
	s_cmp_ge_u32 s1, s10
	s_cselect_b32 s6, s2, s0
	s_cmp_ge_u32 s6, s12
	s_cbranch_scc1 .LBB37_30
; %bb.1:
	s_clause 0x1
	s_load_dwordx4 s[0:3], s[4:5], 0x100
	s_load_dword s8, s[4:5], 0xd0
	s_lshl_b64 s[18:19], s[6:7], 2
	s_mov_b32 s17, s6
	s_waitcnt lgkmcnt(0)
	s_add_u32 s0, s0, s18
	s_addc_u32 s1, s1, s19
	s_cmp_lt_i32 s8, 2
	s_cbranch_scc1 .LBB37_4
; %bb.2:
	s_add_i32 s18, s8, -1
	s_mov_b32 s19, 0
	s_add_i32 s12, s8, 1
	s_lshl_b64 s[20:21], s[18:19], 2
	s_mov_b32 s17, s6
	s_add_u32 s7, s4, s20
	s_addc_u32 s9, s5, s21
	s_add_u32 s8, s7, 8
	s_addc_u32 s9, s9, 0
	s_mov_b32 s7, s19
	s_inst_prefetch 0x1
	.p2align	6
.LBB37_3:                               ; =>This Inner Loop Header: Depth=1
	s_clause 0x1
	s_load_dword s18, s[8:9], 0x0
	s_load_dword s19, s[8:9], 0x64
	s_mov_b32 s22, s17
	s_waitcnt lgkmcnt(0)
	v_cvt_f32_u32_e32 v1, s18
	s_sub_i32 s21, 0, s18
	v_rcp_iflag_f32_e32 v1, v1
	v_mul_f32_e32 v1, 0x4f7ffffe, v1
	v_cvt_u32_f32_e32 v1, v1
	v_readfirstlane_b32 s20, v1
	s_mul_i32 s21, s21, s20
	s_mul_hi_u32 s21, s20, s21
	s_add_i32 s20, s20, s21
	s_mul_hi_u32 s17, s17, s20
	s_mul_i32 s20, s17, s18
	s_add_i32 s21, s17, 1
	s_sub_i32 s20, s22, s20
	s_sub_i32 s23, s20, s18
	s_cmp_ge_u32 s20, s18
	s_cselect_b32 s17, s21, s17
	s_cselect_b32 s20, s23, s20
	s_add_i32 s21, s17, 1
	s_cmp_ge_u32 s20, s18
	s_cselect_b32 s17, s21, s17
	s_add_i32 s12, s12, -1
	s_mul_i32 s18, s17, s18
	s_sub_i32 s18, s22, s18
	s_mul_i32 s18, s19, s18
	s_add_i32 s7, s18, s7
	s_add_u32 s8, s8, -4
	s_addc_u32 s9, s9, -1
	s_cmp_gt_u32 s12, 2
	s_cbranch_scc1 .LBB37_3
.LBB37_4:
	s_inst_prefetch 0x2
	s_load_dword s8, s[0:1], 0x0
	v_cmp_gt_u32_e32 vcc_lo, 0x100, v0
	v_lshlrev_b32_e32 v3, 2, v0
	s_and_saveexec_b32 s0, vcc_lo
; %bb.5:
	v_mov_b32_e32 v1, 0
	ds_write_b32 v3, v1
; %bb.6:
	s_or_b32 exec_lo, exec_lo, s0
	s_load_dword s9, s[4:5], 0xd8
	s_mul_i32 s0, s6, s10
	s_waitcnt lgkmcnt(0)
	s_sub_i32 s0, s16, s0
	s_barrier
	s_mul_i32 s1, s15, s0
	s_add_i32 s6, s0, 1
	s_lshl_b32 s12, s1, 8
	buffer_gl0_inv
	s_sub_i32 s1, s9, s12
	s_add_u32 s0, s1, 0xff
	s_addc_u32 s1, 0, 0
	s_lshr_b64 s[0:1], s[0:1], 8
	s_cmp_lt_u32 s6, s10
	s_mov_b32 s1, 0
	s_cselect_b32 s10, s15, s0
	s_cmp_lt_i32 s10, 1
	s_cbranch_scc1 .LBB37_28
; %bb.7:
	s_clause 0x1
	s_load_dword s0, s[4:5], 0x6c
	s_load_dwordx2 s[4:5], s[4:5], 0x0
	s_waitcnt lgkmcnt(0)
	s_mul_i32 s0, s0, s17
	s_add_i32 s0, s0, s7
	s_lshl_b64 s[6:7], s[0:1], 2
	s_add_u32 s4, s4, s6
	s_addc_u32 s5, s5, s7
	s_and_b32 s6, s14, 0xff
	s_cmp_lt_u32 s10, 4
	s_cbranch_scc1 .LBB37_22
; %bb.8:
	v_add_nc_u32_e32 v1, s12, v0
	v_mov_b32_e32 v9, 1
	s_and_b32 s1, s10, 0x7ffffffc
	s_lshl_b32 s7, s13, 10
	s_mov_b32 s14, 0
	v_add_nc_u32_e32 v4, 0x300, v1
	v_add_nc_u32_e32 v2, 0x200, v1
	;; [unrolled: 1-line block ×3, first 2 shown]
	v_mul_lo_u32 v8, s13, v1
	s_mov_b32 s15, 0
	v_mul_lo_u32 v5, s13, v4
	v_mul_lo_u32 v6, s13, v2
	v_mul_lo_u32 v7, s13, v7
	v_mov_b32_e32 v2, 0
	s_branch .LBB37_10
.LBB37_9:                               ;   in Loop: Header=BB37_10 Depth=1
	s_or_b32 exec_lo, exec_lo, s17
	v_add_nc_u32_e32 v4, 0x400, v4
	s_add_i32 s15, s15, 4
	s_add_i32 s14, s14, s7
	s_cmp_eq_u32 s1, s15
	s_cbranch_scc1 .LBB37_22
.LBB37_10:                              ; =>This Inner Loop Header: Depth=1
	v_add_nc_u32_e32 v1, 0xfffffd00, v4
	s_mov_b32 s17, exec_lo
	v_cmpx_gt_u32_e64 s9, v1
	s_cbranch_execz .LBB37_13
; %bb.11:                               ;   in Loop: Header=BB37_10 Depth=1
	v_add_nc_u32_e32 v1, s14, v8
	v_lshlrev_b64 v[10:11], 2, v[1:2]
	v_add_co_u32 v10, s0, s4, v10
	v_add_co_ci_u32_e64 v11, null, s5, v11, s0
	global_load_dword v1, v[10:11], off
	s_waitcnt vmcnt(0)
	v_xor_b32_e32 v1, 0x80000000, v1
	v_xor_b32_e32 v10, s8, v1
	v_and_b32_e32 v10, s11, v10
	v_cmp_eq_u32_e64 s0, 0, v10
	s_and_b32 exec_lo, exec_lo, s0
; %bb.12:                               ;   in Loop: Header=BB37_10 Depth=1
	v_bfe_u32 v1, v1, s6, 8
	v_lshlrev_b32_e32 v1, 2, v1
	ds_add_u32 v1, v9
.LBB37_13:                              ;   in Loop: Header=BB37_10 Depth=1
	s_or_b32 exec_lo, exec_lo, s17
	v_add_nc_u32_e32 v1, 0xfffffe00, v4
	s_mov_b32 s17, exec_lo
	v_cmpx_gt_u32_e64 s9, v1
	s_cbranch_execz .LBB37_16
; %bb.14:                               ;   in Loop: Header=BB37_10 Depth=1
	v_add_nc_u32_e32 v1, s14, v7
	v_lshlrev_b64 v[10:11], 2, v[1:2]
	v_add_co_u32 v10, s0, s4, v10
	v_add_co_ci_u32_e64 v11, null, s5, v11, s0
	global_load_dword v1, v[10:11], off
	s_waitcnt vmcnt(0)
	v_xor_b32_e32 v1, 0x80000000, v1
	v_xor_b32_e32 v10, s8, v1
	v_and_b32_e32 v10, s11, v10
	v_cmp_eq_u32_e64 s0, 0, v10
	s_and_b32 exec_lo, exec_lo, s0
; %bb.15:                               ;   in Loop: Header=BB37_10 Depth=1
	v_bfe_u32 v1, v1, s6, 8
	v_lshlrev_b32_e32 v1, 2, v1
	ds_add_u32 v1, v9
.LBB37_16:                              ;   in Loop: Header=BB37_10 Depth=1
	s_or_b32 exec_lo, exec_lo, s17
	;; [unrolled: 22-line block ×3, first 2 shown]
	s_mov_b32 s17, exec_lo
	v_cmpx_gt_u32_e64 s9, v4
	s_cbranch_execz .LBB37_9
; %bb.20:                               ;   in Loop: Header=BB37_10 Depth=1
	v_add_nc_u32_e32 v1, s14, v5
	v_lshlrev_b64 v[10:11], 2, v[1:2]
	v_add_co_u32 v10, s0, s4, v10
	v_add_co_ci_u32_e64 v11, null, s5, v11, s0
	global_load_dword v1, v[10:11], off
	s_waitcnt vmcnt(0)
	v_xor_b32_e32 v1, 0x80000000, v1
	v_xor_b32_e32 v10, s8, v1
	v_and_b32_e32 v10, s11, v10
	v_cmp_eq_u32_e64 s0, 0, v10
	s_and_b32 exec_lo, exec_lo, s0
	s_cbranch_execz .LBB37_9
; %bb.21:                               ;   in Loop: Header=BB37_10 Depth=1
	v_bfe_u32 v1, v1, s6, 8
	v_lshlrev_b32_e32 v1, 2, v1
	ds_add_u32 v1, v9
	s_branch .LBB37_9
.LBB37_22:
	s_and_b32 s7, s10, 3
	s_cmp_eq_u32 s7, 0
	s_cbranch_scc1 .LBB37_28
; %bb.23:
	s_lshl_b32 s0, s1, 8
	v_mov_b32_e32 v2, 0
	v_add3_u32 v4, s0, s12, v0
	v_mov_b32_e32 v5, 1
	s_lshl_b32 s1, s13, 8
	v_mul_lo_u32 v1, s13, v4
	s_inst_prefetch 0x1
	s_branch .LBB37_25
	.p2align	6
.LBB37_24:                              ;   in Loop: Header=BB37_25 Depth=1
	s_or_b32 exec_lo, exec_lo, s10
	v_add_nc_u32_e32 v1, s1, v1
	v_add_nc_u32_e32 v4, 0x100, v4
	s_add_i32 s7, s7, -1
	s_cmp_lg_u32 s7, 0
	s_cbranch_scc0 .LBB37_28
.LBB37_25:                              ; =>This Inner Loop Header: Depth=1
	s_mov_b32 s10, exec_lo
	v_cmpx_gt_u32_e64 s9, v4
	s_cbranch_execz .LBB37_24
; %bb.26:                               ;   in Loop: Header=BB37_25 Depth=1
	v_lshlrev_b64 v[6:7], 2, v[1:2]
	v_add_co_u32 v6, s0, s4, v6
	v_add_co_ci_u32_e64 v7, null, s5, v7, s0
	global_load_dword v6, v[6:7], off
	s_waitcnt vmcnt(0)
	v_xor_b32_e32 v6, 0x80000000, v6
	v_xor_b32_e32 v7, s8, v6
	v_and_b32_e32 v7, s11, v7
	v_cmp_eq_u32_e64 s0, 0, v7
	s_and_b32 exec_lo, exec_lo, s0
	s_cbranch_execz .LBB37_24
; %bb.27:                               ;   in Loop: Header=BB37_25 Depth=1
	v_bfe_u32 v6, v6, s6, 8
	v_lshlrev_b32_e32 v6, 2, v6
	ds_add_u32 v6, v5
	s_branch .LBB37_24
.LBB37_28:
	s_inst_prefetch 0x2
	s_waitcnt lgkmcnt(0)
	s_barrier
	buffer_gl0_inv
	s_and_saveexec_b32 s0, vcc_lo
	s_cbranch_execz .LBB37_30
; %bb.29:
	ds_read_b32 v2, v3
	v_lshl_or_b32 v0, s16, 8, v0
	v_mov_b32_e32 v1, 0
	v_lshlrev_b64 v[0:1], 1, v[0:1]
	v_add_co_u32 v0, vcc_lo, s2, v0
	v_add_co_ci_u32_e64 v1, null, s3, v1, vcc_lo
	s_waitcnt lgkmcnt(0)
	global_store_short v[0:1], v2, off
.LBB37_30:
	s_endpgm
	.section	.rodata,"a",@progbits
	.p2align	6, 0x0
	.amdhsa_kernel _ZN2at6native6mbtopk23computeBlockDigitCountsIijjLin1EEEvNS_4cuda6detail10TensorInfoIKT_T0_EEjPjjS8_iijT1_PSB_Ps
		.amdhsa_group_segment_fixed_size 1024
		.amdhsa_private_segment_fixed_size 0
		.amdhsa_kernarg_size 528
		.amdhsa_user_sgpr_count 6
		.amdhsa_user_sgpr_private_segment_buffer 1
		.amdhsa_user_sgpr_dispatch_ptr 0
		.amdhsa_user_sgpr_queue_ptr 0
		.amdhsa_user_sgpr_kernarg_segment_ptr 1
		.amdhsa_user_sgpr_dispatch_id 0
		.amdhsa_user_sgpr_flat_scratch_init 0
		.amdhsa_user_sgpr_private_segment_size 0
		.amdhsa_wavefront_size32 1
		.amdhsa_uses_dynamic_stack 0
		.amdhsa_system_sgpr_private_segment_wavefront_offset 0
		.amdhsa_system_sgpr_workgroup_id_x 1
		.amdhsa_system_sgpr_workgroup_id_y 1
		.amdhsa_system_sgpr_workgroup_id_z 1
		.amdhsa_system_sgpr_workgroup_info 0
		.amdhsa_system_vgpr_workitem_id 0
		.amdhsa_next_free_vgpr 12
		.amdhsa_next_free_sgpr 24
		.amdhsa_reserve_vcc 1
		.amdhsa_reserve_flat_scratch 0
		.amdhsa_float_round_mode_32 0
		.amdhsa_float_round_mode_16_64 0
		.amdhsa_float_denorm_mode_32 3
		.amdhsa_float_denorm_mode_16_64 3
		.amdhsa_dx10_clamp 1
		.amdhsa_ieee_mode 1
		.amdhsa_fp16_overflow 0
		.amdhsa_workgroup_processor_mode 1
		.amdhsa_memory_ordered 1
		.amdhsa_forward_progress 1
		.amdhsa_shared_vgpr_count 0
		.amdhsa_exception_fp_ieee_invalid_op 0
		.amdhsa_exception_fp_denorm_src 0
		.amdhsa_exception_fp_ieee_div_zero 0
		.amdhsa_exception_fp_ieee_overflow 0
		.amdhsa_exception_fp_ieee_underflow 0
		.amdhsa_exception_fp_ieee_inexact 0
		.amdhsa_exception_int_div_zero 0
	.end_amdhsa_kernel
	.section	.text._ZN2at6native6mbtopk23computeBlockDigitCountsIijjLin1EEEvNS_4cuda6detail10TensorInfoIKT_T0_EEjPjjS8_iijT1_PSB_Ps,"axG",@progbits,_ZN2at6native6mbtopk23computeBlockDigitCountsIijjLin1EEEvNS_4cuda6detail10TensorInfoIKT_T0_EEjPjjS8_iijT1_PSB_Ps,comdat
.Lfunc_end37:
	.size	_ZN2at6native6mbtopk23computeBlockDigitCountsIijjLin1EEEvNS_4cuda6detail10TensorInfoIKT_T0_EEjPjjS8_iijT1_PSB_Ps, .Lfunc_end37-_ZN2at6native6mbtopk23computeBlockDigitCountsIijjLin1EEEvNS_4cuda6detail10TensorInfoIKT_T0_EEjPjjS8_iijT1_PSB_Ps
                                        ; -- End function
	.set _ZN2at6native6mbtopk23computeBlockDigitCountsIijjLin1EEEvNS_4cuda6detail10TensorInfoIKT_T0_EEjPjjS8_iijT1_PSB_Ps.num_vgpr, 12
	.set _ZN2at6native6mbtopk23computeBlockDigitCountsIijjLin1EEEvNS_4cuda6detail10TensorInfoIKT_T0_EEjPjjS8_iijT1_PSB_Ps.num_agpr, 0
	.set _ZN2at6native6mbtopk23computeBlockDigitCountsIijjLin1EEEvNS_4cuda6detail10TensorInfoIKT_T0_EEjPjjS8_iijT1_PSB_Ps.numbered_sgpr, 24
	.set _ZN2at6native6mbtopk23computeBlockDigitCountsIijjLin1EEEvNS_4cuda6detail10TensorInfoIKT_T0_EEjPjjS8_iijT1_PSB_Ps.num_named_barrier, 0
	.set _ZN2at6native6mbtopk23computeBlockDigitCountsIijjLin1EEEvNS_4cuda6detail10TensorInfoIKT_T0_EEjPjjS8_iijT1_PSB_Ps.private_seg_size, 0
	.set _ZN2at6native6mbtopk23computeBlockDigitCountsIijjLin1EEEvNS_4cuda6detail10TensorInfoIKT_T0_EEjPjjS8_iijT1_PSB_Ps.uses_vcc, 1
	.set _ZN2at6native6mbtopk23computeBlockDigitCountsIijjLin1EEEvNS_4cuda6detail10TensorInfoIKT_T0_EEjPjjS8_iijT1_PSB_Ps.uses_flat_scratch, 0
	.set _ZN2at6native6mbtopk23computeBlockDigitCountsIijjLin1EEEvNS_4cuda6detail10TensorInfoIKT_T0_EEjPjjS8_iijT1_PSB_Ps.has_dyn_sized_stack, 0
	.set _ZN2at6native6mbtopk23computeBlockDigitCountsIijjLin1EEEvNS_4cuda6detail10TensorInfoIKT_T0_EEjPjjS8_iijT1_PSB_Ps.has_recursion, 0
	.set _ZN2at6native6mbtopk23computeBlockDigitCountsIijjLin1EEEvNS_4cuda6detail10TensorInfoIKT_T0_EEjPjjS8_iijT1_PSB_Ps.has_indirect_call, 0
	.section	.AMDGPU.csdata,"",@progbits
; Kernel info:
; codeLenInByte = 1504
; TotalNumSgprs: 26
; NumVgprs: 12
; ScratchSize: 0
; MemoryBound: 0
; FloatMode: 240
; IeeeMode: 1
; LDSByteSize: 1024 bytes/workgroup (compile time only)
; SGPRBlocks: 0
; VGPRBlocks: 1
; NumSGPRsForWavesPerEU: 26
; NumVGPRsForWavesPerEU: 12
; Occupancy: 16
; WaveLimiterHint : 1
; COMPUTE_PGM_RSRC2:SCRATCH_EN: 0
; COMPUTE_PGM_RSRC2:USER_SGPR: 6
; COMPUTE_PGM_RSRC2:TRAP_HANDLER: 0
; COMPUTE_PGM_RSRC2:TGID_X_EN: 1
; COMPUTE_PGM_RSRC2:TGID_Y_EN: 1
; COMPUTE_PGM_RSRC2:TGID_Z_EN: 1
; COMPUTE_PGM_RSRC2:TIDIG_COMP_CNT: 0
	.section	.text._ZN2at6native6mbtopk10gatherTopKIijLin1EEEvNS_4cuda6detail10TensorInfoIKT_T0_EES8_S8_bjS8_NS5_IS6_S8_EES8_NS5_IlS8_EES8_jjPS6_PjSD_j,"axG",@progbits,_ZN2at6native6mbtopk10gatherTopKIijLin1EEEvNS_4cuda6detail10TensorInfoIKT_T0_EES8_S8_bjS8_NS5_IS6_S8_EES8_NS5_IlS8_EES8_jjPS6_PjSD_j,comdat
	.protected	_ZN2at6native6mbtopk10gatherTopKIijLin1EEEvNS_4cuda6detail10TensorInfoIKT_T0_EES8_S8_bjS8_NS5_IS6_S8_EES8_NS5_IlS8_EES8_jjPS6_PjSD_j ; -- Begin function _ZN2at6native6mbtopk10gatherTopKIijLin1EEEvNS_4cuda6detail10TensorInfoIKT_T0_EES8_S8_bjS8_NS5_IS6_S8_EES8_NS5_IlS8_EES8_jjPS6_PjSD_j
	.globl	_ZN2at6native6mbtopk10gatherTopKIijLin1EEEvNS_4cuda6detail10TensorInfoIKT_T0_EES8_S8_bjS8_NS5_IS6_S8_EES8_NS5_IlS8_EES8_jjPS6_PjSD_j
	.p2align	8
	.type	_ZN2at6native6mbtopk10gatherTopKIijLin1EEEvNS_4cuda6detail10TensorInfoIKT_T0_EES8_S8_bjS8_NS5_IS6_S8_EES8_NS5_IlS8_EES8_jjPS6_PjSD_j,@function
_ZN2at6native6mbtopk10gatherTopKIijLin1EEEvNS_4cuda6detail10TensorInfoIKT_T0_EES8_S8_bjS8_NS5_IS6_S8_EES8_NS5_IlS8_EES8_jjPS6_PjSD_j: ; @_ZN2at6native6mbtopk10gatherTopKIijLin1EEEvNS_4cuda6detail10TensorInfoIKT_T0_EES8_S8_bjS8_NS5_IS6_S8_EES8_NS5_IlS8_EES8_jjPS6_PjSD_j
; %bb.0:
	s_clause 0x1
	s_load_dwordx2 s[0:1], s[4:5], 0x2d8
	s_load_dword s2, s[4:5], 0x2d0
	s_waitcnt lgkmcnt(0)
	s_mul_i32 s1, s1, s8
	s_add_i32 s1, s1, s7
	s_mul_i32 s13, s1, s0
	s_add_i32 s13, s13, s6
	s_cmp_ge_u32 s13, s2
	s_cbranch_scc1 .LBB38_49
; %bb.1:
	s_clause 0x1
	s_load_dwordx4 s[8:11], s[4:5], 0x2a8
	s_load_dword s0, s[4:5], 0xd0
	s_mov_b32 s7, 0
	s_waitcnt lgkmcnt(0)
	v_cvt_f32_u32_e32 v1, s10
	s_sub_i32 s2, 0, s10
	v_rcp_iflag_f32_e32 v1, v1
	v_mul_f32_e32 v1, 0x4f7ffffe, v1
	v_cvt_u32_f32_e32 v1, v1
	v_readfirstlane_b32 s1, v1
	s_mul_i32 s2, s2, s1
	s_mul_hi_u32 s2, s1, s2
	s_add_i32 s1, s1, s2
	s_mul_hi_u32 s1, s13, s1
	s_mul_i32 s2, s1, s10
	s_add_i32 s3, s1, 1
	s_sub_i32 s2, s13, s2
	s_sub_i32 s6, s2, s10
	s_cmp_ge_u32 s2, s10
	s_cselect_b32 s1, s3, s1
	s_cselect_b32 s2, s6, s2
	s_add_i32 s3, s1, 1
	s_cmp_ge_u32 s2, s10
	s_cselect_b32 s16, s3, s1
	s_cmp_lt_i32 s0, 2
	s_mov_b32 s11, s16
	s_cbranch_scc1 .LBB38_4
; %bb.2:
	s_add_i32 s6, s0, -1
	s_add_i32 s2, s0, 1
	s_lshl_b64 s[14:15], s[6:7], 2
	s_mov_b32 s11, s16
	s_add_u32 s0, s4, s14
	s_addc_u32 s1, s5, s15
	s_add_u32 s0, s0, 8
	s_addc_u32 s1, s1, 0
	s_inst_prefetch 0x1
	.p2align	6
.LBB38_3:                               ; =>This Inner Loop Header: Depth=1
	s_clause 0x1
	s_load_dword s3, s[0:1], 0x0
	s_load_dword s6, s[0:1], 0x64
	s_mov_b32 s15, s11
	s_waitcnt lgkmcnt(0)
	v_cvt_f32_u32_e32 v1, s3
	s_sub_i32 s14, 0, s3
	v_rcp_iflag_f32_e32 v1, v1
	v_mul_f32_e32 v1, 0x4f7ffffe, v1
	v_cvt_u32_f32_e32 v1, v1
	v_readfirstlane_b32 s12, v1
	s_mul_i32 s14, s14, s12
	s_mul_hi_u32 s14, s12, s14
	s_add_i32 s12, s12, s14
	s_mul_hi_u32 s11, s11, s12
	s_mul_i32 s12, s11, s3
	s_add_i32 s14, s11, 1
	s_sub_i32 s12, s15, s12
	s_sub_i32 s17, s12, s3
	s_cmp_ge_u32 s12, s3
	s_cselect_b32 s11, s14, s11
	s_cselect_b32 s12, s17, s12
	s_add_i32 s14, s11, 1
	s_cmp_ge_u32 s12, s3
	s_cselect_b32 s11, s14, s11
	s_add_i32 s2, s2, -1
	s_mul_i32 s3, s11, s3
	s_sub_i32 s3, s15, s3
	s_mul_i32 s3, s6, s3
	s_add_i32 s7, s3, s7
	s_add_u32 s0, s0, -4
	s_addc_u32 s1, s1, -1
	s_cmp_gt_u32 s2, 2
	s_cbranch_scc1 .LBB38_3
.LBB38_4:
	s_inst_prefetch 0x2
	s_load_dword s2, s[4:5], 0x1c0
	s_add_u32 s0, s4, 0xf0
	s_addc_u32 s1, s5, 0
	s_mov_b32 s19, 0
	s_mov_b32 s18, s16
	s_waitcnt lgkmcnt(0)
	s_cmp_lt_i32 s2, 2
	s_cbranch_scc1 .LBB38_7
; %bb.5:
	s_add_i32 s18, s2, -1
	s_add_i32 s6, s2, 1
	s_lshl_b64 s[14:15], s[18:19], 2
	s_mov_b32 s18, s16
	s_add_u32 s2, s0, s14
	s_addc_u32 s3, s1, s15
	s_add_u32 s2, s2, 8
	s_addc_u32 s3, s3, 0
	s_inst_prefetch 0x1
	.p2align	6
.LBB38_6:                               ; =>This Inner Loop Header: Depth=1
	s_clause 0x1
	s_load_dword s12, s[2:3], 0x0
	s_load_dword s14, s[2:3], 0x64
	s_mov_b32 s20, s18
	s_waitcnt lgkmcnt(0)
	v_cvt_f32_u32_e32 v1, s12
	s_sub_i32 s17, 0, s12
	v_rcp_iflag_f32_e32 v1, v1
	v_mul_f32_e32 v1, 0x4f7ffffe, v1
	v_cvt_u32_f32_e32 v1, v1
	v_readfirstlane_b32 s15, v1
	s_mul_i32 s17, s17, s15
	s_mul_hi_u32 s17, s15, s17
	s_add_i32 s15, s15, s17
	s_mul_hi_u32 s15, s18, s15
	s_mul_i32 s17, s15, s12
	s_sub_i32 s17, s18, s17
	s_add_i32 s18, s15, 1
	s_sub_i32 s21, s17, s12
	s_cmp_ge_u32 s17, s12
	s_cselect_b32 s15, s18, s15
	s_cselect_b32 s17, s21, s17
	s_add_i32 s18, s15, 1
	s_cmp_ge_u32 s17, s12
	s_cselect_b32 s18, s18, s15
	s_add_i32 s6, s6, -1
	s_mul_i32 s12, s18, s12
	s_sub_i32 s12, s20, s12
	s_mul_i32 s12, s14, s12
	s_add_i32 s19, s12, s19
	s_add_u32 s2, s2, -4
	s_addc_u32 s3, s3, -1
	s_cmp_gt_u32 s6, 2
	s_cbranch_scc1 .LBB38_6
.LBB38_7:
	s_inst_prefetch 0x2
	s_clause 0x1
	s_load_dword s33, s[4:5], 0x6c
	s_load_dword s2, s[4:5], 0x2a0
	s_add_u32 s3, s4, 0x1d0
	s_addc_u32 s12, s5, 0
	s_mov_b32 s21, 0
	s_mov_b32 s20, s16
	s_waitcnt lgkmcnt(0)
	s_cmp_lt_i32 s2, 2
	s_cbranch_scc1 .LBB38_10
; %bb.8:
	s_add_i32 s20, s2, -1
	s_add_i32 s6, s2, 1
	s_lshl_b64 s[14:15], s[20:21], 2
	s_mov_b32 s20, s16
	s_add_u32 s2, s3, s14
	s_addc_u32 s3, s12, s15
	s_add_u32 s2, s2, 8
	s_addc_u32 s3, s3, 0
	s_inst_prefetch 0x1
	.p2align	6
.LBB38_9:                               ; =>This Inner Loop Header: Depth=1
	s_clause 0x1
	s_load_dword s12, s[2:3], 0x0
	s_load_dword s14, s[2:3], 0x64
	s_mov_b32 s22, s20
	s_waitcnt lgkmcnt(0)
	v_cvt_f32_u32_e32 v1, s12
	s_sub_i32 s17, 0, s12
	v_rcp_iflag_f32_e32 v1, v1
	v_mul_f32_e32 v1, 0x4f7ffffe, v1
	v_cvt_u32_f32_e32 v1, v1
	v_readfirstlane_b32 s15, v1
	s_mul_i32 s17, s17, s15
	s_mul_hi_u32 s17, s15, s17
	s_add_i32 s15, s15, s17
	s_mul_hi_u32 s15, s20, s15
	s_mul_i32 s17, s15, s12
	s_sub_i32 s17, s20, s17
	s_add_i32 s20, s15, 1
	s_sub_i32 s23, s17, s12
	s_cmp_ge_u32 s17, s12
	s_cselect_b32 s15, s20, s15
	s_cselect_b32 s17, s23, s17
	s_add_i32 s20, s15, 1
	s_cmp_ge_u32 s17, s12
	s_cselect_b32 s20, s20, s15
	s_add_i32 s6, s6, -1
	s_mul_i32 s12, s20, s12
	s_sub_i32 s12, s22, s12
	s_mul_i32 s12, s14, s12
	s_add_i32 s21, s12, s21
	s_add_u32 s2, s2, -4
	s_addc_u32 s3, s3, -1
	s_cmp_gt_u32 s6, 2
	s_cbranch_scc1 .LBB38_9
.LBB38_10:
	s_inst_prefetch 0x2
	s_clause 0x1
	s_load_dword s36, s[0:1], 0x6c
	s_load_dwordx4 s[0:3], s[4:5], 0x2b8
	s_mov_b32 s17, 0
	s_mul_i32 s12, s16, s10
	s_lshl_b64 s[14:15], s[16:17], 2
	s_sub_i32 s16, s13, s12
	s_waitcnt lgkmcnt(0)
	s_add_u32 s0, s0, s14
	s_addc_u32 s1, s1, s15
	s_clause 0x2
	s_load_dwordx2 s[26:27], s[4:5], 0x0
	s_load_dwordx2 s[24:25], s[4:5], 0xf0
	;; [unrolled: 1-line block ×3, first 2 shown]
	s_load_dword s6, s[0:1], 0x0
	v_cmp_ne_u32_e64 s0, 0, v0
	v_cmp_eq_u32_e64 s1, 0, v0
	s_and_saveexec_b32 s37, s1
	s_cbranch_execz .LBB38_26
; %bb.11:
	s_load_dwordx2 s[28:29], s[4:5], 0x2c8
	s_mov_b32 s13, s17
	s_mov_b32 s38, 0
	s_lshl_b64 s[30:31], s[12:13], 2
	s_mov_b32 s39, 0
	s_add_u32 s12, s2, s30
	s_addc_u32 s13, s3, s31
	s_waitcnt lgkmcnt(0)
	s_add_u32 s14, s28, s30
	s_addc_u32 s15, s29, s31
	s_cmp_lt_u32 s10, 4
	s_cbranch_scc1 .LBB38_23
; %bb.12:
	s_mov_b32 s40, 0
.LBB38_13:                              ; =>This Inner Loop Header: Depth=1
	s_add_u32 s12, s2, s30
	s_addc_u32 s13, s3, s31
	s_add_u32 s34, s28, s30
	s_load_dwordx4 s[12:15], s[12:13], 0x0
	s_addc_u32 s35, s29, s31
	s_cmp_ge_u32 s40, s16
	s_cbranch_scc0 .LBB38_20
; %bb.14:                               ;   in Loop: Header=BB38_13 Depth=1
	s_add_i32 s41, s40, 1
	s_cmp_ge_u32 s41, s16
	s_cbranch_scc0 .LBB38_21
.LBB38_15:                              ;   in Loop: Header=BB38_13 Depth=1
	s_add_i32 s41, s41, 1
	s_cmp_ge_u32 s41, s16
	s_cbranch_scc0 .LBB38_22
.LBB38_16:                              ;   in Loop: Header=BB38_13 Depth=1
	s_add_i32 s41, s41, 1
	s_cmp_ge_u32 s41, s16
	s_cbranch_scc1 .LBB38_18
.LBB38_17:                              ;   in Loop: Header=BB38_13 Depth=1
	s_load_dword s34, s[34:35], 0xc
	s_waitcnt lgkmcnt(0)
	s_add_i32 s17, s17, s15
	s_add_i32 s38, s34, s38
.LBB38_18:                              ;   in Loop: Header=BB38_13 Depth=1
	s_waitcnt lgkmcnt(0)
	s_add_i32 s12, s12, s39
	s_add_i32 s12, s12, s13
	;; [unrolled: 1-line block ×4, first 2 shown]
	s_add_u32 s2, s2, 16
	s_addc_u32 s3, s3, 0
	s_add_u32 s28, s28, 16
	s_addc_u32 s29, s29, 0
	s_add_i32 s35, s41, 4
	s_add_u32 s14, s28, s30
	s_addc_u32 s15, s29, s31
	s_add_u32 s12, s2, s30
	s_addc_u32 s13, s3, s31
	s_add_i32 s34, s41, 1
	s_cmp_ge_u32 s35, s10
	s_cbranch_scc1 .LBB38_24
; %bb.19:                               ;   in Loop: Header=BB38_13 Depth=1
	s_mov_b32 s40, s34
	s_branch .LBB38_13
.LBB38_20:                              ;   in Loop: Header=BB38_13 Depth=1
	s_load_dword s41, s[34:35], 0x0
	s_waitcnt lgkmcnt(0)
	s_add_i32 s17, s12, s17
	s_add_i32 s38, s41, s38
	;; [unrolled: 1-line block ×3, first 2 shown]
	s_cmp_ge_u32 s41, s16
	s_cbranch_scc1 .LBB38_15
.LBB38_21:                              ;   in Loop: Header=BB38_13 Depth=1
	s_load_dword s42, s[34:35], 0x4
	s_waitcnt lgkmcnt(0)
	s_add_i32 s17, s17, s13
	s_add_i32 s38, s42, s38
	s_add_i32 s41, s41, 1
	s_cmp_ge_u32 s41, s16
	s_cbranch_scc1 .LBB38_16
.LBB38_22:                              ;   in Loop: Header=BB38_13 Depth=1
	s_load_dword s42, s[34:35], 0x8
	s_waitcnt lgkmcnt(0)
	s_add_i32 s17, s17, s14
	s_add_i32 s38, s42, s38
	;; [unrolled: 1-line block ×3, first 2 shown]
	s_cmp_ge_u32 s41, s16
	s_cbranch_scc0 .LBB38_17
	s_branch .LBB38_18
.LBB38_23:
	s_mov_b32 s2, 0
	s_cmp_ge_u32 s2, s10
	s_cbranch_scc0 .LBB38_47
	s_branch .LBB38_25
.LBB38_24:
	s_add_i32 s2, s40, 4
	s_cmp_ge_u32 s2, s10
	s_cbranch_scc0 .LBB38_47
.LBB38_25:
	v_mov_b32_e32 v1, s38
	v_mov_b32_e32 v2, s39
	;; [unrolled: 1-line block ×4, first 2 shown]
	ds_write_b96 v4, v[1:3] offset:1056
.LBB38_26:
	s_or_b32 exec_lo, exec_lo, s37
	s_clause 0x1
	s_load_dword s2, s[4:5], 0x23c
	s_load_dwordx4 s[12:15], s[4:5], 0xd8
	s_mul_i32 s3, s9, s16
	s_waitcnt lgkmcnt(0)
	s_add_i32 s15, s16, 1
	s_lshl_b32 s28, s3, 8
	s_barrier
	buffer_gl0_inv
	s_sub_i32 s3, s12, s28
	s_add_u32 s16, s3, 0xff
	s_addc_u32 s17, 0, 0
	s_mov_b32 s3, 0
	s_lshr_b64 s[16:17], s[16:17], 8
	s_cmp_lt_u32 s15, s10
	s_cselect_b32 s9, s9, s16
	s_cmp_eq_u32 s9, 0
	s_cbranch_scc1 .LBB38_49
; %bb.27:
	v_mov_b32_e32 v5, 0
	s_mul_i32 s10, s36, s18
	v_lshrrev_b32_e32 v4, 3, v0
	s_add_i32 s16, s10, s19
	s_mul_i32 s10, s2, s20
	ds_read_b96 v[1:3], v5 offset:1056
	s_load_dword s20, s[4:5], 0xe8
	v_add_nc_u32_e32 v9, -1, v0
	s_mul_i32 s11, s33, s11
	s_load_dword s4, s[4:5], 0x1c8
	s_add_i32 s2, s11, s7
	v_and_b32_e32 v4, 28, v4
	v_lshrrev_b32_e32 v8, 3, v9
	s_add_i32 s18, s10, s21
	s_lshl_b64 s[10:11], s[2:3], 2
	s_mov_b32 s17, s3
	s_add_u32 s7, s26, s10
	s_addc_u32 s10, s27, s11
	s_lshl_b64 s[16:17], s[16:17], 2
	v_lshl_add_u32 v7, v0, 2, v4
	v_and_b32_e32 v4, 0x1ffffffc, v8
	s_mov_b32 s19, s3
	s_add_u32 s11, s24, s16
	s_addc_u32 s15, s25, s17
	s_lshl_b64 s[2:3], s[18:19], 3
	s_waitcnt lgkmcnt(0)
	v_add_nc_u32_e32 v6, v1, v2
	v_add_nc_u32_e32 v1, s28, v0
	v_and_b32_e32 v2, 0xfc, v0
	v_lshlrev_b32_e32 v10, 5, v0
	v_mbcnt_lo_u32_b32 v8, -1, 0
	s_add_u32 s16, s22, s2
	v_cmp_gt_u32_e64 s2, 32, v0
	v_lshl_add_u32 v0, v9, 2, v4
	v_mul_lo_u32 v4, s20, v1
	s_addc_u32 s17, s23, s3
	s_xor_b32 s18, s6, 0x80000000
	v_add_nc_u32_e32 v9, v2, v10
	v_and_b32_e32 v10, 15, v8
	v_bfe_i32 v11, v8, 4, 1
	v_add_nc_u32_e32 v12, -1, v8
	s_bitcmp1_b32 s14, 0
                                        ; implicit-def: $vgpr13
	s_cselect_b32 s3, -1, 0
	s_lshl_b32 s5, s20, 8
	s_branch .LBB38_30
.LBB38_28:                              ;   in Loop: Header=BB38_30 Depth=1
	s_or_b32 exec_lo, exec_lo, s14
	v_add_nc_u32_e32 v6, v16, v6
.LBB38_29:                              ;   in Loop: Header=BB38_30 Depth=1
	v_add_nc_u32_e32 v3, v15, v3
	v_add_nc_u32_e32 v4, s5, v4
	;; [unrolled: 1-line block ×3, first 2 shown]
	s_add_i32 s9, s9, -1
	s_cmp_lg_u32 s9, 0
	s_cbranch_scc0 .LBB38_49
.LBB38_30:                              ; =>This Inner Loop Header: Depth=1
	v_mov_b32_e32 v2, 0
	v_mov_b32_e32 v14, 0
	s_mov_b32 s14, exec_lo
	v_cmpx_gt_u32_e64 s12, v1
	s_cbranch_execz .LBB38_32
; %bb.31:                               ;   in Loop: Header=BB38_30 Depth=1
	v_lshlrev_b64 v[13:14], 2, v[4:5]
	v_add_co_u32 v13, vcc_lo, s7, v13
	v_add_co_ci_u32_e64 v14, null, s10, v14, vcc_lo
	global_load_dword v13, v[13:14], off
	s_waitcnt vmcnt(0)
	v_xor_b32_e32 v2, 0x80000000, v13
	v_cmp_lt_u32_e32 vcc_lo, s18, v2
	v_cndmask_b32_e64 v14, 0, 1, vcc_lo
	v_cmp_gt_u32_e32 vcc_lo, s18, v2
	v_cndmask_b32_e64 v2, 0, 1, vcc_lo
	v_cmp_eq_u32_e32 vcc_lo, s6, v13
	v_cndmask_b32_e64 v2, v2, v14, s3
	v_cndmask_b32_e64 v14, 0, 1, vcc_lo
	v_and_b32_e32 v2, 1, v2
.LBB38_32:                              ;   in Loop: Header=BB38_30 Depth=1
	s_or_b32 exec_lo, exec_lo, s14
	ds_write_b32 v7, v2
	s_waitcnt lgkmcnt(0)
	s_barrier
	buffer_gl0_inv
	s_and_saveexec_b32 s14, s2
	s_cbranch_execz .LBB38_34
; %bb.33:                               ;   in Loop: Header=BB38_30 Depth=1
	ds_read2_b32 v[15:16], v9 offset1:1
	ds_read2_b32 v[17:18], v9 offset0:2 offset1:3
	ds_read2_b32 v[19:20], v9 offset0:4 offset1:5
	;; [unrolled: 1-line block ×3, first 2 shown]
	v_cmp_ne_u32_e32 vcc_lo, 0, v10
	; wave barrier
	s_waitcnt lgkmcnt(3)
	v_add_nc_u32_e32 v16, v16, v15
	s_waitcnt lgkmcnt(2)
	v_add3_u32 v16, v16, v17, v18
	s_waitcnt lgkmcnt(1)
	v_add3_u32 v16, v16, v19, v20
	;; [unrolled: 2-line block ×3, first 2 shown]
	v_mov_b32_dpp v17, v16 row_shr:1 row_mask:0xf bank_mask:0xf
	v_cndmask_b32_e32 v17, 0, v17, vcc_lo
	v_cmp_lt_u32_e32 vcc_lo, 1, v10
	v_add_nc_u32_e32 v16, v17, v16
	v_mov_b32_dpp v17, v16 row_shr:2 row_mask:0xf bank_mask:0xf
	v_cndmask_b32_e32 v17, 0, v17, vcc_lo
	v_cmp_lt_u32_e32 vcc_lo, 3, v10
	v_add_nc_u32_e32 v16, v16, v17
	;; [unrolled: 4-line block ×3, first 2 shown]
	v_mov_b32_dpp v17, v16 row_shr:8 row_mask:0xf bank_mask:0xf
	v_cndmask_b32_e32 v17, 0, v17, vcc_lo
	v_cmp_gt_i32_e32 vcc_lo, 0, v12
	v_add_nc_u32_e32 v16, v16, v17
	v_cndmask_b32_e32 v18, v12, v8, vcc_lo
	ds_swizzle_b32 v17, v16 offset:swizzle(BROADCAST,32,15)
	v_lshlrev_b32_e32 v18, 2, v18
	s_waitcnt lgkmcnt(0)
	v_and_b32_e32 v17, v11, v17
	v_add_nc_u32_e32 v16, v16, v17
	ds_bpermute_b32 v16, v18, v16
	s_waitcnt lgkmcnt(0)
	v_add_nc_u32_e32 v15, v16, v15
	v_cndmask_b32_e64 v21, v15, v2, s1
	ds_write_b32 v9, v21
	; wave barrier
	ds_read2_b32 v[15:16], v9 offset0:1 offset1:2
	ds_read2_b32 v[17:18], v9 offset0:3 offset1:4
	ds_read2_b32 v[19:20], v9 offset0:5 offset1:6
	ds_read_b32 v22, v9 offset:28
	s_waitcnt lgkmcnt(3)
	v_add_nc_u32_e32 v15, v15, v21
	v_add_nc_u32_e32 v16, v16, v15
	s_waitcnt lgkmcnt(2)
	v_add_nc_u32_e32 v17, v17, v16
	v_add_nc_u32_e32 v18, v18, v17
	;; [unrolled: 3-line block ×3, first 2 shown]
	s_waitcnt lgkmcnt(0)
	v_add_nc_u32_e32 v21, v22, v20
	ds_write2_b32 v9, v15, v16 offset0:1 offset1:2
	ds_write2_b32 v9, v17, v18 offset0:3 offset1:4
	;; [unrolled: 1-line block ×3, first 2 shown]
	ds_write_b32 v9, v21 offset:28
.LBB38_34:                              ;   in Loop: Header=BB38_30 Depth=1
	s_or_b32 exec_lo, exec_lo, s14
	v_mov_b32_e32 v16, 0
	s_waitcnt lgkmcnt(0)
	s_barrier
	buffer_gl0_inv
	s_and_saveexec_b32 s14, s0
; %bb.35:                               ;   in Loop: Header=BB38_30 Depth=1
	ds_read_b32 v16, v0
; %bb.36:                               ;   in Loop: Header=BB38_30 Depth=1
	s_or_b32 exec_lo, exec_lo, s14
	ds_read_b32 v15, v5 offset:1048
	s_mov_b32 s14, exec_lo
	s_waitcnt lgkmcnt(0)
	s_barrier
	buffer_gl0_inv
	v_cmpx_ne_u32_e32 0, v2
	s_cbranch_execz .LBB38_38
; %bb.37:                               ;   in Loop: Header=BB38_30 Depth=1
	v_add_nc_u32_e32 v2, v16, v3
	v_mov_b32_e32 v17, v5
	v_mov_b32_e32 v19, v5
	v_mul_lo_u32 v16, v2, s4
	v_mul_lo_u32 v18, v2, s8
	v_mov_b32_e32 v2, v5
	v_lshlrev_b64 v[16:17], 2, v[16:17]
	v_lshlrev_b64 v[18:19], 3, v[18:19]
	v_add_co_u32 v16, vcc_lo, s11, v16
	v_add_co_ci_u32_e64 v17, null, s15, v17, vcc_lo
	v_add_co_u32 v18, vcc_lo, s16, v18
	v_add_co_ci_u32_e64 v19, null, s17, v19, vcc_lo
	global_store_dword v[16:17], v13, off
	global_store_dwordx2 v[18:19], v[1:2], off
.LBB38_38:                              ;   in Loop: Header=BB38_30 Depth=1
	s_or_b32 exec_lo, exec_lo, s14
	v_cmp_le_u32_e32 vcc_lo, s13, v6
	s_cbranch_vccnz .LBB38_29
; %bb.39:                               ;   in Loop: Header=BB38_30 Depth=1
	ds_write_b32 v7, v14
	s_waitcnt lgkmcnt(0)
	s_waitcnt_vscnt null, 0x0
	s_barrier
	buffer_gl0_inv
	s_and_saveexec_b32 s14, s2
	s_cbranch_execz .LBB38_41
; %bb.40:                               ;   in Loop: Header=BB38_30 Depth=1
	ds_read2_b32 v[16:17], v9 offset1:1
	ds_read2_b32 v[18:19], v9 offset0:2 offset1:3
	ds_read2_b32 v[20:21], v9 offset0:4 offset1:5
	;; [unrolled: 1-line block ×3, first 2 shown]
	v_cmp_ne_u32_e32 vcc_lo, 0, v10
	; wave barrier
	s_waitcnt lgkmcnt(3)
	v_add_nc_u32_e32 v2, v17, v16
	s_waitcnt lgkmcnt(2)
	v_add3_u32 v2, v2, v18, v19
	s_waitcnt lgkmcnt(1)
	v_add3_u32 v2, v2, v20, v21
	s_waitcnt lgkmcnt(0)
	v_add3_u32 v2, v2, v22, v23
	v_mov_b32_dpp v17, v2 row_shr:1 row_mask:0xf bank_mask:0xf
	v_cndmask_b32_e32 v17, 0, v17, vcc_lo
	v_cmp_lt_u32_e32 vcc_lo, 1, v10
	v_add_nc_u32_e32 v2, v17, v2
	v_mov_b32_dpp v17, v2 row_shr:2 row_mask:0xf bank_mask:0xf
	v_cndmask_b32_e32 v17, 0, v17, vcc_lo
	v_cmp_lt_u32_e32 vcc_lo, 3, v10
	v_add_nc_u32_e32 v2, v2, v17
	;; [unrolled: 4-line block ×3, first 2 shown]
	v_mov_b32_dpp v17, v2 row_shr:8 row_mask:0xf bank_mask:0xf
	v_cndmask_b32_e32 v17, 0, v17, vcc_lo
	v_cmp_gt_i32_e32 vcc_lo, 0, v12
	v_add_nc_u32_e32 v2, v2, v17
	v_cndmask_b32_e32 v18, v12, v8, vcc_lo
	ds_swizzle_b32 v17, v2 offset:swizzle(BROADCAST,32,15)
	v_lshlrev_b32_e32 v18, 2, v18
	s_waitcnt lgkmcnt(0)
	v_and_b32_e32 v17, v11, v17
	v_add_nc_u32_e32 v2, v2, v17
	ds_bpermute_b32 v2, v18, v2
	s_waitcnt lgkmcnt(0)
	v_add_nc_u32_e32 v2, v2, v16
	v_cndmask_b32_e64 v2, v2, v14, s1
	ds_write_b32 v9, v2
	; wave barrier
	ds_read2_b32 v[16:17], v9 offset0:1 offset1:2
	ds_read2_b32 v[18:19], v9 offset0:3 offset1:4
	;; [unrolled: 1-line block ×3, first 2 shown]
	ds_read_b32 v22, v9 offset:28
	s_waitcnt lgkmcnt(3)
	v_add_nc_u32_e32 v2, v16, v2
	v_add_nc_u32_e32 v16, v17, v2
	s_waitcnt lgkmcnt(2)
	v_add_nc_u32_e32 v17, v18, v16
	v_add_nc_u32_e32 v18, v19, v17
	s_waitcnt lgkmcnt(1)
	v_add_nc_u32_e32 v19, v20, v18
	v_add_nc_u32_e32 v20, v21, v19
	s_waitcnt lgkmcnt(0)
	v_add_nc_u32_e32 v21, v22, v20
	ds_write2_b32 v9, v2, v16 offset0:1 offset1:2
	ds_write2_b32 v9, v17, v18 offset0:3 offset1:4
	;; [unrolled: 1-line block ×3, first 2 shown]
	ds_write_b32 v9, v21 offset:28
.LBB38_41:                              ;   in Loop: Header=BB38_30 Depth=1
	s_or_b32 exec_lo, exec_lo, s14
	v_mov_b32_e32 v2, 0
	s_waitcnt lgkmcnt(0)
	s_barrier
	buffer_gl0_inv
	s_and_saveexec_b32 s14, s0
; %bb.42:                               ;   in Loop: Header=BB38_30 Depth=1
	ds_read_b32 v2, v0
; %bb.43:                               ;   in Loop: Header=BB38_30 Depth=1
	s_or_b32 exec_lo, exec_lo, s14
	ds_read_b32 v16, v5 offset:1048
	s_mov_b32 s14, exec_lo
	s_waitcnt lgkmcnt(0)
	s_barrier
	buffer_gl0_inv
	v_cmpx_ne_u32_e32 0, v14
	s_cbranch_execz .LBB38_28
; %bb.44:                               ;   in Loop: Header=BB38_30 Depth=1
	v_add_nc_u32_e32 v2, v2, v6
	v_cmp_gt_u32_e32 vcc_lo, s13, v2
	s_and_b32 exec_lo, exec_lo, vcc_lo
	s_cbranch_execz .LBB38_28
; %bb.45:                               ;   in Loop: Header=BB38_30 Depth=1
	v_mul_lo_u32 v17, v2, s4
	v_mul_lo_u32 v19, v2, s8
	v_mov_b32_e32 v18, v5
	v_mov_b32_e32 v20, v5
	;; [unrolled: 1-line block ×3, first 2 shown]
	v_lshlrev_b64 v[17:18], 2, v[17:18]
	v_lshlrev_b64 v[19:20], 3, v[19:20]
	v_add_co_u32 v17, vcc_lo, s11, v17
	v_add_co_ci_u32_e64 v18, null, s15, v18, vcc_lo
	v_add_co_u32 v19, vcc_lo, s16, v19
	v_add_co_ci_u32_e64 v20, null, s17, v20, vcc_lo
	global_store_dword v[17:18], v13, off
	global_store_dwordx2 v[19:20], v[1:2], off
	s_branch .LBB38_28
	.p2align	6
.LBB38_46:                              ;   in Loop: Header=BB38_47 Depth=1
	s_add_u32 s12, s12, 4
	s_addc_u32 s13, s13, 0
	s_waitcnt lgkmcnt(0)
	s_add_i32 s39, s3, s39
	s_add_u32 s14, s14, 4
	s_addc_u32 s15, s15, 0
	s_add_i32 s2, s2, 1
	s_cmp_lt_u32 s2, s10
	s_cbranch_scc0 .LBB38_25
.LBB38_47:                              ; =>This Inner Loop Header: Depth=1
	s_load_dword s3, s[12:13], 0x0
	s_cmp_ge_u32 s2, s16
	s_cbranch_scc1 .LBB38_46
; %bb.48:                               ;   in Loop: Header=BB38_47 Depth=1
	s_load_dword s28, s[14:15], 0x0
	s_waitcnt lgkmcnt(0)
	s_add_i32 s17, s3, s17
	s_add_i32 s38, s28, s38
	s_branch .LBB38_46
.LBB38_49:
	s_endpgm
	.section	.rodata,"a",@progbits
	.p2align	6, 0x0
	.amdhsa_kernel _ZN2at6native6mbtopk10gatherTopKIijLin1EEEvNS_4cuda6detail10TensorInfoIKT_T0_EES8_S8_bjS8_NS5_IS6_S8_EES8_NS5_IlS8_EES8_jjPS6_PjSD_j
		.amdhsa_group_segment_fixed_size 1068
		.amdhsa_private_segment_fixed_size 0
		.amdhsa_kernarg_size 984
		.amdhsa_user_sgpr_count 6
		.amdhsa_user_sgpr_private_segment_buffer 1
		.amdhsa_user_sgpr_dispatch_ptr 0
		.amdhsa_user_sgpr_queue_ptr 0
		.amdhsa_user_sgpr_kernarg_segment_ptr 1
		.amdhsa_user_sgpr_dispatch_id 0
		.amdhsa_user_sgpr_flat_scratch_init 0
		.amdhsa_user_sgpr_private_segment_size 0
		.amdhsa_wavefront_size32 1
		.amdhsa_uses_dynamic_stack 0
		.amdhsa_system_sgpr_private_segment_wavefront_offset 0
		.amdhsa_system_sgpr_workgroup_id_x 1
		.amdhsa_system_sgpr_workgroup_id_y 1
		.amdhsa_system_sgpr_workgroup_id_z 1
		.amdhsa_system_sgpr_workgroup_info 0
		.amdhsa_system_vgpr_workitem_id 0
		.amdhsa_next_free_vgpr 24
		.amdhsa_next_free_sgpr 43
		.amdhsa_reserve_vcc 1
		.amdhsa_reserve_flat_scratch 0
		.amdhsa_float_round_mode_32 0
		.amdhsa_float_round_mode_16_64 0
		.amdhsa_float_denorm_mode_32 3
		.amdhsa_float_denorm_mode_16_64 3
		.amdhsa_dx10_clamp 1
		.amdhsa_ieee_mode 1
		.amdhsa_fp16_overflow 0
		.amdhsa_workgroup_processor_mode 1
		.amdhsa_memory_ordered 1
		.amdhsa_forward_progress 1
		.amdhsa_shared_vgpr_count 0
		.amdhsa_exception_fp_ieee_invalid_op 0
		.amdhsa_exception_fp_denorm_src 0
		.amdhsa_exception_fp_ieee_div_zero 0
		.amdhsa_exception_fp_ieee_overflow 0
		.amdhsa_exception_fp_ieee_underflow 0
		.amdhsa_exception_fp_ieee_inexact 0
		.amdhsa_exception_int_div_zero 0
	.end_amdhsa_kernel
	.section	.text._ZN2at6native6mbtopk10gatherTopKIijLin1EEEvNS_4cuda6detail10TensorInfoIKT_T0_EES8_S8_bjS8_NS5_IS6_S8_EES8_NS5_IlS8_EES8_jjPS6_PjSD_j,"axG",@progbits,_ZN2at6native6mbtopk10gatherTopKIijLin1EEEvNS_4cuda6detail10TensorInfoIKT_T0_EES8_S8_bjS8_NS5_IS6_S8_EES8_NS5_IlS8_EES8_jjPS6_PjSD_j,comdat
.Lfunc_end38:
	.size	_ZN2at6native6mbtopk10gatherTopKIijLin1EEEvNS_4cuda6detail10TensorInfoIKT_T0_EES8_S8_bjS8_NS5_IS6_S8_EES8_NS5_IlS8_EES8_jjPS6_PjSD_j, .Lfunc_end38-_ZN2at6native6mbtopk10gatherTopKIijLin1EEEvNS_4cuda6detail10TensorInfoIKT_T0_EES8_S8_bjS8_NS5_IS6_S8_EES8_NS5_IlS8_EES8_jjPS6_PjSD_j
                                        ; -- End function
	.set _ZN2at6native6mbtopk10gatherTopKIijLin1EEEvNS_4cuda6detail10TensorInfoIKT_T0_EES8_S8_bjS8_NS5_IS6_S8_EES8_NS5_IlS8_EES8_jjPS6_PjSD_j.num_vgpr, 24
	.set _ZN2at6native6mbtopk10gatherTopKIijLin1EEEvNS_4cuda6detail10TensorInfoIKT_T0_EES8_S8_bjS8_NS5_IS6_S8_EES8_NS5_IlS8_EES8_jjPS6_PjSD_j.num_agpr, 0
	.set _ZN2at6native6mbtopk10gatherTopKIijLin1EEEvNS_4cuda6detail10TensorInfoIKT_T0_EES8_S8_bjS8_NS5_IS6_S8_EES8_NS5_IlS8_EES8_jjPS6_PjSD_j.numbered_sgpr, 43
	.set _ZN2at6native6mbtopk10gatherTopKIijLin1EEEvNS_4cuda6detail10TensorInfoIKT_T0_EES8_S8_bjS8_NS5_IS6_S8_EES8_NS5_IlS8_EES8_jjPS6_PjSD_j.num_named_barrier, 0
	.set _ZN2at6native6mbtopk10gatherTopKIijLin1EEEvNS_4cuda6detail10TensorInfoIKT_T0_EES8_S8_bjS8_NS5_IS6_S8_EES8_NS5_IlS8_EES8_jjPS6_PjSD_j.private_seg_size, 0
	.set _ZN2at6native6mbtopk10gatherTopKIijLin1EEEvNS_4cuda6detail10TensorInfoIKT_T0_EES8_S8_bjS8_NS5_IS6_S8_EES8_NS5_IlS8_EES8_jjPS6_PjSD_j.uses_vcc, 1
	.set _ZN2at6native6mbtopk10gatherTopKIijLin1EEEvNS_4cuda6detail10TensorInfoIKT_T0_EES8_S8_bjS8_NS5_IS6_S8_EES8_NS5_IlS8_EES8_jjPS6_PjSD_j.uses_flat_scratch, 0
	.set _ZN2at6native6mbtopk10gatherTopKIijLin1EEEvNS_4cuda6detail10TensorInfoIKT_T0_EES8_S8_bjS8_NS5_IS6_S8_EES8_NS5_IlS8_EES8_jjPS6_PjSD_j.has_dyn_sized_stack, 0
	.set _ZN2at6native6mbtopk10gatherTopKIijLin1EEEvNS_4cuda6detail10TensorInfoIKT_T0_EES8_S8_bjS8_NS5_IS6_S8_EES8_NS5_IlS8_EES8_jjPS6_PjSD_j.has_recursion, 0
	.set _ZN2at6native6mbtopk10gatherTopKIijLin1EEEvNS_4cuda6detail10TensorInfoIKT_T0_EES8_S8_bjS8_NS5_IS6_S8_EES8_NS5_IlS8_EES8_jjPS6_PjSD_j.has_indirect_call, 0
	.section	.AMDGPU.csdata,"",@progbits
; Kernel info:
; codeLenInByte = 3088
; TotalNumSgprs: 45
; NumVgprs: 24
; ScratchSize: 0
; MemoryBound: 0
; FloatMode: 240
; IeeeMode: 1
; LDSByteSize: 1068 bytes/workgroup (compile time only)
; SGPRBlocks: 0
; VGPRBlocks: 2
; NumSGPRsForWavesPerEU: 45
; NumVGPRsForWavesPerEU: 24
; Occupancy: 16
; WaveLimiterHint : 1
; COMPUTE_PGM_RSRC2:SCRATCH_EN: 0
; COMPUTE_PGM_RSRC2:USER_SGPR: 6
; COMPUTE_PGM_RSRC2:TRAP_HANDLER: 0
; COMPUTE_PGM_RSRC2:TGID_X_EN: 1
; COMPUTE_PGM_RSRC2:TGID_Y_EN: 1
; COMPUTE_PGM_RSRC2:TGID_Z_EN: 1
; COMPUTE_PGM_RSRC2:TIDIG_COMP_CNT: 0
	.section	.text._ZN2at6native6sbtopk10gatherTopKIijLin1ELb0EEEvNS_4cuda6detail10TensorInfoIKT_T0_EES8_S8_bS8_S8_NS5_IS6_S8_EES8_NS5_IlS8_EES8_PS6_,"axG",@progbits,_ZN2at6native6sbtopk10gatherTopKIijLin1ELb0EEEvNS_4cuda6detail10TensorInfoIKT_T0_EES8_S8_bS8_S8_NS5_IS6_S8_EES8_NS5_IlS8_EES8_PS6_,comdat
	.protected	_ZN2at6native6sbtopk10gatherTopKIijLin1ELb0EEEvNS_4cuda6detail10TensorInfoIKT_T0_EES8_S8_bS8_S8_NS5_IS6_S8_EES8_NS5_IlS8_EES8_PS6_ ; -- Begin function _ZN2at6native6sbtopk10gatherTopKIijLin1ELb0EEEvNS_4cuda6detail10TensorInfoIKT_T0_EES8_S8_bS8_S8_NS5_IS6_S8_EES8_NS5_IlS8_EES8_PS6_
	.globl	_ZN2at6native6sbtopk10gatherTopKIijLin1ELb0EEEvNS_4cuda6detail10TensorInfoIKT_T0_EES8_S8_bS8_S8_NS5_IS6_S8_EES8_NS5_IlS8_EES8_PS6_
	.p2align	8
	.type	_ZN2at6native6sbtopk10gatherTopKIijLin1ELb0EEEvNS_4cuda6detail10TensorInfoIKT_T0_EES8_S8_bS8_S8_NS5_IS6_S8_EES8_NS5_IlS8_EES8_PS6_,@function
_ZN2at6native6sbtopk10gatherTopKIijLin1ELb0EEEvNS_4cuda6detail10TensorInfoIKT_T0_EES8_S8_bS8_S8_NS5_IS6_S8_EES8_NS5_IlS8_EES8_PS6_: ; @_ZN2at6native6sbtopk10gatherTopKIijLin1ELb0EEEvNS_4cuda6detail10TensorInfoIKT_T0_EES8_S8_bS8_S8_NS5_IS6_S8_EES8_NS5_IlS8_EES8_PS6_
; %bb.0:
	s_clause 0x1
	s_load_dwordx2 s[2:3], s[4:5], 0x2b8
	s_load_dwordx4 s[36:39], s[4:5], 0xd8
	s_add_u32 s10, s4, 0x2b8
	s_addc_u32 s11, s5, 0
	s_waitcnt lgkmcnt(0)
	s_mul_i32 s0, s3, s8
	s_add_i32 s0, s0, s7
	s_mul_i32 s0, s0, s2
	s_add_i32 s48, s0, s6
	s_cmp_ge_u32 s48, s39
	s_cbranch_scc1 .LBB39_404
; %bb.1:
	s_clause 0x1
	s_load_dword s3, s[4:5], 0xd0
	s_load_dword s30, s[4:5], 0xe8
	s_mov_b32 s1, 0
	s_mov_b32 s0, s48
	s_waitcnt lgkmcnt(0)
	s_cmp_lt_i32 s3, 2
	s_cbranch_scc1 .LBB39_4
; %bb.2:
	s_add_i32 s0, s3, -1
	s_add_i32 s3, s3, 1
	s_lshl_b64 s[8:9], s[0:1], 2
	s_add_u32 s0, s4, s8
	s_addc_u32 s7, s5, s9
	s_add_u32 s8, s0, 8
	s_addc_u32 s9, s7, 0
	s_mov_b32 s0, s48
	s_inst_prefetch 0x1
	.p2align	6
.LBB39_3:                               ; =>This Inner Loop Header: Depth=1
	s_clause 0x1
	s_load_dword s7, s[8:9], 0x0
	s_load_dword s12, s[8:9], 0x64
	s_mov_b32 s15, s0
	s_waitcnt lgkmcnt(0)
	v_cvt_f32_u32_e32 v1, s7
	s_sub_i32 s14, 0, s7
	v_rcp_iflag_f32_e32 v1, v1
	v_mul_f32_e32 v1, 0x4f7ffffe, v1
	v_cvt_u32_f32_e32 v1, v1
	v_readfirstlane_b32 s13, v1
	s_mul_i32 s14, s14, s13
	s_mul_hi_u32 s14, s13, s14
	s_add_i32 s13, s13, s14
	s_mul_hi_u32 s0, s0, s13
	s_mul_i32 s13, s0, s7
	s_add_i32 s14, s0, 1
	s_sub_i32 s13, s15, s13
	s_sub_i32 s16, s13, s7
	s_cmp_ge_u32 s13, s7
	s_cselect_b32 s0, s14, s0
	s_cselect_b32 s13, s16, s13
	s_add_i32 s14, s0, 1
	s_cmp_ge_u32 s13, s7
	s_cselect_b32 s0, s14, s0
	s_add_i32 s3, s3, -1
	s_mul_i32 s7, s0, s7
	s_sub_i32 s7, s15, s7
	s_mul_i32 s7, s12, s7
	s_add_i32 s1, s7, s1
	s_add_u32 s8, s8, -4
	s_addc_u32 s9, s9, -1
	s_cmp_gt_u32 s3, 2
	s_cbranch_scc1 .LBB39_3
.LBB39_4:
	s_inst_prefetch 0x2
	s_load_dword s3, s[4:5], 0x1c0
	s_add_u32 s8, s4, 0xf0
	s_addc_u32 s9, s5, 0
	s_mov_b32 s35, 0
	s_mov_b32 s49, s48
	s_waitcnt lgkmcnt(0)
	s_cmp_lt_i32 s3, 2
	s_cbranch_scc1 .LBB39_7
; %bb.5:
	s_add_i32 s34, s3, -1
	s_add_i32 s3, s3, 1
	s_lshl_b64 s[12:13], s[34:35], 2
	s_mov_b32 s49, s48
	s_add_u32 s7, s8, s12
	s_addc_u32 s13, s9, s13
	s_add_u32 s12, s7, 8
	s_addc_u32 s13, s13, 0
	s_inst_prefetch 0x1
	.p2align	6
.LBB39_6:                               ; =>This Inner Loop Header: Depth=1
	s_clause 0x1
	s_load_dword s7, s[12:13], 0x0
	s_load_dword s14, s[12:13], 0x64
	s_mov_b32 s17, s49
	s_waitcnt lgkmcnt(0)
	v_cvt_f32_u32_e32 v1, s7
	s_sub_i32 s16, 0, s7
	v_rcp_iflag_f32_e32 v1, v1
	v_mul_f32_e32 v1, 0x4f7ffffe, v1
	v_cvt_u32_f32_e32 v1, v1
	v_readfirstlane_b32 s15, v1
	s_mul_i32 s16, s16, s15
	s_mul_hi_u32 s16, s15, s16
	s_add_i32 s15, s15, s16
	s_mul_hi_u32 s15, s49, s15
	s_mul_i32 s16, s15, s7
	s_add_i32 s18, s15, 1
	s_sub_i32 s16, s49, s16
	s_sub_i32 s19, s16, s7
	s_cmp_ge_u32 s16, s7
	s_cselect_b32 s15, s18, s15
	s_cselect_b32 s16, s19, s16
	s_add_i32 s18, s15, 1
	s_cmp_ge_u32 s16, s7
	s_cselect_b32 s49, s18, s15
	s_add_i32 s3, s3, -1
	s_mul_i32 s7, s49, s7
	s_sub_i32 s7, s17, s7
	s_mul_i32 s7, s14, s7
	s_add_i32 s35, s7, s35
	s_add_u32 s12, s12, -4
	s_addc_u32 s13, s13, -1
	s_cmp_gt_u32 s3, 2
	s_cbranch_scc1 .LBB39_6
.LBB39_7:
	s_inst_prefetch 0x2
	s_clause 0x1
	s_load_dword s7, s[4:5], 0x6c
	s_load_dword s3, s[4:5], 0x2a0
	s_add_u32 s12, s4, 0x1d0
	s_addc_u32 s13, s5, 0
	s_mov_b32 s41, 0
	s_waitcnt lgkmcnt(0)
	s_cmp_lt_i32 s3, 2
	s_cbranch_scc1 .LBB39_10
; %bb.8:
	s_add_i32 s40, s3, -1
	s_add_i32 s3, s3, 1
	s_lshl_b64 s[14:15], s[40:41], 2
	s_add_u32 s12, s12, s14
	s_addc_u32 s13, s13, s15
	s_add_u32 s12, s12, 8
	s_addc_u32 s13, s13, 0
	s_inst_prefetch 0x1
	.p2align	6
.LBB39_9:                               ; =>This Inner Loop Header: Depth=1
	s_clause 0x1
	s_load_dword s14, s[12:13], 0x0
	s_load_dword s15, s[12:13], 0x64
	s_mov_b32 s18, s48
	s_waitcnt lgkmcnt(0)
	v_cvt_f32_u32_e32 v1, s14
	s_sub_i32 s17, 0, s14
	v_rcp_iflag_f32_e32 v1, v1
	v_mul_f32_e32 v1, 0x4f7ffffe, v1
	v_cvt_u32_f32_e32 v1, v1
	v_readfirstlane_b32 s16, v1
	s_mul_i32 s17, s17, s16
	s_mul_hi_u32 s17, s16, s17
	s_add_i32 s16, s16, s17
	s_mul_hi_u32 s16, s48, s16
	s_mul_i32 s17, s16, s14
	s_add_i32 s19, s16, 1
	s_sub_i32 s17, s48, s17
	s_sub_i32 s20, s17, s14
	s_cmp_ge_u32 s17, s14
	s_cselect_b32 s16, s19, s16
	s_cselect_b32 s17, s20, s17
	s_add_i32 s19, s16, 1
	s_cmp_ge_u32 s17, s14
	s_cselect_b32 s48, s19, s16
	s_add_i32 s3, s3, -1
	s_mul_i32 s14, s48, s14
	s_sub_i32 s14, s18, s14
	s_mul_i32 s14, s15, s14
	s_add_i32 s41, s14, s41
	s_add_u32 s12, s12, -4
	s_addc_u32 s13, s13, -1
	s_cmp_gt_u32 s3, 2
	s_cbranch_scc1 .LBB39_9
.LBB39_10:
	s_inst_prefetch 0x2
	s_clause 0x3
	s_load_dword s50, s[8:9], 0x6c
	s_load_dwordx2 s[8:9], s[4:5], 0x0
	s_load_dwordx2 s[44:45], s[4:5], 0xf0
	s_load_dwordx2 s[42:43], s[4:5], 0x1d0
	v_cmp_eq_u32_e64 s3, 0, v0
	s_mov_b32 s47, 0
	s_and_saveexec_b32 s12, s3
	s_cbranch_execz .LBB39_12
; %bb.11:
	v_mov_b32_e32 v1, 0
	v_mov_b32_e32 v2, s36
	v_mov_b32_e32 v3, v1
	ds_write_b96 v1, v[1:3] offset:4096
.LBB39_12:
	s_or_b32 exec_lo, exec_lo, s12
	s_waitcnt lgkmcnt(0)
	s_barrier
	buffer_gl0_inv
	s_load_dword s14, s[10:11], 0xc
	s_mul_i32 s0, s7, s0
	v_mbcnt_lo_u32_b32 v18, -1, 0
	s_add_i32 s46, s0, s1
	v_cmp_gt_u32_e32 vcc_lo, 32, v0
	s_lshl_b64 s[12:13], s[46:47], 2
	v_mov_b32_e32 v9, 0
	s_add_u32 s31, s8, s12
	s_addc_u32 s33, s9, s13
	s_bitcmp1_b32 s38, 0
	v_cmp_gt_i32_e64 s0, 4, v18
	s_cselect_b32 s1, -1, 0
	v_mul_lo_u32 v7, s30, v0
	s_xor_b32 s52, s1, -1
	v_mov_b32_e32 v8, v9
	s_and_b32 s51, vcc_lo, s0
	s_load_dword s46, s[4:5], 0x23c
	v_lshlrev_b32_e32 v19, 2, v0
	v_lshlrev_b32_e32 v28, 4, v0
	v_lshl_or_b32 v29, v18, 2, 0xc00
	s_waitcnt lgkmcnt(0)
	s_and_b32 s34, s14, 0xffff
	s_bfe_u32 s0, s14, 0xb0005
	s_lshl_b32 s53, s34, 2
	s_bfe_u32 s7, s34, 0x80008
	v_cvt_f32_u32_e32 v1, s53
	s_lshl_b32 s54, s7, 3
	s_cmpk_gt_u32 s36, 0x300
	v_cvt_f32_u32_e32 v2, s34
	s_cselect_b32 s55, -1, 0
	v_rcp_iflag_f32_e32 v1, v1
	s_cmp_gt_u32 s34, 31
	v_mad_u64_u32 v[14:15], null, s30, v19, s[30:31]
	s_cselect_b32 s56, -1, 0
	s_add_i32 s57, s34, -1
	v_rcp_iflag_f32_e32 v2, v2
	s_add_i32 s9, s57, s36
	s_cmp_lt_u32 s6, s2
	v_cmp_gt_u32_e64 s2, s36, v0
	v_mul_f32_e32 v1, 0x4f7ffffe, v1
	s_cselect_b32 s6, 12, 18
	v_add_nc_u32_e32 v21, 0xc00, v19
	s_add_u32 s38, s10, s6
	s_addc_u32 s39, s11, 0
	s_add_i32 s0, s0, -1
	v_cvt_u32_f32_e32 v1, v1
	s_and_b32 s0, s0, 0xffff
	s_bfe_u32 s58, s34, 0x30005
	s_cmp_gt_u32 s0, 6
	v_mul_f32_e32 v3, 0x4f7ffffe, v2
	v_readfirstlane_b32 s7, v1
	s_cselect_b32 s59, -1, 0
	s_cmp_lg_u32 s58, 0
	v_lshlrev_b64 v[1:2], v18, -1
	s_cselect_b32 s60, -1, 0
	s_sub_i32 s0, 0, s53
	v_cvt_u32_f32_e32 v4, v3
	s_mul_i32 s0, s0, s7
	v_lshlrev_b64 v[2:3], 2, v[7:8]
	s_mul_hi_u32 s8, s7, s0
	v_not_b32_e32 v17, v1
	s_add_i32 s61, s7, s8
	v_lshrrev_b32_e32 v1, 1, v0
	s_mul_hi_u32 s7, s36, s61
	v_add_co_u32 v5, vcc_lo, s31, v2
	s_mul_i32 s7, s7, s53
	v_add_co_ci_u32_e64 v6, null, s33, v3, vcc_lo
	s_sub_i32 s7, s36, s7
	v_or_b32_e32 v3, 3, v19
	s_sub_i32 s8, s7, s53
	s_cmp_ge_u32 s7, s53
	v_cmp_gt_u32_e64 s6, 2, v0
	s_cselect_b32 s7, s8, s7
	v_readfirstlane_b32 s8, v4
	s_sub_i32 s10, s7, s53
	s_cmp_ge_u32 s7, s53
	v_mul_lo_u32 v25, s30, v3
	s_cselect_b32 s10, s10, s7
	s_sub_i32 s7, 0, s34
	s_sub_i32 s62, s36, s10
	s_mul_i32 s7, s7, s8
	v_add_nc_u32_e32 v20, s62, v0
	s_mul_hi_u32 s7, s8, s7
	v_cmp_eq_u32_e64 s0, 0, v18
	s_add_i32 s63, s8, s7
	s_movk_i32 s8, 0x1f0
	v_mul_lo_u32 v8, v20, s30
	v_and_or_b32 v22, v1, s8, 0xc00
	s_mul_hi_u32 s7, s9, s63
	v_lshlrev_b32_e32 v26, 2, v7
	s_mul_i32 s7, s7, s34
	v_mov_b32_e32 v31, s37
	s_sub_i32 s7, s9, s7
	v_mov_b32_e32 v15, 1
	v_lshlrev_b64 v[1:2], 2, v[8:9]
	s_sub_i32 s11, s7, s34
	s_cmp_ge_u32 s7, s34
	v_mov_b32_e32 v11, 0
	s_cselect_b32 s8, s11, s7
	v_cmp_gt_u32_e64 s7, s62, v19
	v_add_co_u32 v12, vcc_lo, s31, v1
	v_add3_u32 v1, s34, s36, v0
	v_add_co_ci_u32_e64 v13, null, s33, v2, vcc_lo
	v_or_b32_e32 v2, 2, v19
	s_sub_i32 s11, s8, s34
	v_subrev_nc_u32_e32 v1, s10, v1
	s_cmp_ge_u32 s8, s34
	v_mov_b32_e32 v23, 0
	s_cselect_b32 s11, s11, s8
	v_mul_lo_u32 v24, s30, v2
	v_mul_lo_u32 v27, s30, v1
	s_sub_i32 s64, s9, s11
	v_cmp_gt_u32_e64 s8, s36, v20
	v_cmp_gt_u32_e64 s9, s64, v0
	v_mov_b32_e32 v30, 0
	s_mul_i32 s40, s30, s34
	s_lshl_b32 s66, s34, 4
	s_lshl_b32 s65, s40, 2
	s_mov_b32 s72, 30
	s_mov_b32 s68, 0
                                        ; implicit-def: $sgpr67
                                        ; implicit-def: $sgpr71
                                        ; implicit-def: $sgpr70
                                        ; implicit-def: $sgpr73
                                        ; implicit-def: $sgpr69
                                        ; implicit-def: $sgpr77
                                        ; implicit-def: $sgpr78
                                        ; implicit-def: $sgpr74
                                        ; implicit-def: $sgpr76
                                        ; implicit-def: $sgpr75
	s_branch .LBB39_15
.LBB39_13:                              ;   in Loop: Header=BB39_15 Depth=1
	s_or_b32 exec_lo, exec_lo, s13
	v_mov_b32_e32 v31, v32
	s_andn2_b32 s13, s75, exec_lo
	s_and_b32 s12, s12, exec_lo
	s_andn2_b32 s76, s76, exec_lo
	s_or_b32 s75, s13, s12
	s_andn2_b32 s74, s74, exec_lo
	s_andn2_b32 s78, s78, exec_lo
	;; [unrolled: 1-line block ×3, first 2 shown]
	s_orn2_b32 s13, s11, exec_lo
.LBB39_14:                              ;   in Loop: Header=BB39_15 Depth=1
	s_or_b32 exec_lo, exec_lo, s10
	s_and_b32 s10, exec_lo, s13
	s_or_b32 s47, s10, s47
	s_andn2_b32 s10, s69, exec_lo
	s_and_b32 s11, s75, exec_lo
	s_andn2_b32 s12, s73, exec_lo
	s_or_b32 s69, s10, s11
	s_and_b32 s10, s76, exec_lo
	s_andn2_b32 s11, s70, exec_lo
	s_and_b32 s13, s74, exec_lo
	s_or_b32 s73, s12, s10
	s_or_b32 s70, s11, s13
	s_andn2_b32 s10, s71, exec_lo
	s_and_b32 s11, s78, exec_lo
	s_andn2_b32 s12, s67, exec_lo
	s_and_b32 s13, s77, exec_lo
	s_or_b32 s71, s10, s11
	s_or_b32 s67, s12, s13
	s_andn2_b32 exec_lo, exec_lo, s47
	s_cbranch_execz .LBB39_400
.LBB39_15:                              ; =>This Loop Header: Depth=1
                                        ;     Child Loop BB39_21 Depth 2
                                        ;     Child Loop BB39_34 Depth 2
	;; [unrolled: 1-line block ×24, first 2 shown]
	ds_read_b64 v[1:2], v9 offset:4096
	s_waitcnt lgkmcnt(0)
	v_readfirstlane_b32 s79, v1
	s_cmp_lg_u32 s79, 0
	s_cbranch_scc1 .LBB39_42
; %bb.16:                               ;   in Loop: Header=BB39_15 Depth=1
	s_and_b32 vcc_lo, exec_lo, s55
	s_cbranch_vccz .LBB39_29
; %bb.17:                               ;   in Loop: Header=BB39_15 Depth=1
	v_cmp_gt_u32_e32 vcc_lo, 0x301, v2
	s_mov_b32 s12, 0
	s_mov_b32 s10, 0
	s_cbranch_vccz .LBB39_30
; %bb.18:                               ;   in Loop: Header=BB39_15 Depth=1
	s_and_saveexec_b32 s13, s2
	s_cbranch_execz .LBB39_89
; %bb.19:                               ;   in Loop: Header=BB39_15 Depth=1
	global_load_ushort v1, v9, s[38:39]
	global_load_dword v3, v[5:6], off
	v_mov_b32_e32 v4, v0
	s_mov_b32 s14, 0
	s_waitcnt vmcnt(1)
	v_add_nc_u32_e32 v2, v0, v1
	v_mul_lo_u32 v8, s30, v2
	v_mul_lo_u32 v2, s30, v1
	s_branch .LBB39_21
.LBB39_20:                              ;   in Loop: Header=BB39_21 Depth=2
	s_or_b32 exec_lo, exec_lo, s11
	v_add_nc_u32_e32 v8, v8, v2
	v_mov_b32_e32 v3, v10
	s_andn2_b32 exec_lo, exec_lo, s14
	s_cbranch_execz .LBB39_89
.LBB39_21:                              ;   Parent Loop BB39_15 Depth=1
                                        ; =>  This Inner Loop Header: Depth=2
	v_add_nc_u32_e32 v4, v4, v1
	s_waitcnt lgkmcnt(0)
	v_mov_b32_e32 v16, 0
	v_mov_b32_e32 v10, 0
	s_mov_b32 s11, exec_lo
	v_cmp_le_u32_e32 vcc_lo, s36, v4
	v_cmpx_gt_u32_e64 s36, v4
	s_cbranch_execz .LBB39_23
; %bb.22:                               ;   in Loop: Header=BB39_21 Depth=2
	v_lshlrev_b64 v[32:33], 2, v[8:9]
	v_add_co_u32 v32, s10, s31, v32
	v_add_co_ci_u32_e64 v33, null, s33, v33, s10
	global_load_dword v10, v[32:33], off
.LBB39_23:                              ;   in Loop: Header=BB39_21 Depth=2
	s_or_b32 exec_lo, exec_lo, s11
	s_waitcnt vmcnt(0)
	v_xor_b32_e32 v32, 0x80000000, v3
	v_and_b32_e32 v32, v32, v30
	v_cmp_eq_u32_e64 s10, v32, v23
	s_cmp_lg_u32 s10, 0
	s_cselect_b32 s11, -1, 0
	s_and_b32 s11, s0, s11
	s_and_saveexec_b32 s15, s11
	s_cbranch_execz .LBB39_27
; %bb.24:                               ;   in Loop: Header=BB39_21 Depth=2
	s_mov_b32 s18, exec_lo
	s_bcnt1_i32_b32 s16, s10
	v_mbcnt_lo_u32_b32 v16, s18, 0
	s_mov_b32 s17, exec_lo
                                        ; implicit-def: $vgpr32
	v_cmpx_eq_u32_e32 0, v16
; %bb.25:                               ;   in Loop: Header=BB39_21 Depth=2
	s_bcnt1_i32_b32 s11, s18
	s_mul_i32 s11, s16, s11
	v_mov_b32_e32 v32, s11
	ds_add_rtn_u32 v32, v9, v32 offset:4104
; %bb.26:                               ;   in Loop: Header=BB39_21 Depth=2
	s_or_b32 exec_lo, exec_lo, s17
	s_waitcnt lgkmcnt(0)
	v_readfirstlane_b32 s11, v32
	v_mad_u32_u24 v16, s16, v16, s11
.LBB39_27:                              ;   in Loop: Header=BB39_21 Depth=2
	s_or_b32 exec_lo, exec_lo, s15
	ds_bpermute_b32 v16, v9, v16
	s_and_b32 s11, exec_lo, vcc_lo
	s_or_b32 s14, s11, s14
	s_and_saveexec_b32 s11, s10
	s_cbranch_execz .LBB39_20
; %bb.28:                               ;   in Loop: Header=BB39_21 Depth=2
	v_and_b32_e32 v32, s10, v17
	v_bcnt_u32_b32 v32, v32, 0
	v_lshlrev_b32_e32 v32, 2, v32
	s_waitcnt lgkmcnt(0)
	v_lshl_add_u32 v16, v16, 2, v32
	ds_write_b32 v16, v3
	s_branch .LBB39_20
.LBB39_29:                              ;   in Loop: Header=BB39_15 Depth=1
	s_mov_b32 s12, -1
	s_mov_b32 s10, 0
.LBB39_30:                              ;   in Loop: Header=BB39_15 Depth=1
	s_and_b32 vcc_lo, exec_lo, s12
	s_cbranch_vccz .LBB39_40
.LBB39_31:                              ;   in Loop: Header=BB39_15 Depth=1
	s_and_saveexec_b32 s10, s2
	s_cbranch_execz .LBB39_37
; %bb.32:                               ;   in Loop: Header=BB39_15 Depth=1
	global_load_ushort v1, v9, s[38:39]
	global_load_dword v3, v[5:6], off
	v_mov_b32_e32 v2, v0
	s_mov_b32 s11, exec_lo
	s_waitcnt vmcnt(1)
	v_add_nc_u32_e32 v4, v0, v1
	v_cmpx_gt_u32_e64 s36, v4
	s_cbranch_execz .LBB39_36
; %bb.33:                               ;   in Loop: Header=BB39_15 Depth=1
	v_mul_lo_u32 v8, s30, v4
	v_mul_lo_u32 v4, s30, v1
	v_lshlrev_b32_e32 v10, 2, v1
	v_mov_b32_e32 v16, v19
	v_mov_b32_e32 v2, v0
	s_mov_b32 s12, 0
	.p2align	6
.LBB39_34:                              ;   Parent Loop BB39_15 Depth=1
                                        ; =>  This Inner Loop Header: Depth=2
	v_lshlrev_b64 v[32:33], 2, v[8:9]
	v_add_nc_u32_e32 v2, v2, v1
	s_waitcnt vmcnt(0)
	ds_write_b32 v16, v3
	v_add_nc_u32_e32 v16, v16, v10
	v_add_nc_u32_e32 v8, v8, v4
	v_add_co_u32 v32, vcc_lo, s31, v32
	v_add_co_ci_u32_e64 v33, null, s33, v33, vcc_lo
	global_load_dword v32, v[32:33], off
	v_add_nc_u32_e32 v33, v1, v2
	v_cmp_le_u32_e32 vcc_lo, s36, v33
	s_or_b32 s12, vcc_lo, s12
	s_waitcnt vmcnt(0)
	v_mov_b32_e32 v3, v32
	s_andn2_b32 exec_lo, exec_lo, s12
	s_cbranch_execnz .LBB39_34
; %bb.35:                               ;   in Loop: Header=BB39_15 Depth=1
	s_or_b32 exec_lo, exec_lo, s12
	v_mov_b32_e32 v3, v32
.LBB39_36:                              ;   in Loop: Header=BB39_15 Depth=1
	s_or_b32 exec_lo, exec_lo, s11
	v_lshlrev_b32_e32 v1, 2, v2
	s_waitcnt vmcnt(0)
	ds_write_b32 v1, v3
.LBB39_37:                              ;   in Loop: Header=BB39_15 Depth=1
	s_or_b32 exec_lo, exec_lo, s10
	s_waitcnt lgkmcnt(0)
	s_barrier
	buffer_gl0_inv
	s_and_saveexec_b32 s10, s3
; %bb.38:                               ;   in Loop: Header=BB39_15 Depth=1
	v_mov_b32_e32 v1, s36
	ds_write_b32 v9, v1 offset:4096
; %bb.39:                               ;   in Loop: Header=BB39_15 Depth=1
	s_or_b32 exec_lo, exec_lo, s10
	s_mov_b32 s10, -1
	s_waitcnt lgkmcnt(0)
	s_barrier
.LBB39_40:                              ;   in Loop: Header=BB39_15 Depth=1
	s_and_b32 vcc_lo, exec_lo, s10
	s_mov_b32 s79, 0
	s_cbranch_vccz .LBB39_42
; %bb.41:                               ;   in Loop: Header=BB39_15 Depth=1
	buffer_gl0_inv
	ds_read_b32 v1, v9 offset:4096
	s_waitcnt lgkmcnt(0)
	v_readfirstlane_b32 s79, v1
.LBB39_42:                              ;   in Loop: Header=BB39_15 Depth=1
	s_cmp_lt_i32 s79, 1
	s_mov_b32 s10, -1
                                        ; implicit-def: $vgpr4
	s_cbranch_scc1 .LBB39_52
; %bb.43:                               ;   in Loop: Header=BB39_15 Depth=1
	s_and_b32 vcc_lo, exec_lo, s10
	s_cbranch_vccnz .LBB39_63
.LBB39_44:                              ;   in Loop: Header=BB39_15 Depth=1
	s_lshl_b32 s10, s68, 7
	s_and_saveexec_b32 s11, s0
.LBB39_45:                              ;   in Loop: Header=BB39_15 Depth=1
	v_lshl_add_u32 v8, s10, 2, v22
	ds_write_b128 v8, v[1:4]
.LBB39_46:                              ;   in Loop: Header=BB39_15 Depth=1
	s_or_b32 exec_lo, exec_lo, s11
	s_waitcnt lgkmcnt(0)
	s_barrier
	buffer_gl0_inv
	s_and_saveexec_b32 s11, s51
	s_cbranch_execz .LBB39_76
; %bb.47:                               ;   in Loop: Header=BB39_15 Depth=1
	v_mov_b32_e32 v1, 0
	s_andn2_b32 vcc_lo, exec_lo, s56
	s_cbranch_vccnz .LBB39_75
; %bb.48:                               ;   in Loop: Header=BB39_15 Depth=1
	s_andn2_b32 vcc_lo, exec_lo, s59
	s_cbranch_vccnz .LBB39_72
; %bb.49:                               ;   in Loop: Header=BB39_15 Depth=1
	v_lshl_add_u32 v2, s68, 9, v29
	v_mov_b32_e32 v1, 0
	s_mov_b32 s12, 0
	.p2align	6
.LBB39_50:                              ;   Parent Loop BB39_15 Depth=1
                                        ; =>  This Inner Loop Header: Depth=2
	ds_read2_b32 v[3:4], v2 offset1:4
	ds_read2_b32 v[32:33], v2 offset0:8 offset1:12
	ds_read2_b32 v[34:35], v2 offset0:16 offset1:20
	;; [unrolled: 1-line block ×3, first 2 shown]
	v_add_nc_u32_e32 v2, 0x80, v2
	s_add_i32 s12, s12, 8
	s_cmp_eq_u32 s54, s12
	s_waitcnt lgkmcnt(3)
	v_add3_u32 v1, v3, v1, v4
	s_waitcnt lgkmcnt(2)
	v_add3_u32 v1, v32, v1, v33
	;; [unrolled: 2-line block ×4, first 2 shown]
	s_cbranch_scc0 .LBB39_50
; %bb.51:                               ;   in Loop: Header=BB39_15 Depth=1
	s_mov_b32 s12, s54
	s_andn2_b32 vcc_lo, exec_lo, s60
	s_cbranch_vccz .LBB39_73
	s_branch .LBB39_75
.LBB39_52:                              ;   in Loop: Header=BB39_15 Depth=1
	v_mov_b32_e32 v1, 0
	v_mov_b32_e32 v2, 0
	;; [unrolled: 1-line block ×4, first 2 shown]
	s_and_saveexec_b32 s21, s7
	s_cbranch_execz .LBB39_56
; %bb.53:                               ;   in Loop: Header=BB39_15 Depth=1
	v_mov_b32_e32 v10, v19
	s_mov_b32 s22, 0
	s_mov_b32 s23, 0
	;; [unrolled: 1-line block ×6, first 2 shown]
.LBB39_54:                              ;   Parent Loop BB39_15 Depth=1
                                        ; =>  This Inner Loop Header: Depth=2
	v_add_nc_u32_e32 v8, s23, v26
	v_add_nc_u32_e32 v10, s53, v10
	v_lshlrev_b64 v[1:2], 2, v[8:9]
	v_add_nc_u32_e32 v8, s23, v14
	v_lshlrev_b64 v[3:4], 2, v[8:9]
	v_add_nc_u32_e32 v8, s23, v24
	v_add_co_u32 v1, vcc_lo, s31, v1
	v_add_co_ci_u32_e64 v2, null, s33, v2, vcc_lo
	v_lshlrev_b64 v[32:33], 2, v[8:9]
	v_add_nc_u32_e32 v8, s23, v25
	s_add_i32 s23, s23, s65
	global_load_dword v16, v[1:2], off
	v_add_co_u32 v1, vcc_lo, s31, v3
	v_add_co_ci_u32_e64 v2, null, s33, v4, vcc_lo
	v_add_co_u32 v32, vcc_lo, s31, v32
	v_add_co_ci_u32_e64 v33, null, s33, v33, vcc_lo
	v_lshlrev_b64 v[3:4], 2, v[8:9]
	s_clause 0x1
	global_load_dword v8, v[1:2], off
	global_load_dword v32, v[32:33], off
	v_add_co_u32 v1, vcc_lo, s31, v3
	v_add_co_ci_u32_e64 v2, null, s33, v4, vcc_lo
	v_cmp_le_u32_e32 vcc_lo, s62, v10
	global_load_dword v1, v[1:2], off
	s_waitcnt vmcnt(3)
	v_xor_b32_e32 v2, 0x80000000, v16
	v_and_b32_e32 v3, v2, v30
	v_bfe_u32 v2, v2, s72, 2
	s_waitcnt vmcnt(2)
	v_xor_b32_e32 v4, 0x80000000, v8
	v_cmp_eq_u32_e64 s10, v3, v23
	v_cmp_eq_u32_e64 s11, 0, v2
	s_waitcnt vmcnt(1)
	v_xor_b32_e32 v8, 0x80000000, v32
	v_cmp_eq_u32_e64 s12, 1, v2
	v_and_b32_e32 v3, v4, v30
	v_bfe_u32 v4, v4, s72, 2
	v_cmp_eq_u32_e64 s13, 2, v2
	s_and_b32 s11, s10, s11
	v_cmp_eq_u32_e64 s14, 3, v2
	v_cmp_eq_u32_e64 s15, v3, v23
	v_and_b32_e32 v2, v8, v30
	v_bfe_u32 v3, v8, s72, 2
	v_cmp_eq_u32_e64 s16, 0, v4
	v_cndmask_b32_e64 v8, 0, 1, s11
	v_cmp_eq_u32_e64 s11, 1, v4
	s_and_b32 s12, s10, s12
	s_and_b32 s13, s10, s13
	v_cndmask_b32_e64 v16, 0, 1, s12
	v_cmp_eq_u32_e64 s12, 2, v4
	s_waitcnt vmcnt(0)
	v_xor_b32_e32 v1, 0x80000000, v1
	v_cndmask_b32_e64 v32, 0, 1, s13
	s_and_b32 s10, s10, s14
	s_and_b32 s16, s15, s16
	;; [unrolled: 1-line block ×3, first 2 shown]
	v_cmp_eq_u32_e64 s13, 3, v4
	v_cndmask_b32_e64 v4, 0, 1, s10
	v_cmp_eq_u32_e64 s10, v2, v23
	v_cmp_eq_u32_e64 s14, 0, v3
	v_cmp_ne_u32_e64 s17, 0, v8
	v_cndmask_b32_e64 v8, 0, 1, s16
	v_cmp_eq_u32_e64 s16, 1, v3
	v_cmp_ne_u32_e64 s18, 0, v16
	v_cndmask_b32_e64 v16, 0, 1, s11
	v_cmp_eq_u32_e64 s11, 2, v3
	s_and_b32 s12, s15, s12
	v_and_b32_e32 v2, v1, v30
	v_bfe_u32 v1, v1, s72, 2
	v_cmp_ne_u32_e64 s19, 0, v32
	v_cndmask_b32_e64 v32, 0, 1, s12
	v_cmp_eq_u32_e64 s12, 3, v3
	s_and_b32 s13, s15, s13
	s_and_b32 s14, s10, s14
	;; [unrolled: 1-line block ×4, first 2 shown]
	v_cmp_ne_u32_e64 s20, 0, v4
	v_cndmask_b32_e64 v3, 0, 1, s13
	v_cmp_eq_u32_e64 s13, v2, v23
	v_cmp_eq_u32_e64 s15, 0, v1
	s_bcnt1_i32_b32 s28, s17
	v_cmp_ne_u32_e64 s17, 0, v8
	v_cndmask_b32_e64 v2, 0, 1, s14
	v_cmp_eq_u32_e64 s14, 1, v1
	v_cndmask_b32_e64 v4, 0, 1, s16
	v_cmp_eq_u32_e64 s16, 2, v1
	v_cndmask_b32_e64 v8, 0, 1, s11
	v_cmp_eq_u32_e64 s11, 3, v1
	s_and_b32 s10, s10, s12
	s_bcnt1_i32_b32 s81, s20
	v_cndmask_b32_e64 v1, 0, 1, s10
	v_cmp_ne_u32_e64 s20, 0, v3
	s_and_b32 s12, s13, s15
	s_and_b32 s14, s13, s14
	;; [unrolled: 1-line block ×4, first 2 shown]
	v_cmp_ne_u32_e64 s10, 0, v2
	v_cndmask_b32_e64 v2, 0, 1, s12
	v_cmp_ne_u32_e64 s12, 0, v4
	v_cndmask_b32_e64 v3, 0, 1, s14
	v_cndmask_b32_e64 v4, 0, 1, s15
	v_cmp_ne_u32_e64 s15, 0, v1
	v_cndmask_b32_e64 v1, 0, 1, s11
	s_bcnt1_i32_b32 s29, s18
	v_cmp_ne_u32_e64 s18, 0, v16
	s_bcnt1_i32_b32 s80, s19
	v_cmp_ne_u32_e64 s19, 0, v32
	s_add_i32 s24, s81, s24
	v_cmp_ne_u32_e64 s14, 0, v8
	s_bcnt1_i32_b32 s16, s20
	s_bcnt1_i32_b32 s20, s10
	s_add_i32 s16, s24, s16
	v_cmp_ne_u32_e64 s10, 0, v2
	s_bcnt1_i32_b32 s24, s12
	v_cmp_ne_u32_e64 s11, 0, v3
	v_cmp_ne_u32_e64 s12, 0, v4
	;; [unrolled: 1-line block ×3, first 2 shown]
	s_add_i32 s27, s28, s27
	s_add_i32 s26, s29, s26
	;; [unrolled: 1-line block ×3, first 2 shown]
	s_bcnt1_i32_b32 s17, s17
	s_bcnt1_i32_b32 s18, s18
	;; [unrolled: 1-line block ×3, first 2 shown]
	s_add_i32 s17, s27, s17
	s_add_i32 s18, s26, s18
	;; [unrolled: 1-line block ×3, first 2 shown]
	s_bcnt1_i32_b32 s14, s14
	s_bcnt1_i32_b32 s15, s15
	s_add_i32 s17, s17, s20
	s_add_i32 s18, s18, s24
	s_add_i32 s14, s19, s14
	s_add_i32 s15, s16, s15
	s_bcnt1_i32_b32 s10, s10
	s_bcnt1_i32_b32 s11, s11
	;; [unrolled: 1-line block ×4, first 2 shown]
	s_add_i32 s27, s17, s10
	s_add_i32 s26, s18, s11
	;; [unrolled: 1-line block ×4, first 2 shown]
	v_mov_b32_e32 v1, s27
	v_mov_b32_e32 v2, s26
	;; [unrolled: 1-line block ×4, first 2 shown]
	s_or_b32 s22, vcc_lo, s22
	s_andn2_b32 exec_lo, exec_lo, s22
	s_cbranch_execnz .LBB39_54
; %bb.55:                               ;   in Loop: Header=BB39_15 Depth=1
	s_or_b32 exec_lo, exec_lo, s22
.LBB39_56:                              ;   in Loop: Header=BB39_15 Depth=1
	s_or_b32 exec_lo, exec_lo, s21
	s_and_saveexec_b32 s14, s8
	s_cbranch_execz .LBB39_62
; %bb.57:                               ;   in Loop: Header=BB39_15 Depth=1
	global_load_dword v32, v[12:13], off
	v_mov_b32_e32 v8, v27
	v_mov_b32_e32 v10, v20
	s_mov_b32 s15, 0
	s_branch .LBB39_59
.LBB39_58:                              ;   in Loop: Header=BB39_59 Depth=2
	s_or_b32 exec_lo, exec_lo, s11
	s_waitcnt vmcnt(0)
	v_xor_b32_e32 v32, 0x80000000, v32
	s_and_b32 s11, exec_lo, vcc_lo
	v_add_nc_u32_e32 v8, s40, v8
	s_or_b32 s15, s11, s15
	v_and_b32_e32 v33, v32, v30
	v_bfe_u32 v32, v32, s72, 2
	v_cmp_eq_u32_e32 vcc_lo, v33, v23
	v_cmp_eq_u32_e64 s10, 0, v32
	v_cmp_eq_u32_e64 s11, 1, v32
	;; [unrolled: 1-line block ×4, first 2 shown]
	s_and_b32 s10, vcc_lo, s10
	v_cndmask_b32_e64 v32, 0, 1, s10
	s_and_b32 s10, vcc_lo, s11
	v_cndmask_b32_e64 v33, 0, 1, s10
	;; [unrolled: 2-line block ×3, first 2 shown]
	s_and_b32 s10, vcc_lo, s13
	v_cmp_ne_u32_e32 vcc_lo, 0, v32
	v_cndmask_b32_e64 v35, 0, 1, s10
	v_cmp_ne_u32_e64 s10, 0, v33
	v_cmp_ne_u32_e64 s11, 0, v34
	v_mov_b32_e32 v32, v16
	s_bcnt1_i32_b32 s13, vcc_lo
	v_cmp_ne_u32_e64 s12, 0, v35
	s_bcnt1_i32_b32 s10, s10
	s_bcnt1_i32_b32 s11, s11
	v_add_nc_u32_e32 v1, s13, v1
	v_add_nc_u32_e32 v2, s10, v2
	s_bcnt1_i32_b32 s12, s12
	v_add_nc_u32_e32 v3, s11, v3
	v_add_nc_u32_e32 v4, s12, v4
	s_andn2_b32 exec_lo, exec_lo, s15
	s_cbranch_execz .LBB39_61
.LBB39_59:                              ;   Parent Loop BB39_15 Depth=1
                                        ; =>  This Inner Loop Header: Depth=2
	v_add_nc_u32_e32 v10, s34, v10
	v_mov_b32_e32 v16, 0
	s_mov_b32 s11, exec_lo
	v_cmp_le_u32_e32 vcc_lo, s36, v10
	v_cmpx_gt_u32_e64 s36, v10
	s_cbranch_execz .LBB39_58
; %bb.60:                               ;   in Loop: Header=BB39_59 Depth=2
	v_lshlrev_b64 v[33:34], 2, v[8:9]
	v_add_co_u32 v33, s10, s31, v33
	v_add_co_ci_u32_e64 v34, null, s33, v34, s10
	global_load_dword v16, v[33:34], off
	s_branch .LBB39_58
.LBB39_61:                              ;   in Loop: Header=BB39_15 Depth=1
	s_or_b32 exec_lo, exec_lo, s15
.LBB39_62:                              ;   in Loop: Header=BB39_15 Depth=1
	s_or_b32 exec_lo, exec_lo, s14
	s_branch .LBB39_44
.LBB39_63:                              ;   in Loop: Header=BB39_15 Depth=1
	s_mul_hi_u32 s10, s79, s61
	v_mov_b32_e32 v1, 0
	s_mul_i32 s10, s10, s53
	v_mov_b32_e32 v2, 0
	s_sub_i32 s10, s79, s10
	v_mov_b32_e32 v3, 0
	s_sub_i32 s11, s10, s53
	s_cmp_ge_u32 s10, s53
	v_mov_b32_e32 v4, 0
	s_cselect_b32 s10, s11, s10
	s_mov_b32 s81, exec_lo
	s_sub_i32 s11, s10, s53
	s_cmp_ge_u32 s10, s53
	s_cselect_b32 s10, s11, s10
	s_sub_i32 s80, s79, s10
	v_cmpx_gt_u32_e64 s80, v19
	s_cbranch_execz .LBB39_67
; %bb.64:                               ;   in Loop: Header=BB39_15 Depth=1
	v_mov_b32_e32 v8, v28
	v_mov_b32_e32 v10, v19
	s_mov_b32 s82, 0
	s_mov_b32 s83, 0
	;; [unrolled: 1-line block ×5, first 2 shown]
.LBB39_65:                              ;   Parent Loop BB39_15 Depth=1
                                        ; =>  This Inner Loop Header: Depth=2
	ds_read_b128 v[1:4], v8
	v_add_nc_u32_e32 v10, s53, v10
	v_add_nc_u32_e32 v8, s66, v8
	v_cmp_le_u32_e32 vcc_lo, s80, v10
	s_waitcnt lgkmcnt(0)
	v_xor_b32_e32 v1, 0x80000000, v1
	v_xor_b32_e32 v2, 0x80000000, v2
	;; [unrolled: 1-line block ×4, first 2 shown]
	v_and_b32_e32 v16, v1, v30
	v_bfe_u32 v1, v1, s72, 2
	v_and_b32_e32 v32, v2, v30
	v_bfe_u32 v2, v2, s72, 2
	;; [unrolled: 2-line block ×3, first 2 shown]
	v_cmp_eq_u32_e64 s10, v16, v23
	v_cmp_eq_u32_e64 s14, 0, v1
	v_and_b32_e32 v34, v4, v30
	v_bfe_u32 v4, v4, s72, 2
	v_cmp_eq_u32_e64 s11, v32, v23
	v_cmp_eq_u32_e64 s15, 0, v2
	;; [unrolled: 1-line block ×4, first 2 shown]
	s_and_b32 s14, s10, s14
	v_cmp_eq_u32_e64 s13, v34, v23
	v_cmp_eq_u32_e64 s17, 0, v4
	;; [unrolled: 1-line block ×5, first 2 shown]
	v_cndmask_b32_e64 v1, 0, 1, s14
	s_and_b32 s14, s11, s15
	v_cmp_eq_u32_e64 s19, 1, v2
	v_cmp_eq_u32_e64 s23, 2, v2
	v_cmp_eq_u32_e64 s27, 3, v2
	v_cndmask_b32_e64 v2, 0, 1, s14
	s_and_b32 s14, s12, s16
	v_cmp_eq_u32_e64 s20, 1, v3
	v_cmp_eq_u32_e64 s24, 2, v3
	v_cmp_eq_u32_e64 s28, 3, v3
	;; [unrolled: 5-line block ×3, first 2 shown]
	v_cndmask_b32_e64 v4, 0, 1, s14
	s_and_b32 s14, s10, s18
	v_cndmask_b32_e64 v16, 0, 1, s14
	s_and_b32 s14, s11, s19
	;; [unrolled: 2-line block ×4, first 2 shown]
	v_cmp_ne_u32_e64 s15, 0, v32
	v_cndmask_b32_e64 v34, 0, 1, s14
	s_and_b32 s14, s10, s22
	s_and_b32 s10, s10, s26
	v_cndmask_b32_e64 v35, 0, 1, s14
	s_and_b32 s14, s11, s23
	v_cndmask_b32_e64 v39, 0, 1, s10
	;; [unrolled: 2-line block ×7, first 2 shown]
	v_cndmask_b32_e64 v42, 0, 1, s10
	v_cmp_ne_u32_e64 s10, 0, v1
	v_cmp_ne_u32_e64 s14, 0, v16
	;; [unrolled: 1-line block ×11, first 2 shown]
	s_bcnt1_i32_b32 s10, s10
	s_bcnt1_i32_b32 s14, s14
	;; [unrolled: 1-line block ×4, first 2 shown]
	v_cmp_ne_u32_e64 s13, 0, v4
	v_cmp_ne_u32_e64 s17, 0, v34
	;; [unrolled: 1-line block ×4, first 2 shown]
	s_bcnt1_i32_b32 s11, s11
	s_bcnt1_i32_b32 s15, s15
	s_bcnt1_i32_b32 s19, s19
	s_bcnt1_i32_b32 s23, s23
	s_add_i32 s10, s10, s86
	s_add_i32 s14, s14, s85
	s_add_i32 s18, s18, s84
	s_add_i32 s22, s22, s83
	s_bcnt1_i32_b32 s12, s12
	s_bcnt1_i32_b32 s16, s16
	s_bcnt1_i32_b32 s20, s20
	s_bcnt1_i32_b32 s24, s24
	s_add_i32 s10, s10, s11
	s_add_i32 s11, s14, s15
	s_add_i32 s14, s18, s19
	s_add_i32 s15, s22, s23
	;; [unrolled: 8-line block ×3, first 2 shown]
	s_add_i32 s86, s10, s13
	s_add_i32 s85, s11, s17
	;; [unrolled: 1-line block ×4, first 2 shown]
	v_mov_b32_e32 v1, s86
	v_mov_b32_e32 v2, s85
	;; [unrolled: 1-line block ×4, first 2 shown]
	s_or_b32 s82, vcc_lo, s82
	s_andn2_b32 exec_lo, exec_lo, s82
	s_cbranch_execnz .LBB39_65
; %bb.66:                               ;   in Loop: Header=BB39_15 Depth=1
	s_or_b32 exec_lo, exec_lo, s82
.LBB39_67:                              ;   in Loop: Header=BB39_15 Depth=1
	s_or_b32 exec_lo, exec_lo, s81
	v_add_nc_u32_e32 v8, s80, v0
	s_mov_b32 s15, exec_lo
	v_cmpx_gt_u32_e64 s79, v8
	s_cbranch_execz .LBB39_71
; %bb.68:                               ;   in Loop: Header=BB39_15 Depth=1
	v_lshlrev_b32_e32 v10, 2, v8
	s_mov_b32 s16, 0
.LBB39_69:                              ;   Parent Loop BB39_15 Depth=1
                                        ; =>  This Inner Loop Header: Depth=2
	ds_read_b32 v16, v10
	v_add_nc_u32_e32 v8, s34, v8
	v_add_nc_u32_e32 v10, s53, v10
	v_cmp_le_u32_e32 vcc_lo, s79, v8
	s_waitcnt lgkmcnt(0)
	v_xor_b32_e32 v16, 0x80000000, v16
	v_and_b32_e32 v32, v16, v30
	v_bfe_u32 v16, v16, s72, 2
	v_cmp_eq_u32_e64 s10, v32, v23
	v_cmp_eq_u32_e64 s11, 0, v16
	;; [unrolled: 1-line block ×5, first 2 shown]
	s_and_b32 s11, s10, s11
	v_cndmask_b32_e64 v16, 0, 1, s11
	s_and_b32 s11, s10, s12
	v_cndmask_b32_e64 v32, 0, 1, s11
	s_and_b32 s11, s10, s13
	s_and_b32 s10, s10, s14
	v_cndmask_b32_e64 v33, 0, 1, s11
	v_cndmask_b32_e64 v34, 0, 1, s10
	v_cmp_ne_u32_e64 s10, 0, v16
	v_cmp_ne_u32_e64 s11, 0, v32
	;; [unrolled: 1-line block ×4, first 2 shown]
	s_bcnt1_i32_b32 s10, s10
	s_bcnt1_i32_b32 s11, s11
	v_add_nc_u32_e32 v1, s10, v1
	s_bcnt1_i32_b32 s12, s12
	s_bcnt1_i32_b32 s13, s13
	v_add_nc_u32_e32 v2, s11, v2
	v_add_nc_u32_e32 v3, s12, v3
	;; [unrolled: 1-line block ×3, first 2 shown]
	s_or_b32 s16, vcc_lo, s16
	s_andn2_b32 exec_lo, exec_lo, s16
	s_cbranch_execnz .LBB39_69
; %bb.70:                               ;   in Loop: Header=BB39_15 Depth=1
	s_or_b32 exec_lo, exec_lo, s16
.LBB39_71:                              ;   in Loop: Header=BB39_15 Depth=1
	s_or_b32 exec_lo, exec_lo, s15
	s_lshl_b32 s10, s68, 7
	s_and_saveexec_b32 s11, s0
	s_cbranch_execnz .LBB39_45
	s_branch .LBB39_46
.LBB39_72:                              ;   in Loop: Header=BB39_15 Depth=1
	v_mov_b32_e32 v1, 0
	s_mov_b32 s12, 0
	s_andn2_b32 vcc_lo, exec_lo, s60
	s_cbranch_vccnz .LBB39_75
.LBB39_73:                              ;   in Loop: Header=BB39_15 Depth=1
	s_lshl_b32 s13, s68, 9
	s_lshl_b32 s12, s12, 4
	v_add3_u32 v2, s13, s12, v29
	s_mov_b32 s12, s58
.LBB39_74:                              ;   Parent Loop BB39_15 Depth=1
                                        ; =>  This Inner Loop Header: Depth=2
	ds_read_b32 v3, v2
	v_add_nc_u32_e32 v2, 16, v2
	s_add_i32 s12, s12, -1
	s_cmp_lg_u32 s12, 0
	s_waitcnt lgkmcnt(0)
	v_add_nc_u32_e32 v1, v3, v1
	s_cbranch_scc1 .LBB39_74
.LBB39_75:                              ;   in Loop: Header=BB39_15 Depth=1
	v_add_lshl_u32 v2, s10, v18, 2
	ds_write_b32 v2, v1 offset:3072
.LBB39_76:                              ;   in Loop: Header=BB39_15 Depth=1
	s_or_b32 exec_lo, exec_lo, s11
	s_lshl_b32 s10, s10, 2
	s_waitcnt lgkmcnt(0)
	v_mov_b32_e32 v1, s10
	s_barrier
	buffer_gl0_inv
	v_cmp_eq_u32_e64 s10, 1, v31
	s_lshl_b32 s14, 3, s72
	ds_read_b128 v[1:4], v1 offset:3072
	s_mov_b32 s22, -1
	s_not_b32 s15, s14
	s_mov_b32 s12, 0
	s_andn2_b32 vcc_lo, exec_lo, s52
	s_mov_b32 s19, 0
	s_mov_b32 s11, 0
                                        ; implicit-def: $sgpr20
                                        ; implicit-def: $sgpr21
                                        ; implicit-def: $vgpr32
                                        ; implicit-def: $vgpr10
	s_waitcnt lgkmcnt(0)
	v_readfirstlane_b32 s13, v1
	v_readfirstlane_b32 s16, v2
	;; [unrolled: 1-line block ×4, first 2 shown]
                                        ; implicit-def: $vgpr3
                                        ; implicit-def: $vgpr4
                                        ; implicit-def: $vgpr2
	s_cbranch_vccnz .LBB39_237
; %bb.77:                               ;   in Loop: Header=BB39_15 Depth=1
	s_cmp_eq_u32 s13, 1
	v_mov_b32_e32 v4, v23
	v_mov_b32_e32 v10, v30
	;; [unrolled: 1-line block ×3, first 2 shown]
	s_cselect_b32 s11, -1, 0
	s_mov_b32 s25, -1
	s_and_b32 s24, s11, s10
                                        ; implicit-def: $sgpr21
                                        ; implicit-def: $sgpr20
	s_and_saveexec_b32 s11, s24
	s_cbranch_execz .LBB39_106
; %bb.78:                               ;   in Loop: Header=BB39_15 Depth=1
	ds_read_b32 v1, v9 offset:4096
	s_waitcnt lgkmcnt(0)
	s_barrier
	buffer_gl0_inv
	v_readfirstlane_b32 s22, v1
	s_and_saveexec_b32 s19, s6
; %bb.79:                               ;   in Loop: Header=BB39_15 Depth=1
	ds_write_b32 v21, v9
; %bb.80:                               ;   in Loop: Header=BB39_15 Depth=1
	s_or_b32 exec_lo, exec_lo, s19
	v_and_b32_e32 v4, s15, v23
	v_or_b32_e32 v10, s14, v30
	s_mov_b32 s20, -1
	s_mov_b32 s21, 0
	s_cmp_eq_u32 s22, 0
	s_mov_b32 s19, 0
	s_mov_b32 s23, -1
	s_waitcnt lgkmcnt(0)
	s_barrier
	buffer_gl0_inv
                                        ; implicit-def: $vgpr2
	s_cbranch_scc1 .LBB39_94
; %bb.81:                               ;   in Loop: Header=BB39_15 Depth=1
	s_add_i32 s19, s22, s57
                                        ; implicit-def: $vgpr2
	s_mul_hi_u32 s23, s19, s63
	s_mul_i32 s23, s23, s34
	s_sub_i32 s23, s19, s23
	s_sub_i32 s25, s23, s34
	s_cmp_ge_u32 s23, s34
	s_cselect_b32 s23, s25, s23
	s_sub_i32 s25, s23, s34
	s_cmp_ge_u32 s23, s34
	s_cselect_b32 s23, s25, s23
	s_mov_b32 s25, exec_lo
	s_sub_i32 s26, s19, s23
	s_mov_b32 s23, 0
	s_mov_b32 s19, 0
	v_cmpx_gt_u32_e64 s26, v0
	s_cbranch_execz .LBB39_93
; %bb.82:                               ;   in Loop: Header=BB39_15 Depth=1
	v_mov_b32_e32 v3, v19
	v_mov_b32_e32 v8, v0
                                        ; implicit-def: $sgpr27
	s_inst_prefetch 0x1
	s_branch .LBB39_85
	.p2align	6
.LBB39_83:                              ;   in Loop: Header=BB39_85 Depth=2
	s_or_b32 exec_lo, exec_lo, s28
	s_waitcnt lgkmcnt(0)
	s_barrier
	buffer_gl0_inv
	ds_read_b64 v[1:2], v9 offset:3072
	s_mov_b32 s28, -1
	s_mov_b32 s29, -1
	s_waitcnt lgkmcnt(0)
	s_barrier
	buffer_gl0_inv
	v_cmp_ne_u32_e32 vcc_lo, 0, v1
	s_cbranch_vccz .LBB39_88
.LBB39_84:                              ;   in Loop: Header=BB39_85 Depth=2
	s_and_b32 s28, exec_lo, s28
	s_or_b32 s19, s28, s19
	s_andn2_b32 s27, s27, exec_lo
	s_and_b32 s28, s29, exec_lo
	s_or_b32 s27, s27, s28
	s_andn2_b32 exec_lo, exec_lo, s19
	s_cbranch_execz .LBB39_92
.LBB39_85:                              ;   Parent Loop BB39_15 Depth=1
                                        ; =>  This Inner Loop Header: Depth=2
	s_mov_b32 s28, exec_lo
	v_cmpx_gt_u32_e64 s22, v8
	s_cbranch_execz .LBB39_83
; %bb.86:                               ;   in Loop: Header=BB39_85 Depth=2
	ds_read_b32 v16, v3
	s_waitcnt lgkmcnt(0)
	v_xor_b32_e32 v1, 0x80000000, v16
	v_and_b32_e32 v1, v1, v10
	v_cmp_eq_u32_e32 vcc_lo, v1, v4
	s_and_b32 exec_lo, exec_lo, vcc_lo
	s_cbranch_execz .LBB39_83
; %bb.87:                               ;   in Loop: Header=BB39_85 Depth=2
	ds_write_b64 v9, v[15:16] offset:3072
	s_branch .LBB39_83
	.p2align	6
.LBB39_88:                              ;   in Loop: Header=BB39_85 Depth=2
	v_add_nc_u32_e32 v8, s34, v8
	v_add_nc_u32_e32 v3, s53, v3
	s_mov_b32 s29, 0
	v_cmp_le_u32_e32 vcc_lo, s26, v8
	s_orn2_b32 s28, vcc_lo, exec_lo
	s_branch .LBB39_84
.LBB39_89:                              ;   in Loop: Header=BB39_15 Depth=1
	s_or_b32 exec_lo, exec_lo, s13
	s_waitcnt lgkmcnt(0)
	s_barrier
	buffer_gl0_inv
	s_and_saveexec_b32 s10, s3
	s_cbranch_execz .LBB39_91
; %bb.90:                               ;   in Loop: Header=BB39_15 Depth=1
	ds_read_b32 v1, v9 offset:4104
	s_waitcnt lgkmcnt(0)
	ds_write_b32 v9, v1 offset:4096
.LBB39_91:                              ;   in Loop: Header=BB39_15 Depth=1
	s_or_b32 exec_lo, exec_lo, s10
	s_waitcnt lgkmcnt(0)
	s_mov_b32 s10, -1
	s_barrier
	s_and_b32 vcc_lo, exec_lo, s12
	s_cbranch_vccnz .LBB39_31
	s_branch .LBB39_40
.LBB39_92:                              ;   in Loop: Header=BB39_15 Depth=1
	s_inst_prefetch 0x2
	s_or_b32 exec_lo, exec_lo, s19
	s_and_b32 s19, s27, exec_lo
.LBB39_93:                              ;   in Loop: Header=BB39_15 Depth=1
	s_or_b32 exec_lo, exec_lo, s25
.LBB39_94:                              ;   in Loop: Header=BB39_15 Depth=1
	s_and_b32 vcc_lo, exec_lo, s23
	s_cbranch_vccz .LBB39_105
; %bb.95:                               ;   in Loop: Header=BB39_15 Depth=1
                                        ; implicit-def: $vgpr2
	s_and_saveexec_b32 s20, s9
	s_cbranch_execz .LBB39_104
; %bb.96:                               ;   in Loop: Header=BB39_15 Depth=1
	v_mov_b32_e32 v8, v7
	v_mov_b32_e32 v3, v0
	s_mov_b32 s21, 0
                                        ; implicit-def: $sgpr22
	s_inst_prefetch 0x1
	s_branch .LBB39_99
	.p2align	6
.LBB39_97:                              ;   in Loop: Header=BB39_99 Depth=2
	s_or_b32 exec_lo, exec_lo, s23
	s_waitcnt lgkmcnt(0)
	s_barrier
	buffer_gl0_inv
	ds_read_b64 v[1:2], v9 offset:3072
	s_mov_b32 s23, -1
	s_mov_b32 s25, -1
	s_waitcnt lgkmcnt(0)
	s_barrier
	buffer_gl0_inv
	v_cmp_ne_u32_e32 vcc_lo, 0, v1
	s_cbranch_vccz .LBB39_102
.LBB39_98:                              ;   in Loop: Header=BB39_99 Depth=2
	s_and_b32 s23, exec_lo, s23
	s_or_b32 s21, s23, s21
	s_andn2_b32 s22, s22, exec_lo
	s_and_b32 s23, s25, exec_lo
	s_or_b32 s22, s22, s23
	s_andn2_b32 exec_lo, exec_lo, s21
	s_cbranch_execz .LBB39_103
.LBB39_99:                              ;   Parent Loop BB39_15 Depth=1
                                        ; =>  This Inner Loop Header: Depth=2
	s_mov_b32 s23, exec_lo
	v_cmpx_gt_u32_e64 s36, v3
	s_cbranch_execz .LBB39_97
; %bb.100:                              ;   in Loop: Header=BB39_99 Depth=2
	v_lshlrev_b64 v[1:2], 2, v[8:9]
	v_add_co_u32 v1, vcc_lo, s31, v1
	v_add_co_ci_u32_e64 v2, null, s33, v2, vcc_lo
	global_load_dword v16, v[1:2], off
	s_waitcnt vmcnt(0)
	v_xor_b32_e32 v1, 0x80000000, v16
	v_and_b32_e32 v1, v1, v10
	v_cmp_eq_u32_e32 vcc_lo, v1, v4
	s_and_b32 exec_lo, exec_lo, vcc_lo
	s_cbranch_execz .LBB39_97
; %bb.101:                              ;   in Loop: Header=BB39_99 Depth=2
	ds_write_b64 v9, v[15:16] offset:3072
	s_branch .LBB39_97
.LBB39_102:                             ;   in Loop: Header=BB39_99 Depth=2
	v_add_nc_u32_e32 v3, s34, v3
	v_add_nc_u32_e32 v8, s40, v8
	s_mov_b32 s25, 0
	v_cmp_le_u32_e32 vcc_lo, s64, v3
	s_orn2_b32 s23, vcc_lo, exec_lo
	s_branch .LBB39_98
.LBB39_103:                             ;   in Loop: Header=BB39_15 Depth=1
	s_inst_prefetch 0x2
	s_or_b32 exec_lo, exec_lo, s21
	s_andn2_b32 s19, s19, exec_lo
	s_and_b32 s21, s22, exec_lo
	s_or_b32 s19, s19, s21
.LBB39_104:                             ;   in Loop: Header=BB39_15 Depth=1
	s_or_b32 exec_lo, exec_lo, s20
	s_mov_b32 s20, 0
	s_mov_b32 s21, -1
.LBB39_105:                             ;   in Loop: Header=BB39_15 Depth=1
	s_orn2_b32 s25, s19, exec_lo
.LBB39_106:                             ;   in Loop: Header=BB39_15 Depth=1
	s_or_b32 exec_lo, exec_lo, s11
	s_mov_b32 s22, 0
	s_mov_b32 s19, 0
	;; [unrolled: 1-line block ×3, first 2 shown]
                                        ; implicit-def: $vgpr32
                                        ; implicit-def: $vgpr3
	s_and_saveexec_b32 s23, s25
	s_cbranch_execz .LBB39_236
; %bb.107:                              ;   in Loop: Header=BB39_15 Depth=1
	v_mov_b32_e32 v32, 1
	v_mov_b32_e32 v3, 1
	s_xor_b32 s19, s24, -1
	s_mov_b32 s26, 0
	s_and_saveexec_b32 s11, s19
	s_cbranch_execz .LBB39_116
; %bb.108:                              ;   in Loop: Header=BB39_15 Depth=1
	s_mov_b32 s19, exec_lo
	v_cmpx_ge_u32_e64 s13, v31
	s_xor_b32 s19, exec_lo, s19
	s_cbranch_execz .LBB39_113
; %bb.109:                              ;   in Loop: Header=BB39_15 Depth=1
	ds_read_b32 v1, v9 offset:4096
	v_and_b32_e32 v4, s15, v4
	v_or_b32_e32 v10, s14, v10
	s_waitcnt lgkmcnt(0)
	v_cmp_ne_u32_e32 vcc_lo, 0, v1
	s_cbranch_vccnz .LBB39_113
; %bb.110:                              ;   in Loop: Header=BB39_15 Depth=1
	s_and_saveexec_b32 s24, s3
; %bb.111:                              ;   in Loop: Header=BB39_15 Depth=1
	v_mov_b32_e32 v1, s13
	ds_write_b32 v9, v1 offset:4100
; %bb.112:                              ;   in Loop: Header=BB39_15 Depth=1
	s_or_b32 exec_lo, exec_lo, s24
	s_waitcnt lgkmcnt(0)
	s_barrier
	buffer_gl0_inv
.LBB39_113:                             ;   in Loop: Header=BB39_15 Depth=1
	s_or_saveexec_b32 s19, s19
	v_mov_b32_e32 v3, 8
	v_mov_b32_e32 v32, v31
	s_mov_b32 s24, 0
	s_xor_b32 exec_lo, exec_lo, s19
; %bb.114:                              ;   in Loop: Header=BB39_15 Depth=1
	v_subrev_nc_u32_e32 v32, s13, v31
	v_mov_b32_e32 v3, 0
	s_mov_b32 s24, exec_lo
; %bb.115:                              ;   in Loop: Header=BB39_15 Depth=1
	s_or_b32 exec_lo, exec_lo, s19
	s_and_b32 s26, s24, exec_lo
.LBB39_116:                             ;   in Loop: Header=BB39_15 Depth=1
	s_or_b32 exec_lo, exec_lo, s11
	s_mov_b32 s25, -1
                                        ; implicit-def: $sgpr19
                                        ; implicit-def: $sgpr24
	s_and_saveexec_b32 s11, s26
	s_xor_b32 s11, exec_lo, s11
	s_cbranch_execz .LBB39_233
; %bb.117:                              ;   in Loop: Header=BB39_15 Depth=1
	v_cmp_eq_u32_e32 vcc_lo, 1, v32
	s_cmp_eq_u32 s16, 1
	s_mov_b32 s27, -1
	s_cselect_b32 s19, -1, 0
                                        ; implicit-def: $sgpr24
	s_and_b32 s26, s19, vcc_lo
                                        ; implicit-def: $sgpr19
	s_and_saveexec_b32 s25, s26
	s_cbranch_execz .LBB39_143
; %bb.118:                              ;   in Loop: Header=BB39_15 Depth=1
	ds_read_b32 v1, v9 offset:4096
	s_waitcnt lgkmcnt(0)
	s_barrier
	buffer_gl0_inv
	v_readfirstlane_b32 s28, v1
	s_and_saveexec_b32 s19, s6
; %bb.119:                              ;   in Loop: Header=BB39_15 Depth=1
	ds_write_b32 v21, v9
; %bb.120:                              ;   in Loop: Header=BB39_15 Depth=1
	s_or_b32 exec_lo, exec_lo, s19
	s_lshl_b32 s19, 1, s72
	v_or_b32_e32 v10, s14, v10
	v_and_or_b32 v4, v4, s15, s19
	s_mov_b32 s19, -1
	s_mov_b32 s24, 0
	s_cmp_eq_u32 s28, 0
	s_mov_b32 s27, 0
	s_mov_b32 s29, -1
	s_waitcnt lgkmcnt(0)
	s_barrier
	buffer_gl0_inv
                                        ; implicit-def: $vgpr2
	s_cbranch_scc1 .LBB39_131
; %bb.121:                              ;   in Loop: Header=BB39_15 Depth=1
	s_add_i32 s27, s28, s57
                                        ; implicit-def: $vgpr2
	s_mul_hi_u32 s29, s27, s63
	s_mul_i32 s29, s29, s34
	s_sub_i32 s29, s27, s29
	s_sub_i32 s79, s29, s34
	s_cmp_ge_u32 s29, s34
	s_cselect_b32 s29, s79, s29
	s_sub_i32 s79, s29, s34
	s_cmp_ge_u32 s29, s34
	s_cselect_b32 s29, s79, s29
	s_mov_b32 s79, exec_lo
	s_sub_i32 s80, s27, s29
	s_mov_b32 s29, 0
	s_mov_b32 s27, 0
	v_cmpx_gt_u32_e64 s80, v0
	s_cbranch_execz .LBB39_130
; %bb.122:                              ;   in Loop: Header=BB39_15 Depth=1
	v_mov_b32_e32 v8, v19
	v_mov_b32_e32 v33, v0
                                        ; implicit-def: $sgpr81
	s_inst_prefetch 0x1
	s_branch .LBB39_125
	.p2align	6
.LBB39_123:                             ;   in Loop: Header=BB39_125 Depth=2
	s_or_b32 exec_lo, exec_lo, s82
	s_waitcnt lgkmcnt(0)
	s_barrier
	buffer_gl0_inv
	ds_read_b64 v[1:2], v9 offset:3072
	s_mov_b32 s82, -1
	s_mov_b32 s83, -1
	s_waitcnt lgkmcnt(0)
	s_barrier
	buffer_gl0_inv
	v_cmp_ne_u32_e32 vcc_lo, 0, v1
	s_cbranch_vccz .LBB39_128
.LBB39_124:                             ;   in Loop: Header=BB39_125 Depth=2
	s_and_b32 s82, exec_lo, s82
	s_or_b32 s27, s82, s27
	s_andn2_b32 s81, s81, exec_lo
	s_and_b32 s82, s83, exec_lo
	s_or_b32 s81, s81, s82
	s_andn2_b32 exec_lo, exec_lo, s27
	s_cbranch_execz .LBB39_129
.LBB39_125:                             ;   Parent Loop BB39_15 Depth=1
                                        ; =>  This Inner Loop Header: Depth=2
	s_mov_b32 s82, exec_lo
	v_cmpx_gt_u32_e64 s28, v33
	s_cbranch_execz .LBB39_123
; %bb.126:                              ;   in Loop: Header=BB39_125 Depth=2
	ds_read_b32 v16, v8
	s_waitcnt lgkmcnt(0)
	v_xor_b32_e32 v1, 0x80000000, v16
	v_and_b32_e32 v1, v1, v10
	v_cmp_eq_u32_e32 vcc_lo, v1, v4
	s_and_b32 exec_lo, exec_lo, vcc_lo
	s_cbranch_execz .LBB39_123
; %bb.127:                              ;   in Loop: Header=BB39_125 Depth=2
	ds_write_b64 v9, v[15:16] offset:3072
	s_branch .LBB39_123
	.p2align	6
.LBB39_128:                             ;   in Loop: Header=BB39_125 Depth=2
	v_add_nc_u32_e32 v33, s34, v33
	v_add_nc_u32_e32 v8, s53, v8
	s_mov_b32 s83, 0
	v_cmp_le_u32_e32 vcc_lo, s80, v33
	s_orn2_b32 s82, vcc_lo, exec_lo
	s_branch .LBB39_124
.LBB39_129:                             ;   in Loop: Header=BB39_15 Depth=1
	s_inst_prefetch 0x2
	s_or_b32 exec_lo, exec_lo, s27
	s_and_b32 s27, s81, exec_lo
.LBB39_130:                             ;   in Loop: Header=BB39_15 Depth=1
	s_or_b32 exec_lo, exec_lo, s79
.LBB39_131:                             ;   in Loop: Header=BB39_15 Depth=1
	s_and_b32 vcc_lo, exec_lo, s29
	s_cbranch_vccz .LBB39_142
; %bb.132:                              ;   in Loop: Header=BB39_15 Depth=1
                                        ; implicit-def: $vgpr2
	s_and_saveexec_b32 s19, s9
	s_cbranch_execz .LBB39_141
; %bb.133:                              ;   in Loop: Header=BB39_15 Depth=1
	v_mov_b32_e32 v8, v7
	v_mov_b32_e32 v33, v0
	s_mov_b32 s24, 0
                                        ; implicit-def: $sgpr28
	s_inst_prefetch 0x1
	s_branch .LBB39_136
	.p2align	6
.LBB39_134:                             ;   in Loop: Header=BB39_136 Depth=2
	s_or_b32 exec_lo, exec_lo, s29
	s_waitcnt lgkmcnt(0)
	s_barrier
	buffer_gl0_inv
	ds_read_b64 v[1:2], v9 offset:3072
	s_mov_b32 s29, -1
	s_mov_b32 s79, -1
	s_waitcnt lgkmcnt(0)
	s_barrier
	buffer_gl0_inv
	v_cmp_eq_u32_e32 vcc_lo, 0, v1
	s_cbranch_vccnz .LBB39_139
.LBB39_135:                             ;   in Loop: Header=BB39_136 Depth=2
	s_and_b32 s29, exec_lo, s29
	s_or_b32 s24, s29, s24
	s_andn2_b32 s28, s28, exec_lo
	s_and_b32 s29, s79, exec_lo
	s_or_b32 s28, s28, s29
	s_andn2_b32 exec_lo, exec_lo, s24
	s_cbranch_execz .LBB39_140
.LBB39_136:                             ;   Parent Loop BB39_15 Depth=1
                                        ; =>  This Inner Loop Header: Depth=2
	s_mov_b32 s29, exec_lo
	v_cmpx_gt_u32_e64 s36, v33
	s_cbranch_execz .LBB39_134
; %bb.137:                              ;   in Loop: Header=BB39_136 Depth=2
	v_lshlrev_b64 v[1:2], 2, v[8:9]
	v_add_co_u32 v1, vcc_lo, s31, v1
	v_add_co_ci_u32_e64 v2, null, s33, v2, vcc_lo
	global_load_dword v16, v[1:2], off
	s_waitcnt vmcnt(0)
	v_xor_b32_e32 v1, 0x80000000, v16
	v_and_b32_e32 v1, v1, v10
	v_cmp_eq_u32_e32 vcc_lo, v1, v4
	s_and_b32 exec_lo, exec_lo, vcc_lo
	s_cbranch_execz .LBB39_134
; %bb.138:                              ;   in Loop: Header=BB39_136 Depth=2
	ds_write_b64 v9, v[15:16] offset:3072
	s_branch .LBB39_134
.LBB39_139:                             ;   in Loop: Header=BB39_136 Depth=2
	v_add_nc_u32_e32 v33, s34, v33
	v_add_nc_u32_e32 v8, s40, v8
	s_mov_b32 s79, 0
	v_cmp_le_u32_e32 vcc_lo, s64, v33
	s_orn2_b32 s29, vcc_lo, exec_lo
	s_branch .LBB39_135
.LBB39_140:                             ;   in Loop: Header=BB39_15 Depth=1
	s_inst_prefetch 0x2
	s_or_b32 exec_lo, exec_lo, s24
	s_andn2_b32 s24, s27, exec_lo
	s_and_b32 s27, s28, exec_lo
	s_or_b32 s27, s24, s27
.LBB39_141:                             ;   in Loop: Header=BB39_15 Depth=1
	s_or_b32 exec_lo, exec_lo, s19
	s_mov_b32 s19, 0
	s_mov_b32 s24, -1
.LBB39_142:                             ;   in Loop: Header=BB39_15 Depth=1
	s_orn2_b32 s27, s27, exec_lo
.LBB39_143:                             ;   in Loop: Header=BB39_15 Depth=1
	s_or_b32 exec_lo, exec_lo, s25
	s_mov_b32 s28, 0
	s_and_saveexec_b32 s25, s27
	s_cbranch_execz .LBB39_232
; %bb.144:                              ;   in Loop: Header=BB39_15 Depth=1
	v_mov_b32_e32 v33, 1
	v_mov_b32_e32 v3, 1
	s_xor_b32 s27, s26, -1
	s_mov_b32 s79, 0
	s_and_saveexec_b32 s26, s27
	s_cbranch_execz .LBB39_153
; %bb.145:                              ;   in Loop: Header=BB39_15 Depth=1
	s_mov_b32 s27, exec_lo
	v_cmpx_ge_u32_e64 s16, v32
	s_xor_b32 s27, exec_lo, s27
	s_cbranch_execz .LBB39_150
; %bb.146:                              ;   in Loop: Header=BB39_15 Depth=1
	ds_read_b32 v1, v9 offset:4096
	s_lshl_b32 s28, 1, s72
	v_or_b32_e32 v10, s14, v10
	v_and_or_b32 v4, v4, s15, s28
	s_waitcnt lgkmcnt(0)
	v_cmp_ne_u32_e32 vcc_lo, 0, v1
	s_cbranch_vccnz .LBB39_150
; %bb.147:                              ;   in Loop: Header=BB39_15 Depth=1
	s_and_saveexec_b32 s28, s3
; %bb.148:                              ;   in Loop: Header=BB39_15 Depth=1
	v_mov_b32_e32 v1, s16
	ds_write_b32 v9, v1 offset:4100
; %bb.149:                              ;   in Loop: Header=BB39_15 Depth=1
	s_or_b32 exec_lo, exec_lo, s28
	s_waitcnt lgkmcnt(0)
	s_barrier
	buffer_gl0_inv
.LBB39_150:                             ;   in Loop: Header=BB39_15 Depth=1
	s_or_saveexec_b32 s27, s27
	v_mov_b32_e32 v3, 8
	s_mov_b32 s28, 0
	s_xor_b32 exec_lo, exec_lo, s27
; %bb.151:                              ;   in Loop: Header=BB39_15 Depth=1
	v_subrev_nc_u32_e32 v32, s16, v32
	v_mov_b32_e32 v3, 0
	s_mov_b32 s28, exec_lo
; %bb.152:                              ;   in Loop: Header=BB39_15 Depth=1
	s_or_b32 exec_lo, exec_lo, s27
	v_mov_b32_e32 v33, v32
	s_and_b32 s79, s28, exec_lo
.LBB39_153:                             ;   in Loop: Header=BB39_15 Depth=1
	s_or_b32 exec_lo, exec_lo, s26
	s_mov_b32 s29, -1
                                        ; implicit-def: $sgpr27
                                        ; implicit-def: $sgpr28
	s_and_saveexec_b32 s26, s79
	s_cbranch_execz .LBB39_231
; %bb.154:                              ;   in Loop: Header=BB39_15 Depth=1
	v_cmp_eq_u32_e32 vcc_lo, 1, v33
	s_cmp_eq_u32 s17, 1
	s_mov_b32 s80, -1
	s_cselect_b32 s27, -1, 0
                                        ; implicit-def: $sgpr28
	s_and_b32 s79, s27, vcc_lo
                                        ; implicit-def: $sgpr27
	s_and_saveexec_b32 s29, s79
	s_cbranch_execz .LBB39_180
; %bb.155:                              ;   in Loop: Header=BB39_15 Depth=1
	ds_read_b32 v1, v9 offset:4096
	s_waitcnt lgkmcnt(0)
	s_barrier
	buffer_gl0_inv
	v_readfirstlane_b32 s81, v1
	s_and_saveexec_b32 s27, s6
; %bb.156:                              ;   in Loop: Header=BB39_15 Depth=1
	ds_write_b32 v21, v9
; %bb.157:                              ;   in Loop: Header=BB39_15 Depth=1
	s_or_b32 exec_lo, exec_lo, s27
	s_lshl_b32 s27, 2, s72
	v_or_b32_e32 v10, s14, v10
	v_and_or_b32 v4, v4, s15, s27
	s_mov_b32 s27, -1
	s_mov_b32 s28, 0
	s_cmp_eq_u32 s81, 0
	s_mov_b32 s80, 0
	s_mov_b32 s82, -1
	s_waitcnt lgkmcnt(0)
	s_barrier
	buffer_gl0_inv
                                        ; implicit-def: $vgpr2
	s_cbranch_scc1 .LBB39_168
; %bb.158:                              ;   in Loop: Header=BB39_15 Depth=1
	s_add_i32 s80, s81, s57
                                        ; implicit-def: $vgpr2
	s_mul_hi_u32 s82, s80, s63
	s_mul_i32 s82, s82, s34
	s_sub_i32 s82, s80, s82
	s_sub_i32 s83, s82, s34
	s_cmp_ge_u32 s82, s34
	s_cselect_b32 s82, s83, s82
	s_sub_i32 s83, s82, s34
	s_cmp_ge_u32 s82, s34
	s_cselect_b32 s82, s83, s82
	s_mov_b32 s83, exec_lo
	s_sub_i32 s84, s80, s82
	s_mov_b32 s82, 0
	s_mov_b32 s80, 0
	v_cmpx_gt_u32_e64 s84, v0
	s_cbranch_execz .LBB39_167
; %bb.159:                              ;   in Loop: Header=BB39_15 Depth=1
	v_mov_b32_e32 v8, v19
	v_mov_b32_e32 v32, v0
                                        ; implicit-def: $sgpr85
	s_inst_prefetch 0x1
	s_branch .LBB39_162
	.p2align	6
.LBB39_160:                             ;   in Loop: Header=BB39_162 Depth=2
	s_or_b32 exec_lo, exec_lo, s86
	s_waitcnt lgkmcnt(0)
	s_barrier
	buffer_gl0_inv
	ds_read_b64 v[1:2], v9 offset:3072
	s_mov_b32 s86, -1
	s_mov_b32 s87, -1
	s_waitcnt lgkmcnt(0)
	s_barrier
	buffer_gl0_inv
	v_cmp_ne_u32_e32 vcc_lo, 0, v1
	s_cbranch_vccz .LBB39_165
.LBB39_161:                             ;   in Loop: Header=BB39_162 Depth=2
	s_and_b32 s86, exec_lo, s86
	s_or_b32 s80, s86, s80
	s_andn2_b32 s85, s85, exec_lo
	s_and_b32 s86, s87, exec_lo
	s_or_b32 s85, s85, s86
	s_andn2_b32 exec_lo, exec_lo, s80
	s_cbranch_execz .LBB39_166
.LBB39_162:                             ;   Parent Loop BB39_15 Depth=1
                                        ; =>  This Inner Loop Header: Depth=2
	s_mov_b32 s86, exec_lo
	v_cmpx_gt_u32_e64 s81, v32
	s_cbranch_execz .LBB39_160
; %bb.163:                              ;   in Loop: Header=BB39_162 Depth=2
	ds_read_b32 v16, v8
	s_waitcnt lgkmcnt(0)
	v_xor_b32_e32 v1, 0x80000000, v16
	v_and_b32_e32 v1, v1, v10
	v_cmp_eq_u32_e32 vcc_lo, v1, v4
	s_and_b32 exec_lo, exec_lo, vcc_lo
	s_cbranch_execz .LBB39_160
; %bb.164:                              ;   in Loop: Header=BB39_162 Depth=2
	ds_write_b64 v9, v[15:16] offset:3072
	s_branch .LBB39_160
	.p2align	6
.LBB39_165:                             ;   in Loop: Header=BB39_162 Depth=2
	v_add_nc_u32_e32 v32, s34, v32
	v_add_nc_u32_e32 v8, s53, v8
	s_mov_b32 s87, 0
	v_cmp_le_u32_e32 vcc_lo, s84, v32
	s_orn2_b32 s86, vcc_lo, exec_lo
	s_branch .LBB39_161
.LBB39_166:                             ;   in Loop: Header=BB39_15 Depth=1
	s_inst_prefetch 0x2
	s_or_b32 exec_lo, exec_lo, s80
	s_and_b32 s80, s85, exec_lo
.LBB39_167:                             ;   in Loop: Header=BB39_15 Depth=1
	s_or_b32 exec_lo, exec_lo, s83
.LBB39_168:                             ;   in Loop: Header=BB39_15 Depth=1
	s_and_b32 vcc_lo, exec_lo, s82
	s_cbranch_vccz .LBB39_179
; %bb.169:                              ;   in Loop: Header=BB39_15 Depth=1
                                        ; implicit-def: $vgpr2
	s_and_saveexec_b32 s27, s9
	s_cbranch_execz .LBB39_178
; %bb.170:                              ;   in Loop: Header=BB39_15 Depth=1
	v_mov_b32_e32 v8, v7
	v_mov_b32_e32 v32, v0
	s_mov_b32 s28, 0
                                        ; implicit-def: $sgpr81
	s_inst_prefetch 0x1
	s_branch .LBB39_173
	.p2align	6
.LBB39_171:                             ;   in Loop: Header=BB39_173 Depth=2
	s_or_b32 exec_lo, exec_lo, s82
	s_waitcnt lgkmcnt(0)
	s_barrier
	buffer_gl0_inv
	ds_read_b64 v[1:2], v9 offset:3072
	s_mov_b32 s82, -1
	s_mov_b32 s83, -1
	s_waitcnt lgkmcnt(0)
	s_barrier
	buffer_gl0_inv
	v_cmp_eq_u32_e32 vcc_lo, 0, v1
	s_cbranch_vccnz .LBB39_176
.LBB39_172:                             ;   in Loop: Header=BB39_173 Depth=2
	s_and_b32 s82, exec_lo, s82
	s_or_b32 s28, s82, s28
	s_andn2_b32 s81, s81, exec_lo
	s_and_b32 s82, s83, exec_lo
	s_or_b32 s81, s81, s82
	s_andn2_b32 exec_lo, exec_lo, s28
	s_cbranch_execz .LBB39_177
.LBB39_173:                             ;   Parent Loop BB39_15 Depth=1
                                        ; =>  This Inner Loop Header: Depth=2
	s_mov_b32 s82, exec_lo
	v_cmpx_gt_u32_e64 s36, v32
	s_cbranch_execz .LBB39_171
; %bb.174:                              ;   in Loop: Header=BB39_173 Depth=2
	v_lshlrev_b64 v[1:2], 2, v[8:9]
	v_add_co_u32 v1, vcc_lo, s31, v1
	v_add_co_ci_u32_e64 v2, null, s33, v2, vcc_lo
	global_load_dword v16, v[1:2], off
	s_waitcnt vmcnt(0)
	v_xor_b32_e32 v1, 0x80000000, v16
	v_and_b32_e32 v1, v1, v10
	v_cmp_eq_u32_e32 vcc_lo, v1, v4
	s_and_b32 exec_lo, exec_lo, vcc_lo
	s_cbranch_execz .LBB39_171
; %bb.175:                              ;   in Loop: Header=BB39_173 Depth=2
	ds_write_b64 v9, v[15:16] offset:3072
	s_branch .LBB39_171
.LBB39_176:                             ;   in Loop: Header=BB39_173 Depth=2
	v_add_nc_u32_e32 v32, s34, v32
	v_add_nc_u32_e32 v8, s40, v8
	s_mov_b32 s83, 0
	v_cmp_le_u32_e32 vcc_lo, s64, v32
	s_orn2_b32 s82, vcc_lo, exec_lo
	s_branch .LBB39_172
.LBB39_177:                             ;   in Loop: Header=BB39_15 Depth=1
	s_inst_prefetch 0x2
	s_or_b32 exec_lo, exec_lo, s28
	s_andn2_b32 s28, s80, exec_lo
	s_and_b32 s80, s81, exec_lo
	s_or_b32 s80, s28, s80
.LBB39_178:                             ;   in Loop: Header=BB39_15 Depth=1
	s_or_b32 exec_lo, exec_lo, s27
	s_mov_b32 s27, 0
	s_mov_b32 s28, -1
.LBB39_179:                             ;   in Loop: Header=BB39_15 Depth=1
	s_orn2_b32 s80, s80, exec_lo
.LBB39_180:                             ;   in Loop: Header=BB39_15 Depth=1
	s_or_b32 exec_lo, exec_lo, s29
	s_mov_b32 s81, 0
	s_and_saveexec_b32 s29, s80
	s_cbranch_execz .LBB39_230
; %bb.181:                              ;   in Loop: Header=BB39_15 Depth=1
	v_mov_b32_e32 v32, 1
	v_mov_b32_e32 v3, 1
	s_xor_b32 s80, s79, -1
	s_mov_b32 s83, 0
	s_and_saveexec_b32 s79, s80
	s_cbranch_execz .LBB39_190
; %bb.182:                              ;   in Loop: Header=BB39_15 Depth=1
	s_mov_b32 s80, exec_lo
	v_cmpx_ge_u32_e64 s17, v33
	s_xor_b32 s80, exec_lo, s80
	s_cbranch_execz .LBB39_187
; %bb.183:                              ;   in Loop: Header=BB39_15 Depth=1
	ds_read_b32 v1, v9 offset:4096
	s_lshl_b32 s81, 2, s72
	v_or_b32_e32 v10, s14, v10
	v_and_or_b32 v4, v4, s15, s81
	s_waitcnt lgkmcnt(0)
	v_cmp_ne_u32_e32 vcc_lo, 0, v1
	s_cbranch_vccnz .LBB39_187
; %bb.184:                              ;   in Loop: Header=BB39_15 Depth=1
	s_and_saveexec_b32 s81, s3
; %bb.185:                              ;   in Loop: Header=BB39_15 Depth=1
	v_mov_b32_e32 v1, s17
	ds_write_b32 v9, v1 offset:4100
; %bb.186:                              ;   in Loop: Header=BB39_15 Depth=1
	s_or_b32 exec_lo, exec_lo, s81
	s_waitcnt lgkmcnt(0)
	s_barrier
	buffer_gl0_inv
.LBB39_187:                             ;   in Loop: Header=BB39_15 Depth=1
	s_or_saveexec_b32 s80, s80
	v_mov_b32_e32 v3, 8
	s_mov_b32 s81, 0
	s_xor_b32 exec_lo, exec_lo, s80
; %bb.188:                              ;   in Loop: Header=BB39_15 Depth=1
	v_subrev_nc_u32_e32 v33, s17, v33
	v_mov_b32_e32 v3, 0
	s_mov_b32 s81, exec_lo
; %bb.189:                              ;   in Loop: Header=BB39_15 Depth=1
	s_or_b32 exec_lo, exec_lo, s80
	v_mov_b32_e32 v32, v33
	s_and_b32 s83, s81, exec_lo
.LBB39_190:                             ;   in Loop: Header=BB39_15 Depth=1
	s_or_b32 exec_lo, exec_lo, s79
	s_mov_b32 s80, -1
                                        ; implicit-def: $sgpr82
                                        ; implicit-def: $sgpr81
	s_and_saveexec_b32 s79, s83
	s_cbranch_execz .LBB39_229
; %bb.191:                              ;   in Loop: Header=BB39_15 Depth=1
	v_cmp_eq_u32_e32 vcc_lo, 1, v32
	s_cmp_eq_u32 s18, 1
	s_mov_b32 s84, -1
	s_cselect_b32 s80, -1, 0
                                        ; implicit-def: $sgpr82
                                        ; implicit-def: $sgpr81
	s_and_b32 s80, s80, vcc_lo
	s_and_saveexec_b32 s83, s80
	s_cbranch_execz .LBB39_217
; %bb.192:                              ;   in Loop: Header=BB39_15 Depth=1
	ds_read_b32 v1, v9 offset:4096
	s_waitcnt lgkmcnt(0)
	s_barrier
	buffer_gl0_inv
	v_readfirstlane_b32 s85, v1
	s_and_saveexec_b32 s81, s6
; %bb.193:                              ;   in Loop: Header=BB39_15 Depth=1
	ds_write_b32 v21, v9
; %bb.194:                              ;   in Loop: Header=BB39_15 Depth=1
	s_or_b32 exec_lo, exec_lo, s81
	v_or_b32_e32 v4, s14, v4
	v_or_b32_e32 v10, s14, v10
	s_mov_b32 s81, -1
	s_mov_b32 s82, 0
	s_cmp_eq_u32 s85, 0
	s_mov_b32 s84, 0
	s_mov_b32 s86, -1
	s_waitcnt lgkmcnt(0)
	s_barrier
	buffer_gl0_inv
                                        ; implicit-def: $vgpr2
	s_cbranch_scc1 .LBB39_205
; %bb.195:                              ;   in Loop: Header=BB39_15 Depth=1
	s_add_i32 s84, s85, s57
                                        ; implicit-def: $vgpr2
	s_mul_hi_u32 s86, s84, s63
	s_mul_i32 s86, s86, s34
	s_sub_i32 s86, s84, s86
	s_sub_i32 s87, s86, s34
	s_cmp_ge_u32 s86, s34
	s_cselect_b32 s86, s87, s86
	s_sub_i32 s87, s86, s34
	s_cmp_ge_u32 s86, s34
	s_cselect_b32 s86, s87, s86
	s_mov_b32 s87, exec_lo
	s_sub_i32 s88, s84, s86
	s_mov_b32 s86, 0
	s_mov_b32 s84, 0
	v_cmpx_gt_u32_e64 s88, v0
	s_cbranch_execz .LBB39_204
; %bb.196:                              ;   in Loop: Header=BB39_15 Depth=1
	v_mov_b32_e32 v8, v19
	v_mov_b32_e32 v33, v0
                                        ; implicit-def: $sgpr89
	s_inst_prefetch 0x1
	s_branch .LBB39_199
	.p2align	6
.LBB39_197:                             ;   in Loop: Header=BB39_199 Depth=2
	s_or_b32 exec_lo, exec_lo, s90
	s_waitcnt lgkmcnt(0)
	s_barrier
	buffer_gl0_inv
	ds_read_b64 v[1:2], v9 offset:3072
	s_mov_b32 s90, -1
	s_mov_b32 s91, -1
	s_waitcnt lgkmcnt(0)
	s_barrier
	buffer_gl0_inv
	v_cmp_ne_u32_e32 vcc_lo, 0, v1
	s_cbranch_vccz .LBB39_202
.LBB39_198:                             ;   in Loop: Header=BB39_199 Depth=2
	s_and_b32 s90, exec_lo, s90
	s_or_b32 s84, s90, s84
	s_andn2_b32 s89, s89, exec_lo
	s_and_b32 s90, s91, exec_lo
	s_or_b32 s89, s89, s90
	s_andn2_b32 exec_lo, exec_lo, s84
	s_cbranch_execz .LBB39_203
.LBB39_199:                             ;   Parent Loop BB39_15 Depth=1
                                        ; =>  This Inner Loop Header: Depth=2
	s_mov_b32 s90, exec_lo
	v_cmpx_gt_u32_e64 s85, v33
	s_cbranch_execz .LBB39_197
; %bb.200:                              ;   in Loop: Header=BB39_199 Depth=2
	ds_read_b32 v16, v8
	s_waitcnt lgkmcnt(0)
	v_xor_b32_e32 v1, 0x80000000, v16
	v_and_b32_e32 v1, v1, v10
	v_cmp_eq_u32_e32 vcc_lo, v1, v4
	s_and_b32 exec_lo, exec_lo, vcc_lo
	s_cbranch_execz .LBB39_197
; %bb.201:                              ;   in Loop: Header=BB39_199 Depth=2
	ds_write_b64 v9, v[15:16] offset:3072
	s_branch .LBB39_197
	.p2align	6
.LBB39_202:                             ;   in Loop: Header=BB39_199 Depth=2
	v_add_nc_u32_e32 v33, s34, v33
	v_add_nc_u32_e32 v8, s53, v8
	s_mov_b32 s91, 0
	v_cmp_le_u32_e32 vcc_lo, s88, v33
	s_orn2_b32 s90, vcc_lo, exec_lo
	s_branch .LBB39_198
.LBB39_203:                             ;   in Loop: Header=BB39_15 Depth=1
	s_inst_prefetch 0x2
	s_or_b32 exec_lo, exec_lo, s84
	s_and_b32 s84, s89, exec_lo
.LBB39_204:                             ;   in Loop: Header=BB39_15 Depth=1
	s_or_b32 exec_lo, exec_lo, s87
.LBB39_205:                             ;   in Loop: Header=BB39_15 Depth=1
	s_and_b32 vcc_lo, exec_lo, s86
	s_cbranch_vccz .LBB39_216
; %bb.206:                              ;   in Loop: Header=BB39_15 Depth=1
                                        ; implicit-def: $vgpr2
	s_and_saveexec_b32 s81, s9
	s_cbranch_execz .LBB39_215
; %bb.207:                              ;   in Loop: Header=BB39_15 Depth=1
	v_mov_b32_e32 v8, v7
	v_mov_b32_e32 v33, v0
	s_mov_b32 s82, 0
                                        ; implicit-def: $sgpr85
	s_inst_prefetch 0x1
	s_branch .LBB39_210
	.p2align	6
.LBB39_208:                             ;   in Loop: Header=BB39_210 Depth=2
	s_or_b32 exec_lo, exec_lo, s86
	s_waitcnt lgkmcnt(0)
	s_barrier
	buffer_gl0_inv
	ds_read_b64 v[1:2], v9 offset:3072
	s_mov_b32 s86, -1
	s_mov_b32 s87, -1
	s_waitcnt lgkmcnt(0)
	s_barrier
	buffer_gl0_inv
	v_cmp_eq_u32_e32 vcc_lo, 0, v1
	s_cbranch_vccnz .LBB39_213
.LBB39_209:                             ;   in Loop: Header=BB39_210 Depth=2
	s_and_b32 s86, exec_lo, s86
	s_or_b32 s82, s86, s82
	s_andn2_b32 s85, s85, exec_lo
	s_and_b32 s86, s87, exec_lo
	s_or_b32 s85, s85, s86
	s_andn2_b32 exec_lo, exec_lo, s82
	s_cbranch_execz .LBB39_214
.LBB39_210:                             ;   Parent Loop BB39_15 Depth=1
                                        ; =>  This Inner Loop Header: Depth=2
	s_mov_b32 s86, exec_lo
	v_cmpx_gt_u32_e64 s36, v33
	s_cbranch_execz .LBB39_208
; %bb.211:                              ;   in Loop: Header=BB39_210 Depth=2
	v_lshlrev_b64 v[1:2], 2, v[8:9]
	v_add_co_u32 v1, vcc_lo, s31, v1
	v_add_co_ci_u32_e64 v2, null, s33, v2, vcc_lo
	global_load_dword v16, v[1:2], off
	s_waitcnt vmcnt(0)
	v_xor_b32_e32 v1, 0x80000000, v16
	v_and_b32_e32 v1, v1, v10
	v_cmp_eq_u32_e32 vcc_lo, v1, v4
	s_and_b32 exec_lo, exec_lo, vcc_lo
	s_cbranch_execz .LBB39_208
; %bb.212:                              ;   in Loop: Header=BB39_210 Depth=2
	ds_write_b64 v9, v[15:16] offset:3072
	s_branch .LBB39_208
.LBB39_213:                             ;   in Loop: Header=BB39_210 Depth=2
	v_add_nc_u32_e32 v33, s34, v33
	v_add_nc_u32_e32 v8, s40, v8
	s_mov_b32 s87, 0
	v_cmp_le_u32_e32 vcc_lo, s64, v33
	s_orn2_b32 s86, vcc_lo, exec_lo
	s_branch .LBB39_209
.LBB39_214:                             ;   in Loop: Header=BB39_15 Depth=1
	s_inst_prefetch 0x2
	s_or_b32 exec_lo, exec_lo, s82
	s_andn2_b32 s82, s84, exec_lo
	s_and_b32 s84, s85, exec_lo
	s_or_b32 s84, s82, s84
.LBB39_215:                             ;   in Loop: Header=BB39_15 Depth=1
	s_or_b32 exec_lo, exec_lo, s81
	s_mov_b32 s81, 0
	s_mov_b32 s82, -1
.LBB39_216:                             ;   in Loop: Header=BB39_15 Depth=1
	s_orn2_b32 s84, s84, exec_lo
.LBB39_217:                             ;   in Loop: Header=BB39_15 Depth=1
	s_or_b32 exec_lo, exec_lo, s83
	s_mov_b32 s85, 0
	s_and_saveexec_b32 s83, s84
	s_cbranch_execz .LBB39_228
; %bb.218:                              ;   in Loop: Header=BB39_15 Depth=1
	v_mov_b32_e32 v3, 1
	v_mov_b32_e32 v1, 1
	s_xor_b32 s84, s80, -1
	s_and_saveexec_b32 s80, s84
	s_cbranch_execz .LBB39_227
; %bb.219:                              ;   in Loop: Header=BB39_15 Depth=1
	s_mov_b32 s84, exec_lo
	v_cmpx_ge_u32_e64 s18, v32
	s_xor_b32 s84, exec_lo, s84
	s_cbranch_execz .LBB39_224
; %bb.220:                              ;   in Loop: Header=BB39_15 Depth=1
	ds_read_b32 v1, v9 offset:4096
	v_or_b32_e32 v4, s14, v4
	v_or_b32_e32 v10, s14, v10
	s_waitcnt lgkmcnt(0)
	v_cmp_ne_u32_e32 vcc_lo, 0, v1
	s_cbranch_vccnz .LBB39_224
; %bb.221:                              ;   in Loop: Header=BB39_15 Depth=1
	s_and_saveexec_b32 s85, s3
; %bb.222:                              ;   in Loop: Header=BB39_15 Depth=1
	v_mov_b32_e32 v1, s18
	ds_write_b32 v9, v1 offset:4100
; %bb.223:                              ;   in Loop: Header=BB39_15 Depth=1
	s_or_b32 exec_lo, exec_lo, s85
	s_waitcnt lgkmcnt(0)
	s_barrier
	buffer_gl0_inv
.LBB39_224:                             ;   in Loop: Header=BB39_15 Depth=1
	s_andn2_saveexec_b32 s84, s84
; %bb.225:                              ;   in Loop: Header=BB39_15 Depth=1
	v_subrev_nc_u32_e32 v32, s18, v32
; %bb.226:                              ;   in Loop: Header=BB39_15 Depth=1
	s_or_b32 exec_lo, exec_lo, s84
	v_mov_b32_e32 v3, 8
	v_mov_b32_e32 v1, v32
.LBB39_227:                             ;   in Loop: Header=BB39_15 Depth=1
	s_or_b32 exec_lo, exec_lo, s80
	v_mov_b32_e32 v32, v1
	s_mov_b32 s85, exec_lo
.LBB39_228:                             ;   in Loop: Header=BB39_15 Depth=1
	s_or_b32 exec_lo, exec_lo, s83
	s_orn2_b32 s80, s85, exec_lo
.LBB39_229:                             ;   in Loop: Header=BB39_15 Depth=1
	s_or_b32 exec_lo, exec_lo, s79
	v_mov_b32_e32 v33, v32
	s_andn2_b32 s28, s28, exec_lo
	s_and_b32 s79, s82, exec_lo
	s_andn2_b32 s27, s27, exec_lo
	s_and_b32 s81, s81, exec_lo
	s_or_b32 s28, s28, s79
	s_or_b32 s27, s27, s81
	s_and_b32 s81, s80, exec_lo
.LBB39_230:                             ;   in Loop: Header=BB39_15 Depth=1
	s_or_b32 exec_lo, exec_lo, s29
	s_orn2_b32 s29, s81, exec_lo
.LBB39_231:                             ;   in Loop: Header=BB39_15 Depth=1
	s_or_b32 exec_lo, exec_lo, s26
	v_mov_b32_e32 v32, v33
	s_andn2_b32 s24, s24, exec_lo
	s_and_b32 s26, s28, exec_lo
	s_andn2_b32 s19, s19, exec_lo
	s_and_b32 s27, s27, exec_lo
	s_or_b32 s24, s24, s26
	s_or_b32 s19, s19, s27
	s_and_b32 s28, s29, exec_lo
.LBB39_232:                             ;   in Loop: Header=BB39_15 Depth=1
	s_or_b32 exec_lo, exec_lo, s25
	s_orn2_b32 s25, s28, exec_lo
.LBB39_233:                             ;   in Loop: Header=BB39_15 Depth=1
	s_or_b32 exec_lo, exec_lo, s11
	s_mov_b32 s26, 0
	s_mov_b32 s27, 0
	s_and_saveexec_b32 s11, s25
	s_xor_b32 s25, exec_lo, s11
; %bb.234:                              ;   in Loop: Header=BB39_15 Depth=1
	v_cmp_ne_u32_e32 vcc_lo, 8, v3
	v_cmp_eq_u32_e64 s11, 8, v3
	s_and_b32 s27, vcc_lo, exec_lo
	s_and_b32 s26, s11, exec_lo
; %bb.235:                              ;   in Loop: Header=BB39_15 Depth=1
	s_or_b32 exec_lo, exec_lo, s25
	s_andn2_b32 s11, s21, exec_lo
	s_and_b32 s21, s24, exec_lo
	s_andn2_b32 s20, s20, exec_lo
	s_and_b32 s19, s19, exec_lo
	s_or_b32 s21, s11, s21
	s_or_b32 s20, s20, s19
	s_and_b32 s11, s27, exec_lo
	s_and_b32 s19, s26, exec_lo
.LBB39_236:                             ;   in Loop: Header=BB39_15 Depth=1
	s_or_b32 exec_lo, exec_lo, s23
.LBB39_237:                             ;   in Loop: Header=BB39_15 Depth=1
	s_and_b32 vcc_lo, exec_lo, s22
	s_cbranch_vccz .LBB39_250
; %bb.238:                              ;   in Loop: Header=BB39_15 Depth=1
	s_cmp_eq_u32 s18, 1
	s_mov_b32 s21, -1
	s_cselect_b32 s12, -1, 0
                                        ; implicit-def: $sgpr22
	s_and_b32 s10, s12, s10
                                        ; implicit-def: $sgpr12
	s_and_saveexec_b32 s20, s10
	s_cbranch_execz .LBB39_265
; %bb.239:                              ;   in Loop: Header=BB39_15 Depth=1
	ds_read_b32 v1, v9 offset:4096
	s_waitcnt lgkmcnt(0)
	s_barrier
	buffer_gl0_inv
	v_readfirstlane_b32 s23, v1
	s_and_saveexec_b32 s12, s6
; %bb.240:                              ;   in Loop: Header=BB39_15 Depth=1
	ds_write_b32 v21, v9
; %bb.241:                              ;   in Loop: Header=BB39_15 Depth=1
	s_or_b32 exec_lo, exec_lo, s12
	v_or_b32_e32 v23, s14, v23
	v_or_b32_e32 v30, s14, v30
	s_mov_b32 s12, -1
	s_mov_b32 s22, 0
	s_cmp_eq_u32 s23, 0
	s_mov_b32 s21, 0
	s_mov_b32 s24, -1
	s_waitcnt lgkmcnt(0)
	s_barrier
	buffer_gl0_inv
                                        ; implicit-def: $vgpr11
	s_cbranch_scc1 .LBB39_253
; %bb.242:                              ;   in Loop: Header=BB39_15 Depth=1
	s_add_i32 s21, s23, s57
                                        ; implicit-def: $vgpr11
	s_mul_hi_u32 s24, s21, s63
	s_mul_i32 s24, s24, s34
	s_sub_i32 s24, s21, s24
	s_sub_i32 s25, s24, s34
	s_cmp_ge_u32 s24, s34
	s_cselect_b32 s24, s25, s24
	s_sub_i32 s25, s24, s34
	s_cmp_ge_u32 s24, s34
	s_cselect_b32 s24, s25, s24
	s_mov_b32 s25, exec_lo
	s_sub_i32 s26, s21, s24
	s_mov_b32 s24, 0
	s_mov_b32 s21, 0
	v_cmpx_gt_u32_e64 s26, v0
	s_cbranch_execz .LBB39_252
; %bb.243:                              ;   in Loop: Header=BB39_15 Depth=1
	v_mov_b32_e32 v1, v19
	v_mov_b32_e32 v2, v0
                                        ; implicit-def: $sgpr27
	s_inst_prefetch 0x1
	s_branch .LBB39_246
	.p2align	6
.LBB39_244:                             ;   in Loop: Header=BB39_246 Depth=2
	s_or_b32 exec_lo, exec_lo, s28
	s_waitcnt lgkmcnt(0)
	s_barrier
	buffer_gl0_inv
	ds_read_b64 v[10:11], v9 offset:3072
	s_mov_b32 s28, -1
	s_mov_b32 s29, -1
	s_waitcnt lgkmcnt(0)
	s_barrier
	buffer_gl0_inv
	v_cmp_ne_u32_e32 vcc_lo, 0, v10
	s_cbranch_vccz .LBB39_249
.LBB39_245:                             ;   in Loop: Header=BB39_246 Depth=2
	s_and_b32 s28, exec_lo, s28
	s_or_b32 s21, s28, s21
	s_andn2_b32 s27, s27, exec_lo
	s_and_b32 s28, s29, exec_lo
	s_or_b32 s27, s27, s28
	s_andn2_b32 exec_lo, exec_lo, s21
	s_cbranch_execz .LBB39_251
.LBB39_246:                             ;   Parent Loop BB39_15 Depth=1
                                        ; =>  This Inner Loop Header: Depth=2
	s_mov_b32 s28, exec_lo
	v_cmpx_gt_u32_e64 s23, v2
	s_cbranch_execz .LBB39_244
; %bb.247:                              ;   in Loop: Header=BB39_246 Depth=2
	ds_read_b32 v16, v1
	s_waitcnt lgkmcnt(0)
	v_xor_b32_e32 v3, 0x80000000, v16
	v_and_b32_e32 v3, v3, v30
	v_cmp_eq_u32_e32 vcc_lo, v3, v23
	s_and_b32 exec_lo, exec_lo, vcc_lo
	s_cbranch_execz .LBB39_244
; %bb.248:                              ;   in Loop: Header=BB39_246 Depth=2
	ds_write_b64 v9, v[15:16] offset:3072
	s_branch .LBB39_244
	.p2align	6
.LBB39_249:                             ;   in Loop: Header=BB39_246 Depth=2
	v_add_nc_u32_e32 v2, s34, v2
	v_add_nc_u32_e32 v1, s53, v1
	s_mov_b32 s29, 0
	v_cmp_le_u32_e32 vcc_lo, s26, v2
	s_orn2_b32 s28, vcc_lo, exec_lo
	s_branch .LBB39_245
.LBB39_250:                             ;   in Loop: Header=BB39_15 Depth=1
	v_mov_b32_e32 v23, v4
	v_mov_b32_e32 v30, v10
	;; [unrolled: 1-line block ×3, first 2 shown]
	s_mov_b32 s22, 0
	s_and_saveexec_b32 s10, s19
	s_cbranch_execnz .LBB39_396
	s_branch .LBB39_397
.LBB39_251:                             ;   in Loop: Header=BB39_15 Depth=1
	s_inst_prefetch 0x2
	s_or_b32 exec_lo, exec_lo, s21
	s_and_b32 s21, s27, exec_lo
.LBB39_252:                             ;   in Loop: Header=BB39_15 Depth=1
	s_or_b32 exec_lo, exec_lo, s25
.LBB39_253:                             ;   in Loop: Header=BB39_15 Depth=1
	s_and_b32 vcc_lo, exec_lo, s24
	s_cbranch_vccz .LBB39_264
; %bb.254:                              ;   in Loop: Header=BB39_15 Depth=1
                                        ; implicit-def: $vgpr11
	s_and_saveexec_b32 s12, s9
	s_cbranch_execz .LBB39_263
; %bb.255:                              ;   in Loop: Header=BB39_15 Depth=1
	v_mov_b32_e32 v8, v7
	v_mov_b32_e32 v1, v0
	s_mov_b32 s22, 0
                                        ; implicit-def: $sgpr23
	s_inst_prefetch 0x1
	s_branch .LBB39_258
	.p2align	6
.LBB39_256:                             ;   in Loop: Header=BB39_258 Depth=2
	s_or_b32 exec_lo, exec_lo, s24
	s_waitcnt lgkmcnt(0)
	s_barrier
	buffer_gl0_inv
	ds_read_b64 v[10:11], v9 offset:3072
	s_mov_b32 s24, -1
	s_mov_b32 s25, -1
	s_waitcnt lgkmcnt(0)
	s_barrier
	buffer_gl0_inv
	v_cmp_ne_u32_e32 vcc_lo, 0, v10
	s_cbranch_vccz .LBB39_261
.LBB39_257:                             ;   in Loop: Header=BB39_258 Depth=2
	s_and_b32 s24, exec_lo, s24
	s_or_b32 s22, s24, s22
	s_andn2_b32 s23, s23, exec_lo
	s_and_b32 s24, s25, exec_lo
	s_or_b32 s23, s23, s24
	s_andn2_b32 exec_lo, exec_lo, s22
	s_cbranch_execz .LBB39_262
.LBB39_258:                             ;   Parent Loop BB39_15 Depth=1
                                        ; =>  This Inner Loop Header: Depth=2
	s_mov_b32 s24, exec_lo
	v_cmpx_gt_u32_e64 s36, v1
	s_cbranch_execz .LBB39_256
; %bb.259:                              ;   in Loop: Header=BB39_258 Depth=2
	v_lshlrev_b64 v[2:3], 2, v[8:9]
	v_add_co_u32 v2, vcc_lo, s31, v2
	v_add_co_ci_u32_e64 v3, null, s33, v3, vcc_lo
	global_load_dword v16, v[2:3], off
	s_waitcnt vmcnt(0)
	v_xor_b32_e32 v2, 0x80000000, v16
	v_and_b32_e32 v2, v2, v30
	v_cmp_eq_u32_e32 vcc_lo, v2, v23
	s_and_b32 exec_lo, exec_lo, vcc_lo
	s_cbranch_execz .LBB39_256
; %bb.260:                              ;   in Loop: Header=BB39_258 Depth=2
	ds_write_b64 v9, v[15:16] offset:3072
	s_branch .LBB39_256
.LBB39_261:                             ;   in Loop: Header=BB39_258 Depth=2
	v_add_nc_u32_e32 v1, s34, v1
	v_add_nc_u32_e32 v8, s40, v8
	s_mov_b32 s25, 0
	v_cmp_le_u32_e32 vcc_lo, s64, v1
	s_orn2_b32 s24, vcc_lo, exec_lo
	s_branch .LBB39_257
.LBB39_262:                             ;   in Loop: Header=BB39_15 Depth=1
	s_inst_prefetch 0x2
	s_or_b32 exec_lo, exec_lo, s22
	s_andn2_b32 s21, s21, exec_lo
	s_and_b32 s22, s23, exec_lo
	s_or_b32 s21, s21, s22
.LBB39_263:                             ;   in Loop: Header=BB39_15 Depth=1
	s_or_b32 exec_lo, exec_lo, s12
	s_mov_b32 s12, 0
	s_mov_b32 s22, -1
.LBB39_264:                             ;   in Loop: Header=BB39_15 Depth=1
	s_orn2_b32 s21, s21, exec_lo
.LBB39_265:                             ;   in Loop: Header=BB39_15 Depth=1
	s_or_b32 exec_lo, exec_lo, s20
                                        ; implicit-def: $vgpr32
                                        ; implicit-def: $vgpr3
	s_and_saveexec_b32 s20, s21
	s_cbranch_execz .LBB39_395
; %bb.266:                              ;   in Loop: Header=BB39_15 Depth=1
	v_mov_b32_e32 v32, 1
	v_mov_b32_e32 v3, 1
	s_xor_b32 s21, s10, -1
	s_mov_b32 s24, 0
	s_and_saveexec_b32 s10, s21
	s_cbranch_execz .LBB39_275
; %bb.267:                              ;   in Loop: Header=BB39_15 Depth=1
	s_mov_b32 s21, exec_lo
	v_cmpx_ge_u32_e64 s18, v31
	s_xor_b32 s21, exec_lo, s21
	s_cbranch_execz .LBB39_272
; %bb.268:                              ;   in Loop: Header=BB39_15 Depth=1
	ds_read_b32 v1, v9 offset:4096
	v_or_b32_e32 v23, s14, v23
	v_or_b32_e32 v30, s14, v30
	s_waitcnt lgkmcnt(0)
	v_cmp_ne_u32_e32 vcc_lo, 0, v1
	s_cbranch_vccnz .LBB39_272
; %bb.269:                              ;   in Loop: Header=BB39_15 Depth=1
	s_and_saveexec_b32 s23, s3
; %bb.270:                              ;   in Loop: Header=BB39_15 Depth=1
	v_mov_b32_e32 v1, s18
	ds_write_b32 v9, v1 offset:4100
; %bb.271:                              ;   in Loop: Header=BB39_15 Depth=1
	s_or_b32 exec_lo, exec_lo, s23
	s_waitcnt lgkmcnt(0)
	s_barrier
	buffer_gl0_inv
.LBB39_272:                             ;   in Loop: Header=BB39_15 Depth=1
	s_or_saveexec_b32 s21, s21
	v_mov_b32_e32 v3, 5
	s_mov_b32 s23, 0
	s_xor_b32 exec_lo, exec_lo, s21
; %bb.273:                              ;   in Loop: Header=BB39_15 Depth=1
	v_subrev_nc_u32_e32 v31, s18, v31
	v_mov_b32_e32 v3, 0
	s_mov_b32 s23, exec_lo
; %bb.274:                              ;   in Loop: Header=BB39_15 Depth=1
	s_or_b32 exec_lo, exec_lo, s21
	v_mov_b32_e32 v32, v31
	s_and_b32 s24, s23, exec_lo
.LBB39_275:                             ;   in Loop: Header=BB39_15 Depth=1
	s_or_b32 exec_lo, exec_lo, s10
	s_mov_b32 s23, -1
                                        ; implicit-def: $sgpr18
                                        ; implicit-def: $sgpr21
	s_and_saveexec_b32 s10, s24
	s_xor_b32 s10, exec_lo, s10
	s_cbranch_execz .LBB39_392
; %bb.276:                              ;   in Loop: Header=BB39_15 Depth=1
	v_cmp_eq_u32_e32 vcc_lo, 1, v32
	s_cmp_eq_u32 s17, 1
	s_mov_b32 s25, -1
	s_cselect_b32 s18, -1, 0
                                        ; implicit-def: $sgpr21
	s_and_b32 s24, s18, vcc_lo
                                        ; implicit-def: $sgpr18
	s_and_saveexec_b32 s23, s24
	s_cbranch_execz .LBB39_302
; %bb.277:                              ;   in Loop: Header=BB39_15 Depth=1
	ds_read_b32 v1, v9 offset:4096
	s_waitcnt lgkmcnt(0)
	s_barrier
	buffer_gl0_inv
	v_readfirstlane_b32 s26, v1
	s_and_saveexec_b32 s18, s6
; %bb.278:                              ;   in Loop: Header=BB39_15 Depth=1
	ds_write_b32 v21, v9
; %bb.279:                              ;   in Loop: Header=BB39_15 Depth=1
	s_or_b32 exec_lo, exec_lo, s18
	s_lshl_b32 s18, 2, s72
	v_or_b32_e32 v30, s14, v30
	v_and_or_b32 v23, v23, s15, s18
	s_mov_b32 s18, -1
	s_mov_b32 s21, 0
	s_cmp_eq_u32 s26, 0
	s_mov_b32 s25, 0
	s_mov_b32 s27, -1
	s_waitcnt lgkmcnt(0)
	s_barrier
	buffer_gl0_inv
                                        ; implicit-def: $vgpr11
	s_cbranch_scc1 .LBB39_290
; %bb.280:                              ;   in Loop: Header=BB39_15 Depth=1
	s_add_i32 s25, s26, s57
                                        ; implicit-def: $vgpr11
	s_mul_hi_u32 s27, s25, s63
	s_mul_i32 s27, s27, s34
	s_sub_i32 s27, s25, s27
	s_sub_i32 s28, s27, s34
	s_cmp_ge_u32 s27, s34
	s_cselect_b32 s27, s28, s27
	s_sub_i32 s28, s27, s34
	s_cmp_ge_u32 s27, s34
	s_cselect_b32 s27, s28, s27
	s_mov_b32 s28, exec_lo
	s_sub_i32 s29, s25, s27
	s_mov_b32 s27, 0
	s_mov_b32 s25, 0
	v_cmpx_gt_u32_e64 s29, v0
	s_cbranch_execz .LBB39_289
; %bb.281:                              ;   in Loop: Header=BB39_15 Depth=1
	v_mov_b32_e32 v1, v19
	v_mov_b32_e32 v2, v0
                                        ; implicit-def: $sgpr79
	s_inst_prefetch 0x1
	s_branch .LBB39_284
	.p2align	6
.LBB39_282:                             ;   in Loop: Header=BB39_284 Depth=2
	s_or_b32 exec_lo, exec_lo, s80
	s_waitcnt lgkmcnt(0)
	s_barrier
	buffer_gl0_inv
	ds_read_b64 v[10:11], v9 offset:3072
	s_mov_b32 s80, -1
	s_mov_b32 s81, -1
	s_waitcnt lgkmcnt(0)
	s_barrier
	buffer_gl0_inv
	v_cmp_ne_u32_e32 vcc_lo, 0, v10
	s_cbranch_vccz .LBB39_287
.LBB39_283:                             ;   in Loop: Header=BB39_284 Depth=2
	s_and_b32 s80, exec_lo, s80
	s_or_b32 s25, s80, s25
	s_andn2_b32 s79, s79, exec_lo
	s_and_b32 s80, s81, exec_lo
	s_or_b32 s79, s79, s80
	s_andn2_b32 exec_lo, exec_lo, s25
	s_cbranch_execz .LBB39_288
.LBB39_284:                             ;   Parent Loop BB39_15 Depth=1
                                        ; =>  This Inner Loop Header: Depth=2
	s_mov_b32 s80, exec_lo
	v_cmpx_gt_u32_e64 s26, v2
	s_cbranch_execz .LBB39_282
; %bb.285:                              ;   in Loop: Header=BB39_284 Depth=2
	ds_read_b32 v16, v1
	s_waitcnt lgkmcnt(0)
	v_xor_b32_e32 v4, 0x80000000, v16
	v_and_b32_e32 v4, v4, v30
	v_cmp_eq_u32_e32 vcc_lo, v4, v23
	s_and_b32 exec_lo, exec_lo, vcc_lo
	s_cbranch_execz .LBB39_282
; %bb.286:                              ;   in Loop: Header=BB39_284 Depth=2
	ds_write_b64 v9, v[15:16] offset:3072
	s_branch .LBB39_282
	.p2align	6
.LBB39_287:                             ;   in Loop: Header=BB39_284 Depth=2
	v_add_nc_u32_e32 v2, s34, v2
	v_add_nc_u32_e32 v1, s53, v1
	s_mov_b32 s81, 0
	v_cmp_le_u32_e32 vcc_lo, s29, v2
	s_orn2_b32 s80, vcc_lo, exec_lo
	s_branch .LBB39_283
.LBB39_288:                             ;   in Loop: Header=BB39_15 Depth=1
	s_inst_prefetch 0x2
	s_or_b32 exec_lo, exec_lo, s25
	s_and_b32 s25, s79, exec_lo
.LBB39_289:                             ;   in Loop: Header=BB39_15 Depth=1
	s_or_b32 exec_lo, exec_lo, s28
.LBB39_290:                             ;   in Loop: Header=BB39_15 Depth=1
	s_and_b32 vcc_lo, exec_lo, s27
	s_cbranch_vccz .LBB39_301
; %bb.291:                              ;   in Loop: Header=BB39_15 Depth=1
                                        ; implicit-def: $vgpr11
	s_and_saveexec_b32 s18, s9
	s_cbranch_execz .LBB39_300
; %bb.292:                              ;   in Loop: Header=BB39_15 Depth=1
	v_mov_b32_e32 v8, v7
	v_mov_b32_e32 v1, v0
	s_mov_b32 s21, 0
                                        ; implicit-def: $sgpr26
	s_inst_prefetch 0x1
	s_branch .LBB39_295
	.p2align	6
.LBB39_293:                             ;   in Loop: Header=BB39_295 Depth=2
	s_or_b32 exec_lo, exec_lo, s27
	s_waitcnt lgkmcnt(0)
	s_barrier
	buffer_gl0_inv
	ds_read_b64 v[10:11], v9 offset:3072
	s_mov_b32 s27, -1
	s_mov_b32 s28, -1
	s_waitcnt lgkmcnt(0)
	s_barrier
	buffer_gl0_inv
	v_cmp_eq_u32_e32 vcc_lo, 0, v10
	s_cbranch_vccnz .LBB39_298
.LBB39_294:                             ;   in Loop: Header=BB39_295 Depth=2
	s_and_b32 s27, exec_lo, s27
	s_or_b32 s21, s27, s21
	s_andn2_b32 s26, s26, exec_lo
	s_and_b32 s27, s28, exec_lo
	s_or_b32 s26, s26, s27
	s_andn2_b32 exec_lo, exec_lo, s21
	s_cbranch_execz .LBB39_299
.LBB39_295:                             ;   Parent Loop BB39_15 Depth=1
                                        ; =>  This Inner Loop Header: Depth=2
	s_mov_b32 s27, exec_lo
	v_cmpx_gt_u32_e64 s36, v1
	s_cbranch_execz .LBB39_293
; %bb.296:                              ;   in Loop: Header=BB39_295 Depth=2
	v_lshlrev_b64 v[10:11], 2, v[8:9]
	v_add_co_u32 v10, vcc_lo, s31, v10
	v_add_co_ci_u32_e64 v11, null, s33, v11, vcc_lo
	global_load_dword v16, v[10:11], off
	s_waitcnt vmcnt(0)
	v_xor_b32_e32 v2, 0x80000000, v16
	v_and_b32_e32 v2, v2, v30
	v_cmp_eq_u32_e32 vcc_lo, v2, v23
	s_and_b32 exec_lo, exec_lo, vcc_lo
	s_cbranch_execz .LBB39_293
; %bb.297:                              ;   in Loop: Header=BB39_295 Depth=2
	ds_write_b64 v9, v[15:16] offset:3072
	s_branch .LBB39_293
.LBB39_298:                             ;   in Loop: Header=BB39_295 Depth=2
	v_add_nc_u32_e32 v1, s34, v1
	v_add_nc_u32_e32 v8, s40, v8
	s_mov_b32 s28, 0
	v_cmp_le_u32_e32 vcc_lo, s64, v1
	s_orn2_b32 s27, vcc_lo, exec_lo
	s_branch .LBB39_294
.LBB39_299:                             ;   in Loop: Header=BB39_15 Depth=1
	s_inst_prefetch 0x2
	s_or_b32 exec_lo, exec_lo, s21
	s_andn2_b32 s21, s25, exec_lo
	s_and_b32 s25, s26, exec_lo
	s_or_b32 s25, s21, s25
.LBB39_300:                             ;   in Loop: Header=BB39_15 Depth=1
	s_or_b32 exec_lo, exec_lo, s18
	s_mov_b32 s18, 0
	s_mov_b32 s21, -1
.LBB39_301:                             ;   in Loop: Header=BB39_15 Depth=1
	s_orn2_b32 s25, s25, exec_lo
.LBB39_302:                             ;   in Loop: Header=BB39_15 Depth=1
	s_or_b32 exec_lo, exec_lo, s23
	s_mov_b32 s26, 0
	s_and_saveexec_b32 s23, s25
	s_cbranch_execz .LBB39_391
; %bb.303:                              ;   in Loop: Header=BB39_15 Depth=1
	v_mov_b32_e32 v1, 1
	v_mov_b32_e32 v3, 1
	s_xor_b32 s25, s24, -1
	s_mov_b32 s27, 0
	s_and_saveexec_b32 s24, s25
	s_cbranch_execz .LBB39_312
; %bb.304:                              ;   in Loop: Header=BB39_15 Depth=1
	s_mov_b32 s25, exec_lo
	v_cmpx_ge_u32_e64 s17, v32
	s_xor_b32 s25, exec_lo, s25
	s_cbranch_execz .LBB39_309
; %bb.305:                              ;   in Loop: Header=BB39_15 Depth=1
	ds_read_b32 v1, v9 offset:4096
	s_lshl_b32 s26, 2, s72
	v_or_b32_e32 v30, s14, v30
	v_and_or_b32 v23, v23, s15, s26
	s_waitcnt lgkmcnt(0)
	v_cmp_ne_u32_e32 vcc_lo, 0, v1
	s_cbranch_vccnz .LBB39_309
; %bb.306:                              ;   in Loop: Header=BB39_15 Depth=1
	s_and_saveexec_b32 s26, s3
; %bb.307:                              ;   in Loop: Header=BB39_15 Depth=1
	v_mov_b32_e32 v1, s17
	ds_write_b32 v9, v1 offset:4100
; %bb.308:                              ;   in Loop: Header=BB39_15 Depth=1
	s_or_b32 exec_lo, exec_lo, s26
	s_waitcnt lgkmcnt(0)
	s_barrier
	buffer_gl0_inv
.LBB39_309:                             ;   in Loop: Header=BB39_15 Depth=1
	s_or_saveexec_b32 s25, s25
	v_mov_b32_e32 v3, 5
	s_mov_b32 s26, 0
	s_xor_b32 exec_lo, exec_lo, s25
; %bb.310:                              ;   in Loop: Header=BB39_15 Depth=1
	v_subrev_nc_u32_e32 v32, s17, v32
	v_mov_b32_e32 v3, 0
	s_mov_b32 s26, exec_lo
; %bb.311:                              ;   in Loop: Header=BB39_15 Depth=1
	s_or_b32 exec_lo, exec_lo, s25
	v_mov_b32_e32 v1, v32
	s_and_b32 s27, s26, exec_lo
.LBB39_312:                             ;   in Loop: Header=BB39_15 Depth=1
	s_or_b32 exec_lo, exec_lo, s24
	s_mov_b32 s26, -1
                                        ; implicit-def: $sgpr24
                                        ; implicit-def: $sgpr25
	s_and_saveexec_b32 s17, s27
	s_cbranch_execz .LBB39_390
; %bb.313:                              ;   in Loop: Header=BB39_15 Depth=1
	v_cmp_eq_u32_e32 vcc_lo, 1, v1
	s_cmp_eq_u32 s16, 1
	s_mov_b32 s28, -1
	s_cselect_b32 s24, -1, 0
                                        ; implicit-def: $sgpr25
	s_and_b32 s27, s24, vcc_lo
                                        ; implicit-def: $sgpr24
	s_and_saveexec_b32 s26, s27
	s_cbranch_execz .LBB39_339
; %bb.314:                              ;   in Loop: Header=BB39_15 Depth=1
	ds_read_b32 v2, v9 offset:4096
	s_waitcnt lgkmcnt(0)
	s_barrier
	buffer_gl0_inv
	v_readfirstlane_b32 s29, v2
	s_and_saveexec_b32 s24, s6
; %bb.315:                              ;   in Loop: Header=BB39_15 Depth=1
	ds_write_b32 v21, v9
; %bb.316:                              ;   in Loop: Header=BB39_15 Depth=1
	s_or_b32 exec_lo, exec_lo, s24
	s_lshl_b32 s24, 1, s72
	v_or_b32_e32 v30, s14, v30
	v_and_or_b32 v23, v23, s15, s24
	s_mov_b32 s24, -1
	s_mov_b32 s25, 0
	s_cmp_eq_u32 s29, 0
	s_mov_b32 s28, 0
	s_mov_b32 s79, -1
	s_waitcnt lgkmcnt(0)
	s_barrier
	buffer_gl0_inv
                                        ; implicit-def: $vgpr11
	s_cbranch_scc1 .LBB39_327
; %bb.317:                              ;   in Loop: Header=BB39_15 Depth=1
	s_add_i32 s28, s29, s57
                                        ; implicit-def: $vgpr11
	s_mul_hi_u32 s79, s28, s63
	s_mul_i32 s79, s79, s34
	s_sub_i32 s79, s28, s79
	s_sub_i32 s80, s79, s34
	s_cmp_ge_u32 s79, s34
	s_cselect_b32 s79, s80, s79
	s_sub_i32 s80, s79, s34
	s_cmp_ge_u32 s79, s34
	s_cselect_b32 s79, s80, s79
	s_mov_b32 s80, exec_lo
	s_sub_i32 s81, s28, s79
	s_mov_b32 s79, 0
	s_mov_b32 s28, 0
	v_cmpx_gt_u32_e64 s81, v0
	s_cbranch_execz .LBB39_326
; %bb.318:                              ;   in Loop: Header=BB39_15 Depth=1
	v_mov_b32_e32 v2, v19
	v_mov_b32_e32 v4, v0
                                        ; implicit-def: $sgpr82
	s_inst_prefetch 0x1
	s_branch .LBB39_321
	.p2align	6
.LBB39_319:                             ;   in Loop: Header=BB39_321 Depth=2
	s_or_b32 exec_lo, exec_lo, s83
	s_waitcnt lgkmcnt(0)
	s_barrier
	buffer_gl0_inv
	ds_read_b64 v[10:11], v9 offset:3072
	s_mov_b32 s83, -1
	s_mov_b32 s84, -1
	s_waitcnt lgkmcnt(0)
	s_barrier
	buffer_gl0_inv
	v_cmp_ne_u32_e32 vcc_lo, 0, v10
	s_cbranch_vccz .LBB39_324
.LBB39_320:                             ;   in Loop: Header=BB39_321 Depth=2
	s_and_b32 s83, exec_lo, s83
	s_or_b32 s28, s83, s28
	s_andn2_b32 s82, s82, exec_lo
	s_and_b32 s83, s84, exec_lo
	s_or_b32 s82, s82, s83
	s_andn2_b32 exec_lo, exec_lo, s28
	s_cbranch_execz .LBB39_325
.LBB39_321:                             ;   Parent Loop BB39_15 Depth=1
                                        ; =>  This Inner Loop Header: Depth=2
	s_mov_b32 s83, exec_lo
	v_cmpx_gt_u32_e64 s29, v4
	s_cbranch_execz .LBB39_319
; %bb.322:                              ;   in Loop: Header=BB39_321 Depth=2
	ds_read_b32 v16, v2
	s_waitcnt lgkmcnt(0)
	v_xor_b32_e32 v8, 0x80000000, v16
	v_and_b32_e32 v8, v8, v30
	v_cmp_eq_u32_e32 vcc_lo, v8, v23
	s_and_b32 exec_lo, exec_lo, vcc_lo
	s_cbranch_execz .LBB39_319
; %bb.323:                              ;   in Loop: Header=BB39_321 Depth=2
	ds_write_b64 v9, v[15:16] offset:3072
	s_branch .LBB39_319
	.p2align	6
.LBB39_324:                             ;   in Loop: Header=BB39_321 Depth=2
	v_add_nc_u32_e32 v4, s34, v4
	v_add_nc_u32_e32 v2, s53, v2
	s_mov_b32 s84, 0
	v_cmp_le_u32_e32 vcc_lo, s81, v4
	s_orn2_b32 s83, vcc_lo, exec_lo
	s_branch .LBB39_320
.LBB39_325:                             ;   in Loop: Header=BB39_15 Depth=1
	s_inst_prefetch 0x2
	s_or_b32 exec_lo, exec_lo, s28
	s_and_b32 s28, s82, exec_lo
.LBB39_326:                             ;   in Loop: Header=BB39_15 Depth=1
	s_or_b32 exec_lo, exec_lo, s80
.LBB39_327:                             ;   in Loop: Header=BB39_15 Depth=1
	s_and_b32 vcc_lo, exec_lo, s79
	s_cbranch_vccz .LBB39_338
; %bb.328:                              ;   in Loop: Header=BB39_15 Depth=1
                                        ; implicit-def: $vgpr11
	s_and_saveexec_b32 s24, s9
	s_cbranch_execz .LBB39_337
; %bb.329:                              ;   in Loop: Header=BB39_15 Depth=1
	v_mov_b32_e32 v8, v7
	v_mov_b32_e32 v2, v0
	s_mov_b32 s25, 0
                                        ; implicit-def: $sgpr29
	s_inst_prefetch 0x1
	s_branch .LBB39_332
	.p2align	6
.LBB39_330:                             ;   in Loop: Header=BB39_332 Depth=2
	s_or_b32 exec_lo, exec_lo, s79
	s_waitcnt lgkmcnt(0)
	s_barrier
	buffer_gl0_inv
	ds_read_b64 v[10:11], v9 offset:3072
	s_mov_b32 s79, -1
	s_mov_b32 s80, -1
	s_waitcnt lgkmcnt(0)
	s_barrier
	buffer_gl0_inv
	v_cmp_eq_u32_e32 vcc_lo, 0, v10
	s_cbranch_vccnz .LBB39_335
.LBB39_331:                             ;   in Loop: Header=BB39_332 Depth=2
	s_and_b32 s79, exec_lo, s79
	s_or_b32 s25, s79, s25
	s_andn2_b32 s29, s29, exec_lo
	s_and_b32 s79, s80, exec_lo
	s_or_b32 s29, s29, s79
	s_andn2_b32 exec_lo, exec_lo, s25
	s_cbranch_execz .LBB39_336
.LBB39_332:                             ;   Parent Loop BB39_15 Depth=1
                                        ; =>  This Inner Loop Header: Depth=2
	s_mov_b32 s79, exec_lo
	v_cmpx_gt_u32_e64 s36, v2
	s_cbranch_execz .LBB39_330
; %bb.333:                              ;   in Loop: Header=BB39_332 Depth=2
	v_lshlrev_b64 v[10:11], 2, v[8:9]
	v_add_co_u32 v10, vcc_lo, s31, v10
	v_add_co_ci_u32_e64 v11, null, s33, v11, vcc_lo
	global_load_dword v16, v[10:11], off
	s_waitcnt vmcnt(0)
	v_xor_b32_e32 v4, 0x80000000, v16
	v_and_b32_e32 v4, v4, v30
	v_cmp_eq_u32_e32 vcc_lo, v4, v23
	s_and_b32 exec_lo, exec_lo, vcc_lo
	s_cbranch_execz .LBB39_330
; %bb.334:                              ;   in Loop: Header=BB39_332 Depth=2
	ds_write_b64 v9, v[15:16] offset:3072
	s_branch .LBB39_330
.LBB39_335:                             ;   in Loop: Header=BB39_332 Depth=2
	v_add_nc_u32_e32 v2, s34, v2
	v_add_nc_u32_e32 v8, s40, v8
	s_mov_b32 s80, 0
	v_cmp_le_u32_e32 vcc_lo, s64, v2
	s_orn2_b32 s79, vcc_lo, exec_lo
	s_branch .LBB39_331
.LBB39_336:                             ;   in Loop: Header=BB39_15 Depth=1
	s_inst_prefetch 0x2
	s_or_b32 exec_lo, exec_lo, s25
	s_andn2_b32 s25, s28, exec_lo
	s_and_b32 s28, s29, exec_lo
	s_or_b32 s28, s25, s28
.LBB39_337:                             ;   in Loop: Header=BB39_15 Depth=1
	s_or_b32 exec_lo, exec_lo, s24
	s_mov_b32 s24, 0
	s_mov_b32 s25, -1
.LBB39_338:                             ;   in Loop: Header=BB39_15 Depth=1
	s_orn2_b32 s28, s28, exec_lo
.LBB39_339:                             ;   in Loop: Header=BB39_15 Depth=1
	s_or_b32 exec_lo, exec_lo, s26
	s_mov_b32 s29, 0
	s_and_saveexec_b32 s26, s28
	s_cbranch_execz .LBB39_389
; %bb.340:                              ;   in Loop: Header=BB39_15 Depth=1
	v_mov_b32_e32 v2, 1
	v_mov_b32_e32 v3, 1
	s_xor_b32 s28, s27, -1
	s_mov_b32 s79, 0
	s_and_saveexec_b32 s27, s28
	s_cbranch_execz .LBB39_349
; %bb.341:                              ;   in Loop: Header=BB39_15 Depth=1
	s_mov_b32 s28, exec_lo
	v_cmpx_ge_u32_e64 s16, v1
	s_xor_b32 s28, exec_lo, s28
	s_cbranch_execz .LBB39_346
; %bb.342:                              ;   in Loop: Header=BB39_15 Depth=1
	ds_read_b32 v2, v9 offset:4096
	s_lshl_b32 s29, 1, s72
	v_or_b32_e32 v30, s14, v30
	v_and_or_b32 v23, v23, s15, s29
	s_waitcnt lgkmcnt(0)
	v_cmp_ne_u32_e32 vcc_lo, 0, v2
	s_cbranch_vccnz .LBB39_346
; %bb.343:                              ;   in Loop: Header=BB39_15 Depth=1
	s_and_saveexec_b32 s29, s3
; %bb.344:                              ;   in Loop: Header=BB39_15 Depth=1
	v_mov_b32_e32 v2, s16
	ds_write_b32 v9, v2 offset:4100
; %bb.345:                              ;   in Loop: Header=BB39_15 Depth=1
	s_or_b32 exec_lo, exec_lo, s29
	s_waitcnt lgkmcnt(0)
	s_barrier
	buffer_gl0_inv
.LBB39_346:                             ;   in Loop: Header=BB39_15 Depth=1
	s_or_saveexec_b32 s28, s28
	v_mov_b32_e32 v3, 5
	s_mov_b32 s29, 0
	s_xor_b32 exec_lo, exec_lo, s28
; %bb.347:                              ;   in Loop: Header=BB39_15 Depth=1
	v_subrev_nc_u32_e32 v1, s16, v1
	v_mov_b32_e32 v3, 0
	s_mov_b32 s29, exec_lo
; %bb.348:                              ;   in Loop: Header=BB39_15 Depth=1
	s_or_b32 exec_lo, exec_lo, s28
	v_mov_b32_e32 v2, v1
	s_and_b32 s79, s29, exec_lo
.LBB39_349:                             ;   in Loop: Header=BB39_15 Depth=1
	s_or_b32 exec_lo, exec_lo, s27
	s_mov_b32 s27, -1
                                        ; implicit-def: $sgpr29
                                        ; implicit-def: $sgpr28
	s_and_saveexec_b32 s16, s79
	s_cbranch_execz .LBB39_388
; %bb.350:                              ;   in Loop: Header=BB39_15 Depth=1
	v_cmp_eq_u32_e32 vcc_lo, 1, v2
	s_cmp_eq_u32 s13, 1
	s_mov_b32 s80, -1
	s_cselect_b32 s27, -1, 0
                                        ; implicit-def: $sgpr29
                                        ; implicit-def: $sgpr28
	s_and_b32 s27, s27, vcc_lo
	s_and_saveexec_b32 s79, s27
	s_cbranch_execz .LBB39_376
; %bb.351:                              ;   in Loop: Header=BB39_15 Depth=1
	ds_read_b32 v1, v9 offset:4096
	s_waitcnt lgkmcnt(0)
	s_barrier
	buffer_gl0_inv
	v_readfirstlane_b32 s81, v1
	s_and_saveexec_b32 s28, s6
; %bb.352:                              ;   in Loop: Header=BB39_15 Depth=1
	ds_write_b32 v21, v9
; %bb.353:                              ;   in Loop: Header=BB39_15 Depth=1
	s_or_b32 exec_lo, exec_lo, s28
	v_and_b32_e32 v23, s15, v23
	v_or_b32_e32 v30, s14, v30
	s_mov_b32 s28, -1
	s_mov_b32 s29, 0
	s_cmp_eq_u32 s81, 0
	s_mov_b32 s80, 0
	s_mov_b32 s82, -1
	s_waitcnt lgkmcnt(0)
	s_barrier
	buffer_gl0_inv
                                        ; implicit-def: $vgpr11
	s_cbranch_scc1 .LBB39_364
; %bb.354:                              ;   in Loop: Header=BB39_15 Depth=1
	s_add_i32 s80, s81, s57
                                        ; implicit-def: $vgpr11
	s_mul_hi_u32 s82, s80, s63
	s_mul_i32 s82, s82, s34
	s_sub_i32 s82, s80, s82
	s_sub_i32 s83, s82, s34
	s_cmp_ge_u32 s82, s34
	s_cselect_b32 s82, s83, s82
	s_sub_i32 s83, s82, s34
	s_cmp_ge_u32 s82, s34
	s_cselect_b32 s82, s83, s82
	s_mov_b32 s83, exec_lo
	s_sub_i32 s84, s80, s82
	s_mov_b32 s82, 0
	s_mov_b32 s80, 0
	v_cmpx_gt_u32_e64 s84, v0
	s_cbranch_execz .LBB39_363
; %bb.355:                              ;   in Loop: Header=BB39_15 Depth=1
	v_mov_b32_e32 v1, v19
	v_mov_b32_e32 v4, v0
                                        ; implicit-def: $sgpr85
	s_inst_prefetch 0x1
	s_branch .LBB39_358
	.p2align	6
.LBB39_356:                             ;   in Loop: Header=BB39_358 Depth=2
	s_or_b32 exec_lo, exec_lo, s86
	s_waitcnt lgkmcnt(0)
	s_barrier
	buffer_gl0_inv
	ds_read_b64 v[10:11], v9 offset:3072
	s_mov_b32 s86, -1
	s_mov_b32 s87, -1
	s_waitcnt lgkmcnt(0)
	s_barrier
	buffer_gl0_inv
	v_cmp_ne_u32_e32 vcc_lo, 0, v10
	s_cbranch_vccz .LBB39_361
.LBB39_357:                             ;   in Loop: Header=BB39_358 Depth=2
	s_and_b32 s86, exec_lo, s86
	s_or_b32 s80, s86, s80
	s_andn2_b32 s85, s85, exec_lo
	s_and_b32 s86, s87, exec_lo
	s_or_b32 s85, s85, s86
	s_andn2_b32 exec_lo, exec_lo, s80
	s_cbranch_execz .LBB39_362
.LBB39_358:                             ;   Parent Loop BB39_15 Depth=1
                                        ; =>  This Inner Loop Header: Depth=2
	s_mov_b32 s86, exec_lo
	v_cmpx_gt_u32_e64 s81, v4
	s_cbranch_execz .LBB39_356
; %bb.359:                              ;   in Loop: Header=BB39_358 Depth=2
	ds_read_b32 v16, v1
	s_waitcnt lgkmcnt(0)
	v_xor_b32_e32 v8, 0x80000000, v16
	v_and_b32_e32 v8, v8, v30
	v_cmp_eq_u32_e32 vcc_lo, v8, v23
	s_and_b32 exec_lo, exec_lo, vcc_lo
	s_cbranch_execz .LBB39_356
; %bb.360:                              ;   in Loop: Header=BB39_358 Depth=2
	ds_write_b64 v9, v[15:16] offset:3072
	s_branch .LBB39_356
	.p2align	6
.LBB39_361:                             ;   in Loop: Header=BB39_358 Depth=2
	v_add_nc_u32_e32 v4, s34, v4
	v_add_nc_u32_e32 v1, s53, v1
	s_mov_b32 s87, 0
	v_cmp_le_u32_e32 vcc_lo, s84, v4
	s_orn2_b32 s86, vcc_lo, exec_lo
	s_branch .LBB39_357
.LBB39_362:                             ;   in Loop: Header=BB39_15 Depth=1
	s_inst_prefetch 0x2
	s_or_b32 exec_lo, exec_lo, s80
	s_and_b32 s80, s85, exec_lo
.LBB39_363:                             ;   in Loop: Header=BB39_15 Depth=1
	s_or_b32 exec_lo, exec_lo, s83
.LBB39_364:                             ;   in Loop: Header=BB39_15 Depth=1
	s_and_b32 vcc_lo, exec_lo, s82
	s_cbranch_vccz .LBB39_375
; %bb.365:                              ;   in Loop: Header=BB39_15 Depth=1
                                        ; implicit-def: $vgpr11
	s_and_saveexec_b32 s28, s9
	s_cbranch_execz .LBB39_374
; %bb.366:                              ;   in Loop: Header=BB39_15 Depth=1
	v_mov_b32_e32 v8, v7
	v_mov_b32_e32 v1, v0
	s_mov_b32 s29, 0
                                        ; implicit-def: $sgpr81
	s_inst_prefetch 0x1
	s_branch .LBB39_369
	.p2align	6
.LBB39_367:                             ;   in Loop: Header=BB39_369 Depth=2
	s_or_b32 exec_lo, exec_lo, s82
	s_waitcnt lgkmcnt(0)
	s_barrier
	buffer_gl0_inv
	ds_read_b64 v[10:11], v9 offset:3072
	s_mov_b32 s82, -1
	s_mov_b32 s83, -1
	s_waitcnt lgkmcnt(0)
	s_barrier
	buffer_gl0_inv
	v_cmp_eq_u32_e32 vcc_lo, 0, v10
	s_cbranch_vccnz .LBB39_372
.LBB39_368:                             ;   in Loop: Header=BB39_369 Depth=2
	s_and_b32 s82, exec_lo, s82
	s_or_b32 s29, s82, s29
	s_andn2_b32 s81, s81, exec_lo
	s_and_b32 s82, s83, exec_lo
	s_or_b32 s81, s81, s82
	s_andn2_b32 exec_lo, exec_lo, s29
	s_cbranch_execz .LBB39_373
.LBB39_369:                             ;   Parent Loop BB39_15 Depth=1
                                        ; =>  This Inner Loop Header: Depth=2
	s_mov_b32 s82, exec_lo
	v_cmpx_gt_u32_e64 s36, v1
	s_cbranch_execz .LBB39_367
; %bb.370:                              ;   in Loop: Header=BB39_369 Depth=2
	v_lshlrev_b64 v[10:11], 2, v[8:9]
	v_add_co_u32 v10, vcc_lo, s31, v10
	v_add_co_ci_u32_e64 v11, null, s33, v11, vcc_lo
	global_load_dword v16, v[10:11], off
	s_waitcnt vmcnt(0)
	v_xor_b32_e32 v4, 0x80000000, v16
	v_and_b32_e32 v4, v4, v30
	v_cmp_eq_u32_e32 vcc_lo, v4, v23
	s_and_b32 exec_lo, exec_lo, vcc_lo
	s_cbranch_execz .LBB39_367
; %bb.371:                              ;   in Loop: Header=BB39_369 Depth=2
	ds_write_b64 v9, v[15:16] offset:3072
	s_branch .LBB39_367
.LBB39_372:                             ;   in Loop: Header=BB39_369 Depth=2
	v_add_nc_u32_e32 v1, s34, v1
	v_add_nc_u32_e32 v8, s40, v8
	s_mov_b32 s83, 0
	v_cmp_le_u32_e32 vcc_lo, s64, v1
	s_orn2_b32 s82, vcc_lo, exec_lo
	s_branch .LBB39_368
.LBB39_373:                             ;   in Loop: Header=BB39_15 Depth=1
	s_inst_prefetch 0x2
	s_or_b32 exec_lo, exec_lo, s29
	s_andn2_b32 s29, s80, exec_lo
	s_and_b32 s80, s81, exec_lo
	s_or_b32 s80, s29, s80
.LBB39_374:                             ;   in Loop: Header=BB39_15 Depth=1
	s_or_b32 exec_lo, exec_lo, s28
	s_mov_b32 s28, 0
	s_mov_b32 s29, -1
.LBB39_375:                             ;   in Loop: Header=BB39_15 Depth=1
	s_orn2_b32 s80, s80, exec_lo
.LBB39_376:                             ;   in Loop: Header=BB39_15 Depth=1
	s_or_b32 exec_lo, exec_lo, s79
	s_mov_b32 s81, 0
	s_and_saveexec_b32 s79, s80
	s_cbranch_execz .LBB39_387
; %bb.377:                              ;   in Loop: Header=BB39_15 Depth=1
	v_mov_b32_e32 v3, 1
	v_mov_b32_e32 v1, 1
	s_xor_b32 s80, s27, -1
	s_and_saveexec_b32 s27, s80
	s_cbranch_execz .LBB39_386
; %bb.378:                              ;   in Loop: Header=BB39_15 Depth=1
	s_mov_b32 s80, exec_lo
	v_cmpx_ge_u32_e64 s13, v2
	s_xor_b32 s80, exec_lo, s80
	s_cbranch_execz .LBB39_383
; %bb.379:                              ;   in Loop: Header=BB39_15 Depth=1
	ds_read_b32 v1, v9 offset:4096
	v_and_b32_e32 v23, s15, v23
	v_or_b32_e32 v30, s14, v30
	s_waitcnt lgkmcnt(0)
	v_cmp_ne_u32_e32 vcc_lo, 0, v1
	s_cbranch_vccnz .LBB39_383
; %bb.380:                              ;   in Loop: Header=BB39_15 Depth=1
	s_and_saveexec_b32 s14, s3
; %bb.381:                              ;   in Loop: Header=BB39_15 Depth=1
	v_mov_b32_e32 v1, s13
	ds_write_b32 v9, v1 offset:4100
; %bb.382:                              ;   in Loop: Header=BB39_15 Depth=1
	s_or_b32 exec_lo, exec_lo, s14
	s_waitcnt lgkmcnt(0)
	s_barrier
	buffer_gl0_inv
.LBB39_383:                             ;   in Loop: Header=BB39_15 Depth=1
	s_andn2_saveexec_b32 s14, s80
; %bb.384:                              ;   in Loop: Header=BB39_15 Depth=1
	v_subrev_nc_u32_e32 v2, s13, v2
; %bb.385:                              ;   in Loop: Header=BB39_15 Depth=1
	s_or_b32 exec_lo, exec_lo, s14
	v_mov_b32_e32 v3, 5
	v_mov_b32_e32 v1, v2
.LBB39_386:                             ;   in Loop: Header=BB39_15 Depth=1
	s_or_b32 exec_lo, exec_lo, s27
	v_mov_b32_e32 v2, v1
	s_mov_b32 s81, exec_lo
.LBB39_387:                             ;   in Loop: Header=BB39_15 Depth=1
	s_or_b32 exec_lo, exec_lo, s79
	s_orn2_b32 s27, s81, exec_lo
.LBB39_388:                             ;   in Loop: Header=BB39_15 Depth=1
	s_or_b32 exec_lo, exec_lo, s16
	v_mov_b32_e32 v1, v2
	s_andn2_b32 s13, s25, exec_lo
	s_and_b32 s14, s29, exec_lo
	s_andn2_b32 s15, s24, exec_lo
	s_and_b32 s16, s28, exec_lo
	s_or_b32 s25, s13, s14
	s_or_b32 s24, s15, s16
	s_and_b32 s29, s27, exec_lo
.LBB39_389:                             ;   in Loop: Header=BB39_15 Depth=1
	s_or_b32 exec_lo, exec_lo, s26
	s_orn2_b32 s26, s29, exec_lo
.LBB39_390:                             ;   in Loop: Header=BB39_15 Depth=1
	s_or_b32 exec_lo, exec_lo, s17
	v_mov_b32_e32 v32, v1
	s_andn2_b32 s13, s21, exec_lo
	s_and_b32 s14, s25, exec_lo
	s_andn2_b32 s15, s18, exec_lo
	s_and_b32 s16, s24, exec_lo
	s_or_b32 s21, s13, s14
	s_or_b32 s18, s15, s16
	s_and_b32 s26, s26, exec_lo
.LBB39_391:                             ;   in Loop: Header=BB39_15 Depth=1
	s_or_b32 exec_lo, exec_lo, s23
	s_orn2_b32 s23, s26, exec_lo
.LBB39_392:                             ;   in Loop: Header=BB39_15 Depth=1
	s_or_b32 exec_lo, exec_lo, s10
	s_mov_b32 s10, s19
	s_mov_b32 s13, s11
	s_and_saveexec_b32 s14, s23
; %bb.393:                              ;   in Loop: Header=BB39_15 Depth=1
	v_cmp_ne_u32_e32 vcc_lo, 5, v3
	v_cmp_eq_u32_e64 s10, 5, v3
	s_andn2_b32 s13, s11, exec_lo
	s_andn2_b32 s15, s19, exec_lo
	s_and_b32 s16, vcc_lo, exec_lo
	s_and_b32 s10, s10, exec_lo
	s_or_b32 s13, s13, s16
	s_or_b32 s10, s15, s10
; %bb.394:                              ;   in Loop: Header=BB39_15 Depth=1
	s_or_b32 exec_lo, exec_lo, s14
	s_andn2_b32 s14, s22, exec_lo
	s_and_b32 s15, s21, exec_lo
	s_andn2_b32 s12, s12, exec_lo
	s_and_b32 s16, s18, exec_lo
	s_or_b32 s22, s14, s15
	s_andn2_b32 s11, s11, exec_lo
	s_and_b32 s13, s13, exec_lo
	s_andn2_b32 s14, s19, exec_lo
	s_and_b32 s10, s10, exec_lo
	s_or_b32 s12, s12, s16
	s_or_b32 s11, s11, s13
	;; [unrolled: 1-line block ×3, first 2 shown]
.LBB39_395:                             ;   in Loop: Header=BB39_15 Depth=1
	s_or_b32 exec_lo, exec_lo, s20
	s_mov_b32 s20, 0
	s_mov_b32 s21, 0
	s_and_saveexec_b32 s10, s19
.LBB39_396:                             ;   in Loop: Header=BB39_15 Depth=1
	v_mov_b32_e32 v3, 0
	s_or_b32 s11, s11, exec_lo
.LBB39_397:                             ;   in Loop: Header=BB39_15 Depth=1
	s_or_b32 exec_lo, exec_lo, s10
	s_andn2_b32 s10, s76, exec_lo
	s_and_b32 s14, s22, exec_lo
	s_andn2_b32 s15, s74, exec_lo
	s_and_b32 s12, s12, exec_lo
	v_mov_b32_e32 v31, v32
	s_or_b32 s76, s10, s14
	s_or_b32 s74, s15, s12
	s_andn2_b32 s10, s78, exec_lo
	s_and_b32 s12, s21, exec_lo
	s_andn2_b32 s14, s77, exec_lo
	s_and_b32 s15, s20, exec_lo
	s_mov_b32 s13, -1
	s_andn2_b32 s75, s75, exec_lo
	s_or_b32 s78, s10, s12
	s_or_b32 s77, s14, s15
	s_and_saveexec_b32 s10, s11
	s_xor_b32 s10, exec_lo, s10
	s_cbranch_execz .LBB39_14
; %bb.398:                              ;   in Loop: Header=BB39_15 Depth=1
	s_mov_b32 s11, -1
	s_mov_b32 s12, -1
	s_mov_b32 s13, exec_lo
	v_cmpx_eq_u32_e32 0, v3
	s_cbranch_execz .LBB39_13
; %bb.399:                              ;   in Loop: Header=BB39_15 Depth=1
	s_xor_b32 s68, s68, 1
	s_add_i32 s14, s72, -2
	s_cmp_eq_u32 s72, 0
	s_mov_b32 s72, s14
	s_cselect_b32 s11, -1, 0
	s_xor_b32 s12, exec_lo, -1
	s_orn2_b32 s11, s11, exec_lo
	s_branch .LBB39_13
.LBB39_400:
	s_or_b32 exec_lo, exec_lo, s47
	s_xor_b32 s9, s73, -1
	s_xor_b32 s12, s70, -1
	;; [unrolled: 1-line block ×5, first 2 shown]
	s_mov_b32 s7, 0
	s_and_saveexec_b32 s8, s6
	s_xor_b32 s6, exec_lo, s8
	s_cbranch_execnz .LBB39_405
; %bb.401:
	s_andn2_saveexec_b32 s0, s6
	s_cbranch_execnz .LBB39_424
.LBB39_402:
	s_or_b32 exec_lo, exec_lo, s0
	s_and_saveexec_b32 s0, s7
.LBB39_403:
	; divergent unreachable
.LBB39_404:
	s_endpgm
.LBB39_405:
	s_mov_b32 s8, 0
	s_and_saveexec_b32 s7, s11
	s_xor_b32 s7, exec_lo, s7
	s_cbranch_execz .LBB39_422
; %bb.406:
	s_mov_b32 s11, 0
	s_and_saveexec_b32 s8, s12
	s_xor_b32 s8, exec_lo, s8
	s_cbranch_execz .LBB39_420
; %bb.407:
	s_and_saveexec_b32 s12, s9
	s_xor_b32 s9, exec_lo, s12
	s_cbranch_execz .LBB39_418
; %bb.408:
	s_and_saveexec_b32 s11, s10
	s_xor_b32 s10, exec_lo, s11
; %bb.409:
	v_xor_b32_e32 v11, 0x80000000, v23
; %bb.410:
	s_or_b32 exec_lo, exec_lo, s10
	s_and_saveexec_b32 s10, s3
; %bb.411:
	v_mov_b32_e32 v1, 0
	ds_write_b32 v1, v1 offset:4108
; %bb.412:
	s_or_b32 exec_lo, exec_lo, s10
	v_mov_b32_e32 v7, 0
	s_waitcnt lgkmcnt(0)
	s_barrier
	buffer_gl0_inv
	s_and_saveexec_b32 s3, s2
	s_cbranch_execz .LBB39_414
; %bb.413:
	global_load_dword v7, v[5:6], off
.LBB39_414:
	s_or_b32 exec_lo, exec_lo, s3
	s_clause 0x1
	s_load_dword s10, s[4:5], 0x1c8
	s_load_dword s11, s[4:5], 0x2a8
	s_mul_i32 s3, s50, s49
	s_mov_b32 s5, 0
	s_add_i32 s4, s3, s35
	s_add_i32 s12, s36, 31
	s_mul_i32 s3, s46, s48
	s_lshl_b64 s[14:15], s[4:5], 2
	s_andn2_b32 s12, s12, 31
	s_add_i32 s16, s3, s41
	s_mov_b32 s17, s5
	s_add_u32 s13, s44, s14
	s_addc_u32 s14, s45, s15
	s_lshl_b64 s[16:17], s[16:17], 3
	v_cmp_gt_u32_e32 vcc_lo, s12, v0
	s_add_u32 s15, s42, s16
	s_addc_u32 s16, s43, s17
	s_mov_b32 s18, -1
	s_mov_b32 s3, 0
	s_and_saveexec_b32 s17, vcc_lo
	s_cbranch_execnz .LBB39_425
; %bb.415:
	s_or_b32 exec_lo, exec_lo, s17
	s_and_saveexec_b32 s4, s18
	s_cbranch_execnz .LBB39_440
.LBB39_416:
	s_or_b32 exec_lo, exec_lo, s4
	s_and_saveexec_b32 s0, s3
	s_xor_b32 s0, exec_lo, s0
	s_cbranch_execnz .LBB39_463
.LBB39_417:
	s_or_b32 exec_lo, exec_lo, s0
	s_waitcnt lgkmcnt(0)
	s_and_b32 s11, s5, exec_lo
.LBB39_418:
	s_andn2_saveexec_b32 s0, s9
	s_cbranch_execnz .LBB39_465
.LBB39_419:
	s_or_b32 exec_lo, exec_lo, s0
	s_and_b32 s11, s11, exec_lo
.LBB39_420:
	s_andn2_saveexec_b32 s0, s8
	s_cbranch_execnz .LBB39_464
.LBB39_421:
	s_or_b32 exec_lo, exec_lo, s0
	s_and_b32 s8, s11, exec_lo
.LBB39_422:
	s_andn2_saveexec_b32 s0, s7
	s_cbranch_execnz .LBB39_459
.LBB39_423:
	s_or_b32 exec_lo, exec_lo, s0
	s_and_b32 s7, s8, exec_lo
	s_andn2_saveexec_b32 s0, s6
	s_cbranch_execz .LBB39_402
.LBB39_424:
	s_or_b32 s7, s7, exec_lo
	s_trap 2
	s_or_b32 exec_lo, exec_lo, s0
	s_and_saveexec_b32 s0, s7
	s_cbranch_execnz .LBB39_403
	s_branch .LBB39_404
.LBB39_425:
	v_add_nc_u32_e32 v1, s34, v0
	v_xor_b32_e32 v8, 0x80000000, v11
	v_mov_b32_e32 v2, 0
	v_mov_b32_e32 v3, v0
	s_mov_b32 s18, 0
	v_mul_lo_u32 v1, s30, v1
                                        ; implicit-def: $sgpr19
                                        ; implicit-def: $vgpr10
	s_branch .LBB39_427
.LBB39_426:                             ;   in Loop: Header=BB39_427 Depth=1
	s_or_b32 exec_lo, exec_lo, s21
	s_xor_b32 s3, s20, -1
	s_and_b32 s4, exec_lo, s4
	v_mov_b32_e32 v7, v12
	s_or_b32 s18, s4, s18
	v_mov_b32_e32 v3, v9
	s_andn2_b32 s4, s19, exec_lo
	s_and_b32 s3, s3, exec_lo
	s_or_b32 s19, s4, s3
	s_andn2_b32 exec_lo, exec_lo, s18
	s_cbranch_execz .LBB39_439
.LBB39_427:                             ; =>This Inner Loop Header: Depth=1
	v_add_nc_u32_e32 v9, s34, v3
	v_mov_b32_e32 v12, 0
	s_mov_b32 s4, exec_lo
	v_cmpx_gt_u32_e64 s36, v9
	s_cbranch_execz .LBB39_429
; %bb.428:                              ;   in Loop: Header=BB39_427 Depth=1
	v_lshlrev_b64 v[12:13], 2, v[1:2]
	v_add_co_u32 v12, s3, s31, v12
	v_add_co_ci_u32_e64 v13, null, s33, v13, s3
	global_load_dword v12, v[12:13], off
.LBB39_429:                             ;   in Loop: Header=BB39_427 Depth=1
	s_or_b32 exec_lo, exec_lo, s4
	s_waitcnt vmcnt(0)
	v_xor_b32_e32 v4, 0x80000000, v7
	v_cmp_gt_u32_e64 s3, v4, v8
	v_cndmask_b32_e64 v13, 0, 1, s3
	v_cmp_lt_u32_e64 s3, v4, v8
	v_cndmask_b32_e64 v4, 0, 1, s3
	v_cmp_gt_u32_e64 s3, s36, v3
	v_cndmask_b32_e64 v4, v4, v13, s1
	v_and_b32_e32 v4, 1, v4
	v_cmp_eq_u32_e64 s4, 1, v4
	s_and_b32 s21, s3, s4
	v_cndmask_b32_e64 v4, 0, 1, s21
	v_cmp_ne_u32_e64 s3, 0, v4
	s_cmp_lg_u32 s3, 0
	s_cselect_b32 s4, -1, 0
	s_and_b32 s4, s0, s4
	s_and_saveexec_b32 s20, s4
	s_cbranch_execz .LBB39_433
; %bb.430:                              ;   in Loop: Header=BB39_427 Depth=1
	s_mov_b32 s24, exec_lo
	s_bcnt1_i32_b32 s22, s3
	v_mbcnt_lo_u32_b32 v4, s24, 0
	s_mov_b32 s23, exec_lo
                                        ; implicit-def: $vgpr10
	v_cmpx_eq_u32_e32 0, v4
	s_cbranch_execz .LBB39_432
; %bb.431:                              ;   in Loop: Header=BB39_427 Depth=1
	s_bcnt1_i32_b32 s4, s24
	s_mul_i32 s4, s22, s4
	s_waitcnt lgkmcnt(0)
	v_mov_b32_e32 v10, s4
	ds_add_rtn_u32 v10, v2, v10 offset:4108
.LBB39_432:                             ;   in Loop: Header=BB39_427 Depth=1
	s_or_b32 exec_lo, exec_lo, s23
	s_waitcnt lgkmcnt(0)
	v_readfirstlane_b32 s4, v10
	v_mad_u32_u24 v10, s22, v4, s4
.LBB39_433:                             ;   in Loop: Header=BB39_427 Depth=1
	s_or_b32 exec_lo, exec_lo, s20
	s_waitcnt lgkmcnt(0)
	ds_bpermute_b32 v10, v2, v10
	s_mov_b32 s4, -1
	s_mov_b32 s22, -1
	s_and_saveexec_b32 s20, s21
	s_cbranch_execz .LBB39_437
; %bb.434:                              ;   in Loop: Header=BB39_427 Depth=1
	v_and_b32_e32 v4, s3, v17
	s_mov_b32 s21, 0
	s_mov_b32 s22, exec_lo
	s_waitcnt lgkmcnt(0)
	v_bcnt_u32_b32 v4, v4, v10
	v_cmpx_gt_u32_e64 s37, v4
; %bb.435:                              ;   in Loop: Header=BB39_427 Depth=1
	v_mul_lo_u32 v13, v4, s10
	v_mul_lo_u32 v15, v4, s11
	v_mov_b32_e32 v14, v2
	v_mov_b32_e32 v16, v2
	;; [unrolled: 1-line block ×3, first 2 shown]
	s_mov_b32 s21, exec_lo
	v_lshlrev_b64 v[13:14], 2, v[13:14]
	v_lshlrev_b64 v[15:16], 3, v[15:16]
	v_add_co_u32 v13, s3, s13, v13
	v_add_co_ci_u32_e64 v14, null, s14, v14, s3
	v_add_co_u32 v15, s3, s15, v15
	v_add_co_ci_u32_e64 v16, null, s16, v16, s3
	global_store_dword v[13:14], v7, off
	global_store_dwordx2 v[15:16], v[3:4], off
; %bb.436:                              ;   in Loop: Header=BB39_427 Depth=1
	s_or_b32 exec_lo, exec_lo, s22
	s_orn2_b32 s22, s21, exec_lo
.LBB39_437:                             ;   in Loop: Header=BB39_427 Depth=1
	s_or_b32 exec_lo, exec_lo, s20
	s_mov_b32 s20, -1
	s_and_saveexec_b32 s21, s22
	s_cbranch_execz .LBB39_426
; %bb.438:                              ;   in Loop: Header=BB39_427 Depth=1
	v_cmp_le_u32_e64 s3, s12, v9
	v_add_nc_u32_e32 v1, s40, v1
	s_xor_b32 s20, exec_lo, -1
	s_orn2_b32 s4, s3, exec_lo
	s_branch .LBB39_426
.LBB39_439:
	s_or_b32 exec_lo, exec_lo, s18
	s_mov_b32 s3, exec_lo
	s_orn2_b32 s18, s19, exec_lo
	s_or_b32 exec_lo, exec_lo, s17
	s_and_saveexec_b32 s4, s18
	s_cbranch_execz .LBB39_416
.LBB39_440:
	v_mov_b32_e32 v1, 0
	s_waitcnt vmcnt(0) lgkmcnt(0)
	s_waitcnt_vscnt null, 0x0
	s_barrier
	buffer_gl0_inv
	s_and_saveexec_b32 s1, s2
	s_cbranch_execz .LBB39_442
; %bb.441:
	global_load_dword v1, v[5:6], off
.LBB39_442:
	s_or_b32 exec_lo, exec_lo, s1
	s_mov_b32 s1, 0
	s_and_saveexec_b32 s2, vcc_lo
	s_cbranch_execz .LBB39_462
; %bb.443:
	v_add_nc_u32_e32 v2, s34, v0
	v_mov_b32_e32 v3, 0
	s_mov_b32 s5, 0
                                        ; implicit-def: $sgpr17
                                        ; implicit-def: $vgpr5
	v_mul_lo_u32 v2, s30, v2
	s_branch .LBB39_446
.LBB39_444:                             ;   in Loop: Header=BB39_446 Depth=1
	s_or_b32 exec_lo, exec_lo, s19
	s_orn2_b32 s20, s21, exec_lo
	s_orn2_b32 s18, s18, exec_lo
.LBB39_445:                             ;   in Loop: Header=BB39_446 Depth=1
	s_or_b32 exec_lo, exec_lo, s1
	s_xor_b32 s1, s20, -1
	s_and_b32 s18, exec_lo, s18
	v_mov_b32_e32 v0, v4
	s_or_b32 s5, s18, s5
	v_mov_b32_e32 v1, v6
	s_andn2_b32 s17, s17, exec_lo
	s_and_b32 s1, s1, exec_lo
	s_or_b32 s17, s17, s1
	s_andn2_b32 exec_lo, exec_lo, s5
	s_cbranch_execz .LBB39_460
.LBB39_446:                             ; =>This Inner Loop Header: Depth=1
	v_add_nc_u32_e32 v4, s34, v0
	v_mov_b32_e32 v6, 0
	s_mov_b32 s1, exec_lo
	v_cmpx_gt_u32_e64 s36, v4
	s_cbranch_execz .LBB39_448
; %bb.447:                              ;   in Loop: Header=BB39_446 Depth=1
	v_lshlrev_b64 v[6:7], 2, v[2:3]
	v_add_co_u32 v6, vcc_lo, s31, v6
	v_add_co_ci_u32_e64 v7, null, s33, v7, vcc_lo
	global_load_dword v6, v[6:7], off
.LBB39_448:                             ;   in Loop: Header=BB39_446 Depth=1
	s_or_b32 exec_lo, exec_lo, s1
	v_cmp_gt_u32_e32 vcc_lo, s36, v0
	s_waitcnt vmcnt(0)
	v_cmp_eq_u32_e64 s1, v1, v11
	s_and_b32 s19, vcc_lo, s1
	v_cndmask_b32_e64 v1, 0, 1, s19
	v_cmp_ne_u32_e32 vcc_lo, 0, v1
	s_cmp_lg_u32 vcc_lo, 0
	s_cselect_b32 s1, -1, 0
	s_and_b32 s1, s0, s1
	s_and_saveexec_b32 s18, s1
	s_cbranch_execz .LBB39_452
; %bb.449:                              ;   in Loop: Header=BB39_446 Depth=1
	s_mov_b32 s22, exec_lo
	s_bcnt1_i32_b32 s20, vcc_lo
	v_mbcnt_lo_u32_b32 v1, s22, 0
	s_mov_b32 s21, exec_lo
                                        ; implicit-def: $vgpr5
	v_cmpx_eq_u32_e32 0, v1
; %bb.450:                              ;   in Loop: Header=BB39_446 Depth=1
	s_bcnt1_i32_b32 s1, s22
	s_mul_i32 s1, s20, s1
	v_mov_b32_e32 v5, s1
	ds_add_rtn_u32 v5, v3, v5 offset:4108
; %bb.451:                              ;   in Loop: Header=BB39_446 Depth=1
	s_or_b32 exec_lo, exec_lo, s21
	s_waitcnt lgkmcnt(0)
	v_readfirstlane_b32 s1, v5
	v_mad_u32_u24 v5, s20, v1, s1
.LBB39_452:                             ;   in Loop: Header=BB39_446 Depth=1
	s_or_b32 exec_lo, exec_lo, s18
	ds_bpermute_b32 v5, v3, v5
	s_cmp_eq_u32 vcc_lo, 0
	s_mov_b32 s18, -1
	s_cselect_b32 s20, -1, 0
	s_waitcnt lgkmcnt(0)
	v_cmp_gt_u32_e64 s1, s37, v5
	s_or_b32 s21, s20, s1
	s_mov_b32 s20, -1
	s_and_saveexec_b32 s1, s21
	s_cbranch_execz .LBB39_445
; %bb.453:                              ;   in Loop: Header=BB39_446 Depth=1
	v_and_b32_e32 v1, vcc_lo, v17
	v_sub_nc_u32_e32 v7, s37, v5
	s_mov_b32 s21, -1
	v_bcnt_u32_b32 v1, v1, 0
	v_bcnt_u32_b32 v1, 0, v1
	v_cmp_gt_u32_e32 vcc_lo, v7, v1
	s_and_b32 s22, s19, vcc_lo
	s_and_saveexec_b32 s19, s22
	s_cbranch_execz .LBB39_457
; %bb.454:                              ;   in Loop: Header=BB39_446 Depth=1
	v_add_nc_u32_e32 v1, v5, v1
	s_mov_b32 s20, 0
	s_mov_b32 s21, exec_lo
	v_cmpx_gt_u32_e64 s37, v1
; %bb.455:                              ;   in Loop: Header=BB39_446 Depth=1
	v_mul_lo_u32 v7, v1, s10
	v_mul_lo_u32 v9, v1, s11
	v_mov_b32_e32 v8, v3
	v_mov_b32_e32 v10, v3
	v_mov_b32_e32 v1, v3
	s_mov_b32 s20, exec_lo
	v_lshlrev_b64 v[7:8], 2, v[7:8]
	v_lshlrev_b64 v[9:10], 3, v[9:10]
	v_add_co_u32 v7, vcc_lo, s13, v7
	v_add_co_ci_u32_e64 v8, null, s14, v8, vcc_lo
	v_add_co_u32 v9, vcc_lo, s15, v9
	v_add_co_ci_u32_e64 v10, null, s16, v10, vcc_lo
	global_store_dword v[7:8], v11, off
	global_store_dwordx2 v[9:10], v[0:1], off
; %bb.456:                              ;   in Loop: Header=BB39_446 Depth=1
	s_or_b32 exec_lo, exec_lo, s21
	s_xor_b32 s21, exec_lo, -1
	s_orn2_b32 s20, s20, exec_lo
.LBB39_457:                             ;   in Loop: Header=BB39_446 Depth=1
	s_or_b32 exec_lo, exec_lo, s19
	s_and_saveexec_b32 s19, s20
	s_cbranch_execz .LBB39_444
; %bb.458:                              ;   in Loop: Header=BB39_446 Depth=1
	v_cmp_le_u32_e32 vcc_lo, s12, v4
	v_add_nc_u32_e32 v2, s40, v2
	s_or_b32 s21, s21, exec_lo
	s_orn2_b32 s18, vcc_lo, exec_lo
	s_branch .LBB39_444
.LBB39_459:
	s_or_b32 s8, s8, exec_lo
	s_trap 2
	s_branch .LBB39_423
.LBB39_460:
	s_or_b32 exec_lo, exec_lo, s5
	s_mov_b32 s0, 0
	s_and_saveexec_b32 s1, s17
	s_xor_b32 s1, exec_lo, s1
	s_cbranch_execnz .LBB39_466
.LBB39_461:
	s_or_b32 exec_lo, exec_lo, s1
	s_and_b32 s1, s0, exec_lo
.LBB39_462:
	s_or_b32 exec_lo, exec_lo, s2
	s_and_b32 s5, s1, exec_lo
	s_andn2_b32 s3, s3, exec_lo
	s_or_b32 exec_lo, exec_lo, s4
	s_and_saveexec_b32 s0, s3
	s_xor_b32 s0, exec_lo, s0
	s_cbranch_execz .LBB39_417
.LBB39_463:
	s_or_b32 s5, s5, exec_lo
	s_trap 2
	s_branch .LBB39_417
.LBB39_464:
	s_or_b32 s11, s11, exec_lo
	s_trap 2
	s_branch .LBB39_421
.LBB39_465:
	s_or_b32 s11, s11, exec_lo
	s_trap 2
	s_branch .LBB39_419
.LBB39_466:
	s_mov_b32 s0, exec_lo
	s_trap 2
	s_branch .LBB39_461
	.section	.rodata,"a",@progbits
	.p2align	6, 0x0
	.amdhsa_kernel _ZN2at6native6sbtopk10gatherTopKIijLin1ELb0EEEvNS_4cuda6detail10TensorInfoIKT_T0_EES8_S8_bS8_S8_NS5_IS6_S8_EES8_NS5_IlS8_EES8_PS6_
		.amdhsa_group_segment_fixed_size 4112
		.amdhsa_private_segment_fixed_size 0
		.amdhsa_kernarg_size 952
		.amdhsa_user_sgpr_count 6
		.amdhsa_user_sgpr_private_segment_buffer 1
		.amdhsa_user_sgpr_dispatch_ptr 0
		.amdhsa_user_sgpr_queue_ptr 0
		.amdhsa_user_sgpr_kernarg_segment_ptr 1
		.amdhsa_user_sgpr_dispatch_id 0
		.amdhsa_user_sgpr_flat_scratch_init 0
		.amdhsa_user_sgpr_private_segment_size 0
		.amdhsa_wavefront_size32 1
		.amdhsa_uses_dynamic_stack 0
		.amdhsa_system_sgpr_private_segment_wavefront_offset 0
		.amdhsa_system_sgpr_workgroup_id_x 1
		.amdhsa_system_sgpr_workgroup_id_y 1
		.amdhsa_system_sgpr_workgroup_id_z 1
		.amdhsa_system_sgpr_workgroup_info 0
		.amdhsa_system_vgpr_workitem_id 0
		.amdhsa_next_free_vgpr 43
		.amdhsa_next_free_sgpr 92
		.amdhsa_reserve_vcc 1
		.amdhsa_reserve_flat_scratch 0
		.amdhsa_float_round_mode_32 0
		.amdhsa_float_round_mode_16_64 0
		.amdhsa_float_denorm_mode_32 3
		.amdhsa_float_denorm_mode_16_64 3
		.amdhsa_dx10_clamp 1
		.amdhsa_ieee_mode 1
		.amdhsa_fp16_overflow 0
		.amdhsa_workgroup_processor_mode 1
		.amdhsa_memory_ordered 1
		.amdhsa_forward_progress 1
		.amdhsa_shared_vgpr_count 0
		.amdhsa_exception_fp_ieee_invalid_op 0
		.amdhsa_exception_fp_denorm_src 0
		.amdhsa_exception_fp_ieee_div_zero 0
		.amdhsa_exception_fp_ieee_overflow 0
		.amdhsa_exception_fp_ieee_underflow 0
		.amdhsa_exception_fp_ieee_inexact 0
		.amdhsa_exception_int_div_zero 0
	.end_amdhsa_kernel
	.section	.text._ZN2at6native6sbtopk10gatherTopKIijLin1ELb0EEEvNS_4cuda6detail10TensorInfoIKT_T0_EES8_S8_bS8_S8_NS5_IS6_S8_EES8_NS5_IlS8_EES8_PS6_,"axG",@progbits,_ZN2at6native6sbtopk10gatherTopKIijLin1ELb0EEEvNS_4cuda6detail10TensorInfoIKT_T0_EES8_S8_bS8_S8_NS5_IS6_S8_EES8_NS5_IlS8_EES8_PS6_,comdat
.Lfunc_end39:
	.size	_ZN2at6native6sbtopk10gatherTopKIijLin1ELb0EEEvNS_4cuda6detail10TensorInfoIKT_T0_EES8_S8_bS8_S8_NS5_IS6_S8_EES8_NS5_IlS8_EES8_PS6_, .Lfunc_end39-_ZN2at6native6sbtopk10gatherTopKIijLin1ELb0EEEvNS_4cuda6detail10TensorInfoIKT_T0_EES8_S8_bS8_S8_NS5_IS6_S8_EES8_NS5_IlS8_EES8_PS6_
                                        ; -- End function
	.set _ZN2at6native6sbtopk10gatherTopKIijLin1ELb0EEEvNS_4cuda6detail10TensorInfoIKT_T0_EES8_S8_bS8_S8_NS5_IS6_S8_EES8_NS5_IlS8_EES8_PS6_.num_vgpr, 43
	.set _ZN2at6native6sbtopk10gatherTopKIijLin1ELb0EEEvNS_4cuda6detail10TensorInfoIKT_T0_EES8_S8_bS8_S8_NS5_IS6_S8_EES8_NS5_IlS8_EES8_PS6_.num_agpr, 0
	.set _ZN2at6native6sbtopk10gatherTopKIijLin1ELb0EEEvNS_4cuda6detail10TensorInfoIKT_T0_EES8_S8_bS8_S8_NS5_IS6_S8_EES8_NS5_IlS8_EES8_PS6_.numbered_sgpr, 92
	.set _ZN2at6native6sbtopk10gatherTopKIijLin1ELb0EEEvNS_4cuda6detail10TensorInfoIKT_T0_EES8_S8_bS8_S8_NS5_IS6_S8_EES8_NS5_IlS8_EES8_PS6_.num_named_barrier, 0
	.set _ZN2at6native6sbtopk10gatherTopKIijLin1ELb0EEEvNS_4cuda6detail10TensorInfoIKT_T0_EES8_S8_bS8_S8_NS5_IS6_S8_EES8_NS5_IlS8_EES8_PS6_.private_seg_size, 0
	.set _ZN2at6native6sbtopk10gatherTopKIijLin1ELb0EEEvNS_4cuda6detail10TensorInfoIKT_T0_EES8_S8_bS8_S8_NS5_IS6_S8_EES8_NS5_IlS8_EES8_PS6_.uses_vcc, 1
	.set _ZN2at6native6sbtopk10gatherTopKIijLin1ELb0EEEvNS_4cuda6detail10TensorInfoIKT_T0_EES8_S8_bS8_S8_NS5_IS6_S8_EES8_NS5_IlS8_EES8_PS6_.uses_flat_scratch, 0
	.set _ZN2at6native6sbtopk10gatherTopKIijLin1ELb0EEEvNS_4cuda6detail10TensorInfoIKT_T0_EES8_S8_bS8_S8_NS5_IS6_S8_EES8_NS5_IlS8_EES8_PS6_.has_dyn_sized_stack, 0
	.set _ZN2at6native6sbtopk10gatherTopKIijLin1ELb0EEEvNS_4cuda6detail10TensorInfoIKT_T0_EES8_S8_bS8_S8_NS5_IS6_S8_EES8_NS5_IlS8_EES8_PS6_.has_recursion, 0
	.set _ZN2at6native6sbtopk10gatherTopKIijLin1ELb0EEEvNS_4cuda6detail10TensorInfoIKT_T0_EES8_S8_bS8_S8_NS5_IS6_S8_EES8_NS5_IlS8_EES8_PS6_.has_indirect_call, 0
	.section	.AMDGPU.csdata,"",@progbits
; Kernel info:
; codeLenInByte = 15116
; TotalNumSgprs: 94
; NumVgprs: 43
; ScratchSize: 0
; MemoryBound: 0
; FloatMode: 240
; IeeeMode: 1
; LDSByteSize: 4112 bytes/workgroup (compile time only)
; SGPRBlocks: 0
; VGPRBlocks: 5
; NumSGPRsForWavesPerEU: 94
; NumVGPRsForWavesPerEU: 43
; Occupancy: 16
; WaveLimiterHint : 1
; COMPUTE_PGM_RSRC2:SCRATCH_EN: 0
; COMPUTE_PGM_RSRC2:USER_SGPR: 6
; COMPUTE_PGM_RSRC2:TRAP_HANDLER: 0
; COMPUTE_PGM_RSRC2:TGID_X_EN: 1
; COMPUTE_PGM_RSRC2:TGID_Y_EN: 1
; COMPUTE_PGM_RSRC2:TGID_Z_EN: 1
; COMPUTE_PGM_RSRC2:TIDIG_COMP_CNT: 0
	.section	.text._ZN2at6native6mbtopk23computeBlockDigitCountsIljmLi1EEEvNS_4cuda6detail10TensorInfoIKT_T0_EEjPjjS8_iijT1_PSB_Ps,"axG",@progbits,_ZN2at6native6mbtopk23computeBlockDigitCountsIljmLi1EEEvNS_4cuda6detail10TensorInfoIKT_T0_EEjPjjS8_iijT1_PSB_Ps,comdat
	.protected	_ZN2at6native6mbtopk23computeBlockDigitCountsIljmLi1EEEvNS_4cuda6detail10TensorInfoIKT_T0_EEjPjjS8_iijT1_PSB_Ps ; -- Begin function _ZN2at6native6mbtopk23computeBlockDigitCountsIljmLi1EEEvNS_4cuda6detail10TensorInfoIKT_T0_EEjPjjS8_iijT1_PSB_Ps
	.globl	_ZN2at6native6mbtopk23computeBlockDigitCountsIljmLi1EEEvNS_4cuda6detail10TensorInfoIKT_T0_EEjPjjS8_iijT1_PSB_Ps
	.p2align	8
	.type	_ZN2at6native6mbtopk23computeBlockDigitCountsIljmLi1EEEvNS_4cuda6detail10TensorInfoIKT_T0_EEjPjjS8_iijT1_PSB_Ps,@function
_ZN2at6native6mbtopk23computeBlockDigitCountsIljmLi1EEEvNS_4cuda6detail10TensorInfoIKT_T0_EEjPjjS8_iijT1_PSB_Ps: ; @_ZN2at6native6mbtopk23computeBlockDigitCountsIljmLi1EEEvNS_4cuda6detail10TensorInfoIKT_T0_EEjPjjS8_iijT1_PSB_Ps
; %bb.0:
	s_clause 0x2
	s_load_dword s18, s[4:5], 0xf8
	s_load_dwordx4 s[0:3], s[4:5], 0xe8
	s_load_dwordx2 s[10:11], s[4:5], 0x118
	s_mov_b32 s13, 0
	s_waitcnt lgkmcnt(0)
	v_cvt_f32_u32_e32 v1, s18
	s_mul_i32 s8, s11, s8
	s_sub_i32 s11, 0, s18
	s_add_i32 s7, s8, s7
	v_rcp_iflag_f32_e32 v1, v1
	s_mul_i32 s16, s7, s10
	s_add_i32 s16, s16, s6
	v_mul_f32_e32 v1, 0x4f7ffffe, v1
	v_cvt_u32_f32_e32 v1, v1
	v_readfirstlane_b32 s9, v1
	s_mul_i32 s11, s11, s9
	s_mul_hi_u32 s7, s9, s11
	s_add_i32 s9, s9, s7
	s_mul_hi_u32 s6, s16, s9
	s_mul_i32 s7, s6, s18
	s_add_i32 s8, s6, 1
	s_sub_i32 s7, s16, s7
	s_sub_i32 s9, s7, s18
	s_cmp_ge_u32 s7, s18
	s_cselect_b32 s6, s8, s6
	s_cselect_b32 s7, s9, s7
	s_add_i32 s8, s6, 1
	s_cmp_ge_u32 s7, s18
	s_cselect_b32 s12, s8, s6
	s_cmp_ge_u32 s12, s0
	s_cbranch_scc1 .LBB40_27
; %bb.1:
	s_clause 0x1
	s_load_dwordx4 s[8:11], s[4:5], 0x100
	s_load_dwordx2 s[6:7], s[4:5], 0x110
	s_lshl_b64 s[14:15], s[12:13], 3
	v_cmp_gt_u32_e32 vcc_lo, 0x100, v0
	v_lshlrev_b32_e32 v5, 2, v0
	s_waitcnt lgkmcnt(0)
	s_add_u32 s14, s10, s14
	s_addc_u32 s15, s11, s15
	s_and_saveexec_b32 s0, vcc_lo
; %bb.2:
	v_mov_b32_e32 v1, 0
	ds_write_b32 v5, v1
; %bb.3:
	s_or_b32 exec_lo, exec_lo, s0
	s_load_dword s13, s[4:5], 0xd8
	s_mul_i32 s0, s12, s18
	s_waitcnt lgkmcnt(0)
	s_sub_i32 s0, s16, s0
	s_barrier
	s_mul_i32 s10, s3, s0
	s_add_i32 s0, s0, 1
	s_lshl_b32 s17, s10, 8
	buffer_gl0_inv
	s_sub_i32 s10, s13, s17
	s_add_u32 s10, s10, 0xff
	s_addc_u32 s11, 0, 0
	s_lshr_b64 s[10:11], s[10:11], 8
	s_cmp_lt_u32 s0, s18
	s_mov_b32 s11, 0
	s_cselect_b32 s18, s3, s10
	s_cmp_lt_i32 s18, 1
	s_cbranch_scc1 .LBB40_25
; %bb.4:
	s_clause 0x1
	s_load_dword s0, s[4:5], 0x6c
	s_load_dwordx2 s[20:21], s[4:5], 0x0
	s_load_dwordx2 s[4:5], s[14:15], 0x0
	s_waitcnt lgkmcnt(0)
	s_mul_i32 s10, s0, s12
	s_lshl_b64 s[14:15], s[10:11], 3
	s_add_u32 s3, s20, s14
	s_addc_u32 s10, s21, s15
	s_and_b32 s2, s2, 0xff
	s_cmp_lt_u32 s18, 4
	s_cbranch_scc1 .LBB40_19
; %bb.5:
	v_add_nc_u32_e32 v1, s17, v0
	v_mov_b32_e32 v11, 1
	v_mov_b32_e32 v12, 2
	s_and_b32 s11, s18, 0x7ffffffc
	s_lshl_b32 s12, s1, 10
	v_add_nc_u32_e32 v6, 0x300, v1
	v_add_nc_u32_e32 v2, 0x200, v1
	;; [unrolled: 1-line block ×3, first 2 shown]
	v_mul_lo_u32 v10, s1, v1
	s_mov_b32 s14, 0
	v_mul_lo_u32 v7, s1, v6
	v_mul_lo_u32 v8, s1, v2
	;; [unrolled: 1-line block ×3, first 2 shown]
	v_mov_b32_e32 v2, 0
	s_mov_b32 s15, 0
	s_branch .LBB40_7
.LBB40_6:                               ;   in Loop: Header=BB40_7 Depth=1
	s_or_b32 exec_lo, exec_lo, s19
	v_add_nc_u32_e32 v6, 0x400, v6
	s_add_i32 s15, s15, 4
	s_add_i32 s14, s14, s12
	s_cmp_eq_u32 s11, s15
	s_cbranch_scc1 .LBB40_19
.LBB40_7:                               ; =>This Inner Loop Header: Depth=1
	v_add_nc_u32_e32 v1, 0xfffffd00, v6
	s_mov_b32 s19, exec_lo
	v_cmpx_gt_u32_e64 s13, v1
	s_cbranch_execz .LBB40_10
; %bb.8:                                ;   in Loop: Header=BB40_7 Depth=1
	v_add_nc_u32_e32 v1, s14, v10
	v_lshlrev_b64 v[3:4], 3, v[1:2]
	v_add_co_u32 v3, s0, s3, v3
	v_add_co_ci_u32_e64 v4, null, s10, v4, s0
	global_load_dwordx2 v[3:4], v[3:4], off
	s_waitcnt vmcnt(0)
	v_xor_b32_e32 v4, 0x80000000, v4
	v_xor_b32_e32 v13, s4, v3
	;; [unrolled: 1-line block ×3, first 2 shown]
	v_and_b32_e32 v13, s8, v13
	v_and_b32_e32 v14, s9, v1
	v_cmp_eq_u64_e64 s0, 0, v[13:14]
	s_and_b32 exec_lo, exec_lo, s0
; %bb.9:                                ;   in Loop: Header=BB40_7 Depth=1
	v_lshrrev_b64 v[3:4], s2, v[3:4]
	v_lshlrev_b32_sdwa v1, v12, v3 dst_sel:DWORD dst_unused:UNUSED_PAD src0_sel:DWORD src1_sel:BYTE_0
	ds_add_u32 v1, v11
.LBB40_10:                              ;   in Loop: Header=BB40_7 Depth=1
	s_or_b32 exec_lo, exec_lo, s19
	v_add_nc_u32_e32 v1, 0xfffffe00, v6
	s_mov_b32 s19, exec_lo
	v_cmpx_gt_u32_e64 s13, v1
	s_cbranch_execz .LBB40_13
; %bb.11:                               ;   in Loop: Header=BB40_7 Depth=1
	v_add_nc_u32_e32 v1, s14, v9
	v_lshlrev_b64 v[3:4], 3, v[1:2]
	v_add_co_u32 v3, s0, s3, v3
	v_add_co_ci_u32_e64 v4, null, s10, v4, s0
	global_load_dwordx2 v[3:4], v[3:4], off
	s_waitcnt vmcnt(0)
	v_xor_b32_e32 v4, 0x80000000, v4
	v_xor_b32_e32 v13, s4, v3
	;; [unrolled: 1-line block ×3, first 2 shown]
	v_and_b32_e32 v13, s8, v13
	v_and_b32_e32 v14, s9, v1
	v_cmp_eq_u64_e64 s0, 0, v[13:14]
	s_and_b32 exec_lo, exec_lo, s0
; %bb.12:                               ;   in Loop: Header=BB40_7 Depth=1
	v_lshrrev_b64 v[3:4], s2, v[3:4]
	v_lshlrev_b32_sdwa v1, v12, v3 dst_sel:DWORD dst_unused:UNUSED_PAD src0_sel:DWORD src1_sel:BYTE_0
	ds_add_u32 v1, v11
.LBB40_13:                              ;   in Loop: Header=BB40_7 Depth=1
	s_or_b32 exec_lo, exec_lo, s19
	v_add_nc_u32_e32 v1, 0xffffff00, v6
	s_mov_b32 s19, exec_lo
	v_cmpx_gt_u32_e64 s13, v1
	s_cbranch_execz .LBB40_16
; %bb.14:                               ;   in Loop: Header=BB40_7 Depth=1
	v_add_nc_u32_e32 v1, s14, v8
	v_lshlrev_b64 v[3:4], 3, v[1:2]
	v_add_co_u32 v3, s0, s3, v3
	v_add_co_ci_u32_e64 v4, null, s10, v4, s0
	global_load_dwordx2 v[3:4], v[3:4], off
	s_waitcnt vmcnt(0)
	v_xor_b32_e32 v4, 0x80000000, v4
	v_xor_b32_e32 v13, s4, v3
	;; [unrolled: 1-line block ×3, first 2 shown]
	v_and_b32_e32 v13, s8, v13
	v_and_b32_e32 v14, s9, v1
	v_cmp_eq_u64_e64 s0, 0, v[13:14]
	s_and_b32 exec_lo, exec_lo, s0
; %bb.15:                               ;   in Loop: Header=BB40_7 Depth=1
	v_lshrrev_b64 v[3:4], s2, v[3:4]
	v_lshlrev_b32_sdwa v1, v12, v3 dst_sel:DWORD dst_unused:UNUSED_PAD src0_sel:DWORD src1_sel:BYTE_0
	ds_add_u32 v1, v11
.LBB40_16:                              ;   in Loop: Header=BB40_7 Depth=1
	s_or_b32 exec_lo, exec_lo, s19
	s_mov_b32 s19, exec_lo
	v_cmpx_gt_u32_e64 s13, v6
	s_cbranch_execz .LBB40_6
; %bb.17:                               ;   in Loop: Header=BB40_7 Depth=1
	v_add_nc_u32_e32 v1, s14, v7
	v_lshlrev_b64 v[3:4], 3, v[1:2]
	v_add_co_u32 v3, s0, s3, v3
	v_add_co_ci_u32_e64 v4, null, s10, v4, s0
	global_load_dwordx2 v[3:4], v[3:4], off
	s_waitcnt vmcnt(0)
	v_xor_b32_e32 v4, 0x80000000, v4
	v_xor_b32_e32 v13, s4, v3
	;; [unrolled: 1-line block ×3, first 2 shown]
	v_and_b32_e32 v13, s8, v13
	v_and_b32_e32 v14, s9, v1
	v_cmp_eq_u64_e64 s0, 0, v[13:14]
	s_and_b32 exec_lo, exec_lo, s0
	s_cbranch_execz .LBB40_6
; %bb.18:                               ;   in Loop: Header=BB40_7 Depth=1
	v_lshrrev_b64 v[3:4], s2, v[3:4]
	v_lshlrev_b32_sdwa v1, v12, v3 dst_sel:DWORD dst_unused:UNUSED_PAD src0_sel:DWORD src1_sel:BYTE_0
	ds_add_u32 v1, v11
	s_branch .LBB40_6
.LBB40_19:
	s_and_b32 s12, s18, 3
	s_cmp_eq_u32 s12, 0
	s_cbranch_scc1 .LBB40_25
; %bb.20:
	s_lshl_b32 s0, s11, 8
	v_mov_b32_e32 v2, 0
	v_add3_u32 v6, s0, s17, v0
	v_mov_b32_e32 v7, 1
	v_mov_b32_e32 v8, 2
	v_mul_lo_u32 v1, s1, v6
	s_lshl_b32 s1, s1, 8
	s_inst_prefetch 0x1
	s_branch .LBB40_22
	.p2align	6
.LBB40_21:                              ;   in Loop: Header=BB40_22 Depth=1
	s_or_b32 exec_lo, exec_lo, s11
	v_add_nc_u32_e32 v1, s1, v1
	v_add_nc_u32_e32 v6, 0x100, v6
	s_add_i32 s12, s12, -1
	s_cmp_lg_u32 s12, 0
	s_cbranch_scc0 .LBB40_25
.LBB40_22:                              ; =>This Inner Loop Header: Depth=1
	s_mov_b32 s11, exec_lo
	v_cmpx_gt_u32_e64 s13, v6
	s_cbranch_execz .LBB40_21
; %bb.23:                               ;   in Loop: Header=BB40_22 Depth=1
	v_lshlrev_b64 v[3:4], 3, v[1:2]
	v_add_co_u32 v3, s0, s3, v3
	v_add_co_ci_u32_e64 v4, null, s10, v4, s0
	global_load_dwordx2 v[3:4], v[3:4], off
	s_waitcnt vmcnt(0)
	v_xor_b32_e32 v4, 0x80000000, v4
	v_xor_b32_e32 v11, s4, v3
	;; [unrolled: 1-line block ×3, first 2 shown]
	v_and_b32_e32 v10, s9, v9
	v_and_b32_e32 v9, s8, v11
	v_cmp_eq_u64_e64 s0, 0, v[9:10]
	s_and_b32 exec_lo, exec_lo, s0
	s_cbranch_execz .LBB40_21
; %bb.24:                               ;   in Loop: Header=BB40_22 Depth=1
	v_lshrrev_b64 v[3:4], s2, v[3:4]
	v_lshlrev_b32_sdwa v3, v8, v3 dst_sel:DWORD dst_unused:UNUSED_PAD src0_sel:DWORD src1_sel:BYTE_0
	ds_add_u32 v3, v7
	s_branch .LBB40_21
.LBB40_25:
	s_inst_prefetch 0x2
	s_waitcnt lgkmcnt(0)
	s_barrier
	buffer_gl0_inv
	s_and_saveexec_b32 s0, vcc_lo
	s_cbranch_execz .LBB40_27
; %bb.26:
	ds_read_b32 v2, v5
	v_lshl_or_b32 v0, s16, 8, v0
	v_mov_b32_e32 v1, 0
	v_lshlrev_b64 v[0:1], 1, v[0:1]
	v_add_co_u32 v0, vcc_lo, s6, v0
	v_add_co_ci_u32_e64 v1, null, s7, v1, vcc_lo
	s_waitcnt lgkmcnt(0)
	global_store_short v[0:1], v2, off
.LBB40_27:
	s_endpgm
	.section	.rodata,"a",@progbits
	.p2align	6, 0x0
	.amdhsa_kernel _ZN2at6native6mbtopk23computeBlockDigitCountsIljmLi1EEEvNS_4cuda6detail10TensorInfoIKT_T0_EEjPjjS8_iijT1_PSB_Ps
		.amdhsa_group_segment_fixed_size 1024
		.amdhsa_private_segment_fixed_size 0
		.amdhsa_kernarg_size 536
		.amdhsa_user_sgpr_count 6
		.amdhsa_user_sgpr_private_segment_buffer 1
		.amdhsa_user_sgpr_dispatch_ptr 0
		.amdhsa_user_sgpr_queue_ptr 0
		.amdhsa_user_sgpr_kernarg_segment_ptr 1
		.amdhsa_user_sgpr_dispatch_id 0
		.amdhsa_user_sgpr_flat_scratch_init 0
		.amdhsa_user_sgpr_private_segment_size 0
		.amdhsa_wavefront_size32 1
		.amdhsa_uses_dynamic_stack 0
		.amdhsa_system_sgpr_private_segment_wavefront_offset 0
		.amdhsa_system_sgpr_workgroup_id_x 1
		.amdhsa_system_sgpr_workgroup_id_y 1
		.amdhsa_system_sgpr_workgroup_id_z 1
		.amdhsa_system_sgpr_workgroup_info 0
		.amdhsa_system_vgpr_workitem_id 0
		.amdhsa_next_free_vgpr 15
		.amdhsa_next_free_sgpr 22
		.amdhsa_reserve_vcc 1
		.amdhsa_reserve_flat_scratch 0
		.amdhsa_float_round_mode_32 0
		.amdhsa_float_round_mode_16_64 0
		.amdhsa_float_denorm_mode_32 3
		.amdhsa_float_denorm_mode_16_64 3
		.amdhsa_dx10_clamp 1
		.amdhsa_ieee_mode 1
		.amdhsa_fp16_overflow 0
		.amdhsa_workgroup_processor_mode 1
		.amdhsa_memory_ordered 1
		.amdhsa_forward_progress 1
		.amdhsa_shared_vgpr_count 0
		.amdhsa_exception_fp_ieee_invalid_op 0
		.amdhsa_exception_fp_denorm_src 0
		.amdhsa_exception_fp_ieee_div_zero 0
		.amdhsa_exception_fp_ieee_overflow 0
		.amdhsa_exception_fp_ieee_underflow 0
		.amdhsa_exception_fp_ieee_inexact 0
		.amdhsa_exception_int_div_zero 0
	.end_amdhsa_kernel
	.section	.text._ZN2at6native6mbtopk23computeBlockDigitCountsIljmLi1EEEvNS_4cuda6detail10TensorInfoIKT_T0_EEjPjjS8_iijT1_PSB_Ps,"axG",@progbits,_ZN2at6native6mbtopk23computeBlockDigitCountsIljmLi1EEEvNS_4cuda6detail10TensorInfoIKT_T0_EEjPjjS8_iijT1_PSB_Ps,comdat
.Lfunc_end40:
	.size	_ZN2at6native6mbtopk23computeBlockDigitCountsIljmLi1EEEvNS_4cuda6detail10TensorInfoIKT_T0_EEjPjjS8_iijT1_PSB_Ps, .Lfunc_end40-_ZN2at6native6mbtopk23computeBlockDigitCountsIljmLi1EEEvNS_4cuda6detail10TensorInfoIKT_T0_EEjPjjS8_iijT1_PSB_Ps
                                        ; -- End function
	.set _ZN2at6native6mbtopk23computeBlockDigitCountsIljmLi1EEEvNS_4cuda6detail10TensorInfoIKT_T0_EEjPjjS8_iijT1_PSB_Ps.num_vgpr, 15
	.set _ZN2at6native6mbtopk23computeBlockDigitCountsIljmLi1EEEvNS_4cuda6detail10TensorInfoIKT_T0_EEjPjjS8_iijT1_PSB_Ps.num_agpr, 0
	.set _ZN2at6native6mbtopk23computeBlockDigitCountsIljmLi1EEEvNS_4cuda6detail10TensorInfoIKT_T0_EEjPjjS8_iijT1_PSB_Ps.numbered_sgpr, 22
	.set _ZN2at6native6mbtopk23computeBlockDigitCountsIljmLi1EEEvNS_4cuda6detail10TensorInfoIKT_T0_EEjPjjS8_iijT1_PSB_Ps.num_named_barrier, 0
	.set _ZN2at6native6mbtopk23computeBlockDigitCountsIljmLi1EEEvNS_4cuda6detail10TensorInfoIKT_T0_EEjPjjS8_iijT1_PSB_Ps.private_seg_size, 0
	.set _ZN2at6native6mbtopk23computeBlockDigitCountsIljmLi1EEEvNS_4cuda6detail10TensorInfoIKT_T0_EEjPjjS8_iijT1_PSB_Ps.uses_vcc, 1
	.set _ZN2at6native6mbtopk23computeBlockDigitCountsIljmLi1EEEvNS_4cuda6detail10TensorInfoIKT_T0_EEjPjjS8_iijT1_PSB_Ps.uses_flat_scratch, 0
	.set _ZN2at6native6mbtopk23computeBlockDigitCountsIljmLi1EEEvNS_4cuda6detail10TensorInfoIKT_T0_EEjPjjS8_iijT1_PSB_Ps.has_dyn_sized_stack, 0
	.set _ZN2at6native6mbtopk23computeBlockDigitCountsIljmLi1EEEvNS_4cuda6detail10TensorInfoIKT_T0_EEjPjjS8_iijT1_PSB_Ps.has_recursion, 0
	.set _ZN2at6native6mbtopk23computeBlockDigitCountsIljmLi1EEEvNS_4cuda6detail10TensorInfoIKT_T0_EEjPjjS8_iijT1_PSB_Ps.has_indirect_call, 0
	.section	.AMDGPU.csdata,"",@progbits
; Kernel info:
; codeLenInByte = 1324
; TotalNumSgprs: 24
; NumVgprs: 15
; ScratchSize: 0
; MemoryBound: 0
; FloatMode: 240
; IeeeMode: 1
; LDSByteSize: 1024 bytes/workgroup (compile time only)
; SGPRBlocks: 0
; VGPRBlocks: 1
; NumSGPRsForWavesPerEU: 24
; NumVGPRsForWavesPerEU: 15
; Occupancy: 16
; WaveLimiterHint : 1
; COMPUTE_PGM_RSRC2:SCRATCH_EN: 0
; COMPUTE_PGM_RSRC2:USER_SGPR: 6
; COMPUTE_PGM_RSRC2:TRAP_HANDLER: 0
; COMPUTE_PGM_RSRC2:TGID_X_EN: 1
; COMPUTE_PGM_RSRC2:TGID_Y_EN: 1
; COMPUTE_PGM_RSRC2:TGID_Z_EN: 1
; COMPUTE_PGM_RSRC2:TIDIG_COMP_CNT: 0
	.section	.text._ZN2at6native6mbtopk29computeBlockwiseWithinKCountsImlEEvPT_PsPjjibS6_PT0_S6_S4_S6_j,"axG",@progbits,_ZN2at6native6mbtopk29computeBlockwiseWithinKCountsImlEEvPT_PsPjjibS6_PT0_S6_S4_S6_j,comdat
	.protected	_ZN2at6native6mbtopk29computeBlockwiseWithinKCountsImlEEvPT_PsPjjibS6_PT0_S6_S4_S6_j ; -- Begin function _ZN2at6native6mbtopk29computeBlockwiseWithinKCountsImlEEvPT_PsPjjibS6_PT0_S6_S4_S6_j
	.globl	_ZN2at6native6mbtopk29computeBlockwiseWithinKCountsImlEEvPT_PsPjjibS6_PT0_S6_S4_S6_j
	.p2align	8
	.type	_ZN2at6native6mbtopk29computeBlockwiseWithinKCountsImlEEvPT_PsPjjibS6_PT0_S6_S4_S6_j,@function
_ZN2at6native6mbtopk29computeBlockwiseWithinKCountsImlEEvPT_PsPjjibS6_PT0_S6_S4_S6_j: ; @_ZN2at6native6mbtopk29computeBlockwiseWithinKCountsImlEEvPT_PsPjjibS6_PT0_S6_S4_S6_j
; %bb.0:
	s_clause 0x2
	s_load_dwordx4 s[16:19], s[4:5], 0x18
	s_load_dwordx2 s[0:1], s[4:5], 0x58
	s_load_dword s3, s[4:5], 0x50
	s_waitcnt lgkmcnt(0)
	v_cvt_f32_u32_e32 v1, s16
	s_mul_i32 s1, s1, s8
	s_add_i32 s1, s1, s7
	v_rcp_iflag_f32_e32 v1, v1
	s_mul_i32 s0, s1, s0
	s_add_i32 s2, s0, s6
	s_cmp_ge_u32 s2, s3
	v_mul_f32_e32 v1, 0x4f7ffffe, v1
	v_cvt_u32_f32_e32 v1, v1
	v_readfirstlane_b32 s0, v1
	s_cbranch_scc1 .LBB41_40
; %bb.1:
	s_sub_i32 s1, 0, s16
	v_cmp_gt_u32_e32 vcc_lo, 0x100, v0
	s_mul_i32 s1, s1, s0
	s_load_dwordx4 s[20:23], s[4:5], 0x0
	s_mul_hi_u32 s1, s0, s1
	s_add_i32 s3, s0, s1
	s_load_dwordx2 s[0:1], s[4:5], 0x10
	s_mul_hi_u32 s6, s2, s3
	s_mul_i32 s3, s6, s16
	s_add_i32 s8, s6, 1
	s_sub_i32 s7, s2, s3
	s_mov_b32 s3, 0
	s_sub_i32 s9, s7, s16
	s_cmp_ge_u32 s7, s16
	s_mov_b32 s25, s3
	s_cselect_b32 s6, s8, s6
	s_cselect_b32 s7, s9, s7
	s_add_i32 s8, s6, 1
	s_cmp_ge_u32 s7, s16
	s_cselect_b32 s24, s8, s6
	s_lshl_b64 s[6:7], s[24:25], 2
	s_waitcnt lgkmcnt(0)
	s_add_u32 s8, s0, s6
	s_addc_u32 s9, s1, s7
	s_and_saveexec_b32 s1, vcc_lo
	s_cbranch_execz .LBB41_8
; %bb.2:
	s_mul_i32 s0, s24, s16
	s_mov_b32 s11, s3
	s_lshl_b32 s10, s0, 8
	v_lshlrev_b32_e32 v1, 1, v0
	s_lshl_b64 s[10:11], s[10:11], 1
	v_mov_b32_e32 v3, 0
	s_add_u32 s0, s22, s10
	s_addc_u32 s10, s23, s11
	v_add_co_u32 v1, s0, s0, v1
	v_add_co_ci_u32_e64 v2, null, s10, 0, s0
	s_cmp_lt_u32 s16, 4
	s_cbranch_scc1 .LBB41_41
; %bb.3:
	v_mov_b32_e32 v3, 0
	s_mov_b32 s10, 0
	.p2align	6
.LBB41_4:                               ; =>This Inner Loop Header: Depth=1
	s_clause 0x3
	global_load_sshort v4, v[1:2], off
	global_load_sshort v5, v[1:2], off offset:512
	global_load_sshort v6, v[1:2], off offset:1024
	;; [unrolled: 1-line block ×3, first 2 shown]
	v_add_co_u32 v1, s0, 0x800, v1
	v_add_co_ci_u32_e64 v2, null, 0, v2, s0
	s_add_i32 s0, s10, 7
	s_add_i32 s10, s10, 4
	s_cmp_ge_u32 s0, s16
	s_waitcnt vmcnt(2)
	v_add3_u32 v3, v3, v4, v5
	s_waitcnt vmcnt(0)
	v_add3_u32 v3, v3, v6, v7
	s_cbranch_scc0 .LBB41_4
; %bb.5:
	s_cmp_ge_u32 s10, s16
	s_cbranch_scc1 .LBB41_7
.LBB41_6:                               ; =>This Inner Loop Header: Depth=1
	global_load_sshort v4, v[1:2], off
	v_add_co_u32 v1, s0, 0x200, v1
	v_add_co_ci_u32_e64 v2, null, 0, v2, s0
	s_add_i32 s10, s10, 1
	s_cmp_lt_u32 s10, s16
	s_waitcnt vmcnt(0)
	v_add_nc_u32_e32 v3, v3, v4
	s_cbranch_scc1 .LBB41_6
.LBB41_7:
	v_lshlrev_b32_e32 v1, 2, v0
	ds_write_b32 v1, v3 offset:1056
.LBB41_8:
	s_or_b32 exec_lo, exec_lo, s1
	s_load_dword s19, s[8:9], 0x0
	v_mov_b32_e32 v2, 0
	v_lshlrev_b32_e32 v4, 2, v0
	s_waitcnt lgkmcnt(0)
	s_barrier
	buffer_gl0_inv
	s_and_saveexec_b32 s0, vcc_lo
; %bb.9:
	ds_read_b32 v2, v4 offset:1056
; %bb.10:
	s_or_b32 exec_lo, exec_lo, s0
	v_lshrrev_b32_e32 v6, 5, v0
	v_cmp_gt_u32_e64 s0, 32, v0
	v_mbcnt_lo_u32_b32 v5, -1, 0
	v_lshl_add_u32 v1, v6, 2, v4
	s_waitcnt lgkmcnt(0)
	ds_write_b32 v1, v2
	s_waitcnt lgkmcnt(0)
	s_barrier
	buffer_gl0_inv
	s_and_saveexec_b32 s8, s0
	s_cbranch_execz .LBB41_12
; %bb.11:
	v_and_b32_e32 v3, 0xfc, v0
	v_lshl_add_u32 v15, v0, 5, v3
	ds_read2_b32 v[7:8], v15 offset1:1
	ds_read2_b32 v[9:10], v15 offset0:2 offset1:3
	ds_read2_b32 v[11:12], v15 offset0:4 offset1:5
	;; [unrolled: 1-line block ×3, first 2 shown]
	; wave barrier
	s_waitcnt lgkmcnt(3)
	v_add_nc_u32_e32 v3, v8, v7
	v_and_b32_e32 v8, 15, v5
	s_waitcnt lgkmcnt(2)
	v_add3_u32 v3, v3, v9, v10
	v_cmp_ne_u32_e64 s1, 0, v8
	v_bfe_i32 v10, v5, 4, 1
	s_waitcnt lgkmcnt(1)
	v_add3_u32 v3, v3, v11, v12
	s_waitcnt lgkmcnt(0)
	v_add3_u32 v3, v3, v13, v14
	v_mov_b32_dpp v9, v3 row_shr:1 row_mask:0xf bank_mask:0xf
	v_cndmask_b32_e64 v9, 0, v9, s1
	v_cmp_lt_u32_e64 s1, 1, v8
	v_add_nc_u32_e32 v3, v9, v3
	v_mov_b32_dpp v9, v3 row_shr:2 row_mask:0xf bank_mask:0xf
	v_cndmask_b32_e64 v9, 0, v9, s1
	v_cmp_lt_u32_e64 s1, 3, v8
	v_add_nc_u32_e32 v3, v3, v9
	;; [unrolled: 4-line block ×3, first 2 shown]
	v_mov_b32_dpp v9, v3 row_shr:8 row_mask:0xf bank_mask:0xf
	v_cndmask_b32_e64 v8, 0, v9, s1
	v_add_nc_u32_e32 v9, -1, v5
	v_add_nc_u32_e32 v3, v3, v8
	v_cmp_gt_i32_e64 s1, 0, v9
	ds_swizzle_b32 v8, v3 offset:swizzle(BROADCAST,32,15)
	v_cndmask_b32_e64 v9, v9, v5, s1
	v_cmp_eq_u32_e64 s1, 0, v0
	v_lshlrev_b32_e32 v9, 2, v9
	s_waitcnt lgkmcnt(0)
	v_and_b32_e32 v8, v10, v8
	v_add_nc_u32_e32 v3, v3, v8
	ds_bpermute_b32 v3, v9, v3
	s_waitcnt lgkmcnt(0)
	v_add_nc_u32_e32 v3, v3, v7
	v_cndmask_b32_e64 v11, v3, v2, s1
	ds_write_b32 v15, v11
	; wave barrier
	ds_read2_b32 v[2:3], v15 offset0:1 offset1:2
	ds_read2_b32 v[7:8], v15 offset0:3 offset1:4
	;; [unrolled: 1-line block ×3, first 2 shown]
	ds_read_b32 v12, v15 offset:28
	s_waitcnt lgkmcnt(3)
	v_add_nc_u32_e32 v2, v2, v11
	v_add_nc_u32_e32 v3, v3, v2
	s_waitcnt lgkmcnt(2)
	v_add_nc_u32_e32 v7, v7, v3
	v_add_nc_u32_e32 v8, v8, v7
	;; [unrolled: 3-line block ×3, first 2 shown]
	s_waitcnt lgkmcnt(0)
	v_add_nc_u32_e32 v11, v12, v10
	ds_write2_b32 v15, v2, v3 offset0:1 offset1:2
	ds_write2_b32 v15, v7, v8 offset0:3 offset1:4
	;; [unrolled: 1-line block ×3, first 2 shown]
	ds_write_b32 v15, v11 offset:28
.LBB41_12:
	s_or_b32 exec_lo, exec_lo, s8
	s_waitcnt lgkmcnt(0)
	s_barrier
	buffer_gl0_inv
	ds_read_b32 v1, v1
	s_waitcnt lgkmcnt(0)
	s_barrier
	buffer_gl0_inv
	s_and_saveexec_b32 s1, vcc_lo
; %bb.13:
	ds_write_b32 v4, v1 offset:1056
; %bb.14:
	s_or_b32 exec_lo, exec_lo, s1
	s_clause 0x1
	s_load_dwordx8 s[8:15], s[4:5], 0x28
	s_load_dwordx2 s[4:5], s[4:5], 0x48
	s_waitcnt lgkmcnt(0)
	s_barrier
	buffer_gl0_inv
	s_and_saveexec_b32 s28, vcc_lo
	s_cbranch_execz .LBB41_23
; %bb.15:
	v_mov_b32_e32 v7, 0
	s_mov_b32 s1, exec_lo
	v_cmpx_ne_u32_e32 0, v0
; %bb.16:
	ds_read_b32 v7, v4 offset:1052
; %bb.17:
	s_or_b32 exec_lo, exec_lo, s1
	s_waitcnt lgkmcnt(0)
	v_cmp_gt_u32_e32 vcc_lo, s19, v7
	v_cmp_le_u32_e64 s1, s19, v1
	s_and_b32 s1, vcc_lo, s1
	s_and_b32 exec_lo, exec_lo, s1
	s_cbranch_execz .LBB41_23
; %bb.18:
	s_lshl_b64 s[26:27], s[24:25], 3
	v_mov_b32_e32 v1, 0
	s_add_u32 s20, s20, s26
	s_addc_u32 s21, s21, s27
	s_mul_i32 s1, s24, s16
	global_load_dwordx2 v[2:3], v1, s[20:21]
	s_lshl_b64 s[20:21], 0xff, s17
	v_lshlrev_b64 v[8:9], s17, v[0:1]
	v_not_b32_e32 v10, s21
	v_not_b32_e32 v11, s20
	s_cmp_lg_u32 s2, s1
	s_waitcnt vmcnt(0)
	v_and_b32_e32 v3, v3, v10
	v_and_b32_e32 v2, v2, v11
	v_or_b32_e32 v3, v3, v9
	v_or_b32_e32 v2, v2, v8
	ds_write_b64 v1, v[2:3] offset:2112
	s_cbranch_scc1 .LBB41_23
; %bb.19:
	s_add_u32 s14, s14, s26
	s_addc_u32 s15, s15, s27
	s_cmp_lt_i32 s17, 1
	s_mov_b32 s1, -1
	global_store_dwordx2 v1, v[2:3], s[14:15]
	s_cbranch_scc0 .LBB41_21
; %bb.20:
	v_xor_b32_e32 v3, 0x80000000, v3
	v_mov_b32_e32 v1, 0
	s_add_u32 s10, s10, s26
	s_addc_u32 s11, s11, s27
	s_mov_b32 s1, 0
	global_store_dwordx2 v1, v[2:3], s[10:11]
.LBB41_21:
	s_andn2_b32 vcc_lo, exec_lo, s1
	s_cbranch_vccnz .LBB41_23
; %bb.22:
	v_sub_nc_u32_e32 v1, s19, v7
	v_mov_b32_e32 v2, 0
	s_add_u32 s6, s12, s6
	s_addc_u32 s7, s13, s7
	global_store_dword v2, v1, s[6:7]
.LBB41_23:
	s_or_b32 exec_lo, exec_lo, s28
	v_mov_b32_e32 v3, 0
	s_waitcnt lgkmcnt(0)
	s_waitcnt_vscnt null, 0x0
	s_barrier
	buffer_gl0_inv
	s_bitcmp0_b32 s18, 0
	ds_read_b64 v[1:2], v3 offset:2112
	s_mov_b32 s1, 0
	s_waitcnt lgkmcnt(0)
	v_lshrrev_b64 v[1:2], s17, v[1:2]
	v_and_b32_e32 v2, 0xff, v1
	v_mov_b32_e32 v1, v3
	s_cbranch_scc0 .LBB41_25
; %bb.24:
	v_and_b32_e32 v7, 0xe0, v0
	v_mov_b32_e32 v8, v3
	v_cmp_gt_u64_e64 s6, v[2:3], v[0:1]
	v_cmp_gt_u64_e64 s7, v[2:3], v[7:8]
	s_andn2_b32 vcc_lo, exec_lo, s1
	s_cbranch_vccz .LBB41_26
	s_branch .LBB41_27
.LBB41_25:
                                        ; implicit-def: $sgpr6
                                        ; implicit-def: $sgpr7
.LBB41_26:
	v_or_b32_e32 v7, 31, v0
	v_mov_b32_e32 v8, 0
	v_cmp_lt_u64_e32 vcc_lo, v[2:3], v[0:1]
	s_andn2_b32 s6, s6, exec_lo
	s_andn2_b32 s7, s7, exec_lo
	v_cmp_lt_u64_e64 s1, v[2:3], v[7:8]
	s_and_b32 s10, vcc_lo, exec_lo
	s_or_b32 s6, s6, s10
	s_and_b32 s1, s1, exec_lo
	s_or_b32 s7, s7, s1
.LBB41_27:
	v_mov_b32_e32 v1, 0
	s_and_saveexec_b32 s1, s7
	s_cbranch_execz .LBB41_31
; %bb.28:
	v_mov_b32_e32 v1, 0
	s_and_saveexec_b32 s7, s6
	s_cbranch_execz .LBB41_30
; %bb.29:
	s_lshl_b32 s10, s2, 8
	s_mov_b32 s11, 0
	v_lshlrev_b32_e32 v1, 1, v0
	s_lshl_b64 s[10:11], s[10:11], 1
	s_add_u32 s10, s22, s10
	s_addc_u32 s11, s23, s11
	global_load_sshort v1, v1, s[10:11]
.LBB41_30:
	s_or_b32 exec_lo, exec_lo, s7
	v_lshl_or_b32 v2, v5, 2, 64
	v_cmp_gt_u32_e32 vcc_lo, 24, v5
	s_waitcnt vmcnt(0)
	ds_bpermute_b32 v2, v2, v1
	v_cndmask_b32_e64 v3, 0, 8, vcc_lo
	v_cmp_gt_u32_e32 vcc_lo, 28, v5
	v_add_lshl_u32 v3, v3, v5, 2
	s_waitcnt lgkmcnt(0)
	v_add_nc_u32_e32 v1, v2, v1
	ds_bpermute_b32 v2, v3, v1
	v_cndmask_b32_e64 v3, 0, 4, vcc_lo
	v_cmp_gt_u32_e32 vcc_lo, 30, v5
	v_add_lshl_u32 v3, v3, v5, 2
	s_waitcnt lgkmcnt(0)
	v_add_nc_u32_e32 v1, v2, v1
	ds_bpermute_b32 v2, v3, v1
	v_cndmask_b32_e64 v3, 0, 2, vcc_lo
	v_cmp_ne_u32_e32 vcc_lo, 31, v5
	v_add_lshl_u32 v3, v3, v5, 2
	s_waitcnt lgkmcnt(0)
	v_add_nc_u32_e32 v1, v2, v1
	ds_bpermute_b32 v2, v3, v1
	v_add_co_ci_u32_e64 v3, null, 0, v5, vcc_lo
	s_waitcnt lgkmcnt(0)
	v_add_nc_u32_e32 v1, v2, v1
	v_lshlrev_b32_e32 v2, 2, v3
	ds_bpermute_b32 v2, v2, v1
	s_waitcnt lgkmcnt(0)
	v_add_nc_u32_e32 v1, v2, v1
.LBB41_31:
	s_or_b32 exec_lo, exec_lo, s1
	v_and_b32_e32 v2, 31, v0
	s_mov_b32 s1, exec_lo
	v_cmpx_eq_u32_e32 0, v2
; %bb.32:
	v_lshlrev_b32_e32 v2, 2, v6
	ds_write_b32 v2, v1 offset:2080
; %bb.33:
	s_or_b32 exec_lo, exec_lo, s1
	s_waitcnt lgkmcnt(0)
	s_barrier
	buffer_gl0_inv
	s_and_saveexec_b32 s1, s0
	s_cbranch_execz .LBB41_40
; %bb.34:
	v_mov_b32_e32 v1, 0
	s_mov_b32 s0, exec_lo
	v_cmpx_gt_u32_e32 8, v0
; %bb.35:
	ds_read_b32 v1, v4 offset:2080
; %bb.36:
	s_or_b32 exec_lo, exec_lo, s0
	v_cmp_gt_u32_e32 vcc_lo, 28, v5
	s_mov_b32 s0, exec_lo
	v_cndmask_b32_e64 v2, 0, 4, vcc_lo
	v_cmp_gt_u32_e32 vcc_lo, 30, v5
	v_add_lshl_u32 v2, v2, v5, 2
	v_cndmask_b32_e64 v3, 0, 2, vcc_lo
	v_cmp_ne_u32_e32 vcc_lo, 31, v5
	s_waitcnt lgkmcnt(0)
	ds_bpermute_b32 v2, v2, v1
	v_add_lshl_u32 v3, v3, v5, 2
	s_waitcnt lgkmcnt(0)
	v_add_nc_u32_e32 v1, v2, v1
	ds_bpermute_b32 v2, v3, v1
	v_add_co_ci_u32_e64 v3, null, 0, v5, vcc_lo
	s_waitcnt lgkmcnt(0)
	v_add_nc_u32_e32 v1, v2, v1
	v_lshlrev_b32_e32 v2, 2, v3
	ds_bpermute_b32 v2, v2, v1
	v_cmpx_eq_u32_e32 0, v0
	s_cbranch_execz .LBB41_38
; %bb.37:
	s_lshl_b64 s[6:7], s[2:3], 2
	v_mov_b32_e32 v3, 0
	s_add_u32 s6, s8, s6
	s_addc_u32 s7, s9, s7
	global_load_dword v4, v3, s[6:7]
	s_waitcnt vmcnt(0) lgkmcnt(0)
	v_add3_u32 v1, v2, v1, v4
	global_store_dword v3, v1, s[6:7]
.LBB41_38:
	s_or_b32 exec_lo, exec_lo, s0
	v_or_b32_e32 v0, s17, v0
	v_cmp_eq_u32_e32 vcc_lo, 0, v0
	s_and_b32 exec_lo, exec_lo, vcc_lo
	s_cbranch_execz .LBB41_40
; %bb.39:
	v_mov_b32_e32 v0, 0
	s_waitcnt lgkmcnt(0)
	v_mov_b32_e32 v2, 1
	s_lshl_b32 s0, s2, 8
	s_mov_b32 s1, 0
	s_lshl_b64 s[0:1], s[0:1], 1
	ds_read_b32 v1, v0 offset:2112
	s_add_u32 s0, s22, s0
	s_addc_u32 s1, s23, s1
	s_waitcnt lgkmcnt(0)
	v_lshlrev_b32_sdwa v1, v2, v1 dst_sel:DWORD dst_unused:UNUSED_PAD src0_sel:DWORD src1_sel:BYTE_0
	global_load_sshort v1, v1, s[0:1]
	s_lshl_b64 s[0:1], s[2:3], 2
	s_add_u32 s0, s4, s0
	s_addc_u32 s1, s5, s1
	s_waitcnt vmcnt(0)
	global_store_dword v0, v1, s[0:1]
.LBB41_40:
	s_endpgm
.LBB41_41:
	s_mov_b32 s10, s3
	s_cmp_ge_u32 s10, s16
	s_cbranch_scc0 .LBB41_6
	s_branch .LBB41_7
	.section	.rodata,"a",@progbits
	.p2align	6, 0x0
	.amdhsa_kernel _ZN2at6native6mbtopk29computeBlockwiseWithinKCountsImlEEvPT_PsPjjibS6_PT0_S6_S4_S6_j
		.amdhsa_group_segment_fixed_size 2120
		.amdhsa_private_segment_fixed_size 0
		.amdhsa_kernarg_size 344
		.amdhsa_user_sgpr_count 6
		.amdhsa_user_sgpr_private_segment_buffer 1
		.amdhsa_user_sgpr_dispatch_ptr 0
		.amdhsa_user_sgpr_queue_ptr 0
		.amdhsa_user_sgpr_kernarg_segment_ptr 1
		.amdhsa_user_sgpr_dispatch_id 0
		.amdhsa_user_sgpr_flat_scratch_init 0
		.amdhsa_user_sgpr_private_segment_size 0
		.amdhsa_wavefront_size32 1
		.amdhsa_uses_dynamic_stack 0
		.amdhsa_system_sgpr_private_segment_wavefront_offset 0
		.amdhsa_system_sgpr_workgroup_id_x 1
		.amdhsa_system_sgpr_workgroup_id_y 1
		.amdhsa_system_sgpr_workgroup_id_z 1
		.amdhsa_system_sgpr_workgroup_info 0
		.amdhsa_system_vgpr_workitem_id 0
		.amdhsa_next_free_vgpr 16
		.amdhsa_next_free_sgpr 29
		.amdhsa_reserve_vcc 1
		.amdhsa_reserve_flat_scratch 0
		.amdhsa_float_round_mode_32 0
		.amdhsa_float_round_mode_16_64 0
		.amdhsa_float_denorm_mode_32 3
		.amdhsa_float_denorm_mode_16_64 3
		.amdhsa_dx10_clamp 1
		.amdhsa_ieee_mode 1
		.amdhsa_fp16_overflow 0
		.amdhsa_workgroup_processor_mode 1
		.amdhsa_memory_ordered 1
		.amdhsa_forward_progress 1
		.amdhsa_shared_vgpr_count 0
		.amdhsa_exception_fp_ieee_invalid_op 0
		.amdhsa_exception_fp_denorm_src 0
		.amdhsa_exception_fp_ieee_div_zero 0
		.amdhsa_exception_fp_ieee_overflow 0
		.amdhsa_exception_fp_ieee_underflow 0
		.amdhsa_exception_fp_ieee_inexact 0
		.amdhsa_exception_int_div_zero 0
	.end_amdhsa_kernel
	.section	.text._ZN2at6native6mbtopk29computeBlockwiseWithinKCountsImlEEvPT_PsPjjibS6_PT0_S6_S4_S6_j,"axG",@progbits,_ZN2at6native6mbtopk29computeBlockwiseWithinKCountsImlEEvPT_PsPjjibS6_PT0_S6_S4_S6_j,comdat
.Lfunc_end41:
	.size	_ZN2at6native6mbtopk29computeBlockwiseWithinKCountsImlEEvPT_PsPjjibS6_PT0_S6_S4_S6_j, .Lfunc_end41-_ZN2at6native6mbtopk29computeBlockwiseWithinKCountsImlEEvPT_PsPjjibS6_PT0_S6_S4_S6_j
                                        ; -- End function
	.set _ZN2at6native6mbtopk29computeBlockwiseWithinKCountsImlEEvPT_PsPjjibS6_PT0_S6_S4_S6_j.num_vgpr, 16
	.set _ZN2at6native6mbtopk29computeBlockwiseWithinKCountsImlEEvPT_PsPjjibS6_PT0_S6_S4_S6_j.num_agpr, 0
	.set _ZN2at6native6mbtopk29computeBlockwiseWithinKCountsImlEEvPT_PsPjjibS6_PT0_S6_S4_S6_j.numbered_sgpr, 29
	.set _ZN2at6native6mbtopk29computeBlockwiseWithinKCountsImlEEvPT_PsPjjibS6_PT0_S6_S4_S6_j.num_named_barrier, 0
	.set _ZN2at6native6mbtopk29computeBlockwiseWithinKCountsImlEEvPT_PsPjjibS6_PT0_S6_S4_S6_j.private_seg_size, 0
	.set _ZN2at6native6mbtopk29computeBlockwiseWithinKCountsImlEEvPT_PsPjjibS6_PT0_S6_S4_S6_j.uses_vcc, 1
	.set _ZN2at6native6mbtopk29computeBlockwiseWithinKCountsImlEEvPT_PsPjjibS6_PT0_S6_S4_S6_j.uses_flat_scratch, 0
	.set _ZN2at6native6mbtopk29computeBlockwiseWithinKCountsImlEEvPT_PsPjjibS6_PT0_S6_S4_S6_j.has_dyn_sized_stack, 0
	.set _ZN2at6native6mbtopk29computeBlockwiseWithinKCountsImlEEvPT_PsPjjibS6_PT0_S6_S4_S6_j.has_recursion, 0
	.set _ZN2at6native6mbtopk29computeBlockwiseWithinKCountsImlEEvPT_PsPjjibS6_PT0_S6_S4_S6_j.has_indirect_call, 0
	.section	.AMDGPU.csdata,"",@progbits
; Kernel info:
; codeLenInByte = 2088
; TotalNumSgprs: 31
; NumVgprs: 16
; ScratchSize: 0
; MemoryBound: 0
; FloatMode: 240
; IeeeMode: 1
; LDSByteSize: 2120 bytes/workgroup (compile time only)
; SGPRBlocks: 0
; VGPRBlocks: 1
; NumSGPRsForWavesPerEU: 31
; NumVGPRsForWavesPerEU: 16
; Occupancy: 16
; WaveLimiterHint : 1
; COMPUTE_PGM_RSRC2:SCRATCH_EN: 0
; COMPUTE_PGM_RSRC2:USER_SGPR: 6
; COMPUTE_PGM_RSRC2:TRAP_HANDLER: 0
; COMPUTE_PGM_RSRC2:TGID_X_EN: 1
; COMPUTE_PGM_RSRC2:TGID_Y_EN: 1
; COMPUTE_PGM_RSRC2:TGID_Z_EN: 1
; COMPUTE_PGM_RSRC2:TIDIG_COMP_CNT: 0
	.section	.text._ZN2at6native6mbtopk10gatherTopKIljLi1EEEvNS_4cuda6detail10TensorInfoIKT_T0_EES8_S8_bjS8_NS5_IS6_S8_EES8_NS5_IlS8_EES8_jjPS6_PjSD_j,"axG",@progbits,_ZN2at6native6mbtopk10gatherTopKIljLi1EEEvNS_4cuda6detail10TensorInfoIKT_T0_EES8_S8_bjS8_NS5_IS6_S8_EES8_NS5_IlS8_EES8_jjPS6_PjSD_j,comdat
	.protected	_ZN2at6native6mbtopk10gatherTopKIljLi1EEEvNS_4cuda6detail10TensorInfoIKT_T0_EES8_S8_bjS8_NS5_IS6_S8_EES8_NS5_IlS8_EES8_jjPS6_PjSD_j ; -- Begin function _ZN2at6native6mbtopk10gatherTopKIljLi1EEEvNS_4cuda6detail10TensorInfoIKT_T0_EES8_S8_bjS8_NS5_IS6_S8_EES8_NS5_IlS8_EES8_jjPS6_PjSD_j
	.globl	_ZN2at6native6mbtopk10gatherTopKIljLi1EEEvNS_4cuda6detail10TensorInfoIKT_T0_EES8_S8_bjS8_NS5_IS6_S8_EES8_NS5_IlS8_EES8_jjPS6_PjSD_j
	.p2align	8
	.type	_ZN2at6native6mbtopk10gatherTopKIljLi1EEEvNS_4cuda6detail10TensorInfoIKT_T0_EES8_S8_bjS8_NS5_IS6_S8_EES8_NS5_IlS8_EES8_jjPS6_PjSD_j,@function
_ZN2at6native6mbtopk10gatherTopKIljLi1EEEvNS_4cuda6detail10TensorInfoIKT_T0_EES8_S8_bjS8_NS5_IS6_S8_EES8_NS5_IlS8_EES8_jjPS6_PjSD_j: ; @_ZN2at6native6mbtopk10gatherTopKIljLi1EEEvNS_4cuda6detail10TensorInfoIKT_T0_EES8_S8_bjS8_NS5_IS6_S8_EES8_NS5_IlS8_EES8_jjPS6_PjSD_j
; %bb.0:
	s_clause 0x1
	s_load_dwordx2 s[0:1], s[4:5], 0x2d8
	s_load_dword s2, s[4:5], 0x2d0
	s_waitcnt lgkmcnt(0)
	s_mul_i32 s1, s1, s8
	s_add_i32 s1, s1, s7
	s_mul_i32 s0, s1, s0
	s_add_i32 s0, s0, s6
	s_cmp_ge_u32 s0, s2
	s_cbranch_scc1 .LBB42_40
; %bb.1:
	s_load_dwordx8 s[8:15], s[4:5], 0x2a8
	s_mov_b32 s25, 0
	s_waitcnt lgkmcnt(0)
	v_cvt_f32_u32_e32 v1, s10
	s_sub_i32 s2, 0, s10
	v_rcp_iflag_f32_e32 v1, v1
	v_mul_f32_e32 v1, 0x4f7ffffe, v1
	v_cvt_u32_f32_e32 v1, v1
	v_readfirstlane_b32 s1, v1
	s_mul_i32 s2, s2, s1
	s_mul_hi_u32 s2, s1, s2
	s_add_i32 s1, s1, s2
	s_mul_hi_u32 s1, s0, s1
	s_mul_i32 s2, s1, s10
	s_add_i32 s3, s1, 1
	s_sub_i32 s2, s0, s2
	s_sub_i32 s6, s2, s10
	s_cmp_ge_u32 s2, s10
	s_cselect_b32 s1, s3, s1
	s_cselect_b32 s2, s6, s2
	s_add_i32 s3, s1, 1
	s_cmp_ge_u32 s2, s10
	s_cselect_b32 s24, s3, s1
	s_mul_i32 s16, s24, s10
	s_lshl_b64 s[2:3], s[24:25], 3
	s_sub_i32 s11, s0, s16
	s_add_u32 s0, s12, s2
	s_addc_u32 s1, s13, s3
	s_clause 0x2
	s_load_dwordx2 s[2:3], s[4:5], 0x1d0
	s_load_dwordx2 s[20:21], s[4:5], 0xf0
	;; [unrolled: 1-line block ×4, first 2 shown]
	v_cmp_ne_u32_e64 s0, 0, v0
	v_cmp_eq_u32_e64 s1, 0, v0
	s_and_saveexec_b32 s30, s1
	s_cbranch_execz .LBB42_17
; %bb.2:
	s_load_dwordx2 s[12:13], s[4:5], 0x2c8
	s_mov_b32 s17, s25
	s_lshl_b64 s[26:27], s[16:17], 2
	s_add_u32 s16, s14, s26
	s_addc_u32 s17, s15, s27
	s_waitcnt lgkmcnt(0)
	s_add_u32 s18, s12, s26
	s_addc_u32 s19, s13, s27
	s_cmp_lt_u32 s10, 4
	s_cbranch_scc1 .LBB42_14
; %bb.3:
	s_mov_b32 s31, s25
	s_mov_b32 s33, s25
	s_mov_b32 s34, s25
.LBB42_4:                               ; =>This Inner Loop Header: Depth=1
	s_add_u32 s16, s14, s26
	s_addc_u32 s17, s15, s27
	s_add_u32 s28, s12, s26
	s_load_dwordx4 s[16:19], s[16:17], 0x0
	s_addc_u32 s29, s13, s27
	s_cmp_ge_u32 s34, s11
	s_cbranch_scc0 .LBB42_11
; %bb.5:                                ;   in Loop: Header=BB42_4 Depth=1
	s_add_i32 s35, s34, 1
	s_cmp_ge_u32 s35, s11
	s_cbranch_scc0 .LBB42_12
.LBB42_6:                               ;   in Loop: Header=BB42_4 Depth=1
	s_add_i32 s35, s35, 1
	s_cmp_ge_u32 s35, s11
	s_cbranch_scc0 .LBB42_13
.LBB42_7:                               ;   in Loop: Header=BB42_4 Depth=1
	s_add_i32 s35, s35, 1
	s_cmp_ge_u32 s35, s11
	s_cbranch_scc1 .LBB42_9
.LBB42_8:                               ;   in Loop: Header=BB42_4 Depth=1
	s_load_dword s28, s[28:29], 0xc
	s_waitcnt lgkmcnt(0)
	s_add_i32 s25, s25, s19
	s_add_i32 s31, s28, s31
.LBB42_9:                               ;   in Loop: Header=BB42_4 Depth=1
	s_waitcnt lgkmcnt(0)
	s_add_i32 s16, s16, s33
	s_add_i32 s16, s16, s17
	;; [unrolled: 1-line block ×4, first 2 shown]
	s_add_u32 s14, s14, 16
	s_addc_u32 s15, s15, 0
	s_add_u32 s12, s12, 16
	s_addc_u32 s13, s13, 0
	s_add_i32 s29, s35, 4
	s_add_u32 s18, s12, s26
	s_addc_u32 s19, s13, s27
	s_add_u32 s16, s14, s26
	s_addc_u32 s17, s15, s27
	s_add_i32 s28, s35, 1
	s_cmp_ge_u32 s29, s10
	s_cbranch_scc1 .LBB42_15
; %bb.10:                               ;   in Loop: Header=BB42_4 Depth=1
	s_mov_b32 s34, s28
	s_branch .LBB42_4
.LBB42_11:                              ;   in Loop: Header=BB42_4 Depth=1
	s_load_dword s35, s[28:29], 0x0
	s_waitcnt lgkmcnt(0)
	s_add_i32 s25, s16, s25
	s_add_i32 s31, s35, s31
	;; [unrolled: 1-line block ×3, first 2 shown]
	s_cmp_ge_u32 s35, s11
	s_cbranch_scc1 .LBB42_6
.LBB42_12:                              ;   in Loop: Header=BB42_4 Depth=1
	s_load_dword s36, s[28:29], 0x4
	s_waitcnt lgkmcnt(0)
	s_add_i32 s25, s25, s17
	s_add_i32 s31, s36, s31
	;; [unrolled: 1-line block ×3, first 2 shown]
	s_cmp_ge_u32 s35, s11
	s_cbranch_scc1 .LBB42_7
.LBB42_13:                              ;   in Loop: Header=BB42_4 Depth=1
	s_load_dword s36, s[28:29], 0x8
	s_waitcnt lgkmcnt(0)
	s_add_i32 s25, s25, s18
	s_add_i32 s31, s36, s31
	;; [unrolled: 1-line block ×3, first 2 shown]
	s_cmp_ge_u32 s35, s11
	s_cbranch_scc0 .LBB42_8
	s_branch .LBB42_9
.LBB42_14:
	s_mov_b32 s31, 0
	s_mov_b32 s33, 0
	;; [unrolled: 1-line block ×3, first 2 shown]
	s_cmp_ge_u32 s12, s10
	s_cbranch_scc0 .LBB42_38
	s_branch .LBB42_16
.LBB42_15:
	s_add_i32 s12, s34, 4
	s_cmp_ge_u32 s12, s10
	s_cbranch_scc0 .LBB42_38
.LBB42_16:
	v_mov_b32_e32 v1, s31
	v_mov_b32_e32 v2, s33
	;; [unrolled: 1-line block ×4, first 2 shown]
	ds_write_b96 v4, v[1:3] offset:1056
.LBB42_17:
	s_or_b32 exec_lo, exec_lo, s30
	s_clause 0x3
	s_load_dword s16, s[4:5], 0x23c
	s_load_dword s17, s[4:5], 0x15c
	;; [unrolled: 1-line block ×3, first 2 shown]
	s_load_dwordx4 s[12:15], s[4:5], 0xd8
	s_waitcnt lgkmcnt(0)
	s_mul_i32 s15, s9, s11
	s_add_i32 s11, s11, 1
	s_lshl_b32 s25, s15, 8
	s_barrier
	buffer_gl0_inv
	s_sub_i32 s15, s12, s25
	s_add_u32 s26, s15, 0xff
	s_addc_u32 s27, 0, 0
	s_lshr_b64 s[26:27], s[26:27], 8
	s_cmp_lt_u32 s11, s10
	s_mov_b32 s11, 0
	s_cselect_b32 s9, s9, s26
	s_cmp_eq_u32 s9, 0
	s_cbranch_scc1 .LBB42_40
; %bb.18:
	v_mov_b32_e32 v5, 0
	s_mul_i32 s10, s24, s18
	s_mul_i32 s18, s24, s17
	;; [unrolled: 1-line block ×3, first 2 shown]
	v_lshrrev_b32_e32 v4, 3, v0
	ds_read_b96 v[1:3], v5 offset:1056
	s_clause 0x1
	s_load_dword s24, s[4:5], 0xe8
	s_load_dword s15, s[4:5], 0x1c8
	v_add_nc_u32_e32 v6, -1, v0
	s_lshl_b64 s[4:5], s[10:11], 3
	v_and_b32_e32 v4, 28, v4
	s_mov_b32 s19, s11
	s_add_u32 s10, s22, s4
	v_lshrrev_b32_e32 v7, 3, v6
	s_mov_b32 s27, s11
	s_addc_u32 s11, s23, s5
	s_lshl_b64 s[4:5], s[18:19], 3
	v_lshl_add_u32 v8, v0, 2, v4
	v_and_b32_e32 v4, 0x1ffffffc, v7
	s_add_u32 s16, s20, s4
	s_addc_u32 s17, s21, s5
	s_lshl_b64 s[4:5], s[26:27], 3
	v_lshlrev_b32_e32 v7, 5, v0
	v_mbcnt_lo_u32_b32 v10, -1, 0
	s_add_u32 s18, s2, s4
	v_cmp_gt_u32_e64 s2, 32, v0
	s_waitcnt lgkmcnt(0)
	v_add_nc_u32_e32 v9, v1, v2
	v_add_nc_u32_e32 v1, s25, v0
	v_and_b32_e32 v2, 0xfc, v0
	v_lshl_add_u32 v0, v6, 2, v4
	s_addc_u32 s19, s3, s5
	s_xor_b32 s5, s7, 0x80000000
	v_mul_lo_u32 v4, s24, v1
	v_add_nc_u32_e32 v11, v2, v7
	v_and_b32_e32 v12, 15, v10
	v_bfe_i32 v13, v10, 4, 1
	v_add_nc_u32_e32 v14, -1, v10
	s_bitcmp1_b32 s14, 0
	s_mov_b32 s4, s6
	s_cselect_b32 s3, -1, 0
	s_lshl_b32 s14, s24, 8
                                        ; implicit-def: $vgpr6_vgpr7
	s_branch .LBB42_21
.LBB42_19:                              ;   in Loop: Header=BB42_21 Depth=1
	s_or_b32 exec_lo, exec_lo, s20
	v_add_nc_u32_e32 v9, v17, v9
.LBB42_20:                              ;   in Loop: Header=BB42_21 Depth=1
	v_add_nc_u32_e32 v3, v16, v3
	v_add_nc_u32_e32 v4, s14, v4
	;; [unrolled: 1-line block ×3, first 2 shown]
	s_add_i32 s9, s9, -1
	s_cmp_lg_u32 s9, 0
	s_cbranch_scc0 .LBB42_40
.LBB42_21:                              ; =>This Inner Loop Header: Depth=1
	v_mov_b32_e32 v2, 0
	v_mov_b32_e32 v15, 0
	s_mov_b32 s20, exec_lo
	v_cmpx_gt_u32_e64 s12, v1
	s_cbranch_execz .LBB42_23
; %bb.22:                               ;   in Loop: Header=BB42_21 Depth=1
	v_lshlrev_b64 v[6:7], 3, v[4:5]
	v_add_co_u32 v6, vcc_lo, s10, v6
	v_add_co_ci_u32_e64 v7, null, s11, v7, vcc_lo
	global_load_dwordx2 v[6:7], v[6:7], off
	s_waitcnt vmcnt(0)
	v_xor_b32_e32 v16, 0x80000000, v7
	v_mov_b32_e32 v15, v6
	v_cmp_lt_u64_e32 vcc_lo, s[4:5], v[15:16]
	v_cndmask_b32_e64 v2, 0, 1, vcc_lo
	v_cmp_gt_u64_e32 vcc_lo, s[4:5], v[15:16]
	v_cndmask_b32_e64 v15, 0, 1, vcc_lo
	v_cmp_eq_u64_e32 vcc_lo, s[6:7], v[6:7]
	v_cndmask_b32_e64 v2, v15, v2, s3
	v_cndmask_b32_e64 v15, 0, 1, vcc_lo
	v_and_b32_e32 v2, 1, v2
.LBB42_23:                              ;   in Loop: Header=BB42_21 Depth=1
	s_or_b32 exec_lo, exec_lo, s20
	ds_write_b32 v8, v2
	s_waitcnt lgkmcnt(0)
	s_barrier
	buffer_gl0_inv
	s_and_saveexec_b32 s20, s2
	s_cbranch_execz .LBB42_25
; %bb.24:                               ;   in Loop: Header=BB42_21 Depth=1
	ds_read2_b32 v[16:17], v11 offset1:1
	ds_read2_b32 v[18:19], v11 offset0:2 offset1:3
	ds_read2_b32 v[20:21], v11 offset0:4 offset1:5
	;; [unrolled: 1-line block ×3, first 2 shown]
	v_cmp_ne_u32_e32 vcc_lo, 0, v12
	; wave barrier
	s_waitcnt lgkmcnt(3)
	v_add_nc_u32_e32 v17, v17, v16
	s_waitcnt lgkmcnt(2)
	v_add3_u32 v17, v17, v18, v19
	s_waitcnt lgkmcnt(1)
	v_add3_u32 v17, v17, v20, v21
	;; [unrolled: 2-line block ×3, first 2 shown]
	v_mov_b32_dpp v18, v17 row_shr:1 row_mask:0xf bank_mask:0xf
	v_cndmask_b32_e32 v18, 0, v18, vcc_lo
	v_cmp_lt_u32_e32 vcc_lo, 1, v12
	v_add_nc_u32_e32 v17, v18, v17
	v_mov_b32_dpp v18, v17 row_shr:2 row_mask:0xf bank_mask:0xf
	v_cndmask_b32_e32 v18, 0, v18, vcc_lo
	v_cmp_lt_u32_e32 vcc_lo, 3, v12
	v_add_nc_u32_e32 v17, v17, v18
	v_mov_b32_dpp v18, v17 row_shr:4 row_mask:0xf bank_mask:0xf
	v_cndmask_b32_e32 v18, 0, v18, vcc_lo
	v_cmp_lt_u32_e32 vcc_lo, 7, v12
	v_add_nc_u32_e32 v17, v17, v18
	v_mov_b32_dpp v18, v17 row_shr:8 row_mask:0xf bank_mask:0xf
	v_cndmask_b32_e32 v18, 0, v18, vcc_lo
	v_cmp_gt_i32_e32 vcc_lo, 0, v14
	v_add_nc_u32_e32 v17, v17, v18
	v_cndmask_b32_e32 v19, v14, v10, vcc_lo
	ds_swizzle_b32 v18, v17 offset:swizzle(BROADCAST,32,15)
	v_lshlrev_b32_e32 v19, 2, v19
	s_waitcnt lgkmcnt(0)
	v_and_b32_e32 v18, v13, v18
	v_add_nc_u32_e32 v17, v17, v18
	ds_bpermute_b32 v17, v19, v17
	s_waitcnt lgkmcnt(0)
	v_add_nc_u32_e32 v16, v17, v16
	v_cndmask_b32_e64 v22, v16, v2, s1
	ds_write_b32 v11, v22
	; wave barrier
	ds_read2_b32 v[16:17], v11 offset0:1 offset1:2
	ds_read2_b32 v[18:19], v11 offset0:3 offset1:4
	;; [unrolled: 1-line block ×3, first 2 shown]
	ds_read_b32 v23, v11 offset:28
	s_waitcnt lgkmcnt(3)
	v_add_nc_u32_e32 v16, v16, v22
	v_add_nc_u32_e32 v17, v17, v16
	s_waitcnt lgkmcnt(2)
	v_add_nc_u32_e32 v18, v18, v17
	v_add_nc_u32_e32 v19, v19, v18
	;; [unrolled: 3-line block ×3, first 2 shown]
	s_waitcnt lgkmcnt(0)
	v_add_nc_u32_e32 v22, v23, v21
	ds_write2_b32 v11, v16, v17 offset0:1 offset1:2
	ds_write2_b32 v11, v18, v19 offset0:3 offset1:4
	;; [unrolled: 1-line block ×3, first 2 shown]
	ds_write_b32 v11, v22 offset:28
.LBB42_25:                              ;   in Loop: Header=BB42_21 Depth=1
	s_or_b32 exec_lo, exec_lo, s20
	v_mov_b32_e32 v17, 0
	s_waitcnt lgkmcnt(0)
	s_barrier
	buffer_gl0_inv
	s_and_saveexec_b32 s20, s0
; %bb.26:                               ;   in Loop: Header=BB42_21 Depth=1
	ds_read_b32 v17, v0
; %bb.27:                               ;   in Loop: Header=BB42_21 Depth=1
	s_or_b32 exec_lo, exec_lo, s20
	ds_read_b32 v16, v5 offset:1048
	s_mov_b32 s20, exec_lo
	s_waitcnt lgkmcnt(0)
	s_barrier
	buffer_gl0_inv
	v_cmpx_ne_u32_e32 0, v2
	s_cbranch_execz .LBB42_29
; %bb.28:                               ;   in Loop: Header=BB42_21 Depth=1
	v_add_nc_u32_e32 v2, v17, v3
	v_mov_b32_e32 v18, v5
	v_mov_b32_e32 v20, v5
	v_mul_lo_u32 v17, v2, s15
	v_mul_lo_u32 v19, v2, s8
	v_mov_b32_e32 v2, v5
	v_lshlrev_b64 v[17:18], 3, v[17:18]
	v_lshlrev_b64 v[19:20], 3, v[19:20]
	v_add_co_u32 v17, vcc_lo, s16, v17
	v_add_co_ci_u32_e64 v18, null, s17, v18, vcc_lo
	v_add_co_u32 v19, vcc_lo, s18, v19
	v_add_co_ci_u32_e64 v20, null, s19, v20, vcc_lo
	global_store_dwordx2 v[17:18], v[6:7], off
	global_store_dwordx2 v[19:20], v[1:2], off
.LBB42_29:                              ;   in Loop: Header=BB42_21 Depth=1
	s_or_b32 exec_lo, exec_lo, s20
	v_cmp_le_u32_e32 vcc_lo, s13, v9
	s_cbranch_vccnz .LBB42_20
; %bb.30:                               ;   in Loop: Header=BB42_21 Depth=1
	ds_write_b32 v8, v15
	s_waitcnt lgkmcnt(0)
	s_waitcnt_vscnt null, 0x0
	s_barrier
	buffer_gl0_inv
	s_and_saveexec_b32 s20, s2
	s_cbranch_execz .LBB42_32
; %bb.31:                               ;   in Loop: Header=BB42_21 Depth=1
	ds_read2_b32 v[17:18], v11 offset1:1
	ds_read2_b32 v[19:20], v11 offset0:2 offset1:3
	ds_read2_b32 v[21:22], v11 offset0:4 offset1:5
	;; [unrolled: 1-line block ×3, first 2 shown]
	v_cmp_ne_u32_e32 vcc_lo, 0, v12
	; wave barrier
	s_waitcnt lgkmcnt(3)
	v_add_nc_u32_e32 v2, v18, v17
	s_waitcnt lgkmcnt(2)
	v_add3_u32 v2, v2, v19, v20
	s_waitcnt lgkmcnt(1)
	v_add3_u32 v2, v2, v21, v22
	;; [unrolled: 2-line block ×3, first 2 shown]
	v_mov_b32_dpp v18, v2 row_shr:1 row_mask:0xf bank_mask:0xf
	v_cndmask_b32_e32 v18, 0, v18, vcc_lo
	v_cmp_lt_u32_e32 vcc_lo, 1, v12
	v_add_nc_u32_e32 v2, v18, v2
	v_mov_b32_dpp v18, v2 row_shr:2 row_mask:0xf bank_mask:0xf
	v_cndmask_b32_e32 v18, 0, v18, vcc_lo
	v_cmp_lt_u32_e32 vcc_lo, 3, v12
	v_add_nc_u32_e32 v2, v2, v18
	;; [unrolled: 4-line block ×3, first 2 shown]
	v_mov_b32_dpp v18, v2 row_shr:8 row_mask:0xf bank_mask:0xf
	v_cndmask_b32_e32 v18, 0, v18, vcc_lo
	v_cmp_gt_i32_e32 vcc_lo, 0, v14
	v_add_nc_u32_e32 v2, v2, v18
	v_cndmask_b32_e32 v19, v14, v10, vcc_lo
	ds_swizzle_b32 v18, v2 offset:swizzle(BROADCAST,32,15)
	v_lshlrev_b32_e32 v19, 2, v19
	s_waitcnt lgkmcnt(0)
	v_and_b32_e32 v18, v13, v18
	v_add_nc_u32_e32 v2, v2, v18
	ds_bpermute_b32 v2, v19, v2
	s_waitcnt lgkmcnt(0)
	v_add_nc_u32_e32 v2, v2, v17
	v_cndmask_b32_e64 v2, v2, v15, s1
	ds_write_b32 v11, v2
	; wave barrier
	ds_read2_b32 v[17:18], v11 offset0:1 offset1:2
	ds_read2_b32 v[19:20], v11 offset0:3 offset1:4
	;; [unrolled: 1-line block ×3, first 2 shown]
	ds_read_b32 v23, v11 offset:28
	s_waitcnt lgkmcnt(3)
	v_add_nc_u32_e32 v2, v17, v2
	v_add_nc_u32_e32 v17, v18, v2
	s_waitcnt lgkmcnt(2)
	v_add_nc_u32_e32 v18, v19, v17
	v_add_nc_u32_e32 v19, v20, v18
	;; [unrolled: 3-line block ×3, first 2 shown]
	s_waitcnt lgkmcnt(0)
	v_add_nc_u32_e32 v22, v23, v21
	ds_write2_b32 v11, v2, v17 offset0:1 offset1:2
	ds_write2_b32 v11, v18, v19 offset0:3 offset1:4
	;; [unrolled: 1-line block ×3, first 2 shown]
	ds_write_b32 v11, v22 offset:28
.LBB42_32:                              ;   in Loop: Header=BB42_21 Depth=1
	s_or_b32 exec_lo, exec_lo, s20
	v_mov_b32_e32 v2, 0
	s_waitcnt lgkmcnt(0)
	s_barrier
	buffer_gl0_inv
	s_and_saveexec_b32 s20, s0
; %bb.33:                               ;   in Loop: Header=BB42_21 Depth=1
	ds_read_b32 v2, v0
; %bb.34:                               ;   in Loop: Header=BB42_21 Depth=1
	s_or_b32 exec_lo, exec_lo, s20
	ds_read_b32 v17, v5 offset:1048
	s_mov_b32 s20, exec_lo
	s_waitcnt lgkmcnt(0)
	s_barrier
	buffer_gl0_inv
	v_cmpx_ne_u32_e32 0, v15
	s_cbranch_execz .LBB42_19
; %bb.35:                               ;   in Loop: Header=BB42_21 Depth=1
	v_add_nc_u32_e32 v2, v2, v9
	v_cmp_gt_u32_e32 vcc_lo, s13, v2
	s_and_b32 exec_lo, exec_lo, vcc_lo
	s_cbranch_execz .LBB42_19
; %bb.36:                               ;   in Loop: Header=BB42_21 Depth=1
	v_mul_lo_u32 v18, v2, s15
	v_mul_lo_u32 v20, v2, s8
	v_mov_b32_e32 v19, v5
	v_mov_b32_e32 v21, v5
	;; [unrolled: 1-line block ×3, first 2 shown]
	v_lshlrev_b64 v[18:19], 3, v[18:19]
	v_lshlrev_b64 v[20:21], 3, v[20:21]
	v_add_co_u32 v18, vcc_lo, s16, v18
	v_add_co_ci_u32_e64 v19, null, s17, v19, vcc_lo
	v_add_co_u32 v20, vcc_lo, s18, v20
	v_add_co_ci_u32_e64 v21, null, s19, v21, vcc_lo
	global_store_dwordx2 v[18:19], v[6:7], off
	global_store_dwordx2 v[20:21], v[1:2], off
	s_branch .LBB42_19
	.p2align	6
.LBB42_37:                              ;   in Loop: Header=BB42_38 Depth=1
	s_add_u32 s16, s16, 4
	s_addc_u32 s17, s17, 0
	s_waitcnt lgkmcnt(0)
	s_add_i32 s33, s13, s33
	s_add_u32 s18, s18, 4
	s_addc_u32 s19, s19, 0
	s_add_i32 s12, s12, 1
	s_cmp_lt_u32 s12, s10
	s_cbranch_scc0 .LBB42_16
.LBB42_38:                              ; =>This Inner Loop Header: Depth=1
	s_load_dword s13, s[16:17], 0x0
	s_cmp_ge_u32 s12, s11
	s_cbranch_scc1 .LBB42_37
; %bb.39:                               ;   in Loop: Header=BB42_38 Depth=1
	s_load_dword s14, s[18:19], 0x0
	s_waitcnt lgkmcnt(0)
	s_add_i32 s25, s13, s25
	s_add_i32 s31, s14, s31
	s_branch .LBB42_37
.LBB42_40:
	s_endpgm
	.section	.rodata,"a",@progbits
	.p2align	6, 0x0
	.amdhsa_kernel _ZN2at6native6mbtopk10gatherTopKIljLi1EEEvNS_4cuda6detail10TensorInfoIKT_T0_EES8_S8_bjS8_NS5_IS6_S8_EES8_NS5_IlS8_EES8_jjPS6_PjSD_j
		.amdhsa_group_segment_fixed_size 1068
		.amdhsa_private_segment_fixed_size 0
		.amdhsa_kernarg_size 984
		.amdhsa_user_sgpr_count 6
		.amdhsa_user_sgpr_private_segment_buffer 1
		.amdhsa_user_sgpr_dispatch_ptr 0
		.amdhsa_user_sgpr_queue_ptr 0
		.amdhsa_user_sgpr_kernarg_segment_ptr 1
		.amdhsa_user_sgpr_dispatch_id 0
		.amdhsa_user_sgpr_flat_scratch_init 0
		.amdhsa_user_sgpr_private_segment_size 0
		.amdhsa_wavefront_size32 1
		.amdhsa_uses_dynamic_stack 0
		.amdhsa_system_sgpr_private_segment_wavefront_offset 0
		.amdhsa_system_sgpr_workgroup_id_x 1
		.amdhsa_system_sgpr_workgroup_id_y 1
		.amdhsa_system_sgpr_workgroup_id_z 1
		.amdhsa_system_sgpr_workgroup_info 0
		.amdhsa_system_vgpr_workitem_id 0
		.amdhsa_next_free_vgpr 25
		.amdhsa_next_free_sgpr 37
		.amdhsa_reserve_vcc 1
		.amdhsa_reserve_flat_scratch 0
		.amdhsa_float_round_mode_32 0
		.amdhsa_float_round_mode_16_64 0
		.amdhsa_float_denorm_mode_32 3
		.amdhsa_float_denorm_mode_16_64 3
		.amdhsa_dx10_clamp 1
		.amdhsa_ieee_mode 1
		.amdhsa_fp16_overflow 0
		.amdhsa_workgroup_processor_mode 1
		.amdhsa_memory_ordered 1
		.amdhsa_forward_progress 1
		.amdhsa_shared_vgpr_count 0
		.amdhsa_exception_fp_ieee_invalid_op 0
		.amdhsa_exception_fp_denorm_src 0
		.amdhsa_exception_fp_ieee_div_zero 0
		.amdhsa_exception_fp_ieee_overflow 0
		.amdhsa_exception_fp_ieee_underflow 0
		.amdhsa_exception_fp_ieee_inexact 0
		.amdhsa_exception_int_div_zero 0
	.end_amdhsa_kernel
	.section	.text._ZN2at6native6mbtopk10gatherTopKIljLi1EEEvNS_4cuda6detail10TensorInfoIKT_T0_EES8_S8_bjS8_NS5_IS6_S8_EES8_NS5_IlS8_EES8_jjPS6_PjSD_j,"axG",@progbits,_ZN2at6native6mbtopk10gatherTopKIljLi1EEEvNS_4cuda6detail10TensorInfoIKT_T0_EES8_S8_bjS8_NS5_IS6_S8_EES8_NS5_IlS8_EES8_jjPS6_PjSD_j,comdat
.Lfunc_end42:
	.size	_ZN2at6native6mbtopk10gatherTopKIljLi1EEEvNS_4cuda6detail10TensorInfoIKT_T0_EES8_S8_bjS8_NS5_IS6_S8_EES8_NS5_IlS8_EES8_jjPS6_PjSD_j, .Lfunc_end42-_ZN2at6native6mbtopk10gatherTopKIljLi1EEEvNS_4cuda6detail10TensorInfoIKT_T0_EES8_S8_bjS8_NS5_IS6_S8_EES8_NS5_IlS8_EES8_jjPS6_PjSD_j
                                        ; -- End function
	.set _ZN2at6native6mbtopk10gatherTopKIljLi1EEEvNS_4cuda6detail10TensorInfoIKT_T0_EES8_S8_bjS8_NS5_IS6_S8_EES8_NS5_IlS8_EES8_jjPS6_PjSD_j.num_vgpr, 25
	.set _ZN2at6native6mbtopk10gatherTopKIljLi1EEEvNS_4cuda6detail10TensorInfoIKT_T0_EES8_S8_bjS8_NS5_IS6_S8_EES8_NS5_IlS8_EES8_jjPS6_PjSD_j.num_agpr, 0
	.set _ZN2at6native6mbtopk10gatherTopKIljLi1EEEvNS_4cuda6detail10TensorInfoIKT_T0_EES8_S8_bjS8_NS5_IS6_S8_EES8_NS5_IlS8_EES8_jjPS6_PjSD_j.numbered_sgpr, 37
	.set _ZN2at6native6mbtopk10gatherTopKIljLi1EEEvNS_4cuda6detail10TensorInfoIKT_T0_EES8_S8_bjS8_NS5_IS6_S8_EES8_NS5_IlS8_EES8_jjPS6_PjSD_j.num_named_barrier, 0
	.set _ZN2at6native6mbtopk10gatherTopKIljLi1EEEvNS_4cuda6detail10TensorInfoIKT_T0_EES8_S8_bjS8_NS5_IS6_S8_EES8_NS5_IlS8_EES8_jjPS6_PjSD_j.private_seg_size, 0
	.set _ZN2at6native6mbtopk10gatherTopKIljLi1EEEvNS_4cuda6detail10TensorInfoIKT_T0_EES8_S8_bjS8_NS5_IS6_S8_EES8_NS5_IlS8_EES8_jjPS6_PjSD_j.uses_vcc, 1
	.set _ZN2at6native6mbtopk10gatherTopKIljLi1EEEvNS_4cuda6detail10TensorInfoIKT_T0_EES8_S8_bjS8_NS5_IS6_S8_EES8_NS5_IlS8_EES8_jjPS6_PjSD_j.uses_flat_scratch, 0
	.set _ZN2at6native6mbtopk10gatherTopKIljLi1EEEvNS_4cuda6detail10TensorInfoIKT_T0_EES8_S8_bjS8_NS5_IS6_S8_EES8_NS5_IlS8_EES8_jjPS6_PjSD_j.has_dyn_sized_stack, 0
	.set _ZN2at6native6mbtopk10gatherTopKIljLi1EEEvNS_4cuda6detail10TensorInfoIKT_T0_EES8_S8_bjS8_NS5_IS6_S8_EES8_NS5_IlS8_EES8_jjPS6_PjSD_j.has_recursion, 0
	.set _ZN2at6native6mbtopk10gatherTopKIljLi1EEEvNS_4cuda6detail10TensorInfoIKT_T0_EES8_S8_bjS8_NS5_IS6_S8_EES8_NS5_IlS8_EES8_jjPS6_PjSD_j.has_indirect_call, 0
	.section	.AMDGPU.csdata,"",@progbits
; Kernel info:
; codeLenInByte = 2320
; TotalNumSgprs: 39
; NumVgprs: 25
; ScratchSize: 0
; MemoryBound: 0
; FloatMode: 240
; IeeeMode: 1
; LDSByteSize: 1068 bytes/workgroup (compile time only)
; SGPRBlocks: 0
; VGPRBlocks: 3
; NumSGPRsForWavesPerEU: 39
; NumVGPRsForWavesPerEU: 25
; Occupancy: 16
; WaveLimiterHint : 1
; COMPUTE_PGM_RSRC2:SCRATCH_EN: 0
; COMPUTE_PGM_RSRC2:USER_SGPR: 6
; COMPUTE_PGM_RSRC2:TRAP_HANDLER: 0
; COMPUTE_PGM_RSRC2:TGID_X_EN: 1
; COMPUTE_PGM_RSRC2:TGID_Y_EN: 1
; COMPUTE_PGM_RSRC2:TGID_Z_EN: 1
; COMPUTE_PGM_RSRC2:TIDIG_COMP_CNT: 0
	.section	.text._ZN2at6native6sbtopk10gatherTopKIljLi1ELb0EEEvNS_4cuda6detail10TensorInfoIKT_T0_EES8_S8_bS8_S8_NS5_IS6_S8_EES8_NS5_IlS8_EES8_PS6_,"axG",@progbits,_ZN2at6native6sbtopk10gatherTopKIljLi1ELb0EEEvNS_4cuda6detail10TensorInfoIKT_T0_EES8_S8_bS8_S8_NS5_IS6_S8_EES8_NS5_IlS8_EES8_PS6_,comdat
	.protected	_ZN2at6native6sbtopk10gatherTopKIljLi1ELb0EEEvNS_4cuda6detail10TensorInfoIKT_T0_EES8_S8_bS8_S8_NS5_IS6_S8_EES8_NS5_IlS8_EES8_PS6_ ; -- Begin function _ZN2at6native6sbtopk10gatherTopKIljLi1ELb0EEEvNS_4cuda6detail10TensorInfoIKT_T0_EES8_S8_bS8_S8_NS5_IS6_S8_EES8_NS5_IlS8_EES8_PS6_
	.globl	_ZN2at6native6sbtopk10gatherTopKIljLi1ELb0EEEvNS_4cuda6detail10TensorInfoIKT_T0_EES8_S8_bS8_S8_NS5_IS6_S8_EES8_NS5_IlS8_EES8_PS6_
	.p2align	8
	.type	_ZN2at6native6sbtopk10gatherTopKIljLi1ELb0EEEvNS_4cuda6detail10TensorInfoIKT_T0_EES8_S8_bS8_S8_NS5_IS6_S8_EES8_NS5_IlS8_EES8_PS6_,@function
_ZN2at6native6sbtopk10gatherTopKIljLi1ELb0EEEvNS_4cuda6detail10TensorInfoIKT_T0_EES8_S8_bS8_S8_NS5_IS6_S8_EES8_NS5_IlS8_EES8_PS6_: ; @_ZN2at6native6sbtopk10gatherTopKIljLi1ELb0EEEvNS_4cuda6detail10TensorInfoIKT_T0_EES8_S8_bS8_S8_NS5_IS6_S8_EES8_NS5_IlS8_EES8_PS6_
; %bb.0:
	s_clause 0x1
	s_load_dwordx2 s[2:3], s[4:5], 0x2b8
	s_load_dwordx4 s[36:39], s[4:5], 0xd8
	s_add_u32 s10, s4, 0x2b8
	s_addc_u32 s11, s5, 0
	s_waitcnt lgkmcnt(0)
	s_mul_i32 s0, s3, s8
	s_add_i32 s0, s0, s7
	s_mul_i32 s45, s0, s2
	s_add_i32 s45, s45, s6
	s_cmp_ge_u32 s45, s39
	s_cbranch_scc1 .LBB43_395
; %bb.1:
	s_clause 0x4
	s_load_dwordx2 s[34:35], s[4:5], 0x1d0
	s_load_dword s30, s[4:5], 0xe8
	s_load_dwordx2 s[40:41], s[4:5], 0xf0
	s_load_dword s7, s[4:5], 0x6c
	s_load_dwordx2 s[0:1], s[4:5], 0x0
	v_cmp_eq_u32_e64 s3, 0, v0
	s_mov_b32 s43, 0
	s_and_saveexec_b32 s8, s3
	s_cbranch_execz .LBB43_3
; %bb.2:
	v_mov_b32_e32 v1, 0
	v_mov_b32_e32 v2, s36
	;; [unrolled: 1-line block ×3, first 2 shown]
	ds_write_b96 v1, v[1:3] offset:4096
.LBB43_3:
	s_or_b32 exec_lo, exec_lo, s8
	s_waitcnt lgkmcnt(0)
	s_barrier
	buffer_gl0_inv
	s_load_dword s12, s[10:11], 0xc
	s_mul_i32 s42, s7, s45
	v_mbcnt_lo_u32_b32 v27, -1, 0
	s_lshl_b64 s[8:9], s[42:43], 3
	v_cmp_gt_u32_e32 vcc_lo, 32, v0
	s_add_u32 s31, s0, s8
	s_addc_u32 s33, s1, s9
	s_bitcmp1_b32 s38, 0
	v_cmp_gt_i32_e64 s0, 4, v27
	s_cselect_b32 s1, -1, 0
	v_mov_b32_e32 v14, 0
	s_xor_b32 s48, s1, -1
	v_mul_lo_u32 v12, s30, v0
	s_and_b32 s49, vcc_lo, s0
	s_clause 0x1
	s_load_dword s46, s[4:5], 0x23c
	s_load_dword s47, s[4:5], 0x15c
	v_mov_b32_e32 v13, v14
	v_lshlrev_b32_e32 v28, 2, v0
	v_lshlrev_b32_e32 v29, 3, v0
	v_mov_b32_e32 v20, 0
	v_lshlrev_b32_e32 v37, 5, v0
	s_waitcnt lgkmcnt(0)
	s_and_b32 s42, s12, 0xffff
	s_bfe_u32 s0, s12, 0xb0005
	s_lshl_b32 s50, s42, 2
	s_bfe_u32 s7, s42, 0x80008
	v_cvt_f32_u32_e32 v1, s50
	s_lshl_b32 s51, s7, 3
	s_cmpk_gt_u32 s36, 0x180
	v_cvt_f32_u32_e32 v2, s42
	s_cselect_b32 s52, -1, 0
	v_rcp_iflag_f32_e32 v1, v1
	s_cmp_gt_u32 s42, 31
	v_mad_u64_u32 v[17:18], null, s30, v28, s[30:31]
	s_cselect_b32 s53, -1, 0
	s_add_i32 s54, s42, -1
	v_mov_b32_e32 v18, 0
	s_add_i32 s9, s54, s36
	s_cmp_lt_u32 s6, s2
	v_cmp_gt_u32_e64 s2, s36, v0
	v_mul_f32_e32 v1, 0x4f7ffffe, v1
	s_cselect_b32 s6, 12, 18
	v_add_nc_u32_e32 v31, 0xc00, v29
	s_add_u32 s38, s10, s6
	s_addc_u32 s39, s11, 0
	s_add_i32 s0, s0, -1
	v_cvt_u32_f32_e32 v1, v1
	s_and_b32 s0, s0, 0xffff
	s_bfe_u32 s55, s42, 0x30005
	s_cmp_gt_u32 s0, 6
	v_lshlrev_b32_e32 v35, 2, v12
	v_readfirstlane_b32 s0, v1
	s_cselect_b32 s56, -1, 0
	s_cmp_lg_u32 s55, 0
	v_rcp_iflag_f32_e32 v1, v2
	s_cselect_b32 s57, -1, 0
	s_sub_i32 s6, 0, s50
	v_lshl_or_b32 v38, v27, 2, 0xc00
	s_mul_i32 s7, s6, s0
	v_cmp_gt_u32_e64 s6, 2, v0
	s_mul_hi_u32 s7, s0, s7
	v_mov_b32_e32 v39, s37
	s_add_i32 s58, s0, s7
	v_cmp_eq_u32_e64 s0, 0, v27
	s_mul_hi_u32 s7, s36, s58
	v_mul_f32_e32 v3, 0x4f7ffffe, v1
	s_mul_i32 s7, s7, s50
	v_lshlrev_b64 v[1:2], 3, v[12:13]
	s_sub_i32 s7, s36, s7
	v_mov_b32_e32 v19, 0
	s_sub_i32 s8, s7, s50
	s_cmp_ge_u32 s7, s50
	v_cvt_u32_f32_e32 v3, v3
	s_cselect_b32 s7, s8, s7
	v_add_co_u32 v10, vcc_lo, s31, v1
	s_sub_i32 s8, s7, s50
	s_cmp_ge_u32 s7, s50
	v_add_co_ci_u32_e64 v11, null, s33, v2, vcc_lo
	s_cselect_b32 s11, s8, s7
	v_lshlrev_b64 v[1:2], v27, -1
	s_sub_i32 s59, s36, s11
	v_readfirstlane_b32 s10, v3
	v_add_nc_u32_e32 v30, s59, v0
	s_sub_i32 s7, 0, s42
	s_movk_i32 s8, 0x1f0
	v_not_b32_e32 v26, v1
	s_mul_i32 s7, s7, s10
	v_mul_lo_u32 v13, v30, s30
	v_lshrrev_b32_e32 v1, 1, v0
	s_mul_hi_u32 s7, s10, s7
	v_or_b32_e32 v3, 3, v28
	s_add_i32 s60, s10, s7
	v_mov_b32_e32 v21, 0
	v_and_or_b32 v32, v1, s8, 0xc00
	s_mul_hi_u32 s7, s9, s60
	v_lshlrev_b64 v[1:2], 3, v[13:14]
	s_mul_i32 s7, s7, s42
	v_mul_lo_u32 v34, s30, v3
	s_sub_i32 s7, s9, s7
	v_mov_b32_e32 v3, 0
	s_sub_i32 s10, s7, s42
	v_add_co_u32 v15, vcc_lo, s31, v1
	v_add3_u32 v1, s42, s36, v0
	s_cmp_ge_u32 s7, s42
	v_add_co_ci_u32_e64 v16, null, s33, v2, vcc_lo
	s_cselect_b32 s8, s10, s7
	v_or_b32_e32 v2, 2, v28
	v_subrev_nc_u32_e32 v1, s11, v1
	s_sub_i32 s10, s8, s42
	s_cmp_ge_u32 s8, s42
	v_cmp_gt_u32_e64 s7, s59, v28
	s_cselect_b32 s10, s10, s8
	v_mul_lo_u32 v33, s30, v2
	v_mul_lo_u32 v36, s30, v1
	s_sub_i32 s61, s9, s10
	v_cmp_gt_u32_e64 s8, s36, v30
	v_cmp_gt_u32_e64 s9, s61, v0
	v_mov_b32_e32 v4, 0
	v_mov_b32_e32 v5, 1
	s_mul_i32 s44, s30, s42
	s_lshl_b32 s63, s42, 5
	s_lshl_b32 s62, s44, 2
	;; [unrolled: 1-line block ×3, first 2 shown]
	s_mov_b32 s70, 62
	s_mov_b32 s66, 0
                                        ; implicit-def: $sgpr65
                                        ; implicit-def: $sgpr69
                                        ; implicit-def: $sgpr68
                                        ; implicit-def: $sgpr71
                                        ; implicit-def: $sgpr67
                                        ; implicit-def: $sgpr75
                                        ; implicit-def: $sgpr76
                                        ; implicit-def: $sgpr72
                                        ; implicit-def: $sgpr74
                                        ; implicit-def: $sgpr73
	s_branch .LBB43_6
.LBB43_4:                               ;   in Loop: Header=BB43_6 Depth=1
	s_or_b32 exec_lo, exec_lo, s13
	v_mov_b32_e32 v39, v25
	s_andn2_b32 s13, s73, exec_lo
	s_and_b32 s12, s12, exec_lo
	s_andn2_b32 s74, s74, exec_lo
	s_or_b32 s73, s13, s12
	s_andn2_b32 s72, s72, exec_lo
	s_andn2_b32 s76, s76, exec_lo
	;; [unrolled: 1-line block ×3, first 2 shown]
	s_orn2_b32 s12, s11, exec_lo
.LBB43_5:                               ;   in Loop: Header=BB43_6 Depth=1
	s_or_b32 exec_lo, exec_lo, s10
	s_and_b32 s10, exec_lo, s12
	s_or_b32 s43, s10, s43
	s_andn2_b32 s10, s67, exec_lo
	s_and_b32 s11, s73, exec_lo
	s_andn2_b32 s12, s71, exec_lo
	s_or_b32 s67, s10, s11
	s_and_b32 s10, s74, exec_lo
	s_andn2_b32 s11, s68, exec_lo
	s_and_b32 s13, s72, exec_lo
	s_or_b32 s71, s12, s10
	s_or_b32 s68, s11, s13
	s_andn2_b32 s10, s69, exec_lo
	s_and_b32 s11, s76, exec_lo
	s_andn2_b32 s12, s65, exec_lo
	s_and_b32 s13, s75, exec_lo
	s_or_b32 s69, s10, s11
	s_or_b32 s65, s12, s13
	s_andn2_b32 exec_lo, exec_lo, s43
	s_cbranch_execz .LBB43_391
.LBB43_6:                               ; =>This Loop Header: Depth=1
                                        ;     Child Loop BB43_12 Depth 2
                                        ;     Child Loop BB43_25 Depth 2
	;; [unrolled: 1-line block ×24, first 2 shown]
	ds_read_b64 v[1:2], v14 offset:4096
	s_waitcnt lgkmcnt(0)
	v_readfirstlane_b32 s77, v1
	s_cmp_lg_u32 s77, 0
	s_cbranch_scc1 .LBB43_33
; %bb.7:                                ;   in Loop: Header=BB43_6 Depth=1
	s_and_b32 vcc_lo, exec_lo, s52
	s_cbranch_vccz .LBB43_20
; %bb.8:                                ;   in Loop: Header=BB43_6 Depth=1
	v_cmp_gt_u32_e32 vcc_lo, 0x181, v2
	s_mov_b32 s12, 0
	s_mov_b32 s10, 0
	s_cbranch_vccz .LBB43_21
; %bb.9:                                ;   in Loop: Header=BB43_6 Depth=1
	s_and_saveexec_b32 s13, s2
	s_cbranch_execz .LBB43_80
; %bb.10:                               ;   in Loop: Header=BB43_6 Depth=1
	global_load_ushort v8, v14, s[38:39]
	global_load_dwordx2 v[1:2], v[10:11], off
	v_mov_b32_e32 v22, v0
	s_mov_b32 s14, 0
	s_waitcnt vmcnt(1)
	v_add_nc_u32_e32 v6, v0, v8
	v_mul_lo_u32 v9, s30, v8
	v_mul_lo_u32 v13, s30, v6
	s_branch .LBB43_12
.LBB43_11:                              ;   in Loop: Header=BB43_12 Depth=2
	s_or_b32 exec_lo, exec_lo, s11
	v_mov_b32_e32 v1, v6
	v_add_nc_u32_e32 v13, v13, v9
	v_mov_b32_e32 v2, v7
	s_andn2_b32 exec_lo, exec_lo, s14
	s_cbranch_execz .LBB43_80
.LBB43_12:                              ;   Parent Loop BB43_6 Depth=1
                                        ; =>  This Inner Loop Header: Depth=2
	v_mov_b32_e32 v6, 0
	v_add_nc_u32_e32 v22, v22, v8
	v_mov_b32_e32 v7, 0
	s_mov_b32 s11, exec_lo
	v_cmp_le_u32_e32 vcc_lo, s36, v22
	v_cmpx_gt_u32_e64 s36, v22
	s_cbranch_execz .LBB43_14
; %bb.13:                               ;   in Loop: Header=BB43_12 Depth=2
	v_lshlrev_b64 v[6:7], 3, v[13:14]
	v_add_co_u32 v6, s10, s31, v6
	v_add_co_ci_u32_e64 v7, null, s33, v7, s10
	global_load_dwordx2 v[6:7], v[6:7], off
.LBB43_14:                              ;   in Loop: Header=BB43_12 Depth=2
	s_or_b32 exec_lo, exec_lo, s11
	s_waitcnt vmcnt(0) lgkmcnt(0)
	v_xor_b32_e32 v23, 0x80000000, v2
	v_and_b32_e32 v24, v23, v21
	v_and_b32_e32 v23, v1, v20
	v_cmp_eq_u64_e64 s10, v[23:24], v[18:19]
	v_mov_b32_e32 v23, 0
	s_cmp_lg_u32 s10, 0
	s_cselect_b32 s11, -1, 0
	s_and_b32 s11, s0, s11
	s_and_saveexec_b32 s15, s11
	s_cbranch_execz .LBB43_18
; %bb.15:                               ;   in Loop: Header=BB43_12 Depth=2
	s_mov_b32 s18, exec_lo
	s_bcnt1_i32_b32 s16, s10
	v_mbcnt_lo_u32_b32 v23, s18, 0
	s_mov_b32 s17, exec_lo
                                        ; implicit-def: $vgpr24
	v_cmpx_eq_u32_e32 0, v23
; %bb.16:                               ;   in Loop: Header=BB43_12 Depth=2
	s_bcnt1_i32_b32 s11, s18
	s_mul_i32 s11, s16, s11
	v_mov_b32_e32 v24, s11
	ds_add_rtn_u32 v24, v14, v24 offset:4104
; %bb.17:                               ;   in Loop: Header=BB43_12 Depth=2
	s_or_b32 exec_lo, exec_lo, s17
	s_waitcnt lgkmcnt(0)
	v_readfirstlane_b32 s11, v24
	v_mad_u32_u24 v23, s16, v23, s11
.LBB43_18:                              ;   in Loop: Header=BB43_12 Depth=2
	s_or_b32 exec_lo, exec_lo, s15
	ds_bpermute_b32 v23, v14, v23
	s_and_b32 s11, exec_lo, vcc_lo
	s_or_b32 s14, s11, s14
	s_and_saveexec_b32 s11, s10
	s_cbranch_execz .LBB43_11
; %bb.19:                               ;   in Loop: Header=BB43_12 Depth=2
	v_and_b32_e32 v24, s10, v26
	v_bcnt_u32_b32 v24, v24, 0
	v_lshlrev_b32_e32 v24, 3, v24
	s_waitcnt lgkmcnt(0)
	v_lshl_add_u32 v23, v23, 3, v24
	ds_write_b64 v23, v[1:2]
	s_branch .LBB43_11
.LBB43_20:                              ;   in Loop: Header=BB43_6 Depth=1
	s_mov_b32 s12, -1
	s_mov_b32 s10, 0
.LBB43_21:                              ;   in Loop: Header=BB43_6 Depth=1
	s_and_b32 vcc_lo, exec_lo, s12
	s_cbranch_vccz .LBB43_31
.LBB43_22:                              ;   in Loop: Header=BB43_6 Depth=1
	s_and_saveexec_b32 s10, s2
	s_cbranch_execz .LBB43_28
; %bb.23:                               ;   in Loop: Header=BB43_6 Depth=1
	global_load_ushort v8, v14, s[38:39]
	global_load_dwordx2 v[1:2], v[10:11], off
	v_mov_b32_e32 v9, v0
	s_mov_b32 s11, exec_lo
	s_waitcnt vmcnt(1)
	v_add_nc_u32_e32 v6, v0, v8
	v_cmpx_gt_u32_e64 s36, v6
	s_cbranch_execz .LBB43_27
; %bb.24:                               ;   in Loop: Header=BB43_6 Depth=1
	v_mul_lo_u32 v13, s30, v6
	v_mul_lo_u32 v22, s30, v8
	v_lshlrev_b32_e32 v23, 3, v8
	v_mov_b32_e32 v24, v29
	v_mov_b32_e32 v9, v0
	s_mov_b32 s12, 0
	.p2align	6
.LBB43_25:                              ;   Parent Loop BB43_6 Depth=1
                                        ; =>  This Inner Loop Header: Depth=2
	v_lshlrev_b64 v[6:7], 3, v[13:14]
	v_add_nc_u32_e32 v9, v9, v8
	s_waitcnt vmcnt(0)
	ds_write_b64 v24, v[1:2]
	v_add_nc_u32_e32 v24, v24, v23
	v_add_nc_u32_e32 v13, v13, v22
	;; [unrolled: 1-line block ×3, first 2 shown]
	v_add_co_u32 v6, vcc_lo, s31, v6
	v_add_co_ci_u32_e64 v7, null, s33, v7, vcc_lo
	v_cmp_le_u32_e32 vcc_lo, s36, v25
	global_load_dwordx2 v[6:7], v[6:7], off
	s_or_b32 s12, vcc_lo, s12
	s_waitcnt vmcnt(0)
	v_mov_b32_e32 v1, v6
	v_mov_b32_e32 v2, v7
	s_andn2_b32 exec_lo, exec_lo, s12
	s_cbranch_execnz .LBB43_25
; %bb.26:                               ;   in Loop: Header=BB43_6 Depth=1
	s_or_b32 exec_lo, exec_lo, s12
	v_mov_b32_e32 v1, v6
	v_mov_b32_e32 v2, v7
.LBB43_27:                              ;   in Loop: Header=BB43_6 Depth=1
	s_or_b32 exec_lo, exec_lo, s11
	v_lshlrev_b32_e32 v6, 3, v9
	s_waitcnt vmcnt(0)
	ds_write_b64 v6, v[1:2]
.LBB43_28:                              ;   in Loop: Header=BB43_6 Depth=1
	s_or_b32 exec_lo, exec_lo, s10
	s_waitcnt lgkmcnt(0)
	s_barrier
	buffer_gl0_inv
	s_and_saveexec_b32 s10, s3
; %bb.29:                               ;   in Loop: Header=BB43_6 Depth=1
	v_mov_b32_e32 v1, s36
	ds_write_b32 v14, v1 offset:4096
; %bb.30:                               ;   in Loop: Header=BB43_6 Depth=1
	s_or_b32 exec_lo, exec_lo, s10
	s_mov_b32 s10, -1
	s_waitcnt lgkmcnt(0)
	s_barrier
.LBB43_31:                              ;   in Loop: Header=BB43_6 Depth=1
	s_and_b32 vcc_lo, exec_lo, s10
	s_mov_b32 s77, 0
	s_cbranch_vccz .LBB43_33
; %bb.32:                               ;   in Loop: Header=BB43_6 Depth=1
	buffer_gl0_inv
	ds_read_b32 v1, v14 offset:4096
	s_waitcnt lgkmcnt(0)
	v_readfirstlane_b32 s77, v1
.LBB43_33:                              ;   in Loop: Header=BB43_6 Depth=1
	s_cmp_lt_i32 s77, 1
	s_mov_b32 s10, -1
                                        ; implicit-def: $vgpr6
	s_cbranch_scc1 .LBB43_43
; %bb.34:                               ;   in Loop: Header=BB43_6 Depth=1
	s_and_b32 vcc_lo, exec_lo, s10
	s_cbranch_vccnz .LBB43_54
.LBB43_35:                              ;   in Loop: Header=BB43_6 Depth=1
	s_lshl_b32 s10, s66, 7
	s_and_saveexec_b32 s11, s0
.LBB43_36:                              ;   in Loop: Header=BB43_6 Depth=1
	v_lshl_add_u32 v1, s10, 2, v32
	ds_write_b128 v1, v[6:9]
.LBB43_37:                              ;   in Loop: Header=BB43_6 Depth=1
	s_or_b32 exec_lo, exec_lo, s11
	s_waitcnt lgkmcnt(0)
	s_barrier
	buffer_gl0_inv
	s_and_saveexec_b32 s11, s49
	s_cbranch_execz .LBB43_67
; %bb.38:                               ;   in Loop: Header=BB43_6 Depth=1
	v_mov_b32_e32 v1, 0
	s_andn2_b32 vcc_lo, exec_lo, s53
	s_cbranch_vccnz .LBB43_66
; %bb.39:                               ;   in Loop: Header=BB43_6 Depth=1
	s_andn2_b32 vcc_lo, exec_lo, s56
	s_cbranch_vccnz .LBB43_63
; %bb.40:                               ;   in Loop: Header=BB43_6 Depth=1
	v_lshl_add_u32 v2, s66, 9, v38
	v_mov_b32_e32 v1, 0
	s_mov_b32 s12, 0
	.p2align	6
.LBB43_41:                              ;   Parent Loop BB43_6 Depth=1
                                        ; =>  This Inner Loop Header: Depth=2
	ds_read2_b32 v[6:7], v2 offset1:4
	ds_read2_b32 v[8:9], v2 offset0:8 offset1:12
	ds_read2_b32 v[22:23], v2 offset0:16 offset1:20
	;; [unrolled: 1-line block ×3, first 2 shown]
	v_add_nc_u32_e32 v2, 0x80, v2
	s_add_i32 s12, s12, 8
	s_cmp_eq_u32 s51, s12
	s_waitcnt lgkmcnt(3)
	v_add3_u32 v1, v6, v1, v7
	s_waitcnt lgkmcnt(2)
	v_add3_u32 v1, v8, v1, v9
	;; [unrolled: 2-line block ×4, first 2 shown]
	s_cbranch_scc0 .LBB43_41
; %bb.42:                               ;   in Loop: Header=BB43_6 Depth=1
	s_mov_b32 s12, s51
	s_andn2_b32 vcc_lo, exec_lo, s57
	s_cbranch_vccz .LBB43_64
	s_branch .LBB43_66
.LBB43_43:                              ;   in Loop: Header=BB43_6 Depth=1
	v_mov_b32_e32 v6, 0
	v_mov_b32_e32 v7, 0
	;; [unrolled: 1-line block ×4, first 2 shown]
	s_and_saveexec_b32 s24, s7
	s_cbranch_execz .LBB43_47
; %bb.44:                               ;   in Loop: Header=BB43_6 Depth=1
	v_mov_b32_e32 v1, v28
	s_mov_b32 s25, 0
	s_mov_b32 s26, 0
	;; [unrolled: 1-line block ×6, first 2 shown]
.LBB43_45:                              ;   Parent Loop BB43_6 Depth=1
                                        ; =>  This Inner Loop Header: Depth=2
	v_add_nc_u32_e32 v13, s26, v35
	v_mov_b32_e32 v41, v14
	v_mov_b32_e32 v43, v14
	;; [unrolled: 1-line block ×3, first 2 shown]
	v_add_nc_u32_e32 v1, s50, v1
	v_lshlrev_b64 v[6:7], 3, v[13:14]
	v_add_nc_u32_e32 v13, s26, v17
	v_lshlrev_b64 v[8:9], 3, v[13:14]
	v_add_nc_u32_e32 v13, s26, v33
	v_add_co_u32 v6, vcc_lo, s31, v6
	v_add_co_ci_u32_e64 v7, null, s33, v7, vcc_lo
	v_lshlrev_b64 v[22:23], 3, v[13:14]
	v_add_co_u32 v8, vcc_lo, s31, v8
	global_load_dwordx2 v[6:7], v[6:7], off
	v_add_nc_u32_e32 v13, s26, v34
	v_add_co_ci_u32_e64 v9, null, s33, v9, vcc_lo
	v_add_co_u32 v22, vcc_lo, s31, v22
	v_add_co_ci_u32_e64 v23, null, s33, v23, vcc_lo
	v_lshlrev_b64 v[24:25], 3, v[13:14]
	s_clause 0x1
	global_load_dwordx2 v[8:9], v[8:9], off
	global_load_dwordx2 v[22:23], v[22:23], off
	s_add_i32 s26, s26, s62
	v_add_co_u32 v24, vcc_lo, s31, v24
	v_add_co_ci_u32_e64 v25, null, s33, v25, vcc_lo
	v_cmp_le_u32_e32 vcc_lo, s59, v1
	global_load_dwordx2 v[24:25], v[24:25], off
	s_waitcnt vmcnt(3)
	v_xor_b32_e32 v7, 0x80000000, v7
	v_and_b32_e32 v46, v6, v20
	v_and_b32_e32 v47, v7, v21
	v_lshrrev_b64 v[6:7], s70, v[6:7]
	s_waitcnt vmcnt(2)
	v_xor_b32_e32 v9, 0x80000000, v9
	s_waitcnt vmcnt(1)
	v_xor_b32_e32 v23, 0x80000000, v23
	v_cmp_eq_u64_e64 s10, v[46:47], v[18:19]
	v_and_b32_e32 v13, 3, v6
	v_and_b32_e32 v48, v8, v20
	v_lshrrev_b64 v[46:47], s70, v[8:9]
	v_and_b32_e32 v7, v22, v20
	v_and_b32_e32 v8, v23, v21
	v_cmp_eq_u64_e64 s12, 0, v[13:14]
	v_lshrrev_b64 v[22:23], s70, v[22:23]
	v_and_b32_e32 v49, v9, v21
	v_and_b32_e32 v40, 3, v46
	v_cmp_eq_u64_e64 s13, 1, v[13:14]
	s_waitcnt vmcnt(0)
	v_xor_b32_e32 v25, 0x80000000, v25
	v_cmp_eq_u64_e64 s14, 2, v[13:14]
	v_cmp_eq_u64_e64 s15, 3, v[13:14]
	s_and_b32 s12, s10, s12
	v_cmp_eq_u64_e64 s11, v[48:49], v[18:19]
	v_and_b32_e32 v42, 3, v22
	v_cmp_eq_u64_e64 s17, 0, v[40:41]
	v_cmp_eq_u64_e64 s18, 1, v[40:41]
	;; [unrolled: 1-line block ×4, first 2 shown]
	v_lshrrev_b64 v[8:9], s70, v[24:25]
	v_cndmask_b32_e64 v2, 0, 1, s12
	s_and_b32 s12, s10, s13
	v_cmp_eq_u64_e64 s20, 3, v[40:41]
	v_and_b32_e32 v6, v24, v20
	v_and_b32_e32 v7, v25, v21
	v_cndmask_b32_e64 v9, 0, 1, s12
	s_and_b32 s12, s10, s14
	s_and_b32 s10, s10, s15
	v_cndmask_b32_e64 v13, 0, 1, s12
	v_cmp_eq_u64_e64 s12, 0, v[42:43]
	v_cmp_eq_u64_e64 s13, 1, v[42:43]
	v_cndmask_b32_e64 v22, 0, 1, s10
	s_and_b32 s17, s11, s17
	s_and_b32 s18, s11, s18
	;; [unrolled: 1-line block ×3, first 2 shown]
	v_and_b32_e32 v44, 3, v8
	v_cmp_eq_u64_e64 s14, 2, v[42:43]
	v_cmp_eq_u64_e64 s15, 3, v[42:43]
	;; [unrolled: 1-line block ×3, first 2 shown]
	v_cmp_ne_u32_e64 s21, 0, v2
	v_cndmask_b32_e64 v2, 0, 1, s17
	v_cndmask_b32_e64 v6, 0, 1, s18
	;; [unrolled: 1-line block ×3, first 2 shown]
	s_and_b32 s11, s11, s20
	v_cmp_ne_u32_e64 s19, 0, v22
	v_cndmask_b32_e64 v8, 0, 1, s11
	s_and_b32 s12, s16, s12
	s_and_b32 s13, s16, s13
	v_cmp_eq_u64_e64 s11, 0, v[44:45]
	v_cmp_eq_u64_e64 s20, 1, v[44:45]
	;; [unrolled: 1-line block ×4, first 2 shown]
	s_bcnt1_i32_b32 s79, s21
	v_cmp_ne_u32_e64 s21, 0, v2
	v_cndmask_b32_e64 v2, 0, 1, s12
	v_cmp_ne_u32_e64 s12, 0, v6
	v_cndmask_b32_e64 v6, 0, 1, s13
	v_cmp_ne_u32_e64 s13, 0, v7
	s_and_b32 s14, s16, s14
	s_and_b32 s15, s16, s15
	v_cndmask_b32_e64 v7, 0, 1, s14
	v_cmp_ne_u32_e64 s14, 0, v8
	v_cndmask_b32_e64 v8, 0, 1, s15
	v_cmp_ne_u32_e64 s18, 0, v13
	s_bcnt1_i32_b32 s19, s19
	s_and_b32 s11, s10, s11
	s_add_i32 s19, s19, s27
	s_bcnt1_i32_b32 s27, s12
	s_and_b32 s12, s10, s20
	s_bcnt1_i32_b32 s20, s13
	s_and_b32 s13, s10, s22
	s_and_b32 s10, s10, s23
	v_cmp_ne_u32_e64 s17, 0, v9
	v_cmp_ne_u32_e64 s15, 0, v2
	v_cndmask_b32_e64 v2, 0, 1, s11
	v_cmp_ne_u32_e64 s11, 0, v6
	v_cndmask_b32_e64 v6, 0, 1, s12
	;; [unrolled: 2-line block ×4, first 2 shown]
	s_bcnt1_i32_b32 s18, s18
	s_add_i32 s16, s79, s78
	s_add_i32 s18, s18, s28
	s_bcnt1_i32_b32 s21, s21
	s_bcnt1_i32_b32 s14, s14
	;; [unrolled: 1-line block ×3, first 2 shown]
	s_add_i32 s16, s16, s21
	s_add_i32 s18, s18, s20
	;; [unrolled: 1-line block ×3, first 2 shown]
	v_cmp_ne_u32_e64 s10, 0, v2
	s_bcnt1_i32_b32 s19, s11
	v_cmp_ne_u32_e64 s11, 0, v6
	s_bcnt1_i32_b32 s20, s12
	;; [unrolled: 2-line block ×3, first 2 shown]
	v_cmp_ne_u32_e64 s13, 0, v8
	s_add_i32 s17, s17, s29
	s_bcnt1_i32_b32 s15, s15
	s_add_i32 s17, s17, s27
	s_add_i32 s15, s16, s15
	;; [unrolled: 1-line block ×5, first 2 shown]
	s_bcnt1_i32_b32 s10, s10
	s_bcnt1_i32_b32 s11, s11
	;; [unrolled: 1-line block ×4, first 2 shown]
	s_add_i32 s78, s15, s10
	s_add_i32 s29, s16, s11
	;; [unrolled: 1-line block ×4, first 2 shown]
	v_mov_b32_e32 v6, s78
	v_mov_b32_e32 v7, s29
	;; [unrolled: 1-line block ×4, first 2 shown]
	s_or_b32 s25, vcc_lo, s25
	s_andn2_b32 exec_lo, exec_lo, s25
	s_cbranch_execnz .LBB43_45
; %bb.46:                               ;   in Loop: Header=BB43_6 Depth=1
	s_or_b32 exec_lo, exec_lo, s25
.LBB43_47:                              ;   in Loop: Header=BB43_6 Depth=1
	s_or_b32 exec_lo, exec_lo, s24
	s_and_saveexec_b32 s14, s8
	s_cbranch_execz .LBB43_53
; %bb.48:                               ;   in Loop: Header=BB43_6 Depth=1
	global_load_dwordx2 v[24:25], v[15:16], off
	v_mov_b32_e32 v1, v36
	v_mov_b32_e32 v40, v30
	s_mov_b32 s15, 0
	s_branch .LBB43_50
.LBB43_49:                              ;   in Loop: Header=BB43_50 Depth=2
	s_or_b32 exec_lo, exec_lo, s11
	s_waitcnt vmcnt(0)
	v_xor_b32_e32 v25, 0x80000000, v25
	s_and_b32 s12, exec_lo, vcc_lo
	v_add_nc_u32_e32 v1, s44, v1
	s_or_b32 s15, s12, s15
	v_lshrrev_b64 v[41:42], s70, v[24:25]
	v_and_b32_e32 v24, v24, v20
	v_and_b32_e32 v25, v25, v21
	;; [unrolled: 1-line block ×3, first 2 shown]
	v_cmp_eq_u64_e64 s10, v[24:25], v[18:19]
	v_cmp_eq_u64_e64 s11, 0, v[13:14]
	v_cmp_eq_u64_e32 vcc_lo, 1, v[13:14]
	v_cmp_eq_u64_e64 s12, 2, v[13:14]
	v_cmp_eq_u64_e64 s13, 3, v[13:14]
	s_and_b32 s11, s10, s11
	v_cndmask_b32_e64 v2, 0, 1, s11
	s_and_b32 s11, s10, vcc_lo
	v_cndmask_b32_e64 v13, 0, 1, s11
	s_and_b32 s11, s10, s12
	s_and_b32 s10, s10, s13
	v_cndmask_b32_e64 v24, 0, 1, s11
	v_cndmask_b32_e64 v25, 0, 1, s10
	v_cmp_ne_u32_e32 vcc_lo, 0, v2
	v_cmp_ne_u32_e64 s10, 0, v13
	v_cmp_ne_u32_e64 s11, 0, v24
	;; [unrolled: 1-line block ×3, first 2 shown]
	s_bcnt1_i32_b32 s13, vcc_lo
	s_bcnt1_i32_b32 s10, s10
	v_mov_b32_e32 v25, v23
	s_bcnt1_i32_b32 s11, s11
	s_bcnt1_i32_b32 s12, s12
	v_add_nc_u32_e32 v6, s13, v6
	v_add_nc_u32_e32 v7, s10, v7
	;; [unrolled: 1-line block ×4, first 2 shown]
	v_mov_b32_e32 v24, v22
	s_andn2_b32 exec_lo, exec_lo, s15
	s_cbranch_execz .LBB43_52
.LBB43_50:                              ;   Parent Loop BB43_6 Depth=1
                                        ; =>  This Inner Loop Header: Depth=2
	v_mov_b32_e32 v22, 0
	v_add_nc_u32_e32 v40, s42, v40
	v_mov_b32_e32 v23, 0
	s_mov_b32 s11, exec_lo
	v_cmp_le_u32_e32 vcc_lo, s36, v40
	v_cmpx_gt_u32_e64 s36, v40
	s_cbranch_execz .LBB43_49
; %bb.51:                               ;   in Loop: Header=BB43_50 Depth=2
	v_mov_b32_e32 v2, v14
	v_lshlrev_b64 v[22:23], 3, v[1:2]
	v_add_co_u32 v22, s10, s31, v22
	v_add_co_ci_u32_e64 v23, null, s33, v23, s10
	global_load_dwordx2 v[22:23], v[22:23], off
	s_branch .LBB43_49
.LBB43_52:                              ;   in Loop: Header=BB43_6 Depth=1
	s_or_b32 exec_lo, exec_lo, s15
.LBB43_53:                              ;   in Loop: Header=BB43_6 Depth=1
	s_or_b32 exec_lo, exec_lo, s14
	s_branch .LBB43_35
.LBB43_54:                              ;   in Loop: Header=BB43_6 Depth=1
	s_mul_hi_u32 s10, s77, s58
	v_mov_b32_e32 v6, 0
	s_mul_i32 s10, s10, s50
	v_mov_b32_e32 v7, 0
	s_sub_i32 s10, s77, s10
	v_mov_b32_e32 v8, 0
	s_sub_i32 s11, s10, s50
	s_cmp_ge_u32 s10, s50
	v_mov_b32_e32 v9, 0
	s_cselect_b32 s10, s11, s10
	s_mov_b32 s79, exec_lo
	s_sub_i32 s11, s10, s50
	s_cmp_ge_u32 s10, s50
	s_cselect_b32 s10, s11, s10
	s_sub_i32 s78, s77, s10
	v_cmpx_gt_u32_e64 s78, v28
	s_cbranch_execz .LBB43_58
; %bb.55:                               ;   in Loop: Header=BB43_6 Depth=1
	v_mov_b32_e32 v1, v37
	v_mov_b32_e32 v2, v28
	s_mov_b32 s80, 0
	s_mov_b32 s81, 0
	;; [unrolled: 1-line block ×5, first 2 shown]
.LBB43_56:                              ;   Parent Loop BB43_6 Depth=1
                                        ; =>  This Inner Loop Header: Depth=2
	ds_read_b128 v[6:9], v1
	ds_read_b128 v[22:25], v1 offset:16
	v_mov_b32_e32 v41, v14
	v_mov_b32_e32 v43, v14
	;; [unrolled: 1-line block ×3, first 2 shown]
	v_add_nc_u32_e32 v2, s50, v2
	v_add_nc_u32_e32 v1, s63, v1
	v_cmp_le_u32_e32 vcc_lo, s78, v2
	s_waitcnt lgkmcnt(1)
	v_xor_b32_e32 v7, 0x80000000, v7
	v_xor_b32_e32 v9, 0x80000000, v9
	s_waitcnt lgkmcnt(0)
	v_xor_b32_e32 v23, 0x80000000, v23
	v_and_b32_e32 v46, v6, v20
	v_xor_b32_e32 v25, 0x80000000, v25
	v_and_b32_e32 v47, v7, v21
	v_lshrrev_b64 v[6:7], s70, v[6:7]
	v_and_b32_e32 v48, v8, v20
	v_lshrrev_b64 v[7:8], s70, v[8:9]
	;; [unrolled: 2-line block ×3, first 2 shown]
	v_and_b32_e32 v50, v22, v20
	v_and_b32_e32 v51, v23, v21
	v_lshrrev_b64 v[22:23], s70, v[24:25]
	v_and_b32_e32 v13, 3, v6
	v_and_b32_e32 v40, 3, v7
	;; [unrolled: 1-line block ×3, first 2 shown]
	v_cmp_eq_u64_e64 s10, v[46:47], v[18:19]
	v_and_b32_e32 v52, v24, v20
	v_cmp_eq_u64_e64 s14, 0, v[13:14]
	v_and_b32_e32 v53, v25, v21
	v_and_b32_e32 v44, 3, v22
	v_cmp_eq_u64_e64 s11, v[48:49], v[18:19]
	v_cmp_eq_u64_e64 s15, 0, v[40:41]
	;; [unrolled: 1-line block ×6, first 2 shown]
	s_and_b32 s14, s10, s14
	v_cmp_eq_u64_e64 s18, 1, v[13:14]
	v_cndmask_b32_e64 v6, 0, 1, s14
	s_and_b32 s14, s11, s15
	v_cmp_eq_u64_e64 s19, 1, v[40:41]
	v_cndmask_b32_e64 v7, 0, 1, s14
	;; [unrolled: 3-line block ×4, first 2 shown]
	s_and_b32 s14, s10, s18
	v_cmp_eq_u64_e64 s22, 2, v[13:14]
	v_cmp_eq_u64_e64 s26, 3, v[13:14]
	v_cndmask_b32_e64 v13, 0, 1, s14
	s_and_b32 s14, s11, s19
	v_cmp_eq_u64_e64 s23, 2, v[40:41]
	v_cmp_eq_u64_e64 s27, 3, v[40:41]
	v_cndmask_b32_e64 v22, 0, 1, s14
	;; [unrolled: 4-line block ×4, first 2 shown]
	s_and_b32 s14, s10, s22
	s_and_b32 s10, s10, s26
	v_cndmask_b32_e64 v25, 0, 1, s14
	s_and_b32 s14, s11, s23
	v_cndmask_b32_e64 v43, 0, 1, s10
	;; [unrolled: 2-line block ×7, first 2 shown]
	v_cndmask_b32_e64 v46, 0, 1, s10
	v_cmp_ne_u32_e64 s10, 0, v6
	v_cmp_ne_u32_e64 s14, 0, v13
	;; [unrolled: 1-line block ×12, first 2 shown]
	s_bcnt1_i32_b32 s10, s10
	s_bcnt1_i32_b32 s14, s14
	;; [unrolled: 1-line block ×4, first 2 shown]
	v_cmp_ne_u32_e64 s13, 0, v9
	v_cmp_ne_u32_e64 s17, 0, v24
	;; [unrolled: 1-line block ×4, first 2 shown]
	s_bcnt1_i32_b32 s11, s11
	s_bcnt1_i32_b32 s15, s15
	s_bcnt1_i32_b32 s19, s19
	s_bcnt1_i32_b32 s23, s23
	s_add_i32 s10, s10, s84
	s_add_i32 s14, s14, s83
	s_add_i32 s18, s18, s82
	s_add_i32 s22, s22, s81
	s_bcnt1_i32_b32 s12, s12
	s_bcnt1_i32_b32 s16, s16
	s_bcnt1_i32_b32 s20, s20
	s_bcnt1_i32_b32 s24, s24
	s_add_i32 s10, s10, s11
	s_add_i32 s11, s14, s15
	s_add_i32 s14, s18, s19
	s_add_i32 s15, s22, s23
	;; [unrolled: 8-line block ×3, first 2 shown]
	s_add_i32 s84, s10, s13
	s_add_i32 s83, s11, s17
	;; [unrolled: 1-line block ×4, first 2 shown]
	v_mov_b32_e32 v6, s84
	v_mov_b32_e32 v7, s83
	;; [unrolled: 1-line block ×4, first 2 shown]
	s_or_b32 s80, vcc_lo, s80
	s_andn2_b32 exec_lo, exec_lo, s80
	s_cbranch_execnz .LBB43_56
; %bb.57:                               ;   in Loop: Header=BB43_6 Depth=1
	s_or_b32 exec_lo, exec_lo, s80
.LBB43_58:                              ;   in Loop: Header=BB43_6 Depth=1
	s_or_b32 exec_lo, exec_lo, s79
	v_add_nc_u32_e32 v1, s78, v0
	s_mov_b32 s15, exec_lo
	v_cmpx_gt_u32_e64 s77, v1
	s_cbranch_execz .LBB43_62
; %bb.59:                               ;   in Loop: Header=BB43_6 Depth=1
	v_lshlrev_b32_e32 v2, 3, v1
	s_mov_b32 s16, 0
.LBB43_60:                              ;   Parent Loop BB43_6 Depth=1
                                        ; =>  This Inner Loop Header: Depth=2
	ds_read_b64 v[22:23], v2
	v_add_nc_u32_e32 v1, s42, v1
	v_add_nc_u32_e32 v2, s64, v2
	v_cmp_le_u32_e32 vcc_lo, s77, v1
	s_waitcnt lgkmcnt(0)
	v_xor_b32_e32 v23, 0x80000000, v23
	v_and_b32_e32 v24, v22, v20
	v_and_b32_e32 v25, v23, v21
	v_lshrrev_b64 v[22:23], s70, v[22:23]
	v_cmp_eq_u64_e64 s10, v[24:25], v[18:19]
	v_and_b32_e32 v13, 3, v22
	v_cmp_eq_u64_e64 s11, 0, v[13:14]
	v_cmp_eq_u64_e64 s12, 1, v[13:14]
	;; [unrolled: 1-line block ×4, first 2 shown]
	s_and_b32 s11, s10, s11
	v_cndmask_b32_e64 v13, 0, 1, s11
	s_and_b32 s11, s10, s12
	v_cndmask_b32_e64 v22, 0, 1, s11
	s_and_b32 s11, s10, s13
	s_and_b32 s10, s10, s14
	v_cndmask_b32_e64 v23, 0, 1, s11
	v_cndmask_b32_e64 v24, 0, 1, s10
	v_cmp_ne_u32_e64 s10, 0, v13
	v_cmp_ne_u32_e64 s11, 0, v22
	;; [unrolled: 1-line block ×4, first 2 shown]
	s_bcnt1_i32_b32 s10, s10
	s_bcnt1_i32_b32 s11, s11
	v_add_nc_u32_e32 v6, s10, v6
	s_bcnt1_i32_b32 s12, s12
	s_bcnt1_i32_b32 s13, s13
	v_add_nc_u32_e32 v7, s11, v7
	v_add_nc_u32_e32 v8, s12, v8
	;; [unrolled: 1-line block ×3, first 2 shown]
	s_or_b32 s16, vcc_lo, s16
	s_andn2_b32 exec_lo, exec_lo, s16
	s_cbranch_execnz .LBB43_60
; %bb.61:                               ;   in Loop: Header=BB43_6 Depth=1
	s_or_b32 exec_lo, exec_lo, s16
.LBB43_62:                              ;   in Loop: Header=BB43_6 Depth=1
	s_or_b32 exec_lo, exec_lo, s15
	s_lshl_b32 s10, s66, 7
	s_and_saveexec_b32 s11, s0
	s_cbranch_execnz .LBB43_36
	s_branch .LBB43_37
.LBB43_63:                              ;   in Loop: Header=BB43_6 Depth=1
	v_mov_b32_e32 v1, 0
	s_mov_b32 s12, 0
	s_andn2_b32 vcc_lo, exec_lo, s57
	s_cbranch_vccnz .LBB43_66
.LBB43_64:                              ;   in Loop: Header=BB43_6 Depth=1
	s_lshl_b32 s13, s66, 9
	s_lshl_b32 s12, s12, 4
	v_add3_u32 v2, s13, s12, v38
	s_mov_b32 s12, s55
.LBB43_65:                              ;   Parent Loop BB43_6 Depth=1
                                        ; =>  This Inner Loop Header: Depth=2
	ds_read_b32 v6, v2
	v_add_nc_u32_e32 v2, 16, v2
	s_add_i32 s12, s12, -1
	s_cmp_lg_u32 s12, 0
	s_waitcnt lgkmcnt(0)
	v_add_nc_u32_e32 v1, v6, v1
	s_cbranch_scc1 .LBB43_65
.LBB43_66:                              ;   in Loop: Header=BB43_6 Depth=1
	v_add_lshl_u32 v2, s10, v27, 2
	ds_write_b32 v2, v1 offset:3072
.LBB43_67:                              ;   in Loop: Header=BB43_6 Depth=1
	s_or_b32 exec_lo, exec_lo, s11
	s_lshl_b32 s10, s10, 2
	s_waitcnt lgkmcnt(0)
	v_mov_b32_e32 v1, s10
	s_barrier
	buffer_gl0_inv
	v_cmp_eq_u32_e64 s10, 1, v39
	s_lshl_b64 s[12:13], 3, s70
	ds_read_b128 v[6:9], v1 offset:3072
	s_mov_b32 s24, -1
	s_not_b64 s[14:15], s[12:13]
	s_mov_b32 s16, 0
	s_andn2_b32 vcc_lo, exec_lo, s48
	s_mov_b32 s21, 0
	s_mov_b32 s11, 0
                                        ; implicit-def: $sgpr22
                                        ; implicit-def: $sgpr23
                                        ; implicit-def: $vgpr25
                                        ; implicit-def: $vgpr24
                                        ; implicit-def: $vgpr22_vgpr23
                                        ; implicit-def: $vgpr1_vgpr2
	s_waitcnt lgkmcnt(0)
	v_readfirstlane_b32 s17, v6
	v_readfirstlane_b32 s18, v7
	;; [unrolled: 1-line block ×4, first 2 shown]
                                        ; implicit-def: $vgpr8_vgpr9
	s_cbranch_vccnz .LBB43_228
; %bb.68:                               ;   in Loop: Header=BB43_6 Depth=1
	s_cmp_eq_u32 s17, 1
	v_mov_b32_e32 v23, v19
	v_mov_b32_e32 v1, v20
	v_mov_b32_e32 v9, v4
	v_mov_b32_e32 v22, v18
	v_mov_b32_e32 v2, v21
	v_mov_b32_e32 v8, v3
	s_cselect_b32 s11, -1, 0
	s_mov_b32 s27, -1
	s_and_b32 s26, s11, s10
                                        ; implicit-def: $sgpr23
                                        ; implicit-def: $sgpr22
	s_and_saveexec_b32 s11, s26
	s_cbranch_execz .LBB43_97
; %bb.69:                               ;   in Loop: Header=BB43_6 Depth=1
	ds_read_b32 v1, v14 offset:4096
	s_waitcnt lgkmcnt(0)
	s_barrier
	buffer_gl0_inv
	v_readfirstlane_b32 s24, v1
	s_and_saveexec_b32 s21, s6
; %bb.70:                               ;   in Loop: Header=BB43_6 Depth=1
	v_mov_b32_e32 v13, v14
	ds_write_b64 v31, v[13:14]
; %bb.71:                               ;   in Loop: Header=BB43_6 Depth=1
	s_or_b32 exec_lo, exec_lo, s21
	v_and_b32_e32 v23, s15, v19
	v_and_b32_e32 v22, s14, v18
	v_or_b32_e32 v2, s13, v21
	v_or_b32_e32 v1, s12, v20
	s_mov_b32 s22, -1
	s_mov_b32 s23, 0
	s_cmp_eq_u32 s24, 0
	s_mov_b32 s21, 0
	s_mov_b32 s25, -1
	s_waitcnt lgkmcnt(0)
	s_barrier
	buffer_gl0_inv
                                        ; implicit-def: $vgpr8_vgpr9
	s_cbranch_scc1 .LBB43_85
; %bb.72:                               ;   in Loop: Header=BB43_6 Depth=1
	s_add_i32 s21, s24, s54
                                        ; implicit-def: $vgpr8_vgpr9
	s_mul_hi_u32 s25, s21, s60
	s_mul_i32 s25, s25, s42
	s_sub_i32 s25, s21, s25
	s_sub_i32 s27, s25, s42
	s_cmp_ge_u32 s25, s42
	s_cselect_b32 s25, s27, s25
	s_sub_i32 s27, s25, s42
	s_cmp_ge_u32 s25, s42
	s_cselect_b32 s25, s27, s25
	s_mov_b32 s27, exec_lo
	s_sub_i32 s28, s21, s25
	s_mov_b32 s25, 0
	s_mov_b32 s21, 0
	v_cmpx_gt_u32_e64 s28, v0
	s_cbranch_execz .LBB43_84
; %bb.73:                               ;   in Loop: Header=BB43_6 Depth=1
	v_mov_b32_e32 v13, v29
	v_mov_b32_e32 v24, v0
                                        ; implicit-def: $sgpr29
	s_inst_prefetch 0x1
	s_branch .LBB43_76
	.p2align	6
.LBB43_74:                              ;   in Loop: Header=BB43_76 Depth=2
	s_or_b32 exec_lo, exec_lo, s77
	s_waitcnt lgkmcnt(0)
	s_barrier
	buffer_gl0_inv
	ds_read_b128 v[6:9], v14 offset:3072
	s_mov_b32 s77, -1
	s_mov_b32 s78, -1
	s_waitcnt lgkmcnt(0)
	s_barrier
	buffer_gl0_inv
	v_cmp_ne_u64_e32 vcc_lo, 0, v[6:7]
	s_cbranch_vccz .LBB43_79
.LBB43_75:                              ;   in Loop: Header=BB43_76 Depth=2
	s_and_b32 s77, exec_lo, s77
	s_or_b32 s21, s77, s21
	s_andn2_b32 s29, s29, exec_lo
	s_and_b32 s77, s78, exec_lo
	s_or_b32 s29, s29, s77
	s_andn2_b32 exec_lo, exec_lo, s21
	s_cbranch_execz .LBB43_83
.LBB43_76:                              ;   Parent Loop BB43_6 Depth=1
                                        ; =>  This Inner Loop Header: Depth=2
	s_mov_b32 s77, exec_lo
	v_cmpx_gt_u32_e64 s24, v24
	s_cbranch_execz .LBB43_74
; %bb.77:                               ;   in Loop: Header=BB43_76 Depth=2
	ds_read_b64 v[7:8], v13
	s_waitcnt lgkmcnt(0)
	v_xor_b32_e32 v6, 0x80000000, v8
	v_and_b32_e32 v40, v7, v1
	v_and_b32_e32 v41, v6, v2
	v_cmp_eq_u64_e32 vcc_lo, v[40:41], v[22:23]
	s_and_b32 exec_lo, exec_lo, vcc_lo
	s_cbranch_execz .LBB43_74
; %bb.78:                               ;   in Loop: Header=BB43_76 Depth=2
	v_mov_b32_e32 v6, v14
	ds_write_b128 v14, v[5:8] offset:3072
	s_branch .LBB43_74
	.p2align	6
.LBB43_79:                              ;   in Loop: Header=BB43_76 Depth=2
	v_add_nc_u32_e32 v24, s42, v24
	v_add_nc_u32_e32 v13, s64, v13
	s_mov_b32 s78, 0
	v_cmp_le_u32_e32 vcc_lo, s28, v24
	s_orn2_b32 s77, vcc_lo, exec_lo
	s_branch .LBB43_75
.LBB43_80:                              ;   in Loop: Header=BB43_6 Depth=1
	s_or_b32 exec_lo, exec_lo, s13
	s_waitcnt lgkmcnt(0)
	s_barrier
	buffer_gl0_inv
	s_and_saveexec_b32 s10, s3
	s_cbranch_execz .LBB43_82
; %bb.81:                               ;   in Loop: Header=BB43_6 Depth=1
	ds_read_b32 v1, v14 offset:4104
	s_waitcnt lgkmcnt(0)
	ds_write_b32 v14, v1 offset:4096
.LBB43_82:                              ;   in Loop: Header=BB43_6 Depth=1
	s_or_b32 exec_lo, exec_lo, s10
	s_waitcnt lgkmcnt(0)
	s_mov_b32 s10, -1
	s_barrier
	s_and_b32 vcc_lo, exec_lo, s12
	s_cbranch_vccnz .LBB43_22
	s_branch .LBB43_31
.LBB43_83:                              ;   in Loop: Header=BB43_6 Depth=1
	s_inst_prefetch 0x2
	s_or_b32 exec_lo, exec_lo, s21
	s_and_b32 s21, s29, exec_lo
.LBB43_84:                              ;   in Loop: Header=BB43_6 Depth=1
	s_or_b32 exec_lo, exec_lo, s27
.LBB43_85:                              ;   in Loop: Header=BB43_6 Depth=1
	s_and_b32 vcc_lo, exec_lo, s25
	s_cbranch_vccz .LBB43_96
; %bb.86:                               ;   in Loop: Header=BB43_6 Depth=1
                                        ; implicit-def: $vgpr8_vgpr9
	s_and_saveexec_b32 s22, s9
	s_cbranch_execz .LBB43_95
; %bb.87:                               ;   in Loop: Header=BB43_6 Depth=1
	v_mov_b32_e32 v13, v12
	v_mov_b32_e32 v24, v0
	s_mov_b32 s24, 0
                                        ; implicit-def: $sgpr23
	s_inst_prefetch 0x1
	s_branch .LBB43_90
	.p2align	6
.LBB43_88:                              ;   in Loop: Header=BB43_90 Depth=2
	s_or_b32 exec_lo, exec_lo, s25
	s_waitcnt lgkmcnt(0)
	s_barrier
	buffer_gl0_inv
	ds_read_b128 v[6:9], v14 offset:3072
	s_mov_b32 s25, -1
	s_mov_b32 s27, -1
	s_waitcnt lgkmcnt(0)
	s_barrier
	buffer_gl0_inv
	v_cmp_ne_u64_e32 vcc_lo, 0, v[6:7]
	s_cbranch_vccz .LBB43_93
.LBB43_89:                              ;   in Loop: Header=BB43_90 Depth=2
	s_and_b32 s25, exec_lo, s25
	s_or_b32 s24, s25, s24
	s_andn2_b32 s23, s23, exec_lo
	s_and_b32 s25, s27, exec_lo
	s_or_b32 s23, s23, s25
	s_andn2_b32 exec_lo, exec_lo, s24
	s_cbranch_execz .LBB43_94
.LBB43_90:                              ;   Parent Loop BB43_6 Depth=1
                                        ; =>  This Inner Loop Header: Depth=2
	s_mov_b32 s25, exec_lo
	v_cmpx_gt_u32_e64 s36, v24
	s_cbranch_execz .LBB43_88
; %bb.91:                               ;   in Loop: Header=BB43_90 Depth=2
	v_lshlrev_b64 v[6:7], 3, v[13:14]
	v_add_co_u32 v6, vcc_lo, s31, v6
	v_add_co_ci_u32_e64 v7, null, s33, v7, vcc_lo
	global_load_dwordx2 v[7:8], v[6:7], off
	s_waitcnt vmcnt(0)
	v_xor_b32_e32 v6, 0x80000000, v8
	v_and_b32_e32 v40, v7, v1
	v_and_b32_e32 v41, v6, v2
	v_cmp_eq_u64_e32 vcc_lo, v[40:41], v[22:23]
	s_and_b32 exec_lo, exec_lo, vcc_lo
	s_cbranch_execz .LBB43_88
; %bb.92:                               ;   in Loop: Header=BB43_90 Depth=2
	v_mov_b32_e32 v6, v14
	ds_write_b128 v14, v[5:8] offset:3072
	s_branch .LBB43_88
.LBB43_93:                              ;   in Loop: Header=BB43_90 Depth=2
	v_add_nc_u32_e32 v24, s42, v24
	v_add_nc_u32_e32 v13, s44, v13
	s_mov_b32 s27, 0
	v_cmp_le_u32_e32 vcc_lo, s61, v24
	s_orn2_b32 s25, vcc_lo, exec_lo
	s_branch .LBB43_89
.LBB43_94:                              ;   in Loop: Header=BB43_6 Depth=1
	s_inst_prefetch 0x2
	s_or_b32 exec_lo, exec_lo, s24
	s_andn2_b32 s21, s21, exec_lo
	s_and_b32 s23, s23, exec_lo
	s_or_b32 s21, s21, s23
.LBB43_95:                              ;   in Loop: Header=BB43_6 Depth=1
	s_or_b32 exec_lo, exec_lo, s22
	s_mov_b32 s22, 0
	s_mov_b32 s23, -1
.LBB43_96:                              ;   in Loop: Header=BB43_6 Depth=1
	s_orn2_b32 s27, s21, exec_lo
.LBB43_97:                              ;   in Loop: Header=BB43_6 Depth=1
	s_or_b32 exec_lo, exec_lo, s11
	s_mov_b32 s24, 0
	s_mov_b32 s21, 0
	;; [unrolled: 1-line block ×3, first 2 shown]
                                        ; implicit-def: $vgpr25
                                        ; implicit-def: $vgpr24
	s_and_saveexec_b32 s25, s27
	s_cbranch_execz .LBB43_227
; %bb.98:                               ;   in Loop: Header=BB43_6 Depth=1
	v_mov_b32_e32 v25, 1
	v_mov_b32_e32 v24, 1
	s_xor_b32 s21, s26, -1
	s_mov_b32 s28, 0
	s_and_saveexec_b32 s11, s21
	s_cbranch_execz .LBB43_107
; %bb.99:                               ;   in Loop: Header=BB43_6 Depth=1
	s_mov_b32 s21, exec_lo
	v_cmpx_ge_u32_e64 s17, v39
	s_xor_b32 s21, exec_lo, s21
	s_cbranch_execz .LBB43_104
; %bb.100:                              ;   in Loop: Header=BB43_6 Depth=1
	ds_read_b32 v6, v14 offset:4096
	v_and_b32_e32 v23, s15, v23
	v_and_b32_e32 v22, s14, v22
	v_or_b32_e32 v2, s13, v2
	v_or_b32_e32 v1, s12, v1
	s_waitcnt lgkmcnt(0)
	v_cmp_ne_u32_e32 vcc_lo, 0, v6
	s_cbranch_vccnz .LBB43_104
; %bb.101:                              ;   in Loop: Header=BB43_6 Depth=1
	s_and_saveexec_b32 s26, s3
; %bb.102:                              ;   in Loop: Header=BB43_6 Depth=1
	v_mov_b32_e32 v6, s17
	ds_write_b32 v14, v6 offset:4100
; %bb.103:                              ;   in Loop: Header=BB43_6 Depth=1
	s_or_b32 exec_lo, exec_lo, s26
	s_waitcnt lgkmcnt(0)
	s_barrier
	buffer_gl0_inv
.LBB43_104:                             ;   in Loop: Header=BB43_6 Depth=1
	s_or_saveexec_b32 s21, s21
	v_mov_b32_e32 v24, 8
	v_mov_b32_e32 v25, v39
	s_mov_b32 s26, 0
	s_xor_b32 exec_lo, exec_lo, s21
; %bb.105:                              ;   in Loop: Header=BB43_6 Depth=1
	v_subrev_nc_u32_e32 v25, s17, v39
	v_mov_b32_e32 v24, 0
	s_mov_b32 s26, exec_lo
; %bb.106:                              ;   in Loop: Header=BB43_6 Depth=1
	s_or_b32 exec_lo, exec_lo, s21
	s_and_b32 s28, s26, exec_lo
.LBB43_107:                             ;   in Loop: Header=BB43_6 Depth=1
	s_or_b32 exec_lo, exec_lo, s11
	s_mov_b32 s27, -1
                                        ; implicit-def: $sgpr21
                                        ; implicit-def: $sgpr26
	s_and_saveexec_b32 s11, s28
	s_xor_b32 s11, exec_lo, s11
	s_cbranch_execz .LBB43_224
; %bb.108:                              ;   in Loop: Header=BB43_6 Depth=1
	v_cmp_eq_u32_e32 vcc_lo, 1, v25
	s_cmp_eq_u32 s18, 1
	s_mov_b32 s29, -1
	s_cselect_b32 s21, -1, 0
                                        ; implicit-def: $sgpr26
	s_and_b32 s28, s21, vcc_lo
                                        ; implicit-def: $sgpr21
	s_and_saveexec_b32 s27, s28
	s_cbranch_execz .LBB43_134
; %bb.109:                              ;   in Loop: Header=BB43_6 Depth=1
	ds_read_b32 v6, v14 offset:4096
	s_waitcnt lgkmcnt(0)
	s_barrier
	buffer_gl0_inv
	v_readfirstlane_b32 s77, v6
	s_and_saveexec_b32 s21, s6
; %bb.110:                              ;   in Loop: Header=BB43_6 Depth=1
	v_mov_b32_e32 v13, v14
	ds_write_b64 v31, v[13:14]
; %bb.111:                              ;   in Loop: Header=BB43_6 Depth=1
	s_or_b32 exec_lo, exec_lo, s21
	v_and_b32_e32 v6, s15, v23
	v_and_b32_e32 v7, s14, v22
	s_lshl_b64 s[78:79], 1, s70
	v_or_b32_e32 v2, s13, v2
	v_or_b32_e32 v1, s12, v1
	;; [unrolled: 1-line block ×4, first 2 shown]
	s_mov_b32 s21, -1
	s_mov_b32 s26, 0
	s_cmp_eq_u32 s77, 0
	s_mov_b32 s29, 0
	s_mov_b32 s78, -1
	s_waitcnt lgkmcnt(0)
	s_barrier
	buffer_gl0_inv
                                        ; implicit-def: $vgpr8_vgpr9
	s_cbranch_scc1 .LBB43_122
; %bb.112:                              ;   in Loop: Header=BB43_6 Depth=1
	s_add_i32 s29, s77, s54
                                        ; implicit-def: $vgpr8_vgpr9
	s_mul_hi_u32 s78, s29, s60
	s_mul_i32 s78, s78, s42
	s_sub_i32 s78, s29, s78
	s_sub_i32 s79, s78, s42
	s_cmp_ge_u32 s78, s42
	s_cselect_b32 s78, s79, s78
	s_sub_i32 s79, s78, s42
	s_cmp_ge_u32 s78, s42
	s_cselect_b32 s78, s79, s78
	s_mov_b32 s79, exec_lo
	s_sub_i32 s80, s29, s78
	s_mov_b32 s78, 0
	s_mov_b32 s29, 0
	v_cmpx_gt_u32_e64 s80, v0
	s_cbranch_execz .LBB43_121
; %bb.113:                              ;   in Loop: Header=BB43_6 Depth=1
	v_mov_b32_e32 v13, v29
	v_mov_b32_e32 v40, v0
                                        ; implicit-def: $sgpr81
	s_inst_prefetch 0x1
	s_branch .LBB43_116
	.p2align	6
.LBB43_114:                             ;   in Loop: Header=BB43_116 Depth=2
	s_or_b32 exec_lo, exec_lo, s82
	s_waitcnt lgkmcnt(0)
	s_barrier
	buffer_gl0_inv
	ds_read_b128 v[6:9], v14 offset:3072
	s_mov_b32 s82, -1
	s_mov_b32 s83, -1
	s_waitcnt lgkmcnt(0)
	s_barrier
	buffer_gl0_inv
	v_cmp_ne_u64_e32 vcc_lo, 0, v[6:7]
	s_cbranch_vccz .LBB43_119
.LBB43_115:                             ;   in Loop: Header=BB43_116 Depth=2
	s_and_b32 s82, exec_lo, s82
	s_or_b32 s29, s82, s29
	s_andn2_b32 s81, s81, exec_lo
	s_and_b32 s82, s83, exec_lo
	s_or_b32 s81, s81, s82
	s_andn2_b32 exec_lo, exec_lo, s29
	s_cbranch_execz .LBB43_120
.LBB43_116:                             ;   Parent Loop BB43_6 Depth=1
                                        ; =>  This Inner Loop Header: Depth=2
	s_mov_b32 s82, exec_lo
	v_cmpx_gt_u32_e64 s77, v40
	s_cbranch_execz .LBB43_114
; %bb.117:                              ;   in Loop: Header=BB43_116 Depth=2
	ds_read_b64 v[7:8], v13
	s_waitcnt lgkmcnt(0)
	v_xor_b32_e32 v6, 0x80000000, v8
	v_and_b32_e32 v41, v7, v1
	v_and_b32_e32 v42, v6, v2
	v_cmp_eq_u64_e32 vcc_lo, v[41:42], v[22:23]
	s_and_b32 exec_lo, exec_lo, vcc_lo
	s_cbranch_execz .LBB43_114
; %bb.118:                              ;   in Loop: Header=BB43_116 Depth=2
	v_mov_b32_e32 v6, v14
	ds_write_b128 v14, v[5:8] offset:3072
	s_branch .LBB43_114
	.p2align	6
.LBB43_119:                             ;   in Loop: Header=BB43_116 Depth=2
	v_add_nc_u32_e32 v40, s42, v40
	v_add_nc_u32_e32 v13, s64, v13
	s_mov_b32 s83, 0
	v_cmp_le_u32_e32 vcc_lo, s80, v40
	s_orn2_b32 s82, vcc_lo, exec_lo
	s_branch .LBB43_115
.LBB43_120:                             ;   in Loop: Header=BB43_6 Depth=1
	s_inst_prefetch 0x2
	s_or_b32 exec_lo, exec_lo, s29
	s_and_b32 s29, s81, exec_lo
.LBB43_121:                             ;   in Loop: Header=BB43_6 Depth=1
	s_or_b32 exec_lo, exec_lo, s79
.LBB43_122:                             ;   in Loop: Header=BB43_6 Depth=1
	s_and_b32 vcc_lo, exec_lo, s78
	s_cbranch_vccz .LBB43_133
; %bb.123:                              ;   in Loop: Header=BB43_6 Depth=1
                                        ; implicit-def: $vgpr8_vgpr9
	s_and_saveexec_b32 s21, s9
	s_cbranch_execz .LBB43_132
; %bb.124:                              ;   in Loop: Header=BB43_6 Depth=1
	v_mov_b32_e32 v13, v12
	v_mov_b32_e32 v40, v0
	s_mov_b32 s26, 0
                                        ; implicit-def: $sgpr77
	s_inst_prefetch 0x1
	s_branch .LBB43_127
	.p2align	6
.LBB43_125:                             ;   in Loop: Header=BB43_127 Depth=2
	s_or_b32 exec_lo, exec_lo, s78
	s_waitcnt lgkmcnt(0)
	s_barrier
	buffer_gl0_inv
	ds_read_b128 v[6:9], v14 offset:3072
	s_mov_b32 s78, -1
	s_mov_b32 s79, -1
	s_waitcnt lgkmcnt(0)
	s_barrier
	buffer_gl0_inv
	v_cmp_eq_u64_e32 vcc_lo, 0, v[6:7]
	s_cbranch_vccnz .LBB43_130
.LBB43_126:                             ;   in Loop: Header=BB43_127 Depth=2
	s_and_b32 s78, exec_lo, s78
	s_or_b32 s26, s78, s26
	s_andn2_b32 s77, s77, exec_lo
	s_and_b32 s78, s79, exec_lo
	s_or_b32 s77, s77, s78
	s_andn2_b32 exec_lo, exec_lo, s26
	s_cbranch_execz .LBB43_131
.LBB43_127:                             ;   Parent Loop BB43_6 Depth=1
                                        ; =>  This Inner Loop Header: Depth=2
	s_mov_b32 s78, exec_lo
	v_cmpx_gt_u32_e64 s36, v40
	s_cbranch_execz .LBB43_125
; %bb.128:                              ;   in Loop: Header=BB43_127 Depth=2
	v_lshlrev_b64 v[6:7], 3, v[13:14]
	v_add_co_u32 v6, vcc_lo, s31, v6
	v_add_co_ci_u32_e64 v7, null, s33, v7, vcc_lo
	global_load_dwordx2 v[7:8], v[6:7], off
	s_waitcnt vmcnt(0)
	v_xor_b32_e32 v6, 0x80000000, v8
	v_and_b32_e32 v41, v7, v1
	v_and_b32_e32 v42, v6, v2
	v_cmp_eq_u64_e32 vcc_lo, v[41:42], v[22:23]
	s_and_b32 exec_lo, exec_lo, vcc_lo
	s_cbranch_execz .LBB43_125
; %bb.129:                              ;   in Loop: Header=BB43_127 Depth=2
	v_mov_b32_e32 v6, v14
	ds_write_b128 v14, v[5:8] offset:3072
	s_branch .LBB43_125
.LBB43_130:                             ;   in Loop: Header=BB43_127 Depth=2
	v_add_nc_u32_e32 v40, s42, v40
	v_add_nc_u32_e32 v13, s44, v13
	s_mov_b32 s79, 0
	v_cmp_le_u32_e32 vcc_lo, s61, v40
	s_orn2_b32 s78, vcc_lo, exec_lo
	s_branch .LBB43_126
.LBB43_131:                             ;   in Loop: Header=BB43_6 Depth=1
	s_inst_prefetch 0x2
	s_or_b32 exec_lo, exec_lo, s26
	s_andn2_b32 s26, s29, exec_lo
	s_and_b32 s29, s77, exec_lo
	s_or_b32 s29, s26, s29
.LBB43_132:                             ;   in Loop: Header=BB43_6 Depth=1
	s_or_b32 exec_lo, exec_lo, s21
	s_mov_b32 s21, 0
	s_mov_b32 s26, -1
.LBB43_133:                             ;   in Loop: Header=BB43_6 Depth=1
	s_orn2_b32 s29, s29, exec_lo
.LBB43_134:                             ;   in Loop: Header=BB43_6 Depth=1
	s_or_b32 exec_lo, exec_lo, s27
	s_mov_b32 s77, 0
	s_and_saveexec_b32 s27, s29
	s_cbranch_execz .LBB43_223
; %bb.135:                              ;   in Loop: Header=BB43_6 Depth=1
	v_mov_b32_e32 v40, 1
	v_mov_b32_e32 v24, 1
	s_xor_b32 s29, s28, -1
	s_mov_b32 s79, 0
	s_and_saveexec_b32 s28, s29
	s_cbranch_execz .LBB43_144
; %bb.136:                              ;   in Loop: Header=BB43_6 Depth=1
	s_mov_b32 s29, exec_lo
	v_cmpx_ge_u32_e64 s18, v25
	s_xor_b32 s29, exec_lo, s29
	s_cbranch_execz .LBB43_141
; %bb.137:                              ;   in Loop: Header=BB43_6 Depth=1
	ds_read_b32 v6, v14 offset:4096
	v_and_b32_e32 v7, s15, v23
	v_and_b32_e32 v13, s14, v22
	s_lshl_b64 s[78:79], 1, s70
	v_or_b32_e32 v2, s13, v2
	v_or_b32_e32 v1, s12, v1
	;; [unrolled: 1-line block ×4, first 2 shown]
	s_waitcnt lgkmcnt(0)
	v_cmp_ne_u32_e32 vcc_lo, 0, v6
	s_cbranch_vccnz .LBB43_141
; %bb.138:                              ;   in Loop: Header=BB43_6 Depth=1
	s_and_saveexec_b32 s77, s3
; %bb.139:                              ;   in Loop: Header=BB43_6 Depth=1
	v_mov_b32_e32 v6, s18
	ds_write_b32 v14, v6 offset:4100
; %bb.140:                              ;   in Loop: Header=BB43_6 Depth=1
	s_or_b32 exec_lo, exec_lo, s77
	s_waitcnt lgkmcnt(0)
	s_barrier
	buffer_gl0_inv
.LBB43_141:                             ;   in Loop: Header=BB43_6 Depth=1
	s_or_saveexec_b32 s29, s29
	v_mov_b32_e32 v24, 8
	s_mov_b32 s77, 0
	s_xor_b32 exec_lo, exec_lo, s29
; %bb.142:                              ;   in Loop: Header=BB43_6 Depth=1
	v_subrev_nc_u32_e32 v25, s18, v25
	v_mov_b32_e32 v24, 0
	s_mov_b32 s77, exec_lo
; %bb.143:                              ;   in Loop: Header=BB43_6 Depth=1
	s_or_b32 exec_lo, exec_lo, s29
	v_mov_b32_e32 v40, v25
	s_and_b32 s79, s77, exec_lo
.LBB43_144:                             ;   in Loop: Header=BB43_6 Depth=1
	s_or_b32 exec_lo, exec_lo, s28
	s_mov_b32 s78, -1
                                        ; implicit-def: $sgpr29
                                        ; implicit-def: $sgpr77
	s_and_saveexec_b32 s28, s79
	s_cbranch_execz .LBB43_222
; %bb.145:                              ;   in Loop: Header=BB43_6 Depth=1
	v_cmp_eq_u32_e32 vcc_lo, 1, v40
	s_cmp_eq_u32 s19, 1
	s_mov_b32 s80, -1
	s_cselect_b32 s29, -1, 0
                                        ; implicit-def: $sgpr77
	s_and_b32 s79, s29, vcc_lo
                                        ; implicit-def: $sgpr29
	s_and_saveexec_b32 s78, s79
	s_cbranch_execz .LBB43_171
; %bb.146:                              ;   in Loop: Header=BB43_6 Depth=1
	ds_read_b32 v6, v14 offset:4096
	s_waitcnt lgkmcnt(0)
	s_barrier
	buffer_gl0_inv
	v_readfirstlane_b32 s81, v6
	s_and_saveexec_b32 s29, s6
; %bb.147:                              ;   in Loop: Header=BB43_6 Depth=1
	v_mov_b32_e32 v13, v14
	ds_write_b64 v31, v[13:14]
; %bb.148:                              ;   in Loop: Header=BB43_6 Depth=1
	s_or_b32 exec_lo, exec_lo, s29
	v_and_b32_e32 v6, s15, v23
	v_and_b32_e32 v7, s14, v22
	s_lshl_b64 s[82:83], 2, s70
	v_or_b32_e32 v2, s13, v2
	v_or_b32_e32 v1, s12, v1
	;; [unrolled: 1-line block ×4, first 2 shown]
	s_mov_b32 s29, -1
	s_mov_b32 s77, 0
	s_cmp_eq_u32 s81, 0
	s_mov_b32 s80, 0
	s_mov_b32 s82, -1
	s_waitcnt lgkmcnt(0)
	s_barrier
	buffer_gl0_inv
                                        ; implicit-def: $vgpr8_vgpr9
	s_cbranch_scc1 .LBB43_159
; %bb.149:                              ;   in Loop: Header=BB43_6 Depth=1
	s_add_i32 s80, s81, s54
                                        ; implicit-def: $vgpr8_vgpr9
	s_mul_hi_u32 s82, s80, s60
	s_mul_i32 s82, s82, s42
	s_sub_i32 s82, s80, s82
	s_sub_i32 s83, s82, s42
	s_cmp_ge_u32 s82, s42
	s_cselect_b32 s82, s83, s82
	s_sub_i32 s83, s82, s42
	s_cmp_ge_u32 s82, s42
	s_cselect_b32 s82, s83, s82
	s_mov_b32 s83, exec_lo
	s_sub_i32 s84, s80, s82
	s_mov_b32 s82, 0
	s_mov_b32 s80, 0
	v_cmpx_gt_u32_e64 s84, v0
	s_cbranch_execz .LBB43_158
; %bb.150:                              ;   in Loop: Header=BB43_6 Depth=1
	v_mov_b32_e32 v13, v29
	v_mov_b32_e32 v25, v0
                                        ; implicit-def: $sgpr85
	s_inst_prefetch 0x1
	s_branch .LBB43_153
	.p2align	6
.LBB43_151:                             ;   in Loop: Header=BB43_153 Depth=2
	s_or_b32 exec_lo, exec_lo, s86
	s_waitcnt lgkmcnt(0)
	s_barrier
	buffer_gl0_inv
	ds_read_b128 v[6:9], v14 offset:3072
	s_mov_b32 s86, -1
	s_mov_b32 s87, -1
	s_waitcnt lgkmcnt(0)
	s_barrier
	buffer_gl0_inv
	v_cmp_ne_u64_e32 vcc_lo, 0, v[6:7]
	s_cbranch_vccz .LBB43_156
.LBB43_152:                             ;   in Loop: Header=BB43_153 Depth=2
	s_and_b32 s86, exec_lo, s86
	s_or_b32 s80, s86, s80
	s_andn2_b32 s85, s85, exec_lo
	s_and_b32 s86, s87, exec_lo
	s_or_b32 s85, s85, s86
	s_andn2_b32 exec_lo, exec_lo, s80
	s_cbranch_execz .LBB43_157
.LBB43_153:                             ;   Parent Loop BB43_6 Depth=1
                                        ; =>  This Inner Loop Header: Depth=2
	s_mov_b32 s86, exec_lo
	v_cmpx_gt_u32_e64 s81, v25
	s_cbranch_execz .LBB43_151
; %bb.154:                              ;   in Loop: Header=BB43_153 Depth=2
	ds_read_b64 v[7:8], v13
	s_waitcnt lgkmcnt(0)
	v_xor_b32_e32 v6, 0x80000000, v8
	v_and_b32_e32 v41, v7, v1
	v_and_b32_e32 v42, v6, v2
	v_cmp_eq_u64_e32 vcc_lo, v[41:42], v[22:23]
	s_and_b32 exec_lo, exec_lo, vcc_lo
	s_cbranch_execz .LBB43_151
; %bb.155:                              ;   in Loop: Header=BB43_153 Depth=2
	v_mov_b32_e32 v6, v14
	ds_write_b128 v14, v[5:8] offset:3072
	s_branch .LBB43_151
	.p2align	6
.LBB43_156:                             ;   in Loop: Header=BB43_153 Depth=2
	v_add_nc_u32_e32 v25, s42, v25
	v_add_nc_u32_e32 v13, s64, v13
	s_mov_b32 s87, 0
	v_cmp_le_u32_e32 vcc_lo, s84, v25
	s_orn2_b32 s86, vcc_lo, exec_lo
	s_branch .LBB43_152
.LBB43_157:                             ;   in Loop: Header=BB43_6 Depth=1
	s_inst_prefetch 0x2
	s_or_b32 exec_lo, exec_lo, s80
	s_and_b32 s80, s85, exec_lo
.LBB43_158:                             ;   in Loop: Header=BB43_6 Depth=1
	s_or_b32 exec_lo, exec_lo, s83
.LBB43_159:                             ;   in Loop: Header=BB43_6 Depth=1
	s_and_b32 vcc_lo, exec_lo, s82
	s_cbranch_vccz .LBB43_170
; %bb.160:                              ;   in Loop: Header=BB43_6 Depth=1
                                        ; implicit-def: $vgpr8_vgpr9
	s_and_saveexec_b32 s29, s9
	s_cbranch_execz .LBB43_169
; %bb.161:                              ;   in Loop: Header=BB43_6 Depth=1
	v_mov_b32_e32 v13, v12
	v_mov_b32_e32 v25, v0
	s_mov_b32 s77, 0
                                        ; implicit-def: $sgpr81
	s_inst_prefetch 0x1
	s_branch .LBB43_164
	.p2align	6
.LBB43_162:                             ;   in Loop: Header=BB43_164 Depth=2
	s_or_b32 exec_lo, exec_lo, s82
	s_waitcnt lgkmcnt(0)
	s_barrier
	buffer_gl0_inv
	ds_read_b128 v[6:9], v14 offset:3072
	s_mov_b32 s82, -1
	s_mov_b32 s83, -1
	s_waitcnt lgkmcnt(0)
	s_barrier
	buffer_gl0_inv
	v_cmp_eq_u64_e32 vcc_lo, 0, v[6:7]
	s_cbranch_vccnz .LBB43_167
.LBB43_163:                             ;   in Loop: Header=BB43_164 Depth=2
	s_and_b32 s82, exec_lo, s82
	s_or_b32 s77, s82, s77
	s_andn2_b32 s81, s81, exec_lo
	s_and_b32 s82, s83, exec_lo
	s_or_b32 s81, s81, s82
	s_andn2_b32 exec_lo, exec_lo, s77
	s_cbranch_execz .LBB43_168
.LBB43_164:                             ;   Parent Loop BB43_6 Depth=1
                                        ; =>  This Inner Loop Header: Depth=2
	s_mov_b32 s82, exec_lo
	v_cmpx_gt_u32_e64 s36, v25
	s_cbranch_execz .LBB43_162
; %bb.165:                              ;   in Loop: Header=BB43_164 Depth=2
	v_lshlrev_b64 v[6:7], 3, v[13:14]
	v_add_co_u32 v6, vcc_lo, s31, v6
	v_add_co_ci_u32_e64 v7, null, s33, v7, vcc_lo
	global_load_dwordx2 v[7:8], v[6:7], off
	s_waitcnt vmcnt(0)
	v_xor_b32_e32 v6, 0x80000000, v8
	v_and_b32_e32 v41, v7, v1
	v_and_b32_e32 v42, v6, v2
	v_cmp_eq_u64_e32 vcc_lo, v[41:42], v[22:23]
	s_and_b32 exec_lo, exec_lo, vcc_lo
	s_cbranch_execz .LBB43_162
; %bb.166:                              ;   in Loop: Header=BB43_164 Depth=2
	v_mov_b32_e32 v6, v14
	ds_write_b128 v14, v[5:8] offset:3072
	s_branch .LBB43_162
.LBB43_167:                             ;   in Loop: Header=BB43_164 Depth=2
	v_add_nc_u32_e32 v25, s42, v25
	v_add_nc_u32_e32 v13, s44, v13
	s_mov_b32 s83, 0
	v_cmp_le_u32_e32 vcc_lo, s61, v25
	s_orn2_b32 s82, vcc_lo, exec_lo
	s_branch .LBB43_163
.LBB43_168:                             ;   in Loop: Header=BB43_6 Depth=1
	s_inst_prefetch 0x2
	s_or_b32 exec_lo, exec_lo, s77
	s_andn2_b32 s77, s80, exec_lo
	s_and_b32 s80, s81, exec_lo
	s_or_b32 s80, s77, s80
.LBB43_169:                             ;   in Loop: Header=BB43_6 Depth=1
	s_or_b32 exec_lo, exec_lo, s29
	s_mov_b32 s29, 0
	s_mov_b32 s77, -1
.LBB43_170:                             ;   in Loop: Header=BB43_6 Depth=1
	s_orn2_b32 s80, s80, exec_lo
.LBB43_171:                             ;   in Loop: Header=BB43_6 Depth=1
	s_or_b32 exec_lo, exec_lo, s78
	s_mov_b32 s81, 0
	s_and_saveexec_b32 s78, s80
	s_cbranch_execz .LBB43_221
; %bb.172:                              ;   in Loop: Header=BB43_6 Depth=1
	v_mov_b32_e32 v25, 1
	v_mov_b32_e32 v24, 1
	s_xor_b32 s80, s79, -1
	s_mov_b32 s83, 0
	s_and_saveexec_b32 s79, s80
	s_cbranch_execz .LBB43_181
; %bb.173:                              ;   in Loop: Header=BB43_6 Depth=1
	s_mov_b32 s80, exec_lo
	v_cmpx_ge_u32_e64 s19, v40
	s_xor_b32 s80, exec_lo, s80
	s_cbranch_execz .LBB43_178
; %bb.174:                              ;   in Loop: Header=BB43_6 Depth=1
	ds_read_b32 v6, v14 offset:4096
	v_and_b32_e32 v7, s15, v23
	v_and_b32_e32 v13, s14, v22
	s_lshl_b64 s[82:83], 2, s70
	v_or_b32_e32 v2, s13, v2
	v_or_b32_e32 v1, s12, v1
	;; [unrolled: 1-line block ×4, first 2 shown]
	s_waitcnt lgkmcnt(0)
	v_cmp_ne_u32_e32 vcc_lo, 0, v6
	s_cbranch_vccnz .LBB43_178
; %bb.175:                              ;   in Loop: Header=BB43_6 Depth=1
	s_and_saveexec_b32 s81, s3
; %bb.176:                              ;   in Loop: Header=BB43_6 Depth=1
	v_mov_b32_e32 v6, s19
	ds_write_b32 v14, v6 offset:4100
; %bb.177:                              ;   in Loop: Header=BB43_6 Depth=1
	s_or_b32 exec_lo, exec_lo, s81
	s_waitcnt lgkmcnt(0)
	s_barrier
	buffer_gl0_inv
.LBB43_178:                             ;   in Loop: Header=BB43_6 Depth=1
	s_or_saveexec_b32 s80, s80
	v_mov_b32_e32 v24, 8
	s_mov_b32 s81, 0
	s_xor_b32 exec_lo, exec_lo, s80
; %bb.179:                              ;   in Loop: Header=BB43_6 Depth=1
	v_subrev_nc_u32_e32 v40, s19, v40
	v_mov_b32_e32 v24, 0
	s_mov_b32 s81, exec_lo
; %bb.180:                              ;   in Loop: Header=BB43_6 Depth=1
	s_or_b32 exec_lo, exec_lo, s80
	v_mov_b32_e32 v25, v40
	s_and_b32 s83, s81, exec_lo
.LBB43_181:                             ;   in Loop: Header=BB43_6 Depth=1
	s_or_b32 exec_lo, exec_lo, s79
	s_mov_b32 s80, -1
                                        ; implicit-def: $sgpr82
                                        ; implicit-def: $sgpr81
	s_and_saveexec_b32 s79, s83
	s_cbranch_execz .LBB43_220
; %bb.182:                              ;   in Loop: Header=BB43_6 Depth=1
	v_cmp_eq_u32_e32 vcc_lo, 1, v25
	s_cmp_eq_u32 s20, 1
	s_mov_b32 s84, -1
	s_cselect_b32 s80, -1, 0
                                        ; implicit-def: $sgpr82
                                        ; implicit-def: $sgpr81
	s_and_b32 s80, s80, vcc_lo
	s_and_saveexec_b32 s83, s80
	s_cbranch_execz .LBB43_208
; %bb.183:                              ;   in Loop: Header=BB43_6 Depth=1
	ds_read_b32 v6, v14 offset:4096
	s_waitcnt lgkmcnt(0)
	s_barrier
	buffer_gl0_inv
	v_readfirstlane_b32 s85, v6
	s_and_saveexec_b32 s81, s6
; %bb.184:                              ;   in Loop: Header=BB43_6 Depth=1
	v_mov_b32_e32 v13, v14
	ds_write_b64 v31, v[13:14]
; %bb.185:                              ;   in Loop: Header=BB43_6 Depth=1
	s_or_b32 exec_lo, exec_lo, s81
	v_or_b32_e32 v23, s13, v23
	v_or_b32_e32 v22, s12, v22
	v_or_b32_e32 v2, s13, v2
	v_or_b32_e32 v1, s12, v1
	s_mov_b32 s81, -1
	s_mov_b32 s82, 0
	s_cmp_eq_u32 s85, 0
	s_mov_b32 s84, 0
	s_mov_b32 s86, -1
	s_waitcnt lgkmcnt(0)
	s_barrier
	buffer_gl0_inv
                                        ; implicit-def: $vgpr8_vgpr9
	s_cbranch_scc1 .LBB43_196
; %bb.186:                              ;   in Loop: Header=BB43_6 Depth=1
	s_add_i32 s84, s85, s54
                                        ; implicit-def: $vgpr8_vgpr9
	s_mul_hi_u32 s86, s84, s60
	s_mul_i32 s86, s86, s42
	s_sub_i32 s86, s84, s86
	s_sub_i32 s87, s86, s42
	s_cmp_ge_u32 s86, s42
	s_cselect_b32 s86, s87, s86
	s_sub_i32 s87, s86, s42
	s_cmp_ge_u32 s86, s42
	s_cselect_b32 s86, s87, s86
	s_mov_b32 s87, exec_lo
	s_sub_i32 s88, s84, s86
	s_mov_b32 s86, 0
	s_mov_b32 s84, 0
	v_cmpx_gt_u32_e64 s88, v0
	s_cbranch_execz .LBB43_195
; %bb.187:                              ;   in Loop: Header=BB43_6 Depth=1
	v_mov_b32_e32 v13, v29
	v_mov_b32_e32 v40, v0
                                        ; implicit-def: $sgpr89
	s_inst_prefetch 0x1
	s_branch .LBB43_190
	.p2align	6
.LBB43_188:                             ;   in Loop: Header=BB43_190 Depth=2
	s_or_b32 exec_lo, exec_lo, s90
	s_waitcnt lgkmcnt(0)
	s_barrier
	buffer_gl0_inv
	ds_read_b128 v[6:9], v14 offset:3072
	s_mov_b32 s90, -1
	s_mov_b32 s91, -1
	s_waitcnt lgkmcnt(0)
	s_barrier
	buffer_gl0_inv
	v_cmp_ne_u64_e32 vcc_lo, 0, v[6:7]
	s_cbranch_vccz .LBB43_193
.LBB43_189:                             ;   in Loop: Header=BB43_190 Depth=2
	s_and_b32 s90, exec_lo, s90
	s_or_b32 s84, s90, s84
	s_andn2_b32 s89, s89, exec_lo
	s_and_b32 s90, s91, exec_lo
	s_or_b32 s89, s89, s90
	s_andn2_b32 exec_lo, exec_lo, s84
	s_cbranch_execz .LBB43_194
.LBB43_190:                             ;   Parent Loop BB43_6 Depth=1
                                        ; =>  This Inner Loop Header: Depth=2
	s_mov_b32 s90, exec_lo
	v_cmpx_gt_u32_e64 s85, v40
	s_cbranch_execz .LBB43_188
; %bb.191:                              ;   in Loop: Header=BB43_190 Depth=2
	ds_read_b64 v[7:8], v13
	s_waitcnt lgkmcnt(0)
	v_xor_b32_e32 v6, 0x80000000, v8
	v_and_b32_e32 v41, v7, v1
	v_and_b32_e32 v42, v6, v2
	v_cmp_eq_u64_e32 vcc_lo, v[41:42], v[22:23]
	s_and_b32 exec_lo, exec_lo, vcc_lo
	s_cbranch_execz .LBB43_188
; %bb.192:                              ;   in Loop: Header=BB43_190 Depth=2
	v_mov_b32_e32 v6, v14
	ds_write_b128 v14, v[5:8] offset:3072
	s_branch .LBB43_188
	.p2align	6
.LBB43_193:                             ;   in Loop: Header=BB43_190 Depth=2
	v_add_nc_u32_e32 v40, s42, v40
	v_add_nc_u32_e32 v13, s64, v13
	s_mov_b32 s91, 0
	v_cmp_le_u32_e32 vcc_lo, s88, v40
	s_orn2_b32 s90, vcc_lo, exec_lo
	s_branch .LBB43_189
.LBB43_194:                             ;   in Loop: Header=BB43_6 Depth=1
	s_inst_prefetch 0x2
	s_or_b32 exec_lo, exec_lo, s84
	s_and_b32 s84, s89, exec_lo
.LBB43_195:                             ;   in Loop: Header=BB43_6 Depth=1
	s_or_b32 exec_lo, exec_lo, s87
.LBB43_196:                             ;   in Loop: Header=BB43_6 Depth=1
	s_and_b32 vcc_lo, exec_lo, s86
	s_cbranch_vccz .LBB43_207
; %bb.197:                              ;   in Loop: Header=BB43_6 Depth=1
                                        ; implicit-def: $vgpr8_vgpr9
	s_and_saveexec_b32 s81, s9
	s_cbranch_execz .LBB43_206
; %bb.198:                              ;   in Loop: Header=BB43_6 Depth=1
	v_mov_b32_e32 v13, v12
	v_mov_b32_e32 v40, v0
	s_mov_b32 s82, 0
                                        ; implicit-def: $sgpr85
	s_inst_prefetch 0x1
	s_branch .LBB43_201
	.p2align	6
.LBB43_199:                             ;   in Loop: Header=BB43_201 Depth=2
	s_or_b32 exec_lo, exec_lo, s86
	s_waitcnt lgkmcnt(0)
	s_barrier
	buffer_gl0_inv
	ds_read_b128 v[6:9], v14 offset:3072
	s_mov_b32 s86, -1
	s_mov_b32 s87, -1
	s_waitcnt lgkmcnt(0)
	s_barrier
	buffer_gl0_inv
	v_cmp_eq_u64_e32 vcc_lo, 0, v[6:7]
	s_cbranch_vccnz .LBB43_204
.LBB43_200:                             ;   in Loop: Header=BB43_201 Depth=2
	s_and_b32 s86, exec_lo, s86
	s_or_b32 s82, s86, s82
	s_andn2_b32 s85, s85, exec_lo
	s_and_b32 s86, s87, exec_lo
	s_or_b32 s85, s85, s86
	s_andn2_b32 exec_lo, exec_lo, s82
	s_cbranch_execz .LBB43_205
.LBB43_201:                             ;   Parent Loop BB43_6 Depth=1
                                        ; =>  This Inner Loop Header: Depth=2
	s_mov_b32 s86, exec_lo
	v_cmpx_gt_u32_e64 s36, v40
	s_cbranch_execz .LBB43_199
; %bb.202:                              ;   in Loop: Header=BB43_201 Depth=2
	v_lshlrev_b64 v[6:7], 3, v[13:14]
	v_add_co_u32 v6, vcc_lo, s31, v6
	v_add_co_ci_u32_e64 v7, null, s33, v7, vcc_lo
	global_load_dwordx2 v[7:8], v[6:7], off
	s_waitcnt vmcnt(0)
	v_xor_b32_e32 v6, 0x80000000, v8
	v_and_b32_e32 v41, v7, v1
	v_and_b32_e32 v42, v6, v2
	v_cmp_eq_u64_e32 vcc_lo, v[41:42], v[22:23]
	s_and_b32 exec_lo, exec_lo, vcc_lo
	s_cbranch_execz .LBB43_199
; %bb.203:                              ;   in Loop: Header=BB43_201 Depth=2
	v_mov_b32_e32 v6, v14
	ds_write_b128 v14, v[5:8] offset:3072
	s_branch .LBB43_199
.LBB43_204:                             ;   in Loop: Header=BB43_201 Depth=2
	v_add_nc_u32_e32 v40, s42, v40
	v_add_nc_u32_e32 v13, s44, v13
	s_mov_b32 s87, 0
	v_cmp_le_u32_e32 vcc_lo, s61, v40
	s_orn2_b32 s86, vcc_lo, exec_lo
	s_branch .LBB43_200
.LBB43_205:                             ;   in Loop: Header=BB43_6 Depth=1
	s_inst_prefetch 0x2
	s_or_b32 exec_lo, exec_lo, s82
	s_andn2_b32 s82, s84, exec_lo
	s_and_b32 s84, s85, exec_lo
	s_or_b32 s84, s82, s84
.LBB43_206:                             ;   in Loop: Header=BB43_6 Depth=1
	s_or_b32 exec_lo, exec_lo, s81
	s_mov_b32 s81, 0
	s_mov_b32 s82, -1
.LBB43_207:                             ;   in Loop: Header=BB43_6 Depth=1
	s_orn2_b32 s84, s84, exec_lo
.LBB43_208:                             ;   in Loop: Header=BB43_6 Depth=1
	s_or_b32 exec_lo, exec_lo, s83
	s_mov_b32 s85, 0
	s_and_saveexec_b32 s83, s84
	s_cbranch_execz .LBB43_219
; %bb.209:                              ;   in Loop: Header=BB43_6 Depth=1
	v_mov_b32_e32 v24, 1
	v_mov_b32_e32 v6, 1
	s_xor_b32 s84, s80, -1
	s_and_saveexec_b32 s80, s84
	s_cbranch_execz .LBB43_218
; %bb.210:                              ;   in Loop: Header=BB43_6 Depth=1
	s_mov_b32 s84, exec_lo
	v_cmpx_ge_u32_e64 s20, v25
	s_xor_b32 s84, exec_lo, s84
	s_cbranch_execz .LBB43_215
; %bb.211:                              ;   in Loop: Header=BB43_6 Depth=1
	ds_read_b32 v6, v14 offset:4096
	v_or_b32_e32 v23, s13, v23
	v_or_b32_e32 v22, s12, v22
	;; [unrolled: 1-line block ×4, first 2 shown]
	s_waitcnt lgkmcnt(0)
	v_cmp_ne_u32_e32 vcc_lo, 0, v6
	s_cbranch_vccnz .LBB43_215
; %bb.212:                              ;   in Loop: Header=BB43_6 Depth=1
	s_and_saveexec_b32 s85, s3
; %bb.213:                              ;   in Loop: Header=BB43_6 Depth=1
	v_mov_b32_e32 v6, s20
	ds_write_b32 v14, v6 offset:4100
; %bb.214:                              ;   in Loop: Header=BB43_6 Depth=1
	s_or_b32 exec_lo, exec_lo, s85
	s_waitcnt lgkmcnt(0)
	s_barrier
	buffer_gl0_inv
.LBB43_215:                             ;   in Loop: Header=BB43_6 Depth=1
	s_andn2_saveexec_b32 s84, s84
; %bb.216:                              ;   in Loop: Header=BB43_6 Depth=1
	v_subrev_nc_u32_e32 v25, s20, v25
; %bb.217:                              ;   in Loop: Header=BB43_6 Depth=1
	s_or_b32 exec_lo, exec_lo, s84
	v_mov_b32_e32 v24, 8
	v_mov_b32_e32 v6, v25
.LBB43_218:                             ;   in Loop: Header=BB43_6 Depth=1
	s_or_b32 exec_lo, exec_lo, s80
	v_mov_b32_e32 v25, v6
	s_mov_b32 s85, exec_lo
.LBB43_219:                             ;   in Loop: Header=BB43_6 Depth=1
	s_or_b32 exec_lo, exec_lo, s83
	s_orn2_b32 s80, s85, exec_lo
.LBB43_220:                             ;   in Loop: Header=BB43_6 Depth=1
	s_or_b32 exec_lo, exec_lo, s79
	v_mov_b32_e32 v40, v25
	s_andn2_b32 s77, s77, exec_lo
	s_and_b32 s79, s82, exec_lo
	s_andn2_b32 s29, s29, exec_lo
	s_and_b32 s81, s81, exec_lo
	s_or_b32 s77, s77, s79
	s_or_b32 s29, s29, s81
	s_and_b32 s81, s80, exec_lo
.LBB43_221:                             ;   in Loop: Header=BB43_6 Depth=1
	s_or_b32 exec_lo, exec_lo, s78
	s_orn2_b32 s78, s81, exec_lo
.LBB43_222:                             ;   in Loop: Header=BB43_6 Depth=1
	s_or_b32 exec_lo, exec_lo, s28
	v_mov_b32_e32 v25, v40
	s_andn2_b32 s26, s26, exec_lo
	s_and_b32 s28, s77, exec_lo
	s_andn2_b32 s21, s21, exec_lo
	s_and_b32 s29, s29, exec_lo
	s_or_b32 s26, s26, s28
	s_or_b32 s21, s21, s29
	s_and_b32 s77, s78, exec_lo
.LBB43_223:                             ;   in Loop: Header=BB43_6 Depth=1
	s_or_b32 exec_lo, exec_lo, s27
	s_orn2_b32 s27, s77, exec_lo
.LBB43_224:                             ;   in Loop: Header=BB43_6 Depth=1
	s_or_b32 exec_lo, exec_lo, s11
	s_mov_b32 s28, 0
	s_mov_b32 s29, 0
	s_and_saveexec_b32 s11, s27
	s_xor_b32 s27, exec_lo, s11
; %bb.225:                              ;   in Loop: Header=BB43_6 Depth=1
	v_cmp_ne_u32_e32 vcc_lo, 8, v24
	v_cmp_eq_u32_e64 s11, 8, v24
	s_and_b32 s29, vcc_lo, exec_lo
	s_and_b32 s28, s11, exec_lo
; %bb.226:                              ;   in Loop: Header=BB43_6 Depth=1
	s_or_b32 exec_lo, exec_lo, s27
	s_andn2_b32 s11, s23, exec_lo
	s_and_b32 s23, s26, exec_lo
	s_andn2_b32 s22, s22, exec_lo
	s_and_b32 s21, s21, exec_lo
	s_or_b32 s23, s11, s23
	s_or_b32 s22, s22, s21
	s_and_b32 s11, s29, exec_lo
	s_and_b32 s21, s28, exec_lo
.LBB43_227:                             ;   in Loop: Header=BB43_6 Depth=1
	s_or_b32 exec_lo, exec_lo, s25
.LBB43_228:                             ;   in Loop: Header=BB43_6 Depth=1
	s_and_b32 vcc_lo, exec_lo, s24
	s_cbranch_vccz .LBB43_241
; %bb.229:                              ;   in Loop: Header=BB43_6 Depth=1
	s_cmp_eq_u32 s20, 1
	s_mov_b32 s23, -1
	s_cselect_b32 s16, -1, 0
                                        ; implicit-def: $sgpr24
	s_and_b32 s10, s16, s10
                                        ; implicit-def: $sgpr16
	s_and_saveexec_b32 s22, s10
	s_cbranch_execz .LBB43_256
; %bb.230:                              ;   in Loop: Header=BB43_6 Depth=1
	ds_read_b32 v1, v14 offset:4096
	s_waitcnt lgkmcnt(0)
	s_barrier
	buffer_gl0_inv
	v_readfirstlane_b32 s25, v1
	s_and_saveexec_b32 s16, s6
; %bb.231:                              ;   in Loop: Header=BB43_6 Depth=1
	v_mov_b32_e32 v13, v14
	ds_write_b64 v31, v[13:14]
; %bb.232:                              ;   in Loop: Header=BB43_6 Depth=1
	s_or_b32 exec_lo, exec_lo, s16
	v_or_b32_e32 v19, s13, v19
	v_or_b32_e32 v18, s12, v18
	;; [unrolled: 1-line block ×4, first 2 shown]
	s_mov_b32 s16, -1
	s_mov_b32 s24, 0
	s_cmp_eq_u32 s25, 0
	s_mov_b32 s23, 0
	s_mov_b32 s26, -1
	s_waitcnt lgkmcnt(0)
	s_barrier
	buffer_gl0_inv
                                        ; implicit-def: $vgpr3_vgpr4
	s_cbranch_scc1 .LBB43_244
; %bb.233:                              ;   in Loop: Header=BB43_6 Depth=1
	s_add_i32 s23, s25, s54
                                        ; implicit-def: $vgpr3_vgpr4
	s_mul_hi_u32 s26, s23, s60
	s_mul_i32 s26, s26, s42
	s_sub_i32 s26, s23, s26
	s_sub_i32 s27, s26, s42
	s_cmp_ge_u32 s26, s42
	s_cselect_b32 s26, s27, s26
	s_sub_i32 s27, s26, s42
	s_cmp_ge_u32 s26, s42
	s_cselect_b32 s26, s27, s26
	s_mov_b32 s27, exec_lo
	s_sub_i32 s28, s23, s26
	s_mov_b32 s26, 0
	s_mov_b32 s23, 0
	v_cmpx_gt_u32_e64 s28, v0
	s_cbranch_execz .LBB43_243
; %bb.234:                              ;   in Loop: Header=BB43_6 Depth=1
	v_mov_b32_e32 v9, v29
	v_mov_b32_e32 v13, v0
                                        ; implicit-def: $sgpr29
	s_inst_prefetch 0x1
	s_branch .LBB43_237
	.p2align	6
.LBB43_235:                             ;   in Loop: Header=BB43_237 Depth=2
	s_or_b32 exec_lo, exec_lo, s77
	s_waitcnt lgkmcnt(0)
	s_barrier
	buffer_gl0_inv
	ds_read_b128 v[1:4], v14 offset:3072
	s_mov_b32 s77, -1
	s_mov_b32 s78, -1
	s_waitcnt lgkmcnt(0)
	s_barrier
	buffer_gl0_inv
	v_cmp_ne_u64_e32 vcc_lo, 0, v[1:2]
	s_cbranch_vccz .LBB43_240
.LBB43_236:                             ;   in Loop: Header=BB43_237 Depth=2
	s_and_b32 s77, exec_lo, s77
	s_or_b32 s23, s77, s23
	s_andn2_b32 s29, s29, exec_lo
	s_and_b32 s77, s78, exec_lo
	s_or_b32 s29, s29, s77
	s_andn2_b32 exec_lo, exec_lo, s23
	s_cbranch_execz .LBB43_242
.LBB43_237:                             ;   Parent Loop BB43_6 Depth=1
                                        ; =>  This Inner Loop Header: Depth=2
	s_mov_b32 s77, exec_lo
	v_cmpx_gt_u32_e64 s25, v13
	s_cbranch_execz .LBB43_235
; %bb.238:                              ;   in Loop: Header=BB43_237 Depth=2
	ds_read_b64 v[7:8], v9
	s_waitcnt lgkmcnt(0)
	v_xor_b32_e32 v1, 0x80000000, v8
	v_and_b32_e32 v2, v1, v21
	v_and_b32_e32 v1, v7, v20
	v_cmp_eq_u64_e32 vcc_lo, v[1:2], v[18:19]
	s_and_b32 exec_lo, exec_lo, vcc_lo
	s_cbranch_execz .LBB43_235
; %bb.239:                              ;   in Loop: Header=BB43_237 Depth=2
	v_mov_b32_e32 v6, v14
	ds_write_b128 v14, v[5:8] offset:3072
	s_branch .LBB43_235
	.p2align	6
.LBB43_240:                             ;   in Loop: Header=BB43_237 Depth=2
	v_add_nc_u32_e32 v13, s42, v13
	v_add_nc_u32_e32 v9, s64, v9
	s_mov_b32 s78, 0
	v_cmp_le_u32_e32 vcc_lo, s28, v13
	s_orn2_b32 s77, vcc_lo, exec_lo
	s_branch .LBB43_236
.LBB43_241:                             ;   in Loop: Header=BB43_6 Depth=1
	v_mov_b32_e32 v18, v22
	v_mov_b32_e32 v21, v2
	;; [unrolled: 1-line block ×6, first 2 shown]
	s_mov_b32 s24, 0
	s_and_saveexec_b32 s10, s21
	s_cbranch_execnz .LBB43_387
	s_branch .LBB43_388
.LBB43_242:                             ;   in Loop: Header=BB43_6 Depth=1
	s_inst_prefetch 0x2
	s_or_b32 exec_lo, exec_lo, s23
	s_and_b32 s23, s29, exec_lo
.LBB43_243:                             ;   in Loop: Header=BB43_6 Depth=1
	s_or_b32 exec_lo, exec_lo, s27
.LBB43_244:                             ;   in Loop: Header=BB43_6 Depth=1
	s_and_b32 vcc_lo, exec_lo, s26
	s_cbranch_vccz .LBB43_255
; %bb.245:                              ;   in Loop: Header=BB43_6 Depth=1
                                        ; implicit-def: $vgpr3_vgpr4
	s_and_saveexec_b32 s16, s9
	s_cbranch_execz .LBB43_254
; %bb.246:                              ;   in Loop: Header=BB43_6 Depth=1
	v_mov_b32_e32 v13, v12
	v_mov_b32_e32 v9, v0
	s_mov_b32 s25, 0
                                        ; implicit-def: $sgpr24
	s_inst_prefetch 0x1
	s_branch .LBB43_249
	.p2align	6
.LBB43_247:                             ;   in Loop: Header=BB43_249 Depth=2
	s_or_b32 exec_lo, exec_lo, s26
	s_waitcnt lgkmcnt(0)
	s_barrier
	buffer_gl0_inv
	ds_read_b128 v[1:4], v14 offset:3072
	s_mov_b32 s26, -1
	s_mov_b32 s27, -1
	s_waitcnt lgkmcnt(0)
	s_barrier
	buffer_gl0_inv
	v_cmp_ne_u64_e32 vcc_lo, 0, v[1:2]
	s_cbranch_vccz .LBB43_252
.LBB43_248:                             ;   in Loop: Header=BB43_249 Depth=2
	s_and_b32 s26, exec_lo, s26
	s_or_b32 s25, s26, s25
	s_andn2_b32 s24, s24, exec_lo
	s_and_b32 s26, s27, exec_lo
	s_or_b32 s24, s24, s26
	s_andn2_b32 exec_lo, exec_lo, s25
	s_cbranch_execz .LBB43_253
.LBB43_249:                             ;   Parent Loop BB43_6 Depth=1
                                        ; =>  This Inner Loop Header: Depth=2
	s_mov_b32 s26, exec_lo
	v_cmpx_gt_u32_e64 s36, v9
	s_cbranch_execz .LBB43_247
; %bb.250:                              ;   in Loop: Header=BB43_249 Depth=2
	v_lshlrev_b64 v[1:2], 3, v[13:14]
	v_add_co_u32 v1, vcc_lo, s31, v1
	v_add_co_ci_u32_e64 v2, null, s33, v2, vcc_lo
	global_load_dwordx2 v[7:8], v[1:2], off
	s_waitcnt vmcnt(0)
	v_xor_b32_e32 v1, 0x80000000, v8
	v_and_b32_e32 v2, v1, v21
	v_and_b32_e32 v1, v7, v20
	v_cmp_eq_u64_e32 vcc_lo, v[1:2], v[18:19]
	s_and_b32 exec_lo, exec_lo, vcc_lo
	s_cbranch_execz .LBB43_247
; %bb.251:                              ;   in Loop: Header=BB43_249 Depth=2
	v_mov_b32_e32 v6, v14
	ds_write_b128 v14, v[5:8] offset:3072
	s_branch .LBB43_247
.LBB43_252:                             ;   in Loop: Header=BB43_249 Depth=2
	v_add_nc_u32_e32 v9, s42, v9
	v_add_nc_u32_e32 v13, s44, v13
	s_mov_b32 s27, 0
	v_cmp_le_u32_e32 vcc_lo, s61, v9
	s_orn2_b32 s26, vcc_lo, exec_lo
	s_branch .LBB43_248
.LBB43_253:                             ;   in Loop: Header=BB43_6 Depth=1
	s_inst_prefetch 0x2
	s_or_b32 exec_lo, exec_lo, s25
	s_andn2_b32 s23, s23, exec_lo
	s_and_b32 s24, s24, exec_lo
	s_or_b32 s23, s23, s24
.LBB43_254:                             ;   in Loop: Header=BB43_6 Depth=1
	s_or_b32 exec_lo, exec_lo, s16
	s_mov_b32 s16, 0
	s_mov_b32 s24, -1
.LBB43_255:                             ;   in Loop: Header=BB43_6 Depth=1
	s_orn2_b32 s23, s23, exec_lo
.LBB43_256:                             ;   in Loop: Header=BB43_6 Depth=1
	s_or_b32 exec_lo, exec_lo, s22
                                        ; implicit-def: $vgpr25
                                        ; implicit-def: $vgpr24
	s_and_saveexec_b32 s22, s23
	s_cbranch_execz .LBB43_386
; %bb.257:                              ;   in Loop: Header=BB43_6 Depth=1
	v_mov_b32_e32 v25, 1
	v_mov_b32_e32 v24, 1
	s_xor_b32 s23, s10, -1
	s_mov_b32 s26, 0
	s_and_saveexec_b32 s10, s23
	s_cbranch_execz .LBB43_266
; %bb.258:                              ;   in Loop: Header=BB43_6 Depth=1
	s_mov_b32 s23, exec_lo
	v_cmpx_ge_u32_e64 s20, v39
	s_xor_b32 s23, exec_lo, s23
	s_cbranch_execz .LBB43_263
; %bb.259:                              ;   in Loop: Header=BB43_6 Depth=1
	ds_read_b32 v1, v14 offset:4096
	v_or_b32_e32 v19, s13, v19
	v_or_b32_e32 v18, s12, v18
	;; [unrolled: 1-line block ×4, first 2 shown]
	s_waitcnt lgkmcnt(0)
	v_cmp_ne_u32_e32 vcc_lo, 0, v1
	s_cbranch_vccnz .LBB43_263
; %bb.260:                              ;   in Loop: Header=BB43_6 Depth=1
	s_and_saveexec_b32 s25, s3
; %bb.261:                              ;   in Loop: Header=BB43_6 Depth=1
	v_mov_b32_e32 v1, s20
	ds_write_b32 v14, v1 offset:4100
; %bb.262:                              ;   in Loop: Header=BB43_6 Depth=1
	s_or_b32 exec_lo, exec_lo, s25
	s_waitcnt lgkmcnt(0)
	s_barrier
	buffer_gl0_inv
.LBB43_263:                             ;   in Loop: Header=BB43_6 Depth=1
	s_or_saveexec_b32 s23, s23
	v_mov_b32_e32 v24, 5
	s_mov_b32 s25, 0
	s_xor_b32 exec_lo, exec_lo, s23
; %bb.264:                              ;   in Loop: Header=BB43_6 Depth=1
	v_subrev_nc_u32_e32 v39, s20, v39
	v_mov_b32_e32 v24, 0
	s_mov_b32 s25, exec_lo
; %bb.265:                              ;   in Loop: Header=BB43_6 Depth=1
	s_or_b32 exec_lo, exec_lo, s23
	v_mov_b32_e32 v25, v39
	s_and_b32 s26, s25, exec_lo
.LBB43_266:                             ;   in Loop: Header=BB43_6 Depth=1
	s_or_b32 exec_lo, exec_lo, s10
	s_mov_b32 s25, -1
                                        ; implicit-def: $sgpr20
                                        ; implicit-def: $sgpr23
	s_and_saveexec_b32 s10, s26
	s_xor_b32 s10, exec_lo, s10
	s_cbranch_execz .LBB43_383
; %bb.267:                              ;   in Loop: Header=BB43_6 Depth=1
	v_cmp_eq_u32_e32 vcc_lo, 1, v25
	s_cmp_eq_u32 s19, 1
	s_mov_b32 s27, -1
	s_cselect_b32 s20, -1, 0
                                        ; implicit-def: $sgpr23
	s_and_b32 s26, s20, vcc_lo
                                        ; implicit-def: $sgpr20
	s_and_saveexec_b32 s25, s26
	s_cbranch_execz .LBB43_293
; %bb.268:                              ;   in Loop: Header=BB43_6 Depth=1
	ds_read_b32 v1, v14 offset:4096
	s_waitcnt lgkmcnt(0)
	s_barrier
	buffer_gl0_inv
	v_readfirstlane_b32 s28, v1
	s_and_saveexec_b32 s20, s6
; %bb.269:                              ;   in Loop: Header=BB43_6 Depth=1
	v_mov_b32_e32 v13, v14
	ds_write_b64 v31, v[13:14]
; %bb.270:                              ;   in Loop: Header=BB43_6 Depth=1
	s_or_b32 exec_lo, exec_lo, s20
	v_and_b32_e32 v1, s15, v19
	v_and_b32_e32 v2, s14, v18
	s_lshl_b64 s[78:79], 2, s70
	v_or_b32_e32 v21, s13, v21
	v_or_b32_e32 v20, s12, v20
	;; [unrolled: 1-line block ×4, first 2 shown]
	s_mov_b32 s20, -1
	s_mov_b32 s23, 0
	s_cmp_eq_u32 s28, 0
	s_mov_b32 s27, 0
	s_mov_b32 s29, -1
	s_waitcnt lgkmcnt(0)
	s_barrier
	buffer_gl0_inv
                                        ; implicit-def: $vgpr3_vgpr4
	s_cbranch_scc1 .LBB43_281
; %bb.271:                              ;   in Loop: Header=BB43_6 Depth=1
	s_add_i32 s27, s28, s54
                                        ; implicit-def: $vgpr3_vgpr4
	s_mul_hi_u32 s29, s27, s60
	s_mul_i32 s29, s29, s42
	s_sub_i32 s29, s27, s29
	s_sub_i32 s77, s29, s42
	s_cmp_ge_u32 s29, s42
	s_cselect_b32 s29, s77, s29
	s_sub_i32 s77, s29, s42
	s_cmp_ge_u32 s29, s42
	s_cselect_b32 s29, s77, s29
	s_mov_b32 s77, exec_lo
	s_sub_i32 s78, s27, s29
	s_mov_b32 s29, 0
	s_mov_b32 s27, 0
	v_cmpx_gt_u32_e64 s78, v0
	s_cbranch_execz .LBB43_280
; %bb.272:                              ;   in Loop: Header=BB43_6 Depth=1
	v_mov_b32_e32 v9, v29
	v_mov_b32_e32 v13, v0
                                        ; implicit-def: $sgpr79
	s_inst_prefetch 0x1
	s_branch .LBB43_275
	.p2align	6
.LBB43_273:                             ;   in Loop: Header=BB43_275 Depth=2
	s_or_b32 exec_lo, exec_lo, s80
	s_waitcnt lgkmcnt(0)
	s_barrier
	buffer_gl0_inv
	ds_read_b128 v[1:4], v14 offset:3072
	s_mov_b32 s80, -1
	s_mov_b32 s81, -1
	s_waitcnt lgkmcnt(0)
	s_barrier
	buffer_gl0_inv
	v_cmp_ne_u64_e32 vcc_lo, 0, v[1:2]
	s_cbranch_vccz .LBB43_278
.LBB43_274:                             ;   in Loop: Header=BB43_275 Depth=2
	s_and_b32 s80, exec_lo, s80
	s_or_b32 s27, s80, s27
	s_andn2_b32 s79, s79, exec_lo
	s_and_b32 s80, s81, exec_lo
	s_or_b32 s79, s79, s80
	s_andn2_b32 exec_lo, exec_lo, s27
	s_cbranch_execz .LBB43_279
.LBB43_275:                             ;   Parent Loop BB43_6 Depth=1
                                        ; =>  This Inner Loop Header: Depth=2
	s_mov_b32 s80, exec_lo
	v_cmpx_gt_u32_e64 s28, v13
	s_cbranch_execz .LBB43_273
; %bb.276:                              ;   in Loop: Header=BB43_275 Depth=2
	ds_read_b64 v[7:8], v9
	s_waitcnt lgkmcnt(0)
	v_xor_b32_e32 v1, 0x80000000, v8
	v_and_b32_e32 v2, v1, v21
	v_and_b32_e32 v1, v7, v20
	v_cmp_eq_u64_e32 vcc_lo, v[1:2], v[18:19]
	s_and_b32 exec_lo, exec_lo, vcc_lo
	s_cbranch_execz .LBB43_273
; %bb.277:                              ;   in Loop: Header=BB43_275 Depth=2
	v_mov_b32_e32 v6, v14
	ds_write_b128 v14, v[5:8] offset:3072
	s_branch .LBB43_273
	.p2align	6
.LBB43_278:                             ;   in Loop: Header=BB43_275 Depth=2
	v_add_nc_u32_e32 v13, s42, v13
	v_add_nc_u32_e32 v9, s64, v9
	s_mov_b32 s81, 0
	v_cmp_le_u32_e32 vcc_lo, s78, v13
	s_orn2_b32 s80, vcc_lo, exec_lo
	s_branch .LBB43_274
.LBB43_279:                             ;   in Loop: Header=BB43_6 Depth=1
	s_inst_prefetch 0x2
	s_or_b32 exec_lo, exec_lo, s27
	s_and_b32 s27, s79, exec_lo
.LBB43_280:                             ;   in Loop: Header=BB43_6 Depth=1
	s_or_b32 exec_lo, exec_lo, s77
.LBB43_281:                             ;   in Loop: Header=BB43_6 Depth=1
	s_and_b32 vcc_lo, exec_lo, s29
	s_cbranch_vccz .LBB43_292
; %bb.282:                              ;   in Loop: Header=BB43_6 Depth=1
                                        ; implicit-def: $vgpr3_vgpr4
	s_and_saveexec_b32 s20, s9
	s_cbranch_execz .LBB43_291
; %bb.283:                              ;   in Loop: Header=BB43_6 Depth=1
	v_mov_b32_e32 v13, v12
	v_mov_b32_e32 v9, v0
	s_mov_b32 s23, 0
                                        ; implicit-def: $sgpr28
	s_inst_prefetch 0x1
	s_branch .LBB43_286
	.p2align	6
.LBB43_284:                             ;   in Loop: Header=BB43_286 Depth=2
	s_or_b32 exec_lo, exec_lo, s29
	s_waitcnt lgkmcnt(0)
	s_barrier
	buffer_gl0_inv
	ds_read_b128 v[1:4], v14 offset:3072
	s_mov_b32 s29, -1
	s_mov_b32 s77, -1
	s_waitcnt lgkmcnt(0)
	s_barrier
	buffer_gl0_inv
	v_cmp_eq_u64_e32 vcc_lo, 0, v[1:2]
	s_cbranch_vccnz .LBB43_289
.LBB43_285:                             ;   in Loop: Header=BB43_286 Depth=2
	s_and_b32 s29, exec_lo, s29
	s_or_b32 s23, s29, s23
	s_andn2_b32 s28, s28, exec_lo
	s_and_b32 s29, s77, exec_lo
	s_or_b32 s28, s28, s29
	s_andn2_b32 exec_lo, exec_lo, s23
	s_cbranch_execz .LBB43_290
.LBB43_286:                             ;   Parent Loop BB43_6 Depth=1
                                        ; =>  This Inner Loop Header: Depth=2
	s_mov_b32 s29, exec_lo
	v_cmpx_gt_u32_e64 s36, v9
	s_cbranch_execz .LBB43_284
; %bb.287:                              ;   in Loop: Header=BB43_286 Depth=2
	v_lshlrev_b64 v[1:2], 3, v[13:14]
	v_add_co_u32 v1, vcc_lo, s31, v1
	v_add_co_ci_u32_e64 v2, null, s33, v2, vcc_lo
	global_load_dwordx2 v[7:8], v[1:2], off
	s_waitcnt vmcnt(0)
	v_xor_b32_e32 v1, 0x80000000, v8
	v_and_b32_e32 v2, v1, v21
	v_and_b32_e32 v1, v7, v20
	v_cmp_eq_u64_e32 vcc_lo, v[1:2], v[18:19]
	s_and_b32 exec_lo, exec_lo, vcc_lo
	s_cbranch_execz .LBB43_284
; %bb.288:                              ;   in Loop: Header=BB43_286 Depth=2
	v_mov_b32_e32 v6, v14
	ds_write_b128 v14, v[5:8] offset:3072
	s_branch .LBB43_284
.LBB43_289:                             ;   in Loop: Header=BB43_286 Depth=2
	v_add_nc_u32_e32 v9, s42, v9
	v_add_nc_u32_e32 v13, s44, v13
	s_mov_b32 s77, 0
	v_cmp_le_u32_e32 vcc_lo, s61, v9
	s_orn2_b32 s29, vcc_lo, exec_lo
	s_branch .LBB43_285
.LBB43_290:                             ;   in Loop: Header=BB43_6 Depth=1
	s_inst_prefetch 0x2
	s_or_b32 exec_lo, exec_lo, s23
	s_andn2_b32 s23, s27, exec_lo
	s_and_b32 s27, s28, exec_lo
	s_or_b32 s27, s23, s27
.LBB43_291:                             ;   in Loop: Header=BB43_6 Depth=1
	s_or_b32 exec_lo, exec_lo, s20
	s_mov_b32 s20, 0
	s_mov_b32 s23, -1
.LBB43_292:                             ;   in Loop: Header=BB43_6 Depth=1
	s_orn2_b32 s27, s27, exec_lo
.LBB43_293:                             ;   in Loop: Header=BB43_6 Depth=1
	s_or_b32 exec_lo, exec_lo, s25
	s_mov_b32 s28, 0
	s_and_saveexec_b32 s25, s27
	s_cbranch_execz .LBB43_382
; %bb.294:                              ;   in Loop: Header=BB43_6 Depth=1
	v_mov_b32_e32 v9, 1
	v_mov_b32_e32 v24, 1
	s_xor_b32 s27, s26, -1
	s_mov_b32 s29, 0
	s_and_saveexec_b32 s26, s27
	s_cbranch_execz .LBB43_303
; %bb.295:                              ;   in Loop: Header=BB43_6 Depth=1
	s_mov_b32 s27, exec_lo
	v_cmpx_ge_u32_e64 s19, v25
	s_xor_b32 s27, exec_lo, s27
	s_cbranch_execz .LBB43_300
; %bb.296:                              ;   in Loop: Header=BB43_6 Depth=1
	ds_read_b32 v1, v14 offset:4096
	v_and_b32_e32 v2, s15, v19
	v_and_b32_e32 v6, s14, v18
	s_lshl_b64 s[28:29], 2, s70
	v_or_b32_e32 v21, s13, v21
	v_or_b32_e32 v20, s12, v20
	;; [unrolled: 1-line block ×4, first 2 shown]
	s_waitcnt lgkmcnt(0)
	v_cmp_ne_u32_e32 vcc_lo, 0, v1
	s_cbranch_vccnz .LBB43_300
; %bb.297:                              ;   in Loop: Header=BB43_6 Depth=1
	s_and_saveexec_b32 s28, s3
; %bb.298:                              ;   in Loop: Header=BB43_6 Depth=1
	v_mov_b32_e32 v1, s19
	ds_write_b32 v14, v1 offset:4100
; %bb.299:                              ;   in Loop: Header=BB43_6 Depth=1
	s_or_b32 exec_lo, exec_lo, s28
	s_waitcnt lgkmcnt(0)
	s_barrier
	buffer_gl0_inv
.LBB43_300:                             ;   in Loop: Header=BB43_6 Depth=1
	s_or_saveexec_b32 s27, s27
	v_mov_b32_e32 v24, 5
	s_mov_b32 s28, 0
	s_xor_b32 exec_lo, exec_lo, s27
; %bb.301:                              ;   in Loop: Header=BB43_6 Depth=1
	v_subrev_nc_u32_e32 v25, s19, v25
	v_mov_b32_e32 v24, 0
	s_mov_b32 s28, exec_lo
; %bb.302:                              ;   in Loop: Header=BB43_6 Depth=1
	s_or_b32 exec_lo, exec_lo, s27
	v_mov_b32_e32 v9, v25
	s_and_b32 s29, s28, exec_lo
.LBB43_303:                             ;   in Loop: Header=BB43_6 Depth=1
	s_or_b32 exec_lo, exec_lo, s26
	s_mov_b32 s28, -1
                                        ; implicit-def: $sgpr26
                                        ; implicit-def: $sgpr27
	s_and_saveexec_b32 s19, s29
	s_cbranch_execz .LBB43_381
; %bb.304:                              ;   in Loop: Header=BB43_6 Depth=1
	v_cmp_eq_u32_e32 vcc_lo, 1, v9
	s_cmp_eq_u32 s18, 1
	s_mov_b32 s77, -1
	s_cselect_b32 s26, -1, 0
                                        ; implicit-def: $sgpr27
	s_and_b32 s29, s26, vcc_lo
                                        ; implicit-def: $sgpr26
	s_and_saveexec_b32 s28, s29
	s_cbranch_execz .LBB43_330
; %bb.305:                              ;   in Loop: Header=BB43_6 Depth=1
	ds_read_b32 v1, v14 offset:4096
	s_waitcnt lgkmcnt(0)
	s_barrier
	buffer_gl0_inv
	v_readfirstlane_b32 s78, v1
	s_and_saveexec_b32 s26, s6
; %bb.306:                              ;   in Loop: Header=BB43_6 Depth=1
	v_mov_b32_e32 v13, v14
	ds_write_b64 v31, v[13:14]
; %bb.307:                              ;   in Loop: Header=BB43_6 Depth=1
	s_or_b32 exec_lo, exec_lo, s26
	v_and_b32_e32 v1, s15, v19
	v_and_b32_e32 v2, s14, v18
	s_lshl_b64 s[26:27], 1, s70
	v_or_b32_e32 v21, s13, v21
	v_or_b32_e32 v20, s12, v20
	;; [unrolled: 1-line block ×4, first 2 shown]
	s_mov_b32 s26, -1
	s_mov_b32 s27, 0
	s_cmp_eq_u32 s78, 0
	s_mov_b32 s77, 0
	s_mov_b32 s79, -1
	s_waitcnt lgkmcnt(0)
	s_barrier
	buffer_gl0_inv
                                        ; implicit-def: $vgpr3_vgpr4
	s_cbranch_scc1 .LBB43_318
; %bb.308:                              ;   in Loop: Header=BB43_6 Depth=1
	s_add_i32 s77, s78, s54
                                        ; implicit-def: $vgpr3_vgpr4
	s_mul_hi_u32 s79, s77, s60
	s_mul_i32 s79, s79, s42
	s_sub_i32 s79, s77, s79
	s_sub_i32 s80, s79, s42
	s_cmp_ge_u32 s79, s42
	s_cselect_b32 s79, s80, s79
	s_sub_i32 s80, s79, s42
	s_cmp_ge_u32 s79, s42
	s_cselect_b32 s79, s80, s79
	s_mov_b32 s80, exec_lo
	s_sub_i32 s81, s77, s79
	s_mov_b32 s79, 0
	s_mov_b32 s77, 0
	v_cmpx_gt_u32_e64 s81, v0
	s_cbranch_execz .LBB43_317
; %bb.309:                              ;   in Loop: Header=BB43_6 Depth=1
	v_mov_b32_e32 v13, v29
	v_mov_b32_e32 v22, v0
                                        ; implicit-def: $sgpr82
	s_inst_prefetch 0x1
	s_branch .LBB43_312
	.p2align	6
.LBB43_310:                             ;   in Loop: Header=BB43_312 Depth=2
	s_or_b32 exec_lo, exec_lo, s83
	s_waitcnt lgkmcnt(0)
	s_barrier
	buffer_gl0_inv
	ds_read_b128 v[1:4], v14 offset:3072
	s_mov_b32 s83, -1
	s_mov_b32 s84, -1
	s_waitcnt lgkmcnt(0)
	s_barrier
	buffer_gl0_inv
	v_cmp_ne_u64_e32 vcc_lo, 0, v[1:2]
	s_cbranch_vccz .LBB43_315
.LBB43_311:                             ;   in Loop: Header=BB43_312 Depth=2
	s_and_b32 s83, exec_lo, s83
	s_or_b32 s77, s83, s77
	s_andn2_b32 s82, s82, exec_lo
	s_and_b32 s83, s84, exec_lo
	s_or_b32 s82, s82, s83
	s_andn2_b32 exec_lo, exec_lo, s77
	s_cbranch_execz .LBB43_316
.LBB43_312:                             ;   Parent Loop BB43_6 Depth=1
                                        ; =>  This Inner Loop Header: Depth=2
	s_mov_b32 s83, exec_lo
	v_cmpx_gt_u32_e64 s78, v22
	s_cbranch_execz .LBB43_310
; %bb.313:                              ;   in Loop: Header=BB43_312 Depth=2
	ds_read_b64 v[7:8], v13
	s_waitcnt lgkmcnt(0)
	v_xor_b32_e32 v1, 0x80000000, v8
	v_and_b32_e32 v2, v1, v21
	v_and_b32_e32 v1, v7, v20
	v_cmp_eq_u64_e32 vcc_lo, v[1:2], v[18:19]
	s_and_b32 exec_lo, exec_lo, vcc_lo
	s_cbranch_execz .LBB43_310
; %bb.314:                              ;   in Loop: Header=BB43_312 Depth=2
	v_mov_b32_e32 v6, v14
	ds_write_b128 v14, v[5:8] offset:3072
	s_branch .LBB43_310
	.p2align	6
.LBB43_315:                             ;   in Loop: Header=BB43_312 Depth=2
	v_add_nc_u32_e32 v22, s42, v22
	v_add_nc_u32_e32 v13, s64, v13
	s_mov_b32 s84, 0
	v_cmp_le_u32_e32 vcc_lo, s81, v22
	s_orn2_b32 s83, vcc_lo, exec_lo
	s_branch .LBB43_311
.LBB43_316:                             ;   in Loop: Header=BB43_6 Depth=1
	s_inst_prefetch 0x2
	s_or_b32 exec_lo, exec_lo, s77
	s_and_b32 s77, s82, exec_lo
.LBB43_317:                             ;   in Loop: Header=BB43_6 Depth=1
	s_or_b32 exec_lo, exec_lo, s80
.LBB43_318:                             ;   in Loop: Header=BB43_6 Depth=1
	s_and_b32 vcc_lo, exec_lo, s79
	s_cbranch_vccz .LBB43_329
; %bb.319:                              ;   in Loop: Header=BB43_6 Depth=1
                                        ; implicit-def: $vgpr3_vgpr4
	s_and_saveexec_b32 s26, s9
	s_cbranch_execz .LBB43_328
; %bb.320:                              ;   in Loop: Header=BB43_6 Depth=1
	v_mov_b32_e32 v13, v12
	v_mov_b32_e32 v22, v0
	s_mov_b32 s27, 0
                                        ; implicit-def: $sgpr78
	s_inst_prefetch 0x1
	s_branch .LBB43_323
	.p2align	6
.LBB43_321:                             ;   in Loop: Header=BB43_323 Depth=2
	s_or_b32 exec_lo, exec_lo, s79
	s_waitcnt lgkmcnt(0)
	s_barrier
	buffer_gl0_inv
	ds_read_b128 v[1:4], v14 offset:3072
	s_mov_b32 s79, -1
	s_mov_b32 s80, -1
	s_waitcnt lgkmcnt(0)
	s_barrier
	buffer_gl0_inv
	v_cmp_eq_u64_e32 vcc_lo, 0, v[1:2]
	s_cbranch_vccnz .LBB43_326
.LBB43_322:                             ;   in Loop: Header=BB43_323 Depth=2
	s_and_b32 s79, exec_lo, s79
	s_or_b32 s27, s79, s27
	s_andn2_b32 s78, s78, exec_lo
	s_and_b32 s79, s80, exec_lo
	s_or_b32 s78, s78, s79
	s_andn2_b32 exec_lo, exec_lo, s27
	s_cbranch_execz .LBB43_327
.LBB43_323:                             ;   Parent Loop BB43_6 Depth=1
                                        ; =>  This Inner Loop Header: Depth=2
	s_mov_b32 s79, exec_lo
	v_cmpx_gt_u32_e64 s36, v22
	s_cbranch_execz .LBB43_321
; %bb.324:                              ;   in Loop: Header=BB43_323 Depth=2
	v_lshlrev_b64 v[1:2], 3, v[13:14]
	v_add_co_u32 v1, vcc_lo, s31, v1
	v_add_co_ci_u32_e64 v2, null, s33, v2, vcc_lo
	global_load_dwordx2 v[7:8], v[1:2], off
	s_waitcnt vmcnt(0)
	v_xor_b32_e32 v1, 0x80000000, v8
	v_and_b32_e32 v2, v1, v21
	v_and_b32_e32 v1, v7, v20
	v_cmp_eq_u64_e32 vcc_lo, v[1:2], v[18:19]
	s_and_b32 exec_lo, exec_lo, vcc_lo
	s_cbranch_execz .LBB43_321
; %bb.325:                              ;   in Loop: Header=BB43_323 Depth=2
	v_mov_b32_e32 v6, v14
	ds_write_b128 v14, v[5:8] offset:3072
	s_branch .LBB43_321
.LBB43_326:                             ;   in Loop: Header=BB43_323 Depth=2
	v_add_nc_u32_e32 v22, s42, v22
	v_add_nc_u32_e32 v13, s44, v13
	s_mov_b32 s80, 0
	v_cmp_le_u32_e32 vcc_lo, s61, v22
	s_orn2_b32 s79, vcc_lo, exec_lo
	s_branch .LBB43_322
.LBB43_327:                             ;   in Loop: Header=BB43_6 Depth=1
	s_inst_prefetch 0x2
	s_or_b32 exec_lo, exec_lo, s27
	s_andn2_b32 s27, s77, exec_lo
	s_and_b32 s77, s78, exec_lo
	s_or_b32 s77, s27, s77
.LBB43_328:                             ;   in Loop: Header=BB43_6 Depth=1
	s_or_b32 exec_lo, exec_lo, s26
	s_mov_b32 s26, 0
	s_mov_b32 s27, -1
.LBB43_329:                             ;   in Loop: Header=BB43_6 Depth=1
	s_orn2_b32 s77, s77, exec_lo
.LBB43_330:                             ;   in Loop: Header=BB43_6 Depth=1
	s_or_b32 exec_lo, exec_lo, s28
	s_mov_b32 s78, 0
	s_and_saveexec_b32 s28, s77
	s_cbranch_execz .LBB43_380
; %bb.331:                              ;   in Loop: Header=BB43_6 Depth=1
	v_mov_b32_e32 v22, 1
	v_mov_b32_e32 v24, 1
	s_xor_b32 s77, s29, -1
	s_mov_b32 s79, 0
	s_and_saveexec_b32 s29, s77
	s_cbranch_execz .LBB43_340
; %bb.332:                              ;   in Loop: Header=BB43_6 Depth=1
	s_mov_b32 s77, exec_lo
	v_cmpx_ge_u32_e64 s18, v9
	s_xor_b32 s77, exec_lo, s77
	s_cbranch_execz .LBB43_337
; %bb.333:                              ;   in Loop: Header=BB43_6 Depth=1
	ds_read_b32 v1, v14 offset:4096
	v_and_b32_e32 v2, s15, v19
	v_and_b32_e32 v6, s14, v18
	s_lshl_b64 s[78:79], 1, s70
	v_or_b32_e32 v21, s13, v21
	v_or_b32_e32 v20, s12, v20
	;; [unrolled: 1-line block ×4, first 2 shown]
	s_waitcnt lgkmcnt(0)
	v_cmp_ne_u32_e32 vcc_lo, 0, v1
	s_cbranch_vccnz .LBB43_337
; %bb.334:                              ;   in Loop: Header=BB43_6 Depth=1
	s_and_saveexec_b32 s78, s3
; %bb.335:                              ;   in Loop: Header=BB43_6 Depth=1
	v_mov_b32_e32 v1, s18
	ds_write_b32 v14, v1 offset:4100
; %bb.336:                              ;   in Loop: Header=BB43_6 Depth=1
	s_or_b32 exec_lo, exec_lo, s78
	s_waitcnt lgkmcnt(0)
	s_barrier
	buffer_gl0_inv
.LBB43_337:                             ;   in Loop: Header=BB43_6 Depth=1
	s_or_saveexec_b32 s77, s77
	v_mov_b32_e32 v24, 5
	s_mov_b32 s78, 0
	s_xor_b32 exec_lo, exec_lo, s77
; %bb.338:                              ;   in Loop: Header=BB43_6 Depth=1
	v_subrev_nc_u32_e32 v9, s18, v9
	v_mov_b32_e32 v24, 0
	s_mov_b32 s78, exec_lo
; %bb.339:                              ;   in Loop: Header=BB43_6 Depth=1
	s_or_b32 exec_lo, exec_lo, s77
	v_mov_b32_e32 v22, v9
	s_and_b32 s79, s78, exec_lo
.LBB43_340:                             ;   in Loop: Header=BB43_6 Depth=1
	s_or_b32 exec_lo, exec_lo, s29
	s_mov_b32 s29, -1
                                        ; implicit-def: $sgpr78
                                        ; implicit-def: $sgpr77
	s_and_saveexec_b32 s18, s79
	s_cbranch_execz .LBB43_379
; %bb.341:                              ;   in Loop: Header=BB43_6 Depth=1
	v_cmp_eq_u32_e32 vcc_lo, 1, v22
	s_cmp_eq_u32 s17, 1
	s_mov_b32 s80, -1
	s_cselect_b32 s29, -1, 0
                                        ; implicit-def: $sgpr78
                                        ; implicit-def: $sgpr77
	s_and_b32 s29, s29, vcc_lo
	s_and_saveexec_b32 s79, s29
	s_cbranch_execz .LBB43_367
; %bb.342:                              ;   in Loop: Header=BB43_6 Depth=1
	ds_read_b32 v1, v14 offset:4096
	s_waitcnt lgkmcnt(0)
	s_barrier
	buffer_gl0_inv
	v_readfirstlane_b32 s81, v1
	s_and_saveexec_b32 s77, s6
; %bb.343:                              ;   in Loop: Header=BB43_6 Depth=1
	v_mov_b32_e32 v13, v14
	ds_write_b64 v31, v[13:14]
; %bb.344:                              ;   in Loop: Header=BB43_6 Depth=1
	s_or_b32 exec_lo, exec_lo, s77
	v_and_b32_e32 v19, s15, v19
	v_and_b32_e32 v18, s14, v18
	v_or_b32_e32 v21, s13, v21
	v_or_b32_e32 v20, s12, v20
	s_mov_b32 s77, -1
	s_mov_b32 s78, 0
	s_cmp_eq_u32 s81, 0
	s_mov_b32 s80, 0
	s_mov_b32 s82, -1
	s_waitcnt lgkmcnt(0)
	s_barrier
	buffer_gl0_inv
                                        ; implicit-def: $vgpr3_vgpr4
	s_cbranch_scc1 .LBB43_355
; %bb.345:                              ;   in Loop: Header=BB43_6 Depth=1
	s_add_i32 s80, s81, s54
                                        ; implicit-def: $vgpr3_vgpr4
	s_mul_hi_u32 s82, s80, s60
	s_mul_i32 s82, s82, s42
	s_sub_i32 s82, s80, s82
	s_sub_i32 s83, s82, s42
	s_cmp_ge_u32 s82, s42
	s_cselect_b32 s82, s83, s82
	s_sub_i32 s83, s82, s42
	s_cmp_ge_u32 s82, s42
	s_cselect_b32 s82, s83, s82
	s_mov_b32 s83, exec_lo
	s_sub_i32 s84, s80, s82
	s_mov_b32 s82, 0
	s_mov_b32 s80, 0
	v_cmpx_gt_u32_e64 s84, v0
	s_cbranch_execz .LBB43_354
; %bb.346:                              ;   in Loop: Header=BB43_6 Depth=1
	v_mov_b32_e32 v9, v29
	v_mov_b32_e32 v13, v0
                                        ; implicit-def: $sgpr85
	s_inst_prefetch 0x1
	s_branch .LBB43_349
	.p2align	6
.LBB43_347:                             ;   in Loop: Header=BB43_349 Depth=2
	s_or_b32 exec_lo, exec_lo, s86
	s_waitcnt lgkmcnt(0)
	s_barrier
	buffer_gl0_inv
	ds_read_b128 v[1:4], v14 offset:3072
	s_mov_b32 s86, -1
	s_mov_b32 s87, -1
	s_waitcnt lgkmcnt(0)
	s_barrier
	buffer_gl0_inv
	v_cmp_ne_u64_e32 vcc_lo, 0, v[1:2]
	s_cbranch_vccz .LBB43_352
.LBB43_348:                             ;   in Loop: Header=BB43_349 Depth=2
	s_and_b32 s86, exec_lo, s86
	s_or_b32 s80, s86, s80
	s_andn2_b32 s85, s85, exec_lo
	s_and_b32 s86, s87, exec_lo
	s_or_b32 s85, s85, s86
	s_andn2_b32 exec_lo, exec_lo, s80
	s_cbranch_execz .LBB43_353
.LBB43_349:                             ;   Parent Loop BB43_6 Depth=1
                                        ; =>  This Inner Loop Header: Depth=2
	s_mov_b32 s86, exec_lo
	v_cmpx_gt_u32_e64 s81, v13
	s_cbranch_execz .LBB43_347
; %bb.350:                              ;   in Loop: Header=BB43_349 Depth=2
	ds_read_b64 v[7:8], v9
	s_waitcnt lgkmcnt(0)
	v_xor_b32_e32 v1, 0x80000000, v8
	v_and_b32_e32 v2, v1, v21
	v_and_b32_e32 v1, v7, v20
	v_cmp_eq_u64_e32 vcc_lo, v[1:2], v[18:19]
	s_and_b32 exec_lo, exec_lo, vcc_lo
	s_cbranch_execz .LBB43_347
; %bb.351:                              ;   in Loop: Header=BB43_349 Depth=2
	v_mov_b32_e32 v6, v14
	ds_write_b128 v14, v[5:8] offset:3072
	s_branch .LBB43_347
	.p2align	6
.LBB43_352:                             ;   in Loop: Header=BB43_349 Depth=2
	v_add_nc_u32_e32 v13, s42, v13
	v_add_nc_u32_e32 v9, s64, v9
	s_mov_b32 s87, 0
	v_cmp_le_u32_e32 vcc_lo, s84, v13
	s_orn2_b32 s86, vcc_lo, exec_lo
	s_branch .LBB43_348
.LBB43_353:                             ;   in Loop: Header=BB43_6 Depth=1
	s_inst_prefetch 0x2
	s_or_b32 exec_lo, exec_lo, s80
	s_and_b32 s80, s85, exec_lo
.LBB43_354:                             ;   in Loop: Header=BB43_6 Depth=1
	s_or_b32 exec_lo, exec_lo, s83
.LBB43_355:                             ;   in Loop: Header=BB43_6 Depth=1
	s_and_b32 vcc_lo, exec_lo, s82
	s_cbranch_vccz .LBB43_366
; %bb.356:                              ;   in Loop: Header=BB43_6 Depth=1
                                        ; implicit-def: $vgpr3_vgpr4
	s_and_saveexec_b32 s77, s9
	s_cbranch_execz .LBB43_365
; %bb.357:                              ;   in Loop: Header=BB43_6 Depth=1
	v_mov_b32_e32 v13, v12
	v_mov_b32_e32 v9, v0
	s_mov_b32 s78, 0
                                        ; implicit-def: $sgpr81
	s_inst_prefetch 0x1
	s_branch .LBB43_360
	.p2align	6
.LBB43_358:                             ;   in Loop: Header=BB43_360 Depth=2
	s_or_b32 exec_lo, exec_lo, s82
	s_waitcnt lgkmcnt(0)
	s_barrier
	buffer_gl0_inv
	ds_read_b128 v[1:4], v14 offset:3072
	s_mov_b32 s82, -1
	s_mov_b32 s83, -1
	s_waitcnt lgkmcnt(0)
	s_barrier
	buffer_gl0_inv
	v_cmp_eq_u64_e32 vcc_lo, 0, v[1:2]
	s_cbranch_vccnz .LBB43_363
.LBB43_359:                             ;   in Loop: Header=BB43_360 Depth=2
	s_and_b32 s82, exec_lo, s82
	s_or_b32 s78, s82, s78
	s_andn2_b32 s81, s81, exec_lo
	s_and_b32 s82, s83, exec_lo
	s_or_b32 s81, s81, s82
	s_andn2_b32 exec_lo, exec_lo, s78
	s_cbranch_execz .LBB43_364
.LBB43_360:                             ;   Parent Loop BB43_6 Depth=1
                                        ; =>  This Inner Loop Header: Depth=2
	s_mov_b32 s82, exec_lo
	v_cmpx_gt_u32_e64 s36, v9
	s_cbranch_execz .LBB43_358
; %bb.361:                              ;   in Loop: Header=BB43_360 Depth=2
	v_lshlrev_b64 v[1:2], 3, v[13:14]
	v_add_co_u32 v1, vcc_lo, s31, v1
	v_add_co_ci_u32_e64 v2, null, s33, v2, vcc_lo
	global_load_dwordx2 v[7:8], v[1:2], off
	s_waitcnt vmcnt(0)
	v_xor_b32_e32 v1, 0x80000000, v8
	v_and_b32_e32 v2, v1, v21
	v_and_b32_e32 v1, v7, v20
	v_cmp_eq_u64_e32 vcc_lo, v[1:2], v[18:19]
	s_and_b32 exec_lo, exec_lo, vcc_lo
	s_cbranch_execz .LBB43_358
; %bb.362:                              ;   in Loop: Header=BB43_360 Depth=2
	v_mov_b32_e32 v6, v14
	ds_write_b128 v14, v[5:8] offset:3072
	s_branch .LBB43_358
.LBB43_363:                             ;   in Loop: Header=BB43_360 Depth=2
	v_add_nc_u32_e32 v9, s42, v9
	v_add_nc_u32_e32 v13, s44, v13
	s_mov_b32 s83, 0
	v_cmp_le_u32_e32 vcc_lo, s61, v9
	s_orn2_b32 s82, vcc_lo, exec_lo
	s_branch .LBB43_359
.LBB43_364:                             ;   in Loop: Header=BB43_6 Depth=1
	s_inst_prefetch 0x2
	s_or_b32 exec_lo, exec_lo, s78
	s_andn2_b32 s78, s80, exec_lo
	s_and_b32 s80, s81, exec_lo
	s_or_b32 s80, s78, s80
.LBB43_365:                             ;   in Loop: Header=BB43_6 Depth=1
	s_or_b32 exec_lo, exec_lo, s77
	s_mov_b32 s77, 0
	s_mov_b32 s78, -1
.LBB43_366:                             ;   in Loop: Header=BB43_6 Depth=1
	s_orn2_b32 s80, s80, exec_lo
.LBB43_367:                             ;   in Loop: Header=BB43_6 Depth=1
	s_or_b32 exec_lo, exec_lo, s79
	s_mov_b32 s81, 0
	s_and_saveexec_b32 s79, s80
	s_cbranch_execz .LBB43_378
; %bb.368:                              ;   in Loop: Header=BB43_6 Depth=1
	v_mov_b32_e32 v24, 1
	v_mov_b32_e32 v1, 1
	s_xor_b32 s80, s29, -1
	s_and_saveexec_b32 s29, s80
	s_cbranch_execz .LBB43_377
; %bb.369:                              ;   in Loop: Header=BB43_6 Depth=1
	s_mov_b32 s80, exec_lo
	v_cmpx_ge_u32_e64 s17, v22
	s_xor_b32 s80, exec_lo, s80
	s_cbranch_execz .LBB43_374
; %bb.370:                              ;   in Loop: Header=BB43_6 Depth=1
	ds_read_b32 v1, v14 offset:4096
	v_and_b32_e32 v19, s15, v19
	v_and_b32_e32 v18, s14, v18
	v_or_b32_e32 v21, s13, v21
	v_or_b32_e32 v20, s12, v20
	s_waitcnt lgkmcnt(0)
	v_cmp_ne_u32_e32 vcc_lo, 0, v1
	s_cbranch_vccnz .LBB43_374
; %bb.371:                              ;   in Loop: Header=BB43_6 Depth=1
	s_and_saveexec_b32 s12, s3
; %bb.372:                              ;   in Loop: Header=BB43_6 Depth=1
	v_mov_b32_e32 v1, s17
	ds_write_b32 v14, v1 offset:4100
; %bb.373:                              ;   in Loop: Header=BB43_6 Depth=1
	s_or_b32 exec_lo, exec_lo, s12
	s_waitcnt lgkmcnt(0)
	s_barrier
	buffer_gl0_inv
.LBB43_374:                             ;   in Loop: Header=BB43_6 Depth=1
	s_andn2_saveexec_b32 s12, s80
; %bb.375:                              ;   in Loop: Header=BB43_6 Depth=1
	v_subrev_nc_u32_e32 v22, s17, v22
; %bb.376:                              ;   in Loop: Header=BB43_6 Depth=1
	s_or_b32 exec_lo, exec_lo, s12
	v_mov_b32_e32 v24, 5
	v_mov_b32_e32 v1, v22
.LBB43_377:                             ;   in Loop: Header=BB43_6 Depth=1
	s_or_b32 exec_lo, exec_lo, s29
	v_mov_b32_e32 v22, v1
	s_mov_b32 s81, exec_lo
.LBB43_378:                             ;   in Loop: Header=BB43_6 Depth=1
	s_or_b32 exec_lo, exec_lo, s79
	s_orn2_b32 s29, s81, exec_lo
.LBB43_379:                             ;   in Loop: Header=BB43_6 Depth=1
	s_or_b32 exec_lo, exec_lo, s18
	v_mov_b32_e32 v9, v22
	s_andn2_b32 s12, s27, exec_lo
	s_and_b32 s13, s78, exec_lo
	s_andn2_b32 s14, s26, exec_lo
	s_and_b32 s15, s77, exec_lo
	s_or_b32 s27, s12, s13
	s_or_b32 s26, s14, s15
	s_and_b32 s78, s29, exec_lo
.LBB43_380:                             ;   in Loop: Header=BB43_6 Depth=1
	s_or_b32 exec_lo, exec_lo, s28
	s_orn2_b32 s28, s78, exec_lo
.LBB43_381:                             ;   in Loop: Header=BB43_6 Depth=1
	s_or_b32 exec_lo, exec_lo, s19
	v_mov_b32_e32 v25, v9
	s_andn2_b32 s12, s23, exec_lo
	s_and_b32 s13, s27, exec_lo
	s_andn2_b32 s14, s20, exec_lo
	s_and_b32 s15, s26, exec_lo
	s_or_b32 s23, s12, s13
	s_or_b32 s20, s14, s15
	s_and_b32 s28, s28, exec_lo
.LBB43_382:                             ;   in Loop: Header=BB43_6 Depth=1
	s_or_b32 exec_lo, exec_lo, s25
	s_orn2_b32 s25, s28, exec_lo
.LBB43_383:                             ;   in Loop: Header=BB43_6 Depth=1
	s_or_b32 exec_lo, exec_lo, s10
	s_mov_b32 s10, s21
	s_mov_b32 s12, s11
	s_and_saveexec_b32 s13, s25
; %bb.384:                              ;   in Loop: Header=BB43_6 Depth=1
	v_cmp_ne_u32_e32 vcc_lo, 5, v24
	v_cmp_eq_u32_e64 s10, 5, v24
	s_andn2_b32 s12, s11, exec_lo
	s_andn2_b32 s14, s21, exec_lo
	s_and_b32 s15, vcc_lo, exec_lo
	s_and_b32 s10, s10, exec_lo
	s_or_b32 s12, s12, s15
	s_or_b32 s10, s14, s10
; %bb.385:                              ;   in Loop: Header=BB43_6 Depth=1
	s_or_b32 exec_lo, exec_lo, s13
	s_andn2_b32 s13, s24, exec_lo
	s_and_b32 s14, s23, exec_lo
	s_andn2_b32 s15, s16, exec_lo
	s_and_b32 s16, s20, exec_lo
	s_or_b32 s24, s13, s14
	s_andn2_b32 s11, s11, exec_lo
	s_and_b32 s12, s12, exec_lo
	s_andn2_b32 s13, s21, exec_lo
	s_and_b32 s10, s10, exec_lo
	s_or_b32 s16, s15, s16
	s_or_b32 s11, s11, s12
	s_or_b32 s21, s13, s10
.LBB43_386:                             ;   in Loop: Header=BB43_6 Depth=1
	s_or_b32 exec_lo, exec_lo, s22
	s_mov_b32 s22, 0
	s_mov_b32 s23, 0
	s_and_saveexec_b32 s10, s21
.LBB43_387:                             ;   in Loop: Header=BB43_6 Depth=1
	v_mov_b32_e32 v24, 0
	s_or_b32 s11, s11, exec_lo
.LBB43_388:                             ;   in Loop: Header=BB43_6 Depth=1
	s_or_b32 exec_lo, exec_lo, s10
	s_andn2_b32 s10, s74, exec_lo
	s_and_b32 s13, s24, exec_lo
	s_andn2_b32 s14, s72, exec_lo
	s_and_b32 s15, s16, exec_lo
	v_mov_b32_e32 v39, v25
	s_or_b32 s74, s10, s13
	s_or_b32 s72, s14, s15
	s_andn2_b32 s10, s76, exec_lo
	s_and_b32 s13, s23, exec_lo
	s_andn2_b32 s14, s75, exec_lo
	s_and_b32 s15, s22, exec_lo
	s_mov_b32 s12, -1
	s_andn2_b32 s73, s73, exec_lo
	s_or_b32 s76, s10, s13
	s_or_b32 s75, s14, s15
	s_and_saveexec_b32 s10, s11
	s_xor_b32 s10, exec_lo, s10
	s_cbranch_execz .LBB43_5
; %bb.389:                              ;   in Loop: Header=BB43_6 Depth=1
	s_mov_b32 s11, -1
	s_mov_b32 s13, exec_lo
	v_cmpx_eq_u32_e32 0, v24
	s_cbranch_execz .LBB43_4
; %bb.390:                              ;   in Loop: Header=BB43_6 Depth=1
	s_xor_b32 s66, s66, 1
	s_add_i32 s14, s70, -2
	s_cmp_eq_u32 s70, 0
	s_mov_b32 s70, s14
	s_cselect_b32 s11, -1, 0
	s_xor_b32 s12, exec_lo, -1
	s_orn2_b32 s11, s11, exec_lo
	s_branch .LBB43_4
.LBB43_391:
	s_or_b32 exec_lo, exec_lo, s43
	s_xor_b32 s9, s71, -1
	s_xor_b32 s12, s68, -1
	;; [unrolled: 1-line block ×5, first 2 shown]
	s_mov_b32 s7, 0
	s_and_saveexec_b32 s8, s6
	s_xor_b32 s6, exec_lo, s8
	s_cbranch_execnz .LBB43_396
; %bb.392:
	s_andn2_saveexec_b32 s0, s6
	s_cbranch_execnz .LBB43_415
.LBB43_393:
	s_or_b32 exec_lo, exec_lo, s0
	s_and_saveexec_b32 s0, s7
.LBB43_394:
	; divergent unreachable
.LBB43_395:
	s_endpgm
.LBB43_396:
	s_mov_b32 s8, 0
	s_and_saveexec_b32 s7, s11
	s_xor_b32 s7, exec_lo, s7
	s_cbranch_execz .LBB43_413
; %bb.397:
	s_mov_b32 s11, 0
	s_and_saveexec_b32 s8, s12
	s_xor_b32 s8, exec_lo, s8
	s_cbranch_execz .LBB43_411
; %bb.398:
	s_and_saveexec_b32 s12, s9
	s_xor_b32 s9, exec_lo, s12
	s_cbranch_execz .LBB43_409
; %bb.399:
	s_and_saveexec_b32 s11, s10
	s_xor_b32 s10, exec_lo, s11
; %bb.400:
	v_xor_b32_e32 v19, 0x80000000, v19
	v_mov_b32_e32 v3, v18
	v_mov_b32_e32 v4, v19
; %bb.401:
	s_or_b32 exec_lo, exec_lo, s10
	s_and_saveexec_b32 s10, s3
; %bb.402:
	v_mov_b32_e32 v1, 0
	ds_write_b32 v1, v1 offset:4108
; %bb.403:
	s_or_b32 exec_lo, exec_lo, s10
	v_mov_b32_e32 v1, 0
	v_mov_b32_e32 v2, 0
	s_waitcnt lgkmcnt(0)
	s_barrier
	buffer_gl0_inv
	s_and_saveexec_b32 s3, s2
	s_cbranch_execz .LBB43_405
; %bb.404:
	global_load_dwordx2 v[1:2], v[10:11], off
.LBB43_405:
	s_or_b32 exec_lo, exec_lo, s3
	s_clause 0x1
	s_load_dword s10, s[4:5], 0x1c8
	s_load_dword s11, s[4:5], 0x2a8
	s_mul_i32 s4, s47, s45
	s_mov_b32 s5, 0
	s_add_i32 s12, s36, 31
	s_lshl_b64 s[14:15], s[4:5], 3
	s_andn2_b32 s12, s12, 31
	s_mul_i32 s16, s46, s45
	s_mov_b32 s17, s5
	s_add_u32 s13, s40, s14
	s_addc_u32 s14, s41, s15
	s_lshl_b64 s[16:17], s[16:17], 3
	v_cmp_gt_u32_e32 vcc_lo, s12, v0
	s_add_u32 s15, s34, s16
	s_addc_u32 s16, s35, s17
	s_mov_b32 s18, -1
	s_mov_b32 s3, 0
	s_and_saveexec_b32 s17, vcc_lo
	s_cbranch_execnz .LBB43_416
; %bb.406:
	s_or_b32 exec_lo, exec_lo, s17
	s_and_saveexec_b32 s4, s18
	s_cbranch_execnz .LBB43_431
.LBB43_407:
	s_or_b32 exec_lo, exec_lo, s4
	s_and_saveexec_b32 s0, s3
	s_xor_b32 s0, exec_lo, s0
	s_cbranch_execnz .LBB43_454
.LBB43_408:
	s_or_b32 exec_lo, exec_lo, s0
	s_waitcnt lgkmcnt(0)
	s_and_b32 s11, s5, exec_lo
.LBB43_409:
	s_andn2_saveexec_b32 s0, s9
	s_cbranch_execnz .LBB43_456
.LBB43_410:
	s_or_b32 exec_lo, exec_lo, s0
	s_and_b32 s11, s11, exec_lo
.LBB43_411:
	s_andn2_saveexec_b32 s0, s8
	s_cbranch_execnz .LBB43_455
.LBB43_412:
	s_or_b32 exec_lo, exec_lo, s0
	s_and_b32 s8, s11, exec_lo
.LBB43_413:
	s_andn2_saveexec_b32 s0, s7
	s_cbranch_execnz .LBB43_450
.LBB43_414:
	s_or_b32 exec_lo, exec_lo, s0
	s_and_b32 s7, s8, exec_lo
	s_andn2_saveexec_b32 s0, s6
	s_cbranch_execz .LBB43_393
.LBB43_415:
	s_or_b32 s7, s7, exec_lo
	s_trap 2
	s_or_b32 exec_lo, exec_lo, s0
	s_and_saveexec_b32 s0, s7
	s_cbranch_execnz .LBB43_394
	s_branch .LBB43_395
.LBB43_416:
	v_add_nc_u32_e32 v5, s42, v0
	v_xor_b32_e32 v6, 0x80000000, v4
	v_mov_b32_e32 v8, 0
	v_mov_b32_e32 v14, v0
	s_mov_b32 s18, 0
	v_mul_lo_u32 v7, s30, v5
	v_mov_b32_e32 v5, v3
                                        ; implicit-def: $sgpr19
                                        ; implicit-def: $vgpr16
	s_branch .LBB43_418
.LBB43_417:                             ;   in Loop: Header=BB43_418 Depth=1
	s_or_b32 exec_lo, exec_lo, s21
	s_xor_b32 s3, s20, -1
	s_and_b32 s4, exec_lo, s4
	v_mov_b32_e32 v1, v12
	v_mov_b32_e32 v2, v13
	s_or_b32 s18, s4, s18
	v_mov_b32_e32 v14, v9
	s_andn2_b32 s4, s19, exec_lo
	s_and_b32 s3, s3, exec_lo
	s_or_b32 s19, s4, s3
	s_andn2_b32 exec_lo, exec_lo, s18
	s_cbranch_execz .LBB43_430
.LBB43_418:                             ; =>This Inner Loop Header: Depth=1
	v_mov_b32_e32 v12, 0
	v_add_nc_u32_e32 v9, s42, v14
	v_mov_b32_e32 v13, 0
	s_mov_b32 s4, exec_lo
	v_cmpx_gt_u32_e64 s36, v9
	s_cbranch_execz .LBB43_420
; %bb.419:                              ;   in Loop: Header=BB43_418 Depth=1
	v_lshlrev_b64 v[12:13], 3, v[7:8]
	v_add_co_u32 v12, s3, s31, v12
	v_add_co_ci_u32_e64 v13, null, s33, v13, s3
	global_load_dwordx2 v[12:13], v[12:13], off
.LBB43_420:                             ;   in Loop: Header=BB43_418 Depth=1
	s_or_b32 exec_lo, exec_lo, s4
	s_waitcnt vmcnt(0)
	v_xor_b32_e32 v18, 0x80000000, v2
	v_mov_b32_e32 v17, v1
	v_cmp_gt_u64_e64 s3, v[17:18], v[5:6]
	v_cndmask_b32_e64 v15, 0, 1, s3
	v_cmp_lt_u64_e64 s3, v[17:18], v[5:6]
	v_cndmask_b32_e64 v17, 0, 1, s3
	v_cmp_gt_u32_e64 s3, s36, v14
	v_cndmask_b32_e64 v15, v17, v15, s1
	v_and_b32_e32 v15, 1, v15
	v_cmp_eq_u32_e64 s4, 1, v15
	s_and_b32 s21, s3, s4
	v_cndmask_b32_e64 v15, 0, 1, s21
	v_cmp_ne_u32_e64 s3, 0, v15
	s_cmp_lg_u32 s3, 0
	s_cselect_b32 s4, -1, 0
	s_and_b32 s4, s0, s4
	s_and_saveexec_b32 s20, s4
	s_cbranch_execz .LBB43_424
; %bb.421:                              ;   in Loop: Header=BB43_418 Depth=1
	s_mov_b32 s24, exec_lo
	s_bcnt1_i32_b32 s22, s3
	v_mbcnt_lo_u32_b32 v15, s24, 0
	s_mov_b32 s23, exec_lo
                                        ; implicit-def: $vgpr16
	v_cmpx_eq_u32_e32 0, v15
	s_cbranch_execz .LBB43_423
; %bb.422:                              ;   in Loop: Header=BB43_418 Depth=1
	s_bcnt1_i32_b32 s4, s24
	s_mul_i32 s4, s22, s4
	s_waitcnt lgkmcnt(0)
	v_mov_b32_e32 v16, s4
	ds_add_rtn_u32 v16, v8, v16 offset:4108
.LBB43_423:                             ;   in Loop: Header=BB43_418 Depth=1
	s_or_b32 exec_lo, exec_lo, s23
	s_waitcnt lgkmcnt(0)
	v_readfirstlane_b32 s4, v16
	v_mad_u32_u24 v16, s22, v15, s4
.LBB43_424:                             ;   in Loop: Header=BB43_418 Depth=1
	s_or_b32 exec_lo, exec_lo, s20
	s_waitcnt lgkmcnt(0)
	ds_bpermute_b32 v16, v8, v16
	s_mov_b32 s4, -1
	s_mov_b32 s22, -1
	s_and_saveexec_b32 s20, s21
	s_cbranch_execz .LBB43_428
; %bb.425:                              ;   in Loop: Header=BB43_418 Depth=1
	v_and_b32_e32 v15, s3, v26
	s_mov_b32 s21, 0
	s_mov_b32 s22, exec_lo
	s_waitcnt lgkmcnt(0)
	v_bcnt_u32_b32 v15, v15, v16
	v_cmpx_gt_u32_e64 s37, v15
; %bb.426:                              ;   in Loop: Header=BB43_418 Depth=1
	v_mul_lo_u32 v17, v15, s10
	v_mul_lo_u32 v19, v15, s11
	v_mov_b32_e32 v18, v8
	v_mov_b32_e32 v20, v8
	;; [unrolled: 1-line block ×3, first 2 shown]
	s_mov_b32 s21, exec_lo
	v_lshlrev_b64 v[17:18], 3, v[17:18]
	v_lshlrev_b64 v[19:20], 3, v[19:20]
	v_add_co_u32 v17, s3, s13, v17
	v_add_co_ci_u32_e64 v18, null, s14, v18, s3
	v_add_co_u32 v19, s3, s15, v19
	v_add_co_ci_u32_e64 v20, null, s16, v20, s3
	global_store_dwordx2 v[17:18], v[1:2], off
	global_store_dwordx2 v[19:20], v[14:15], off
; %bb.427:                              ;   in Loop: Header=BB43_418 Depth=1
	s_or_b32 exec_lo, exec_lo, s22
	s_orn2_b32 s22, s21, exec_lo
.LBB43_428:                             ;   in Loop: Header=BB43_418 Depth=1
	s_or_b32 exec_lo, exec_lo, s20
	s_mov_b32 s20, -1
	s_and_saveexec_b32 s21, s22
	s_cbranch_execz .LBB43_417
; %bb.429:                              ;   in Loop: Header=BB43_418 Depth=1
	v_cmp_le_u32_e64 s3, s12, v9
	v_add_nc_u32_e32 v7, s44, v7
	s_xor_b32 s20, exec_lo, -1
	s_orn2_b32 s4, s3, exec_lo
	s_branch .LBB43_417
.LBB43_430:
	s_or_b32 exec_lo, exec_lo, s18
	s_mov_b32 s3, exec_lo
	s_orn2_b32 s18, s19, exec_lo
	s_or_b32 exec_lo, exec_lo, s17
	s_and_saveexec_b32 s4, s18
	s_cbranch_execz .LBB43_407
.LBB43_431:
	s_waitcnt vmcnt(0)
	v_mov_b32_e32 v1, 0
	v_mov_b32_e32 v2, 0
	s_waitcnt lgkmcnt(0)
	s_waitcnt_vscnt null, 0x0
	s_barrier
	buffer_gl0_inv
	s_and_saveexec_b32 s1, s2
	s_cbranch_execz .LBB43_433
; %bb.432:
	global_load_dwordx2 v[1:2], v[10:11], off
.LBB43_433:
	s_or_b32 exec_lo, exec_lo, s1
	s_mov_b32 s1, 0
	s_and_saveexec_b32 s2, vcc_lo
	s_cbranch_execz .LBB43_453
; %bb.434:
	v_add_nc_u32_e32 v5, s42, v0
	v_mov_b32_e32 v6, 0
	s_mov_b32 s5, 0
                                        ; implicit-def: $sgpr17
                                        ; implicit-def: $vgpr10
	v_mul_lo_u32 v5, s30, v5
	s_branch .LBB43_437
.LBB43_435:                             ;   in Loop: Header=BB43_437 Depth=1
	s_or_b32 exec_lo, exec_lo, s19
	s_orn2_b32 s20, s21, exec_lo
	s_orn2_b32 s18, s18, exec_lo
.LBB43_436:                             ;   in Loop: Header=BB43_437 Depth=1
	s_or_b32 exec_lo, exec_lo, s1
	s_xor_b32 s1, s20, -1
	s_and_b32 s18, exec_lo, s18
	v_mov_b32_e32 v1, v7
	v_mov_b32_e32 v0, v9
	s_or_b32 s5, s18, s5
	v_mov_b32_e32 v2, v8
	s_andn2_b32 s17, s17, exec_lo
	s_and_b32 s1, s1, exec_lo
	s_or_b32 s17, s17, s1
	s_andn2_b32 exec_lo, exec_lo, s5
	s_cbranch_execz .LBB43_451
.LBB43_437:                             ; =>This Inner Loop Header: Depth=1
	v_mov_b32_e32 v7, 0
	v_add_nc_u32_e32 v9, s42, v0
	v_mov_b32_e32 v8, 0
	s_mov_b32 s1, exec_lo
	v_cmpx_gt_u32_e64 s36, v9
	s_cbranch_execz .LBB43_439
; %bb.438:                              ;   in Loop: Header=BB43_437 Depth=1
	v_lshlrev_b64 v[7:8], 3, v[5:6]
	v_add_co_u32 v7, vcc_lo, s31, v7
	v_add_co_ci_u32_e64 v8, null, s33, v8, vcc_lo
	global_load_dwordx2 v[7:8], v[7:8], off
.LBB43_439:                             ;   in Loop: Header=BB43_437 Depth=1
	s_or_b32 exec_lo, exec_lo, s1
	s_waitcnt vmcnt(0)
	v_cmp_eq_u64_e32 vcc_lo, v[1:2], v[3:4]
	v_cmp_gt_u32_e64 s1, s36, v0
	s_and_b32 s19, s1, vcc_lo
	v_cndmask_b32_e64 v1, 0, 1, s19
	v_cmp_ne_u32_e32 vcc_lo, 0, v1
	s_cmp_lg_u32 vcc_lo, 0
	s_cselect_b32 s1, -1, 0
	s_and_b32 s1, s0, s1
	s_and_saveexec_b32 s18, s1
	s_cbranch_execz .LBB43_443
; %bb.440:                              ;   in Loop: Header=BB43_437 Depth=1
	s_mov_b32 s22, exec_lo
	s_bcnt1_i32_b32 s20, vcc_lo
	v_mbcnt_lo_u32_b32 v1, s22, 0
	s_mov_b32 s21, exec_lo
                                        ; implicit-def: $vgpr2
	v_cmpx_eq_u32_e32 0, v1
; %bb.441:                              ;   in Loop: Header=BB43_437 Depth=1
	s_bcnt1_i32_b32 s1, s22
	s_mul_i32 s1, s20, s1
	v_mov_b32_e32 v2, s1
	ds_add_rtn_u32 v2, v6, v2 offset:4108
; %bb.442:                              ;   in Loop: Header=BB43_437 Depth=1
	s_or_b32 exec_lo, exec_lo, s21
	s_waitcnt lgkmcnt(0)
	v_readfirstlane_b32 s1, v2
	v_mad_u32_u24 v10, s20, v1, s1
.LBB43_443:                             ;   in Loop: Header=BB43_437 Depth=1
	s_or_b32 exec_lo, exec_lo, s18
	ds_bpermute_b32 v10, v6, v10
	s_cmp_eq_u32 vcc_lo, 0
	s_mov_b32 s18, -1
	s_cselect_b32 s20, -1, 0
	s_waitcnt lgkmcnt(0)
	v_cmp_gt_u32_e64 s1, s37, v10
	s_or_b32 s21, s20, s1
	s_mov_b32 s20, -1
	s_and_saveexec_b32 s1, s21
	s_cbranch_execz .LBB43_436
; %bb.444:                              ;   in Loop: Header=BB43_437 Depth=1
	v_and_b32_e32 v1, vcc_lo, v26
	v_sub_nc_u32_e32 v2, s37, v10
	s_mov_b32 s21, -1
	v_bcnt_u32_b32 v1, v1, 0
	v_bcnt_u32_b32 v1, 0, v1
	v_cmp_gt_u32_e32 vcc_lo, v2, v1
	s_and_b32 s22, s19, vcc_lo
	s_and_saveexec_b32 s19, s22
	s_cbranch_execz .LBB43_448
; %bb.445:                              ;   in Loop: Header=BB43_437 Depth=1
	v_add_nc_u32_e32 v1, v10, v1
	s_mov_b32 s20, 0
	s_mov_b32 s21, exec_lo
	v_cmpx_gt_u32_e64 s37, v1
; %bb.446:                              ;   in Loop: Header=BB43_437 Depth=1
	v_mul_lo_u32 v11, v1, s10
	v_mul_lo_u32 v13, v1, s11
	v_mov_b32_e32 v12, v6
	v_mov_b32_e32 v14, v6
	;; [unrolled: 1-line block ×3, first 2 shown]
	s_mov_b32 s20, exec_lo
	v_lshlrev_b64 v[11:12], 3, v[11:12]
	v_lshlrev_b64 v[13:14], 3, v[13:14]
	v_add_co_u32 v11, vcc_lo, s13, v11
	v_add_co_ci_u32_e64 v12, null, s14, v12, vcc_lo
	v_add_co_u32 v13, vcc_lo, s15, v13
	v_add_co_ci_u32_e64 v14, null, s16, v14, vcc_lo
	global_store_dwordx2 v[11:12], v[3:4], off
	global_store_dwordx2 v[13:14], v[0:1], off
; %bb.447:                              ;   in Loop: Header=BB43_437 Depth=1
	s_or_b32 exec_lo, exec_lo, s21
	s_xor_b32 s21, exec_lo, -1
	s_orn2_b32 s20, s20, exec_lo
.LBB43_448:                             ;   in Loop: Header=BB43_437 Depth=1
	s_or_b32 exec_lo, exec_lo, s19
	s_and_saveexec_b32 s19, s20
	s_cbranch_execz .LBB43_435
; %bb.449:                              ;   in Loop: Header=BB43_437 Depth=1
	v_cmp_le_u32_e32 vcc_lo, s12, v9
	v_add_nc_u32_e32 v5, s44, v5
	s_or_b32 s21, s21, exec_lo
	s_orn2_b32 s18, vcc_lo, exec_lo
	s_branch .LBB43_435
.LBB43_450:
	s_or_b32 s8, s8, exec_lo
	s_trap 2
	s_branch .LBB43_414
.LBB43_451:
	s_or_b32 exec_lo, exec_lo, s5
	s_mov_b32 s0, 0
	s_and_saveexec_b32 s1, s17
	s_xor_b32 s1, exec_lo, s1
	s_cbranch_execnz .LBB43_457
.LBB43_452:
	s_or_b32 exec_lo, exec_lo, s1
	s_and_b32 s1, s0, exec_lo
.LBB43_453:
	s_or_b32 exec_lo, exec_lo, s2
	s_and_b32 s5, s1, exec_lo
	s_andn2_b32 s3, s3, exec_lo
	s_or_b32 exec_lo, exec_lo, s4
	s_and_saveexec_b32 s0, s3
	s_xor_b32 s0, exec_lo, s0
	s_cbranch_execz .LBB43_408
.LBB43_454:
	s_or_b32 s5, s5, exec_lo
	s_trap 2
	s_branch .LBB43_408
.LBB43_455:
	s_or_b32 s11, s11, exec_lo
	s_trap 2
	s_branch .LBB43_412
.LBB43_456:
	s_or_b32 s11, s11, exec_lo
	s_trap 2
	s_branch .LBB43_410
.LBB43_457:
	s_mov_b32 s0, exec_lo
	s_trap 2
	s_branch .LBB43_452
	.section	.rodata,"a",@progbits
	.p2align	6, 0x0
	.amdhsa_kernel _ZN2at6native6sbtopk10gatherTopKIljLi1ELb0EEEvNS_4cuda6detail10TensorInfoIKT_T0_EES8_S8_bS8_S8_NS5_IS6_S8_EES8_NS5_IlS8_EES8_PS6_
		.amdhsa_group_segment_fixed_size 4112
		.amdhsa_private_segment_fixed_size 0
		.amdhsa_kernarg_size 952
		.amdhsa_user_sgpr_count 6
		.amdhsa_user_sgpr_private_segment_buffer 1
		.amdhsa_user_sgpr_dispatch_ptr 0
		.amdhsa_user_sgpr_queue_ptr 0
		.amdhsa_user_sgpr_kernarg_segment_ptr 1
		.amdhsa_user_sgpr_dispatch_id 0
		.amdhsa_user_sgpr_flat_scratch_init 0
		.amdhsa_user_sgpr_private_segment_size 0
		.amdhsa_wavefront_size32 1
		.amdhsa_uses_dynamic_stack 0
		.amdhsa_system_sgpr_private_segment_wavefront_offset 0
		.amdhsa_system_sgpr_workgroup_id_x 1
		.amdhsa_system_sgpr_workgroup_id_y 1
		.amdhsa_system_sgpr_workgroup_id_z 1
		.amdhsa_system_sgpr_workgroup_info 0
		.amdhsa_system_vgpr_workitem_id 0
		.amdhsa_next_free_vgpr 54
		.amdhsa_next_free_sgpr 92
		.amdhsa_reserve_vcc 1
		.amdhsa_reserve_flat_scratch 0
		.amdhsa_float_round_mode_32 0
		.amdhsa_float_round_mode_16_64 0
		.amdhsa_float_denorm_mode_32 3
		.amdhsa_float_denorm_mode_16_64 3
		.amdhsa_dx10_clamp 1
		.amdhsa_ieee_mode 1
		.amdhsa_fp16_overflow 0
		.amdhsa_workgroup_processor_mode 1
		.amdhsa_memory_ordered 1
		.amdhsa_forward_progress 1
		.amdhsa_shared_vgpr_count 0
		.amdhsa_exception_fp_ieee_invalid_op 0
		.amdhsa_exception_fp_denorm_src 0
		.amdhsa_exception_fp_ieee_div_zero 0
		.amdhsa_exception_fp_ieee_overflow 0
		.amdhsa_exception_fp_ieee_underflow 0
		.amdhsa_exception_fp_ieee_inexact 0
		.amdhsa_exception_int_div_zero 0
	.end_amdhsa_kernel
	.section	.text._ZN2at6native6sbtopk10gatherTopKIljLi1ELb0EEEvNS_4cuda6detail10TensorInfoIKT_T0_EES8_S8_bS8_S8_NS5_IS6_S8_EES8_NS5_IlS8_EES8_PS6_,"axG",@progbits,_ZN2at6native6sbtopk10gatherTopKIljLi1ELb0EEEvNS_4cuda6detail10TensorInfoIKT_T0_EES8_S8_bS8_S8_NS5_IS6_S8_EES8_NS5_IlS8_EES8_PS6_,comdat
.Lfunc_end43:
	.size	_ZN2at6native6sbtopk10gatherTopKIljLi1ELb0EEEvNS_4cuda6detail10TensorInfoIKT_T0_EES8_S8_bS8_S8_NS5_IS6_S8_EES8_NS5_IlS8_EES8_PS6_, .Lfunc_end43-_ZN2at6native6sbtopk10gatherTopKIljLi1ELb0EEEvNS_4cuda6detail10TensorInfoIKT_T0_EES8_S8_bS8_S8_NS5_IS6_S8_EES8_NS5_IlS8_EES8_PS6_
                                        ; -- End function
	.set _ZN2at6native6sbtopk10gatherTopKIljLi1ELb0EEEvNS_4cuda6detail10TensorInfoIKT_T0_EES8_S8_bS8_S8_NS5_IS6_S8_EES8_NS5_IlS8_EES8_PS6_.num_vgpr, 54
	.set _ZN2at6native6sbtopk10gatherTopKIljLi1ELb0EEEvNS_4cuda6detail10TensorInfoIKT_T0_EES8_S8_bS8_S8_NS5_IS6_S8_EES8_NS5_IlS8_EES8_PS6_.num_agpr, 0
	.set _ZN2at6native6sbtopk10gatherTopKIljLi1ELb0EEEvNS_4cuda6detail10TensorInfoIKT_T0_EES8_S8_bS8_S8_NS5_IS6_S8_EES8_NS5_IlS8_EES8_PS6_.numbered_sgpr, 92
	.set _ZN2at6native6sbtopk10gatherTopKIljLi1ELb0EEEvNS_4cuda6detail10TensorInfoIKT_T0_EES8_S8_bS8_S8_NS5_IS6_S8_EES8_NS5_IlS8_EES8_PS6_.num_named_barrier, 0
	.set _ZN2at6native6sbtopk10gatherTopKIljLi1ELb0EEEvNS_4cuda6detail10TensorInfoIKT_T0_EES8_S8_bS8_S8_NS5_IS6_S8_EES8_NS5_IlS8_EES8_PS6_.private_seg_size, 0
	.set _ZN2at6native6sbtopk10gatherTopKIljLi1ELb0EEEvNS_4cuda6detail10TensorInfoIKT_T0_EES8_S8_bS8_S8_NS5_IS6_S8_EES8_NS5_IlS8_EES8_PS6_.uses_vcc, 1
	.set _ZN2at6native6sbtopk10gatherTopKIljLi1ELb0EEEvNS_4cuda6detail10TensorInfoIKT_T0_EES8_S8_bS8_S8_NS5_IS6_S8_EES8_NS5_IlS8_EES8_PS6_.uses_flat_scratch, 0
	.set _ZN2at6native6sbtopk10gatherTopKIljLi1ELb0EEEvNS_4cuda6detail10TensorInfoIKT_T0_EES8_S8_bS8_S8_NS5_IS6_S8_EES8_NS5_IlS8_EES8_PS6_.has_dyn_sized_stack, 0
	.set _ZN2at6native6sbtopk10gatherTopKIljLi1ELb0EEEvNS_4cuda6detail10TensorInfoIKT_T0_EES8_S8_bS8_S8_NS5_IS6_S8_EES8_NS5_IlS8_EES8_PS6_.has_recursion, 0
	.set _ZN2at6native6sbtopk10gatherTopKIljLi1ELb0EEEvNS_4cuda6detail10TensorInfoIKT_T0_EES8_S8_bS8_S8_NS5_IS6_S8_EES8_NS5_IlS8_EES8_PS6_.has_indirect_call, 0
	.section	.AMDGPU.csdata,"",@progbits
; Kernel info:
; codeLenInByte = 14972
; TotalNumSgprs: 94
; NumVgprs: 54
; ScratchSize: 0
; MemoryBound: 0
; FloatMode: 240
; IeeeMode: 1
; LDSByteSize: 4112 bytes/workgroup (compile time only)
; SGPRBlocks: 0
; VGPRBlocks: 6
; NumSGPRsForWavesPerEU: 94
; NumVGPRsForWavesPerEU: 54
; Occupancy: 16
; WaveLimiterHint : 1
; COMPUTE_PGM_RSRC2:SCRATCH_EN: 0
; COMPUTE_PGM_RSRC2:USER_SGPR: 6
; COMPUTE_PGM_RSRC2:TRAP_HANDLER: 0
; COMPUTE_PGM_RSRC2:TGID_X_EN: 1
; COMPUTE_PGM_RSRC2:TGID_Y_EN: 1
; COMPUTE_PGM_RSRC2:TGID_Z_EN: 1
; COMPUTE_PGM_RSRC2:TIDIG_COMP_CNT: 0
	.section	.text._ZN2at6native6mbtopk23computeBlockDigitCountsIljmLi2EEEvNS_4cuda6detail10TensorInfoIKT_T0_EEjPjjS8_iijT1_PSB_Ps,"axG",@progbits,_ZN2at6native6mbtopk23computeBlockDigitCountsIljmLi2EEEvNS_4cuda6detail10TensorInfoIKT_T0_EEjPjjS8_iijT1_PSB_Ps,comdat
	.protected	_ZN2at6native6mbtopk23computeBlockDigitCountsIljmLi2EEEvNS_4cuda6detail10TensorInfoIKT_T0_EEjPjjS8_iijT1_PSB_Ps ; -- Begin function _ZN2at6native6mbtopk23computeBlockDigitCountsIljmLi2EEEvNS_4cuda6detail10TensorInfoIKT_T0_EEjPjjS8_iijT1_PSB_Ps
	.globl	_ZN2at6native6mbtopk23computeBlockDigitCountsIljmLi2EEEvNS_4cuda6detail10TensorInfoIKT_T0_EEjPjjS8_iijT1_PSB_Ps
	.p2align	8
	.type	_ZN2at6native6mbtopk23computeBlockDigitCountsIljmLi2EEEvNS_4cuda6detail10TensorInfoIKT_T0_EEjPjjS8_iijT1_PSB_Ps,@function
_ZN2at6native6mbtopk23computeBlockDigitCountsIljmLi2EEEvNS_4cuda6detail10TensorInfoIKT_T0_EEjPjjS8_iijT1_PSB_Ps: ; @_ZN2at6native6mbtopk23computeBlockDigitCountsIljmLi2EEEvNS_4cuda6detail10TensorInfoIKT_T0_EEjPjjS8_iijT1_PSB_Ps
; %bb.0:
	s_clause 0x2
	s_load_dword s18, s[4:5], 0xf8
	s_load_dwordx4 s[0:3], s[4:5], 0xe8
	s_load_dwordx2 s[10:11], s[4:5], 0x118
	s_mov_b32 s13, 0
	s_waitcnt lgkmcnt(0)
	v_cvt_f32_u32_e32 v1, s18
	s_mul_i32 s8, s11, s8
	s_sub_i32 s11, 0, s18
	s_add_i32 s7, s8, s7
	v_rcp_iflag_f32_e32 v1, v1
	s_mul_i32 s16, s7, s10
	s_add_i32 s16, s16, s6
	v_mul_f32_e32 v1, 0x4f7ffffe, v1
	v_cvt_u32_f32_e32 v1, v1
	v_readfirstlane_b32 s9, v1
	s_mul_i32 s11, s11, s9
	s_mul_hi_u32 s7, s9, s11
	s_add_i32 s9, s9, s7
	s_mul_hi_u32 s6, s16, s9
	s_mul_i32 s7, s6, s18
	s_add_i32 s8, s6, 1
	s_sub_i32 s7, s16, s7
	s_sub_i32 s9, s7, s18
	s_cmp_ge_u32 s7, s18
	s_cselect_b32 s6, s8, s6
	s_cselect_b32 s7, s9, s7
	s_add_i32 s8, s6, 1
	s_cmp_ge_u32 s7, s18
	s_cselect_b32 s12, s8, s6
	s_cmp_ge_u32 s12, s0
	s_cbranch_scc1 .LBB44_27
; %bb.1:
	s_clause 0x2
	s_load_dword s0, s[4:5], 0xc
	s_load_dwordx4 s[8:11], s[4:5], 0x100
	s_load_dwordx2 s[6:7], s[4:5], 0x110
	s_lshl_b64 s[14:15], s[12:13], 3
	v_cmp_gt_u32_e32 vcc_lo, 0x100, v0
	v_lshlrev_b32_e32 v5, 2, v0
	s_waitcnt lgkmcnt(0)
	s_add_u32 s14, s10, s14
	v_cvt_f32_u32_e32 v1, s0
	s_addc_u32 s15, s11, s15
	v_rcp_iflag_f32_e32 v1, v1
	v_mul_f32_e32 v1, 0x4f7ffffe, v1
	v_cvt_u32_f32_e32 v1, v1
	v_readfirstlane_b32 s19, v1
	s_and_saveexec_b32 s10, vcc_lo
; %bb.2:
	v_mov_b32_e32 v1, 0
	ds_write_b32 v5, v1
; %bb.3:
	s_or_b32 exec_lo, exec_lo, s10
	s_load_dword s13, s[4:5], 0xd8
	s_mul_i32 s10, s12, s18
	s_waitcnt lgkmcnt(0)
	s_sub_i32 s10, s16, s10
	s_barrier
	s_mul_i32 s11, s3, s10
	s_add_i32 s20, s10, 1
	s_lshl_b32 s17, s11, 8
	buffer_gl0_inv
	s_sub_i32 s11, s13, s17
	s_add_u32 s10, s11, 0xff
	s_addc_u32 s11, 0, 0
	s_lshr_b64 s[10:11], s[10:11], 8
	s_cmp_lt_u32 s20, s18
	s_mov_b32 s11, 0
	s_cselect_b32 s18, s3, s10
	s_cmp_lt_i32 s18, 1
	s_cbranch_scc1 .LBB44_25
; %bb.4:
	s_sub_i32 s3, 0, s0
	s_clause 0x1
	s_load_dwordx2 s[20:21], s[4:5], 0x6c
	s_load_dwordx2 s[22:23], s[4:5], 0x0
	s_mul_i32 s3, s3, s19
	s_load_dwordx2 s[4:5], s[14:15], 0x0
	s_mul_hi_u32 s3, s19, s3
	s_add_i32 s19, s19, s3
	s_mul_hi_u32 s3, s12, s19
	s_mul_i32 s10, s3, s0
	s_add_i32 s19, s3, 1
	s_sub_i32 s10, s12, s10
	s_sub_i32 s24, s10, s0
	s_cmp_ge_u32 s10, s0
	s_cselect_b32 s3, s19, s3
	s_cselect_b32 s10, s24, s10
	s_add_i32 s14, s3, 1
	s_cmp_ge_u32 s10, s0
	s_cselect_b32 s3, s14, s3
	s_mul_i32 s0, s3, s0
	s_waitcnt lgkmcnt(0)
	s_mul_i32 s3, s3, s20
	s_sub_i32 s0, s12, s0
	s_mul_i32 s0, s0, s21
	s_add_i32 s10, s3, s0
	s_lshl_b64 s[14:15], s[10:11], 3
	s_add_u32 s3, s22, s14
	s_addc_u32 s10, s23, s15
	s_and_b32 s2, s2, 0xff
	s_cmp_lt_u32 s18, 4
	s_cbranch_scc1 .LBB44_19
; %bb.5:
	v_add_nc_u32_e32 v1, s17, v0
	v_mov_b32_e32 v11, 1
	v_mov_b32_e32 v12, 2
	s_and_b32 s11, s18, 0x7ffffffc
	s_lshl_b32 s12, s1, 10
	v_add_nc_u32_e32 v6, 0x300, v1
	v_add_nc_u32_e32 v2, 0x200, v1
	;; [unrolled: 1-line block ×3, first 2 shown]
	v_mul_lo_u32 v10, s1, v1
	s_mov_b32 s14, 0
	v_mul_lo_u32 v7, s1, v6
	v_mul_lo_u32 v8, s1, v2
	;; [unrolled: 1-line block ×3, first 2 shown]
	v_mov_b32_e32 v2, 0
	s_mov_b32 s15, 0
	s_branch .LBB44_7
.LBB44_6:                               ;   in Loop: Header=BB44_7 Depth=1
	s_or_b32 exec_lo, exec_lo, s19
	v_add_nc_u32_e32 v6, 0x400, v6
	s_add_i32 s15, s15, 4
	s_add_i32 s14, s14, s12
	s_cmp_eq_u32 s11, s15
	s_cbranch_scc1 .LBB44_19
.LBB44_7:                               ; =>This Inner Loop Header: Depth=1
	v_add_nc_u32_e32 v1, 0xfffffd00, v6
	s_mov_b32 s19, exec_lo
	v_cmpx_gt_u32_e64 s13, v1
	s_cbranch_execz .LBB44_10
; %bb.8:                                ;   in Loop: Header=BB44_7 Depth=1
	v_add_nc_u32_e32 v1, s14, v10
	v_lshlrev_b64 v[3:4], 3, v[1:2]
	v_add_co_u32 v3, s0, s3, v3
	v_add_co_ci_u32_e64 v4, null, s10, v4, s0
	global_load_dwordx2 v[3:4], v[3:4], off
	s_waitcnt vmcnt(0)
	v_xor_b32_e32 v4, 0x80000000, v4
	v_xor_b32_e32 v13, s4, v3
	;; [unrolled: 1-line block ×3, first 2 shown]
	v_and_b32_e32 v13, s8, v13
	v_and_b32_e32 v14, s9, v1
	v_cmp_eq_u64_e64 s0, 0, v[13:14]
	s_and_b32 exec_lo, exec_lo, s0
; %bb.9:                                ;   in Loop: Header=BB44_7 Depth=1
	v_lshrrev_b64 v[3:4], s2, v[3:4]
	v_lshlrev_b32_sdwa v1, v12, v3 dst_sel:DWORD dst_unused:UNUSED_PAD src0_sel:DWORD src1_sel:BYTE_0
	ds_add_u32 v1, v11
.LBB44_10:                              ;   in Loop: Header=BB44_7 Depth=1
	s_or_b32 exec_lo, exec_lo, s19
	v_add_nc_u32_e32 v1, 0xfffffe00, v6
	s_mov_b32 s19, exec_lo
	v_cmpx_gt_u32_e64 s13, v1
	s_cbranch_execz .LBB44_13
; %bb.11:                               ;   in Loop: Header=BB44_7 Depth=1
	v_add_nc_u32_e32 v1, s14, v9
	v_lshlrev_b64 v[3:4], 3, v[1:2]
	v_add_co_u32 v3, s0, s3, v3
	v_add_co_ci_u32_e64 v4, null, s10, v4, s0
	global_load_dwordx2 v[3:4], v[3:4], off
	s_waitcnt vmcnt(0)
	v_xor_b32_e32 v4, 0x80000000, v4
	v_xor_b32_e32 v13, s4, v3
	;; [unrolled: 1-line block ×3, first 2 shown]
	v_and_b32_e32 v13, s8, v13
	v_and_b32_e32 v14, s9, v1
	v_cmp_eq_u64_e64 s0, 0, v[13:14]
	s_and_b32 exec_lo, exec_lo, s0
; %bb.12:                               ;   in Loop: Header=BB44_7 Depth=1
	v_lshrrev_b64 v[3:4], s2, v[3:4]
	v_lshlrev_b32_sdwa v1, v12, v3 dst_sel:DWORD dst_unused:UNUSED_PAD src0_sel:DWORD src1_sel:BYTE_0
	ds_add_u32 v1, v11
.LBB44_13:                              ;   in Loop: Header=BB44_7 Depth=1
	s_or_b32 exec_lo, exec_lo, s19
	v_add_nc_u32_e32 v1, 0xffffff00, v6
	s_mov_b32 s19, exec_lo
	v_cmpx_gt_u32_e64 s13, v1
	s_cbranch_execz .LBB44_16
; %bb.14:                               ;   in Loop: Header=BB44_7 Depth=1
	v_add_nc_u32_e32 v1, s14, v8
	v_lshlrev_b64 v[3:4], 3, v[1:2]
	v_add_co_u32 v3, s0, s3, v3
	v_add_co_ci_u32_e64 v4, null, s10, v4, s0
	global_load_dwordx2 v[3:4], v[3:4], off
	s_waitcnt vmcnt(0)
	v_xor_b32_e32 v4, 0x80000000, v4
	v_xor_b32_e32 v13, s4, v3
	;; [unrolled: 1-line block ×3, first 2 shown]
	v_and_b32_e32 v13, s8, v13
	v_and_b32_e32 v14, s9, v1
	v_cmp_eq_u64_e64 s0, 0, v[13:14]
	s_and_b32 exec_lo, exec_lo, s0
; %bb.15:                               ;   in Loop: Header=BB44_7 Depth=1
	v_lshrrev_b64 v[3:4], s2, v[3:4]
	v_lshlrev_b32_sdwa v1, v12, v3 dst_sel:DWORD dst_unused:UNUSED_PAD src0_sel:DWORD src1_sel:BYTE_0
	ds_add_u32 v1, v11
.LBB44_16:                              ;   in Loop: Header=BB44_7 Depth=1
	s_or_b32 exec_lo, exec_lo, s19
	s_mov_b32 s19, exec_lo
	v_cmpx_gt_u32_e64 s13, v6
	s_cbranch_execz .LBB44_6
; %bb.17:                               ;   in Loop: Header=BB44_7 Depth=1
	v_add_nc_u32_e32 v1, s14, v7
	v_lshlrev_b64 v[3:4], 3, v[1:2]
	v_add_co_u32 v3, s0, s3, v3
	v_add_co_ci_u32_e64 v4, null, s10, v4, s0
	global_load_dwordx2 v[3:4], v[3:4], off
	s_waitcnt vmcnt(0)
	v_xor_b32_e32 v4, 0x80000000, v4
	v_xor_b32_e32 v13, s4, v3
	v_xor_b32_e32 v1, s5, v4
	v_and_b32_e32 v13, s8, v13
	v_and_b32_e32 v14, s9, v1
	v_cmp_eq_u64_e64 s0, 0, v[13:14]
	s_and_b32 exec_lo, exec_lo, s0
	s_cbranch_execz .LBB44_6
; %bb.18:                               ;   in Loop: Header=BB44_7 Depth=1
	v_lshrrev_b64 v[3:4], s2, v[3:4]
	v_lshlrev_b32_sdwa v1, v12, v3 dst_sel:DWORD dst_unused:UNUSED_PAD src0_sel:DWORD src1_sel:BYTE_0
	ds_add_u32 v1, v11
	s_branch .LBB44_6
.LBB44_19:
	s_and_b32 s12, s18, 3
	s_cmp_eq_u32 s12, 0
	s_cbranch_scc1 .LBB44_25
; %bb.20:
	s_lshl_b32 s0, s11, 8
	v_mov_b32_e32 v2, 0
	v_add3_u32 v6, s0, s17, v0
	v_mov_b32_e32 v7, 1
	v_mov_b32_e32 v8, 2
	v_mul_lo_u32 v1, s1, v6
	s_lshl_b32 s1, s1, 8
	s_inst_prefetch 0x1
	s_branch .LBB44_22
	.p2align	6
.LBB44_21:                              ;   in Loop: Header=BB44_22 Depth=1
	s_or_b32 exec_lo, exec_lo, s11
	v_add_nc_u32_e32 v1, s1, v1
	v_add_nc_u32_e32 v6, 0x100, v6
	s_add_i32 s12, s12, -1
	s_cmp_lg_u32 s12, 0
	s_cbranch_scc0 .LBB44_25
.LBB44_22:                              ; =>This Inner Loop Header: Depth=1
	s_mov_b32 s11, exec_lo
	v_cmpx_gt_u32_e64 s13, v6
	s_cbranch_execz .LBB44_21
; %bb.23:                               ;   in Loop: Header=BB44_22 Depth=1
	v_lshlrev_b64 v[3:4], 3, v[1:2]
	v_add_co_u32 v3, s0, s3, v3
	v_add_co_ci_u32_e64 v4, null, s10, v4, s0
	global_load_dwordx2 v[3:4], v[3:4], off
	s_waitcnt vmcnt(0)
	v_xor_b32_e32 v4, 0x80000000, v4
	v_xor_b32_e32 v11, s4, v3
	v_xor_b32_e32 v9, s5, v4
	v_and_b32_e32 v10, s9, v9
	v_and_b32_e32 v9, s8, v11
	v_cmp_eq_u64_e64 s0, 0, v[9:10]
	s_and_b32 exec_lo, exec_lo, s0
	s_cbranch_execz .LBB44_21
; %bb.24:                               ;   in Loop: Header=BB44_22 Depth=1
	v_lshrrev_b64 v[3:4], s2, v[3:4]
	v_lshlrev_b32_sdwa v3, v8, v3 dst_sel:DWORD dst_unused:UNUSED_PAD src0_sel:DWORD src1_sel:BYTE_0
	ds_add_u32 v3, v7
	s_branch .LBB44_21
.LBB44_25:
	s_inst_prefetch 0x2
	s_waitcnt lgkmcnt(0)
	s_barrier
	buffer_gl0_inv
	s_and_saveexec_b32 s0, vcc_lo
	s_cbranch_execz .LBB44_27
; %bb.26:
	ds_read_b32 v2, v5
	v_lshl_or_b32 v0, s16, 8, v0
	v_mov_b32_e32 v1, 0
	v_lshlrev_b64 v[0:1], 1, v[0:1]
	v_add_co_u32 v0, vcc_lo, s6, v0
	v_add_co_ci_u32_e64 v1, null, s7, v1, vcc_lo
	s_waitcnt lgkmcnt(0)
	global_store_short v[0:1], v2, off
.LBB44_27:
	s_endpgm
	.section	.rodata,"a",@progbits
	.p2align	6, 0x0
	.amdhsa_kernel _ZN2at6native6mbtopk23computeBlockDigitCountsIljmLi2EEEvNS_4cuda6detail10TensorInfoIKT_T0_EEjPjjS8_iijT1_PSB_Ps
		.amdhsa_group_segment_fixed_size 1024
		.amdhsa_private_segment_fixed_size 0
		.amdhsa_kernarg_size 536
		.amdhsa_user_sgpr_count 6
		.amdhsa_user_sgpr_private_segment_buffer 1
		.amdhsa_user_sgpr_dispatch_ptr 0
		.amdhsa_user_sgpr_queue_ptr 0
		.amdhsa_user_sgpr_kernarg_segment_ptr 1
		.amdhsa_user_sgpr_dispatch_id 0
		.amdhsa_user_sgpr_flat_scratch_init 0
		.amdhsa_user_sgpr_private_segment_size 0
		.amdhsa_wavefront_size32 1
		.amdhsa_uses_dynamic_stack 0
		.amdhsa_system_sgpr_private_segment_wavefront_offset 0
		.amdhsa_system_sgpr_workgroup_id_x 1
		.amdhsa_system_sgpr_workgroup_id_y 1
		.amdhsa_system_sgpr_workgroup_id_z 1
		.amdhsa_system_sgpr_workgroup_info 0
		.amdhsa_system_vgpr_workitem_id 0
		.amdhsa_next_free_vgpr 15
		.amdhsa_next_free_sgpr 25
		.amdhsa_reserve_vcc 1
		.amdhsa_reserve_flat_scratch 0
		.amdhsa_float_round_mode_32 0
		.amdhsa_float_round_mode_16_64 0
		.amdhsa_float_denorm_mode_32 3
		.amdhsa_float_denorm_mode_16_64 3
		.amdhsa_dx10_clamp 1
		.amdhsa_ieee_mode 1
		.amdhsa_fp16_overflow 0
		.amdhsa_workgroup_processor_mode 1
		.amdhsa_memory_ordered 1
		.amdhsa_forward_progress 1
		.amdhsa_shared_vgpr_count 0
		.amdhsa_exception_fp_ieee_invalid_op 0
		.amdhsa_exception_fp_denorm_src 0
		.amdhsa_exception_fp_ieee_div_zero 0
		.amdhsa_exception_fp_ieee_overflow 0
		.amdhsa_exception_fp_ieee_underflow 0
		.amdhsa_exception_fp_ieee_inexact 0
		.amdhsa_exception_int_div_zero 0
	.end_amdhsa_kernel
	.section	.text._ZN2at6native6mbtopk23computeBlockDigitCountsIljmLi2EEEvNS_4cuda6detail10TensorInfoIKT_T0_EEjPjjS8_iijT1_PSB_Ps,"axG",@progbits,_ZN2at6native6mbtopk23computeBlockDigitCountsIljmLi2EEEvNS_4cuda6detail10TensorInfoIKT_T0_EEjPjjS8_iijT1_PSB_Ps,comdat
.Lfunc_end44:
	.size	_ZN2at6native6mbtopk23computeBlockDigitCountsIljmLi2EEEvNS_4cuda6detail10TensorInfoIKT_T0_EEjPjjS8_iijT1_PSB_Ps, .Lfunc_end44-_ZN2at6native6mbtopk23computeBlockDigitCountsIljmLi2EEEvNS_4cuda6detail10TensorInfoIKT_T0_EEjPjjS8_iijT1_PSB_Ps
                                        ; -- End function
	.set _ZN2at6native6mbtopk23computeBlockDigitCountsIljmLi2EEEvNS_4cuda6detail10TensorInfoIKT_T0_EEjPjjS8_iijT1_PSB_Ps.num_vgpr, 15
	.set _ZN2at6native6mbtopk23computeBlockDigitCountsIljmLi2EEEvNS_4cuda6detail10TensorInfoIKT_T0_EEjPjjS8_iijT1_PSB_Ps.num_agpr, 0
	.set _ZN2at6native6mbtopk23computeBlockDigitCountsIljmLi2EEEvNS_4cuda6detail10TensorInfoIKT_T0_EEjPjjS8_iijT1_PSB_Ps.numbered_sgpr, 25
	.set _ZN2at6native6mbtopk23computeBlockDigitCountsIljmLi2EEEvNS_4cuda6detail10TensorInfoIKT_T0_EEjPjjS8_iijT1_PSB_Ps.num_named_barrier, 0
	.set _ZN2at6native6mbtopk23computeBlockDigitCountsIljmLi2EEEvNS_4cuda6detail10TensorInfoIKT_T0_EEjPjjS8_iijT1_PSB_Ps.private_seg_size, 0
	.set _ZN2at6native6mbtopk23computeBlockDigitCountsIljmLi2EEEvNS_4cuda6detail10TensorInfoIKT_T0_EEjPjjS8_iijT1_PSB_Ps.uses_vcc, 1
	.set _ZN2at6native6mbtopk23computeBlockDigitCountsIljmLi2EEEvNS_4cuda6detail10TensorInfoIKT_T0_EEjPjjS8_iijT1_PSB_Ps.uses_flat_scratch, 0
	.set _ZN2at6native6mbtopk23computeBlockDigitCountsIljmLi2EEEvNS_4cuda6detail10TensorInfoIKT_T0_EEjPjjS8_iijT1_PSB_Ps.has_dyn_sized_stack, 0
	.set _ZN2at6native6mbtopk23computeBlockDigitCountsIljmLi2EEEvNS_4cuda6detail10TensorInfoIKT_T0_EEjPjjS8_iijT1_PSB_Ps.has_recursion, 0
	.set _ZN2at6native6mbtopk23computeBlockDigitCountsIljmLi2EEEvNS_4cuda6detail10TensorInfoIKT_T0_EEjPjjS8_iijT1_PSB_Ps.has_indirect_call, 0
	.section	.AMDGPU.csdata,"",@progbits
; Kernel info:
; codeLenInByte = 1452
; TotalNumSgprs: 27
; NumVgprs: 15
; ScratchSize: 0
; MemoryBound: 0
; FloatMode: 240
; IeeeMode: 1
; LDSByteSize: 1024 bytes/workgroup (compile time only)
; SGPRBlocks: 0
; VGPRBlocks: 1
; NumSGPRsForWavesPerEU: 27
; NumVGPRsForWavesPerEU: 15
; Occupancy: 16
; WaveLimiterHint : 1
; COMPUTE_PGM_RSRC2:SCRATCH_EN: 0
; COMPUTE_PGM_RSRC2:USER_SGPR: 6
; COMPUTE_PGM_RSRC2:TRAP_HANDLER: 0
; COMPUTE_PGM_RSRC2:TGID_X_EN: 1
; COMPUTE_PGM_RSRC2:TGID_Y_EN: 1
; COMPUTE_PGM_RSRC2:TGID_Z_EN: 1
; COMPUTE_PGM_RSRC2:TIDIG_COMP_CNT: 0
	.section	.text._ZN2at6native6mbtopk10gatherTopKIljLi2EEEvNS_4cuda6detail10TensorInfoIKT_T0_EES8_S8_bjS8_NS5_IS6_S8_EES8_NS5_IlS8_EES8_jjPS6_PjSD_j,"axG",@progbits,_ZN2at6native6mbtopk10gatherTopKIljLi2EEEvNS_4cuda6detail10TensorInfoIKT_T0_EES8_S8_bjS8_NS5_IS6_S8_EES8_NS5_IlS8_EES8_jjPS6_PjSD_j,comdat
	.protected	_ZN2at6native6mbtopk10gatherTopKIljLi2EEEvNS_4cuda6detail10TensorInfoIKT_T0_EES8_S8_bjS8_NS5_IS6_S8_EES8_NS5_IlS8_EES8_jjPS6_PjSD_j ; -- Begin function _ZN2at6native6mbtopk10gatherTopKIljLi2EEEvNS_4cuda6detail10TensorInfoIKT_T0_EES8_S8_bjS8_NS5_IS6_S8_EES8_NS5_IlS8_EES8_jjPS6_PjSD_j
	.globl	_ZN2at6native6mbtopk10gatherTopKIljLi2EEEvNS_4cuda6detail10TensorInfoIKT_T0_EES8_S8_bjS8_NS5_IS6_S8_EES8_NS5_IlS8_EES8_jjPS6_PjSD_j
	.p2align	8
	.type	_ZN2at6native6mbtopk10gatherTopKIljLi2EEEvNS_4cuda6detail10TensorInfoIKT_T0_EES8_S8_bjS8_NS5_IS6_S8_EES8_NS5_IlS8_EES8_jjPS6_PjSD_j,@function
_ZN2at6native6mbtopk10gatherTopKIljLi2EEEvNS_4cuda6detail10TensorInfoIKT_T0_EES8_S8_bjS8_NS5_IS6_S8_EES8_NS5_IlS8_EES8_jjPS6_PjSD_j: ; @_ZN2at6native6mbtopk10gatherTopKIljLi2EEEvNS_4cuda6detail10TensorInfoIKT_T0_EES8_S8_bjS8_NS5_IS6_S8_EES8_NS5_IlS8_EES8_jjPS6_PjSD_j
; %bb.0:
	s_clause 0x1
	s_load_dwordx2 s[0:1], s[4:5], 0x2d8
	s_load_dword s2, s[4:5], 0x2d0
	s_waitcnt lgkmcnt(0)
	s_mul_i32 s1, s1, s8
	s_add_i32 s1, s1, s7
	s_mul_i32 s0, s1, s0
	s_add_i32 s0, s0, s6
	s_cmp_ge_u32 s0, s2
	s_cbranch_scc1 .LBB45_40
; %bb.1:
	s_clause 0x3
	s_load_dwordx8 s[8:15], s[4:5], 0x2a8
	s_load_dword s39, s[4:5], 0xc
	s_load_dword s38, s[4:5], 0xfc
	;; [unrolled: 1-line block ×3, first 2 shown]
	s_mov_b32 s25, 0
	s_clause 0x4
	s_load_dwordx2 s[20:21], s[4:5], 0xf0
	s_load_dwordx2 s[30:31], s[4:5], 0x6c
	;; [unrolled: 1-line block ×5, first 2 shown]
	s_waitcnt lgkmcnt(0)
	v_cvt_f32_u32_e32 v1, s10
	v_cvt_f32_u32_e32 v2, s39
	;; [unrolled: 1-line block ×4, first 2 shown]
	s_sub_i32 s6, 0, s10
	v_rcp_iflag_f32_e32 v1, v1
	v_rcp_iflag_f32_e32 v2, v2
	;; [unrolled: 1-line block ×4, first 2 shown]
	v_mul_f32_e32 v1, 0x4f7ffffe, v1
	v_cvt_u32_f32_e32 v1, v1
	v_readfirstlane_b32 s1, v1
	v_mul_f32_e32 v1, 0x4f7ffffe, v2
	v_mul_f32_e32 v2, 0x4f7ffffe, v3
	;; [unrolled: 1-line block ×3, first 2 shown]
	s_mul_i32 s6, s6, s1
	v_cvt_u32_f32_e32 v1, v1
	s_mul_hi_u32 s6, s1, s6
	v_cvt_u32_f32_e32 v2, v2
	s_add_i32 s1, s1, s6
	v_cvt_u32_f32_e32 v3, v3
	s_mul_hi_u32 s1, s0, s1
	v_readfirstlane_b32 s17, v1
	s_mul_i32 s6, s1, s10
	s_add_i32 s7, s1, 1
	s_sub_i32 s6, s0, s6
	v_readfirstlane_b32 s18, v2
	s_sub_i32 s11, s6, s10
	s_cmp_ge_u32 s6, s10
	v_readfirstlane_b32 s19, v3
	s_cselect_b32 s1, s7, s1
	s_cselect_b32 s6, s11, s6
	s_add_i32 s7, s1, 1
	s_cmp_ge_u32 s6, s10
	s_cselect_b32 s24, s7, s1
	s_sub_i32 s1, 0, s39
	s_sub_i32 s6, 0, s38
	;; [unrolled: 1-line block ×3, first 2 shown]
	s_mul_i32 s16, s24, s10
	s_mul_i32 s1, s1, s17
	;; [unrolled: 1-line block ×4, first 2 shown]
	s_sub_i32 s11, s0, s16
	s_mul_hi_u32 s0, s17, s1
	s_mul_hi_u32 s1, s18, s28
	;; [unrolled: 1-line block ×3, first 2 shown]
	s_lshl_b64 s[6:7], s[24:25], 3
	s_add_i32 s17, s17, s0
	s_add_i32 s18, s18, s1
	;; [unrolled: 1-line block ×3, first 2 shown]
	s_add_u32 s0, s12, s6
	s_addc_u32 s1, s13, s7
	s_load_dwordx2 s[28:29], s[4:5], 0x23c
	s_load_dwordx2 s[6:7], s[0:1], 0x0
	v_cmp_ne_u32_e64 s0, 0, v0
	v_cmp_eq_u32_e64 s1, 0, v0
	s_mul_hi_u32 s42, s24, s17
	s_mul_hi_u32 s41, s24, s18
	;; [unrolled: 1-line block ×3, first 2 shown]
	s_and_saveexec_b32 s43, s1
	s_cbranch_execz .LBB45_17
; %bb.2:
	s_load_dwordx2 s[12:13], s[4:5], 0x2c8
	s_mov_b32 s17, s25
	s_lshl_b64 s[34:35], s[16:17], 2
	s_add_u32 s16, s14, s34
	s_addc_u32 s17, s15, s35
	s_waitcnt lgkmcnt(0)
	s_add_u32 s18, s12, s34
	s_addc_u32 s19, s13, s35
	s_cmp_lt_u32 s10, 4
	s_cbranch_scc1 .LBB45_14
; %bb.3:
	s_mov_b32 s44, s25
	s_mov_b32 s45, s25
	s_mov_b32 s46, s25
.LBB45_4:                               ; =>This Inner Loop Header: Depth=1
	s_add_u32 s16, s14, s34
	s_addc_u32 s17, s15, s35
	s_add_u32 s36, s12, s34
	s_load_dwordx4 s[16:19], s[16:17], 0x0
	s_addc_u32 s37, s13, s35
	s_cmp_ge_u32 s46, s11
	s_cbranch_scc0 .LBB45_11
; %bb.5:                                ;   in Loop: Header=BB45_4 Depth=1
	s_add_i32 s47, s46, 1
	s_cmp_ge_u32 s47, s11
	s_cbranch_scc0 .LBB45_12
.LBB45_6:                               ;   in Loop: Header=BB45_4 Depth=1
	s_add_i32 s47, s47, 1
	s_cmp_ge_u32 s47, s11
	s_cbranch_scc0 .LBB45_13
.LBB45_7:                               ;   in Loop: Header=BB45_4 Depth=1
	s_add_i32 s47, s47, 1
	s_cmp_ge_u32 s47, s11
	s_cbranch_scc1 .LBB45_9
.LBB45_8:                               ;   in Loop: Header=BB45_4 Depth=1
	s_load_dword s36, s[36:37], 0xc
	s_waitcnt lgkmcnt(0)
	s_add_i32 s25, s25, s19
	s_add_i32 s44, s36, s44
.LBB45_9:                               ;   in Loop: Header=BB45_4 Depth=1
	s_waitcnt lgkmcnt(0)
	s_add_i32 s16, s16, s45
	s_add_i32 s16, s16, s17
	;; [unrolled: 1-line block ×4, first 2 shown]
	s_add_u32 s14, s14, 16
	s_addc_u32 s15, s15, 0
	s_add_u32 s12, s12, 16
	s_addc_u32 s13, s13, 0
	s_add_i32 s37, s47, 4
	s_add_u32 s18, s12, s34
	s_addc_u32 s19, s13, s35
	s_add_u32 s16, s14, s34
	s_addc_u32 s17, s15, s35
	s_add_i32 s36, s47, 1
	s_cmp_ge_u32 s37, s10
	s_cbranch_scc1 .LBB45_15
; %bb.10:                               ;   in Loop: Header=BB45_4 Depth=1
	s_mov_b32 s46, s36
	s_branch .LBB45_4
.LBB45_11:                              ;   in Loop: Header=BB45_4 Depth=1
	s_load_dword s47, s[36:37], 0x0
	s_waitcnt lgkmcnt(0)
	s_add_i32 s25, s16, s25
	s_add_i32 s44, s47, s44
	;; [unrolled: 1-line block ×3, first 2 shown]
	s_cmp_ge_u32 s47, s11
	s_cbranch_scc1 .LBB45_6
.LBB45_12:                              ;   in Loop: Header=BB45_4 Depth=1
	s_load_dword s48, s[36:37], 0x4
	s_waitcnt lgkmcnt(0)
	s_add_i32 s25, s25, s17
	s_add_i32 s44, s48, s44
	s_add_i32 s47, s47, 1
	s_cmp_ge_u32 s47, s11
	s_cbranch_scc1 .LBB45_7
.LBB45_13:                              ;   in Loop: Header=BB45_4 Depth=1
	s_load_dword s48, s[36:37], 0x8
	s_waitcnt lgkmcnt(0)
	s_add_i32 s25, s25, s18
	s_add_i32 s44, s48, s44
	;; [unrolled: 1-line block ×3, first 2 shown]
	s_cmp_ge_u32 s47, s11
	s_cbranch_scc0 .LBB45_8
	s_branch .LBB45_9
.LBB45_14:
	s_mov_b32 s44, 0
	s_mov_b32 s45, 0
	;; [unrolled: 1-line block ×3, first 2 shown]
	s_cmp_ge_u32 s12, s10
	s_cbranch_scc0 .LBB45_38
	s_branch .LBB45_16
.LBB45_15:
	s_add_i32 s12, s46, 4
	s_cmp_ge_u32 s12, s10
	s_cbranch_scc0 .LBB45_38
.LBB45_16:
	v_mov_b32_e32 v1, s44
	v_mov_b32_e32 v2, s45
	;; [unrolled: 1-line block ×4, first 2 shown]
	ds_write_b96 v4, v[1:3] offset:1056
.LBB45_17:
	s_or_b32 exec_lo, exec_lo, s43
	s_load_dwordx4 s[12:15], s[4:5], 0xd8
	s_waitcnt lgkmcnt(0)
	s_mul_i32 s15, s9, s11
	s_add_i32 s11, s11, 1
	s_lshl_b32 s25, s15, 8
	s_barrier
	buffer_gl0_inv
	s_sub_i32 s15, s12, s25
	s_add_u32 s16, s15, 0xff
	s_addc_u32 s17, 0, 0
	s_lshr_b64 s[16:17], s[16:17], 8
	s_cmp_lt_u32 s11, s10
	s_mov_b32 s11, 0
	s_cselect_b32 s9, s9, s16
	s_cmp_eq_u32 s9, 0
	s_cbranch_scc1 .LBB45_40
; %bb.18:
	s_mul_i32 s10, s42, s39
	s_add_i32 s15, s42, 1
	s_sub_i32 s10, s24, s10
	v_mov_b32_e32 v5, 0
	s_sub_i32 s16, s10, s39
	s_cmp_ge_u32 s10, s39
	v_lshrrev_b32_e32 v4, 3, v0
	s_cselect_b32 s15, s15, s42
	s_cselect_b32 s10, s16, s10
	s_add_i32 s16, s15, 1
	s_cmp_ge_u32 s10, s39
	s_mul_i32 s10, s41, s38
	s_cselect_b32 s15, s16, s15
	s_sub_i32 s16, s24, s10
	s_mul_i32 s10, s15, s39
	s_mul_i32 s15, s15, s30
	s_sub_i32 s10, s24, s10
	s_add_i32 s17, s41, 1
	s_mul_i32 s10, s10, s31
	s_sub_i32 s18, s16, s38
	s_add_i32 s10, s15, s10
	s_cmp_ge_u32 s16, s38
	s_mul_i32 s15, s40, s33
	s_cselect_b32 s17, s17, s41
	s_cselect_b32 s16, s18, s16
	s_add_i32 s18, s17, 1
	s_cmp_ge_u32 s16, s38
	ds_read_b96 v[1:3], v5 offset:1056
	s_cselect_b32 s16, s18, s17
	s_sub_i32 s15, s24, s15
	s_mul_i32 s17, s16, s38
	s_mul_i32 s16, s16, s26
	s_sub_i32 s17, s24, s17
	s_add_i32 s30, s40, 1
	s_mul_i32 s17, s17, s27
	s_sub_i32 s26, s15, s33
	s_add_i32 s18, s16, s17
	s_cmp_ge_u32 s15, s33
	v_add_nc_u32_e32 v6, -1, v0
	s_cselect_b32 s16, s30, s40
	s_load_dword s30, s[4:5], 0xe8
	s_cselect_b32 s15, s26, s15
	s_add_i32 s17, s16, 1
	s_cmp_ge_u32 s15, s33
	s_load_dword s4, s[4:5], 0x1c8
	s_cselect_b32 s15, s17, s16
	v_and_b32_e32 v4, 28, v4
	s_mul_i32 s16, s15, s33
	v_lshrrev_b32_e32 v7, 3, v6
	s_sub_i32 s16, s24, s16
	s_mul_i32 s15, s15, s28
	s_mul_i32 s16, s16, s29
	s_mov_b32 s19, s11
	s_mov_b32 s27, s11
	s_lshl_b64 s[10:11], s[10:11], 3
	s_add_i32 s26, s15, s16
	s_add_u32 s15, s22, s10
	s_addc_u32 s16, s23, s11
	s_lshl_b64 s[10:11], s[18:19], 3
	s_waitcnt lgkmcnt(0)
	v_add_nc_u32_e32 v8, v1, v2
	v_lshl_add_u32 v9, v0, 2, v4
	v_and_b32_e32 v4, 0x1ffffffc, v7
	v_add_nc_u32_e32 v1, s25, v0
	s_add_u32 s17, s20, s10
	s_addc_u32 s18, s21, s11
	s_lshl_b64 s[10:11], s[26:27], 3
	v_and_b32_e32 v2, 0xfc, v0
	v_lshlrev_b32_e32 v7, 5, v0
	v_mbcnt_lo_u32_b32 v10, -1, 0
	s_add_u32 s19, s2, s10
	v_cmp_gt_u32_e64 s2, 32, v0
	v_lshl_add_u32 v0, v6, 2, v4
	v_mul_lo_u32 v4, s30, v1
	s_addc_u32 s20, s3, s11
	s_xor_b32 s11, s7, 0x80000000
	v_add_nc_u32_e32 v11, v2, v7
	v_and_b32_e32 v12, 15, v10
	v_bfe_i32 v13, v10, 4, 1
	v_add_nc_u32_e32 v14, -1, v10
	s_bitcmp1_b32 s14, 0
	s_mov_b32 s10, s6
	s_cselect_b32 s3, -1, 0
	s_lshl_b32 s5, s30, 8
                                        ; implicit-def: $vgpr6_vgpr7
	s_branch .LBB45_21
.LBB45_19:                              ;   in Loop: Header=BB45_21 Depth=1
	s_or_b32 exec_lo, exec_lo, s14
	v_add_nc_u32_e32 v8, v17, v8
.LBB45_20:                              ;   in Loop: Header=BB45_21 Depth=1
	v_add_nc_u32_e32 v3, v16, v3
	v_add_nc_u32_e32 v4, s5, v4
	v_add_nc_u32_e32 v1, 0x100, v1
	s_add_i32 s9, s9, -1
	s_cmp_lg_u32 s9, 0
	s_cbranch_scc0 .LBB45_40
.LBB45_21:                              ; =>This Inner Loop Header: Depth=1
	v_mov_b32_e32 v2, 0
	v_mov_b32_e32 v15, 0
	s_mov_b32 s14, exec_lo
	v_cmpx_gt_u32_e64 s12, v1
	s_cbranch_execz .LBB45_23
; %bb.22:                               ;   in Loop: Header=BB45_21 Depth=1
	v_lshlrev_b64 v[6:7], 3, v[4:5]
	v_add_co_u32 v6, vcc_lo, s15, v6
	v_add_co_ci_u32_e64 v7, null, s16, v7, vcc_lo
	global_load_dwordx2 v[6:7], v[6:7], off
	s_waitcnt vmcnt(0)
	v_xor_b32_e32 v16, 0x80000000, v7
	v_mov_b32_e32 v15, v6
	v_cmp_lt_u64_e32 vcc_lo, s[10:11], v[15:16]
	v_cndmask_b32_e64 v2, 0, 1, vcc_lo
	v_cmp_gt_u64_e32 vcc_lo, s[10:11], v[15:16]
	v_cndmask_b32_e64 v15, 0, 1, vcc_lo
	v_cmp_eq_u64_e32 vcc_lo, s[6:7], v[6:7]
	v_cndmask_b32_e64 v2, v15, v2, s3
	v_cndmask_b32_e64 v15, 0, 1, vcc_lo
	v_and_b32_e32 v2, 1, v2
.LBB45_23:                              ;   in Loop: Header=BB45_21 Depth=1
	s_or_b32 exec_lo, exec_lo, s14
	ds_write_b32 v9, v2
	s_waitcnt lgkmcnt(0)
	s_barrier
	buffer_gl0_inv
	s_and_saveexec_b32 s14, s2
	s_cbranch_execz .LBB45_25
; %bb.24:                               ;   in Loop: Header=BB45_21 Depth=1
	ds_read2_b32 v[16:17], v11 offset1:1
	ds_read2_b32 v[18:19], v11 offset0:2 offset1:3
	ds_read2_b32 v[20:21], v11 offset0:4 offset1:5
	;; [unrolled: 1-line block ×3, first 2 shown]
	v_cmp_ne_u32_e32 vcc_lo, 0, v12
	; wave barrier
	s_waitcnt lgkmcnt(3)
	v_add_nc_u32_e32 v17, v17, v16
	s_waitcnt lgkmcnt(2)
	v_add3_u32 v17, v17, v18, v19
	s_waitcnt lgkmcnt(1)
	v_add3_u32 v17, v17, v20, v21
	;; [unrolled: 2-line block ×3, first 2 shown]
	v_mov_b32_dpp v18, v17 row_shr:1 row_mask:0xf bank_mask:0xf
	v_cndmask_b32_e32 v18, 0, v18, vcc_lo
	v_cmp_lt_u32_e32 vcc_lo, 1, v12
	v_add_nc_u32_e32 v17, v18, v17
	v_mov_b32_dpp v18, v17 row_shr:2 row_mask:0xf bank_mask:0xf
	v_cndmask_b32_e32 v18, 0, v18, vcc_lo
	v_cmp_lt_u32_e32 vcc_lo, 3, v12
	v_add_nc_u32_e32 v17, v17, v18
	;; [unrolled: 4-line block ×3, first 2 shown]
	v_mov_b32_dpp v18, v17 row_shr:8 row_mask:0xf bank_mask:0xf
	v_cndmask_b32_e32 v18, 0, v18, vcc_lo
	v_cmp_gt_i32_e32 vcc_lo, 0, v14
	v_add_nc_u32_e32 v17, v17, v18
	v_cndmask_b32_e32 v19, v14, v10, vcc_lo
	ds_swizzle_b32 v18, v17 offset:swizzle(BROADCAST,32,15)
	v_lshlrev_b32_e32 v19, 2, v19
	s_waitcnt lgkmcnt(0)
	v_and_b32_e32 v18, v13, v18
	v_add_nc_u32_e32 v17, v17, v18
	ds_bpermute_b32 v17, v19, v17
	s_waitcnt lgkmcnt(0)
	v_add_nc_u32_e32 v16, v17, v16
	v_cndmask_b32_e64 v22, v16, v2, s1
	ds_write_b32 v11, v22
	; wave barrier
	ds_read2_b32 v[16:17], v11 offset0:1 offset1:2
	ds_read2_b32 v[18:19], v11 offset0:3 offset1:4
	;; [unrolled: 1-line block ×3, first 2 shown]
	ds_read_b32 v23, v11 offset:28
	s_waitcnt lgkmcnt(3)
	v_add_nc_u32_e32 v16, v16, v22
	v_add_nc_u32_e32 v17, v17, v16
	s_waitcnt lgkmcnt(2)
	v_add_nc_u32_e32 v18, v18, v17
	v_add_nc_u32_e32 v19, v19, v18
	;; [unrolled: 3-line block ×3, first 2 shown]
	s_waitcnt lgkmcnt(0)
	v_add_nc_u32_e32 v22, v23, v21
	ds_write2_b32 v11, v16, v17 offset0:1 offset1:2
	ds_write2_b32 v11, v18, v19 offset0:3 offset1:4
	;; [unrolled: 1-line block ×3, first 2 shown]
	ds_write_b32 v11, v22 offset:28
.LBB45_25:                              ;   in Loop: Header=BB45_21 Depth=1
	s_or_b32 exec_lo, exec_lo, s14
	v_mov_b32_e32 v17, 0
	s_waitcnt lgkmcnt(0)
	s_barrier
	buffer_gl0_inv
	s_and_saveexec_b32 s14, s0
; %bb.26:                               ;   in Loop: Header=BB45_21 Depth=1
	ds_read_b32 v17, v0
; %bb.27:                               ;   in Loop: Header=BB45_21 Depth=1
	s_or_b32 exec_lo, exec_lo, s14
	ds_read_b32 v16, v5 offset:1048
	s_mov_b32 s14, exec_lo
	s_waitcnt lgkmcnt(0)
	s_barrier
	buffer_gl0_inv
	v_cmpx_ne_u32_e32 0, v2
	s_cbranch_execz .LBB45_29
; %bb.28:                               ;   in Loop: Header=BB45_21 Depth=1
	v_add_nc_u32_e32 v2, v17, v3
	v_mov_b32_e32 v18, v5
	v_mov_b32_e32 v20, v5
	v_mul_lo_u32 v17, v2, s4
	v_mul_lo_u32 v19, v2, s8
	v_mov_b32_e32 v2, v5
	v_lshlrev_b64 v[17:18], 3, v[17:18]
	v_lshlrev_b64 v[19:20], 3, v[19:20]
	v_add_co_u32 v17, vcc_lo, s17, v17
	v_add_co_ci_u32_e64 v18, null, s18, v18, vcc_lo
	v_add_co_u32 v19, vcc_lo, s19, v19
	v_add_co_ci_u32_e64 v20, null, s20, v20, vcc_lo
	global_store_dwordx2 v[17:18], v[6:7], off
	global_store_dwordx2 v[19:20], v[1:2], off
.LBB45_29:                              ;   in Loop: Header=BB45_21 Depth=1
	s_or_b32 exec_lo, exec_lo, s14
	v_cmp_le_u32_e32 vcc_lo, s13, v8
	s_cbranch_vccnz .LBB45_20
; %bb.30:                               ;   in Loop: Header=BB45_21 Depth=1
	ds_write_b32 v9, v15
	s_waitcnt lgkmcnt(0)
	s_waitcnt_vscnt null, 0x0
	s_barrier
	buffer_gl0_inv
	s_and_saveexec_b32 s14, s2
	s_cbranch_execz .LBB45_32
; %bb.31:                               ;   in Loop: Header=BB45_21 Depth=1
	ds_read2_b32 v[17:18], v11 offset1:1
	ds_read2_b32 v[19:20], v11 offset0:2 offset1:3
	ds_read2_b32 v[21:22], v11 offset0:4 offset1:5
	;; [unrolled: 1-line block ×3, first 2 shown]
	v_cmp_ne_u32_e32 vcc_lo, 0, v12
	; wave barrier
	s_waitcnt lgkmcnt(3)
	v_add_nc_u32_e32 v2, v18, v17
	s_waitcnt lgkmcnt(2)
	v_add3_u32 v2, v2, v19, v20
	s_waitcnt lgkmcnt(1)
	v_add3_u32 v2, v2, v21, v22
	;; [unrolled: 2-line block ×3, first 2 shown]
	v_mov_b32_dpp v18, v2 row_shr:1 row_mask:0xf bank_mask:0xf
	v_cndmask_b32_e32 v18, 0, v18, vcc_lo
	v_cmp_lt_u32_e32 vcc_lo, 1, v12
	v_add_nc_u32_e32 v2, v18, v2
	v_mov_b32_dpp v18, v2 row_shr:2 row_mask:0xf bank_mask:0xf
	v_cndmask_b32_e32 v18, 0, v18, vcc_lo
	v_cmp_lt_u32_e32 vcc_lo, 3, v12
	v_add_nc_u32_e32 v2, v2, v18
	;; [unrolled: 4-line block ×3, first 2 shown]
	v_mov_b32_dpp v18, v2 row_shr:8 row_mask:0xf bank_mask:0xf
	v_cndmask_b32_e32 v18, 0, v18, vcc_lo
	v_cmp_gt_i32_e32 vcc_lo, 0, v14
	v_add_nc_u32_e32 v2, v2, v18
	v_cndmask_b32_e32 v19, v14, v10, vcc_lo
	ds_swizzle_b32 v18, v2 offset:swizzle(BROADCAST,32,15)
	v_lshlrev_b32_e32 v19, 2, v19
	s_waitcnt lgkmcnt(0)
	v_and_b32_e32 v18, v13, v18
	v_add_nc_u32_e32 v2, v2, v18
	ds_bpermute_b32 v2, v19, v2
	s_waitcnt lgkmcnt(0)
	v_add_nc_u32_e32 v2, v2, v17
	v_cndmask_b32_e64 v2, v2, v15, s1
	ds_write_b32 v11, v2
	; wave barrier
	ds_read2_b32 v[17:18], v11 offset0:1 offset1:2
	ds_read2_b32 v[19:20], v11 offset0:3 offset1:4
	;; [unrolled: 1-line block ×3, first 2 shown]
	ds_read_b32 v23, v11 offset:28
	s_waitcnt lgkmcnt(3)
	v_add_nc_u32_e32 v2, v17, v2
	v_add_nc_u32_e32 v17, v18, v2
	s_waitcnt lgkmcnt(2)
	v_add_nc_u32_e32 v18, v19, v17
	v_add_nc_u32_e32 v19, v20, v18
	;; [unrolled: 3-line block ×3, first 2 shown]
	s_waitcnt lgkmcnt(0)
	v_add_nc_u32_e32 v22, v23, v21
	ds_write2_b32 v11, v2, v17 offset0:1 offset1:2
	ds_write2_b32 v11, v18, v19 offset0:3 offset1:4
	;; [unrolled: 1-line block ×3, first 2 shown]
	ds_write_b32 v11, v22 offset:28
.LBB45_32:                              ;   in Loop: Header=BB45_21 Depth=1
	s_or_b32 exec_lo, exec_lo, s14
	v_mov_b32_e32 v2, 0
	s_waitcnt lgkmcnt(0)
	s_barrier
	buffer_gl0_inv
	s_and_saveexec_b32 s14, s0
; %bb.33:                               ;   in Loop: Header=BB45_21 Depth=1
	ds_read_b32 v2, v0
; %bb.34:                               ;   in Loop: Header=BB45_21 Depth=1
	s_or_b32 exec_lo, exec_lo, s14
	ds_read_b32 v17, v5 offset:1048
	s_mov_b32 s14, exec_lo
	s_waitcnt lgkmcnt(0)
	s_barrier
	buffer_gl0_inv
	v_cmpx_ne_u32_e32 0, v15
	s_cbranch_execz .LBB45_19
; %bb.35:                               ;   in Loop: Header=BB45_21 Depth=1
	v_add_nc_u32_e32 v2, v2, v8
	v_cmp_gt_u32_e32 vcc_lo, s13, v2
	s_and_b32 exec_lo, exec_lo, vcc_lo
	s_cbranch_execz .LBB45_19
; %bb.36:                               ;   in Loop: Header=BB45_21 Depth=1
	v_mul_lo_u32 v18, v2, s4
	v_mul_lo_u32 v20, v2, s8
	v_mov_b32_e32 v19, v5
	v_mov_b32_e32 v21, v5
	;; [unrolled: 1-line block ×3, first 2 shown]
	v_lshlrev_b64 v[18:19], 3, v[18:19]
	v_lshlrev_b64 v[20:21], 3, v[20:21]
	v_add_co_u32 v18, vcc_lo, s17, v18
	v_add_co_ci_u32_e64 v19, null, s18, v19, vcc_lo
	v_add_co_u32 v20, vcc_lo, s19, v20
	v_add_co_ci_u32_e64 v21, null, s20, v21, vcc_lo
	global_store_dwordx2 v[18:19], v[6:7], off
	global_store_dwordx2 v[20:21], v[1:2], off
	s_branch .LBB45_19
	.p2align	6
.LBB45_37:                              ;   in Loop: Header=BB45_38 Depth=1
	s_add_u32 s16, s16, 4
	s_addc_u32 s17, s17, 0
	s_waitcnt lgkmcnt(0)
	s_add_i32 s45, s13, s45
	s_add_u32 s18, s18, 4
	s_addc_u32 s19, s19, 0
	s_add_i32 s12, s12, 1
	s_cmp_lt_u32 s12, s10
	s_cbranch_scc0 .LBB45_16
.LBB45_38:                              ; =>This Inner Loop Header: Depth=1
	s_load_dword s13, s[16:17], 0x0
	s_cmp_ge_u32 s12, s11
	s_cbranch_scc1 .LBB45_37
; %bb.39:                               ;   in Loop: Header=BB45_38 Depth=1
	s_load_dword s14, s[18:19], 0x0
	s_waitcnt lgkmcnt(0)
	s_add_i32 s25, s13, s25
	s_add_i32 s44, s14, s44
	s_branch .LBB45_37
.LBB45_40:
	s_endpgm
	.section	.rodata,"a",@progbits
	.p2align	6, 0x0
	.amdhsa_kernel _ZN2at6native6mbtopk10gatherTopKIljLi2EEEvNS_4cuda6detail10TensorInfoIKT_T0_EES8_S8_bjS8_NS5_IS6_S8_EES8_NS5_IlS8_EES8_jjPS6_PjSD_j
		.amdhsa_group_segment_fixed_size 1068
		.amdhsa_private_segment_fixed_size 0
		.amdhsa_kernarg_size 984
		.amdhsa_user_sgpr_count 6
		.amdhsa_user_sgpr_private_segment_buffer 1
		.amdhsa_user_sgpr_dispatch_ptr 0
		.amdhsa_user_sgpr_queue_ptr 0
		.amdhsa_user_sgpr_kernarg_segment_ptr 1
		.amdhsa_user_sgpr_dispatch_id 0
		.amdhsa_user_sgpr_flat_scratch_init 0
		.amdhsa_user_sgpr_private_segment_size 0
		.amdhsa_wavefront_size32 1
		.amdhsa_uses_dynamic_stack 0
		.amdhsa_system_sgpr_private_segment_wavefront_offset 0
		.amdhsa_system_sgpr_workgroup_id_x 1
		.amdhsa_system_sgpr_workgroup_id_y 1
		.amdhsa_system_sgpr_workgroup_id_z 1
		.amdhsa_system_sgpr_workgroup_info 0
		.amdhsa_system_vgpr_workitem_id 0
		.amdhsa_next_free_vgpr 25
		.amdhsa_next_free_sgpr 49
		.amdhsa_reserve_vcc 1
		.amdhsa_reserve_flat_scratch 0
		.amdhsa_float_round_mode_32 0
		.amdhsa_float_round_mode_16_64 0
		.amdhsa_float_denorm_mode_32 3
		.amdhsa_float_denorm_mode_16_64 3
		.amdhsa_dx10_clamp 1
		.amdhsa_ieee_mode 1
		.amdhsa_fp16_overflow 0
		.amdhsa_workgroup_processor_mode 1
		.amdhsa_memory_ordered 1
		.amdhsa_forward_progress 1
		.amdhsa_shared_vgpr_count 0
		.amdhsa_exception_fp_ieee_invalid_op 0
		.amdhsa_exception_fp_denorm_src 0
		.amdhsa_exception_fp_ieee_div_zero 0
		.amdhsa_exception_fp_ieee_overflow 0
		.amdhsa_exception_fp_ieee_underflow 0
		.amdhsa_exception_fp_ieee_inexact 0
		.amdhsa_exception_int_div_zero 0
	.end_amdhsa_kernel
	.section	.text._ZN2at6native6mbtopk10gatherTopKIljLi2EEEvNS_4cuda6detail10TensorInfoIKT_T0_EES8_S8_bjS8_NS5_IS6_S8_EES8_NS5_IlS8_EES8_jjPS6_PjSD_j,"axG",@progbits,_ZN2at6native6mbtopk10gatherTopKIljLi2EEEvNS_4cuda6detail10TensorInfoIKT_T0_EES8_S8_bjS8_NS5_IS6_S8_EES8_NS5_IlS8_EES8_jjPS6_PjSD_j,comdat
.Lfunc_end45:
	.size	_ZN2at6native6mbtopk10gatherTopKIljLi2EEEvNS_4cuda6detail10TensorInfoIKT_T0_EES8_S8_bjS8_NS5_IS6_S8_EES8_NS5_IlS8_EES8_jjPS6_PjSD_j, .Lfunc_end45-_ZN2at6native6mbtopk10gatherTopKIljLi2EEEvNS_4cuda6detail10TensorInfoIKT_T0_EES8_S8_bjS8_NS5_IS6_S8_EES8_NS5_IlS8_EES8_jjPS6_PjSD_j
                                        ; -- End function
	.set _ZN2at6native6mbtopk10gatherTopKIljLi2EEEvNS_4cuda6detail10TensorInfoIKT_T0_EES8_S8_bjS8_NS5_IS6_S8_EES8_NS5_IlS8_EES8_jjPS6_PjSD_j.num_vgpr, 25
	.set _ZN2at6native6mbtopk10gatherTopKIljLi2EEEvNS_4cuda6detail10TensorInfoIKT_T0_EES8_S8_bjS8_NS5_IS6_S8_EES8_NS5_IlS8_EES8_jjPS6_PjSD_j.num_agpr, 0
	.set _ZN2at6native6mbtopk10gatherTopKIljLi2EEEvNS_4cuda6detail10TensorInfoIKT_T0_EES8_S8_bjS8_NS5_IS6_S8_EES8_NS5_IlS8_EES8_jjPS6_PjSD_j.numbered_sgpr, 49
	.set _ZN2at6native6mbtopk10gatherTopKIljLi2EEEvNS_4cuda6detail10TensorInfoIKT_T0_EES8_S8_bjS8_NS5_IS6_S8_EES8_NS5_IlS8_EES8_jjPS6_PjSD_j.num_named_barrier, 0
	.set _ZN2at6native6mbtopk10gatherTopKIljLi2EEEvNS_4cuda6detail10TensorInfoIKT_T0_EES8_S8_bjS8_NS5_IS6_S8_EES8_NS5_IlS8_EES8_jjPS6_PjSD_j.private_seg_size, 0
	.set _ZN2at6native6mbtopk10gatherTopKIljLi2EEEvNS_4cuda6detail10TensorInfoIKT_T0_EES8_S8_bjS8_NS5_IS6_S8_EES8_NS5_IlS8_EES8_jjPS6_PjSD_j.uses_vcc, 1
	.set _ZN2at6native6mbtopk10gatherTopKIljLi2EEEvNS_4cuda6detail10TensorInfoIKT_T0_EES8_S8_bjS8_NS5_IS6_S8_EES8_NS5_IlS8_EES8_jjPS6_PjSD_j.uses_flat_scratch, 0
	.set _ZN2at6native6mbtopk10gatherTopKIljLi2EEEvNS_4cuda6detail10TensorInfoIKT_T0_EES8_S8_bjS8_NS5_IS6_S8_EES8_NS5_IlS8_EES8_jjPS6_PjSD_j.has_dyn_sized_stack, 0
	.set _ZN2at6native6mbtopk10gatherTopKIljLi2EEEvNS_4cuda6detail10TensorInfoIKT_T0_EES8_S8_bjS8_NS5_IS6_S8_EES8_NS5_IlS8_EES8_jjPS6_PjSD_j.has_recursion, 0
	.set _ZN2at6native6mbtopk10gatherTopKIljLi2EEEvNS_4cuda6detail10TensorInfoIKT_T0_EES8_S8_bjS8_NS5_IS6_S8_EES8_NS5_IlS8_EES8_jjPS6_PjSD_j.has_indirect_call, 0
	.section	.AMDGPU.csdata,"",@progbits
; Kernel info:
; codeLenInByte = 2640
; TotalNumSgprs: 51
; NumVgprs: 25
; ScratchSize: 0
; MemoryBound: 0
; FloatMode: 240
; IeeeMode: 1
; LDSByteSize: 1068 bytes/workgroup (compile time only)
; SGPRBlocks: 0
; VGPRBlocks: 3
; NumSGPRsForWavesPerEU: 51
; NumVGPRsForWavesPerEU: 25
; Occupancy: 16
; WaveLimiterHint : 1
; COMPUTE_PGM_RSRC2:SCRATCH_EN: 0
; COMPUTE_PGM_RSRC2:USER_SGPR: 6
; COMPUTE_PGM_RSRC2:TRAP_HANDLER: 0
; COMPUTE_PGM_RSRC2:TGID_X_EN: 1
; COMPUTE_PGM_RSRC2:TGID_Y_EN: 1
; COMPUTE_PGM_RSRC2:TGID_Z_EN: 1
; COMPUTE_PGM_RSRC2:TIDIG_COMP_CNT: 0
	.section	.text._ZN2at6native6sbtopk10gatherTopKIljLi2ELb0EEEvNS_4cuda6detail10TensorInfoIKT_T0_EES8_S8_bS8_S8_NS5_IS6_S8_EES8_NS5_IlS8_EES8_PS6_,"axG",@progbits,_ZN2at6native6sbtopk10gatherTopKIljLi2ELb0EEEvNS_4cuda6detail10TensorInfoIKT_T0_EES8_S8_bS8_S8_NS5_IS6_S8_EES8_NS5_IlS8_EES8_PS6_,comdat
	.protected	_ZN2at6native6sbtopk10gatherTopKIljLi2ELb0EEEvNS_4cuda6detail10TensorInfoIKT_T0_EES8_S8_bS8_S8_NS5_IS6_S8_EES8_NS5_IlS8_EES8_PS6_ ; -- Begin function _ZN2at6native6sbtopk10gatherTopKIljLi2ELb0EEEvNS_4cuda6detail10TensorInfoIKT_T0_EES8_S8_bS8_S8_NS5_IS6_S8_EES8_NS5_IlS8_EES8_PS6_
	.globl	_ZN2at6native6sbtopk10gatherTopKIljLi2ELb0EEEvNS_4cuda6detail10TensorInfoIKT_T0_EES8_S8_bS8_S8_NS5_IS6_S8_EES8_NS5_IlS8_EES8_PS6_
	.p2align	8
	.type	_ZN2at6native6sbtopk10gatherTopKIljLi2ELb0EEEvNS_4cuda6detail10TensorInfoIKT_T0_EES8_S8_bS8_S8_NS5_IS6_S8_EES8_NS5_IlS8_EES8_PS6_,@function
_ZN2at6native6sbtopk10gatherTopKIljLi2ELb0EEEvNS_4cuda6detail10TensorInfoIKT_T0_EES8_S8_bS8_S8_NS5_IS6_S8_EES8_NS5_IlS8_EES8_PS6_: ; @_ZN2at6native6sbtopk10gatherTopKIljLi2ELb0EEEvNS_4cuda6detail10TensorInfoIKT_T0_EES8_S8_bS8_S8_NS5_IS6_S8_EES8_NS5_IlS8_EES8_PS6_
; %bb.0:
	s_clause 0x1
	s_load_dwordx2 s[2:3], s[4:5], 0x2b8
	s_load_dwordx4 s[36:39], s[4:5], 0xd8
	s_add_u32 s10, s4, 0x2b8
	s_addc_u32 s11, s5, 0
	s_waitcnt lgkmcnt(0)
	s_mul_i32 s0, s3, s8
	s_add_i32 s0, s0, s7
	s_mul_i32 s49, s0, s2
	s_add_i32 s49, s49, s6
	s_cmp_ge_u32 s49, s39
	s_cbranch_scc1 .LBB46_395
; %bb.1:
	s_clause 0x9
	s_load_dword s7, s[4:5], 0xc
	s_load_dword s51, s[4:5], 0xfc
	;; [unrolled: 1-line block ×3, first 2 shown]
	s_load_dwordx2 s[34:35], s[4:5], 0xf0
	s_load_dwordx2 s[42:43], s[4:5], 0x23c
	;; [unrolled: 1-line block ×4, first 2 shown]
	s_load_dword s30, s[4:5], 0xe8
	s_load_dwordx2 s[8:9], s[4:5], 0x6c
	s_load_dwordx2 s[0:1], s[4:5], 0x0
	v_cmp_eq_u32_e64 s3, 0, v0
	s_mov_b32 s47, 0
	s_waitcnt lgkmcnt(0)
	v_cvt_f32_u32_e32 v1, s7
	v_cvt_f32_u32_e32 v2, s51
	;; [unrolled: 1-line block ×3, first 2 shown]
	s_sub_i32 s12, 0, s7
	s_sub_i32 s16, 0, s51
	v_rcp_iflag_f32_e32 v1, v1
	v_rcp_iflag_f32_e32 v2, v2
	;; [unrolled: 1-line block ×3, first 2 shown]
	s_sub_i32 s17, 0, s50
	v_mul_f32_e32 v1, 0x4f7ffffe, v1
	v_mul_f32_e32 v2, 0x4f7ffffe, v2
	;; [unrolled: 1-line block ×3, first 2 shown]
	v_cvt_u32_f32_e32 v1, v1
	v_cvt_u32_f32_e32 v2, v2
	;; [unrolled: 1-line block ×3, first 2 shown]
	v_readfirstlane_b32 s13, v1
	v_readfirstlane_b32 s14, v2
	;; [unrolled: 1-line block ×3, first 2 shown]
	s_mul_i32 s12, s12, s13
	s_mul_i32 s16, s16, s14
	;; [unrolled: 1-line block ×3, first 2 shown]
	s_mul_hi_u32 s12, s13, s12
	s_mul_hi_u32 s16, s14, s16
	;; [unrolled: 1-line block ×3, first 2 shown]
	s_add_i32 s13, s13, s12
	s_add_i32 s14, s14, s16
	;; [unrolled: 1-line block ×3, first 2 shown]
	s_mul_hi_u32 s12, s49, s13
	s_mul_hi_u32 s53, s49, s14
	;; [unrolled: 1-line block ×3, first 2 shown]
	s_and_saveexec_b32 s13, s3
	s_cbranch_execz .LBB46_3
; %bb.2:
	v_mov_b32_e32 v1, 0
	v_mov_b32_e32 v2, s36
	;; [unrolled: 1-line block ×3, first 2 shown]
	ds_write_b96 v1, v[1:3] offset:4096
.LBB46_3:
	s_or_b32 exec_lo, exec_lo, s13
	s_mul_i32 s13, s12, s7
	s_add_i32 s14, s12, 1
	s_sub_i32 s13, s49, s13
	s_waitcnt lgkmcnt(0)
	s_sub_i32 s15, s13, s7
	s_cmp_ge_u32 s13, s7
	s_barrier
	s_cselect_b32 s12, s14, s12
	s_cselect_b32 s13, s15, s13
	buffer_gl0_inv
	s_load_dword s15, s[10:11], 0xc
	s_add_i32 s14, s12, 1
	s_cmp_ge_u32 s13, s7
	v_mbcnt_lo_u32_b32 v27, -1, 0
	s_cselect_b32 s12, s14, s12
	v_cmp_gt_u32_e32 vcc_lo, 32, v0
	s_mul_i32 s7, s12, s7
	s_mul_i32 s8, s12, s8
	s_sub_i32 s7, s49, s7
	v_mov_b32_e32 v14, 0
	s_mul_i32 s7, s7, s9
	v_mul_lo_u32 v12, s30, v0
	s_add_i32 s46, s8, s7
	v_lshlrev_b32_e32 v28, 2, v0
	s_lshl_b64 s[8:9], s[46:47], 3
	v_mov_b32_e32 v13, v14
	s_add_u32 s31, s0, s8
	s_addc_u32 s33, s1, s9
	s_bitcmp1_b32 s38, 0
	v_cmp_gt_i32_e64 s0, 4, v27
	s_cselect_b32 s1, -1, 0
	s_waitcnt lgkmcnt(0)
	s_and_b32 s46, s15, 0xffff
	s_bfe_u32 s7, s15, 0xb0005
	s_lshl_b32 s55, s46, 2
	s_bfe_u32 s8, s46, 0x80008
	v_cvt_f32_u32_e32 v1, s55
	s_xor_b32 s54, s1, -1
	s_lshl_b32 s56, s8, 3
	s_and_b32 s57, vcc_lo, s0
	s_cmpk_gt_u32 s36, 0x180
	v_rcp_iflag_f32_e32 v1, v1
	s_cselect_b32 s58, -1, 0
	s_cmp_gt_u32 s46, 31
	v_cvt_f32_u32_e32 v3, s46
	s_cselect_b32 s59, -1, 0
	s_add_i32 s60, s46, -1
	v_lshlrev_b32_e32 v29, 3, v0
	s_add_i32 s9, s60, s36
	s_cmp_lt_u32 s6, s2
	v_rcp_iflag_f32_e32 v3, v3
	v_mul_f32_e32 v1, 0x4f7ffffe, v1
	s_cselect_b32 s0, 12, 18
	v_mad_u64_u32 v[17:18], null, s30, v28, s[30:31]
	s_add_u32 s38, s10, s0
	s_addc_u32 s39, s11, 0
	s_add_i32 s7, s7, -1
	v_cvt_u32_f32_e32 v1, v1
	s_and_b32 s0, s7, 0xffff
	s_bfe_u32 s61, s46, 0x30005
	s_cmp_gt_u32 s0, 6
	v_mov_b32_e32 v18, 0
	v_readfirstlane_b32 s2, v1
	s_cselect_b32 s62, -1, 0
	s_cmp_lg_u32 s61, 0
	v_lshlrev_b64 v[1:2], 3, v[12:13]
	s_cselect_b32 s63, -1, 0
	s_sub_i32 s0, 0, s55
	v_mov_b32_e32 v20, 0
	s_mul_i32 s0, s0, s2
	v_add_nc_u32_e32 v31, 0xc00, v29
	s_mul_hi_u32 s6, s2, s0
	v_add_co_u32 v10, vcc_lo, s31, v1
	s_add_i32 s64, s2, s6
	v_mul_f32_e32 v1, 0x4f7ffffe, v3
	s_mul_hi_u32 s6, s36, s64
	v_add_co_ci_u32_e64 v11, null, s33, v2, vcc_lo
	s_mul_i32 s6, s6, s55
	v_cvt_u32_f32_e32 v1, v1
	s_sub_i32 s7, s36, s6
	v_or_b32_e32 v3, 3, v28
	s_sub_i32 s8, s7, s55
	s_cmp_ge_u32 s7, s55
	v_readfirstlane_b32 s10, v1
	s_cselect_b32 s7, s8, s7
	v_lshlrev_b64 v[1:2], v27, -1
	s_sub_i32 s8, s7, s55
	s_cmp_ge_u32 s7, s55
	v_mul_lo_u32 v34, s30, v3
	s_cselect_b32 s11, s8, s7
	s_sub_i32 s7, 0, s46
	s_sub_i32 s65, s36, s11
	s_mul_i32 s7, s7, s10
	v_add_nc_u32_e32 v30, s65, v0
	v_not_b32_e32 v26, v1
	v_lshrrev_b32_e32 v1, 1, v0
	s_mul_hi_u32 s7, s10, s7
	s_movk_i32 s8, 0x1f0
	v_mul_lo_u32 v13, v30, s30
	s_add_i32 s66, s10, s7
	v_and_or_b32 v32, v1, s8, 0xc00
	s_mul_hi_u32 s7, s9, s66
	v_mov_b32_e32 v3, 0
	s_mul_i32 s7, s7, s46
	v_cmp_eq_u32_e64 s0, 0, v27
	s_sub_i32 s7, s9, s7
	v_lshlrev_b64 v[1:2], 3, v[13:14]
	s_sub_i32 s10, s7, s46
	s_cmp_ge_u32 s7, s46
	v_cmp_gt_u32_e64 s2, s36, v0
	s_cselect_b32 s8, s10, s7
	v_cmp_gt_u32_e64 s6, 2, v0
	v_add_co_u32 v15, vcc_lo, s31, v1
	v_add3_u32 v1, s46, s36, v0
	v_add_co_ci_u32_e64 v16, null, s33, v2, vcc_lo
	v_or_b32_e32 v2, 2, v28
	s_sub_i32 s10, s8, s46
	v_subrev_nc_u32_e32 v1, s11, v1
	s_cmp_ge_u32 s8, s46
	v_cmp_gt_u32_e64 s7, s65, v28
	s_cselect_b32 s10, s10, s8
	v_mul_lo_u32 v33, s30, v2
	v_mul_lo_u32 v36, s30, v1
	s_sub_i32 s67, s9, s10
	v_cmp_gt_u32_e64 s8, s36, v30
	v_cmp_gt_u32_e64 s9, s67, v0
	v_lshlrev_b32_e32 v35, 2, v12
	v_lshlrev_b32_e32 v37, 5, v0
	v_lshl_or_b32 v38, v27, 2, 0xc00
	v_mov_b32_e32 v4, 0
	v_mov_b32_e32 v39, s37
	;; [unrolled: 1-line block ×5, first 2 shown]
	s_mul_i32 s48, s30, s46
	s_lshl_b32 s69, s46, 5
	s_lshl_b32 s68, s48, 2
	;; [unrolled: 1-line block ×3, first 2 shown]
	s_mov_b32 s76, 62
	s_mov_b32 s72, 0
                                        ; implicit-def: $sgpr71
                                        ; implicit-def: $sgpr75
                                        ; implicit-def: $sgpr74
                                        ; implicit-def: $sgpr77
                                        ; implicit-def: $sgpr73
                                        ; implicit-def: $sgpr81
                                        ; implicit-def: $sgpr82
                                        ; implicit-def: $sgpr78
                                        ; implicit-def: $sgpr80
                                        ; implicit-def: $sgpr79
	s_branch .LBB46_6
.LBB46_4:                               ;   in Loop: Header=BB46_6 Depth=1
	s_or_b32 exec_lo, exec_lo, s13
	v_mov_b32_e32 v39, v25
	s_andn2_b32 s13, s79, exec_lo
	s_and_b32 s12, s12, exec_lo
	s_andn2_b32 s80, s80, exec_lo
	s_or_b32 s79, s13, s12
	s_andn2_b32 s78, s78, exec_lo
	s_andn2_b32 s82, s82, exec_lo
	;; [unrolled: 1-line block ×3, first 2 shown]
	s_orn2_b32 s12, s11, exec_lo
.LBB46_5:                               ;   in Loop: Header=BB46_6 Depth=1
	s_or_b32 exec_lo, exec_lo, s10
	s_and_b32 s10, exec_lo, s12
	s_or_b32 s47, s10, s47
	s_andn2_b32 s10, s73, exec_lo
	s_and_b32 s11, s79, exec_lo
	s_andn2_b32 s12, s77, exec_lo
	s_or_b32 s73, s10, s11
	s_and_b32 s10, s80, exec_lo
	s_andn2_b32 s11, s74, exec_lo
	s_and_b32 s13, s78, exec_lo
	s_or_b32 s77, s12, s10
	s_or_b32 s74, s11, s13
	s_andn2_b32 s10, s75, exec_lo
	s_and_b32 s11, s82, exec_lo
	s_andn2_b32 s12, s71, exec_lo
	s_and_b32 s13, s81, exec_lo
	s_or_b32 s75, s10, s11
	s_or_b32 s71, s12, s13
	s_andn2_b32 exec_lo, exec_lo, s47
	s_cbranch_execz .LBB46_391
.LBB46_6:                               ; =>This Loop Header: Depth=1
                                        ;     Child Loop BB46_12 Depth 2
                                        ;     Child Loop BB46_25 Depth 2
                                        ;     Child Loop BB46_56 Depth 2
                                        ;     Child Loop BB46_60 Depth 2
                                        ;     Child Loop BB46_45 Depth 2
                                        ;     Child Loop BB46_50 Depth 2
                                        ;     Child Loop BB46_41 Depth 2
                                        ;     Child Loop BB46_65 Depth 2
                                        ;     Child Loop BB46_76 Depth 2
                                        ;     Child Loop BB46_90 Depth 2
                                        ;     Child Loop BB46_116 Depth 2
                                        ;     Child Loop BB46_127 Depth 2
                                        ;     Child Loop BB46_153 Depth 2
                                        ;     Child Loop BB46_164 Depth 2
                                        ;     Child Loop BB46_190 Depth 2
                                        ;     Child Loop BB46_201 Depth 2
                                        ;     Child Loop BB46_237 Depth 2
                                        ;     Child Loop BB46_249 Depth 2
                                        ;     Child Loop BB46_275 Depth 2
                                        ;     Child Loop BB46_286 Depth 2
                                        ;     Child Loop BB46_312 Depth 2
                                        ;     Child Loop BB46_323 Depth 2
                                        ;     Child Loop BB46_349 Depth 2
                                        ;     Child Loop BB46_360 Depth 2
	ds_read_b64 v[1:2], v14 offset:4096
	s_waitcnt lgkmcnt(0)
	v_readfirstlane_b32 s83, v1
	s_cmp_lg_u32 s83, 0
	s_cbranch_scc1 .LBB46_33
; %bb.7:                                ;   in Loop: Header=BB46_6 Depth=1
	s_and_b32 vcc_lo, exec_lo, s58
	s_cbranch_vccz .LBB46_20
; %bb.8:                                ;   in Loop: Header=BB46_6 Depth=1
	v_cmp_gt_u32_e32 vcc_lo, 0x181, v2
	s_mov_b32 s12, 0
	s_mov_b32 s10, 0
	s_cbranch_vccz .LBB46_21
; %bb.9:                                ;   in Loop: Header=BB46_6 Depth=1
	s_and_saveexec_b32 s13, s2
	s_cbranch_execz .LBB46_80
; %bb.10:                               ;   in Loop: Header=BB46_6 Depth=1
	global_load_ushort v8, v14, s[38:39]
	global_load_dwordx2 v[1:2], v[10:11], off
	v_mov_b32_e32 v22, v0
	s_mov_b32 s14, 0
	s_waitcnt vmcnt(1)
	v_add_nc_u32_e32 v6, v0, v8
	v_mul_lo_u32 v9, s30, v8
	v_mul_lo_u32 v13, s30, v6
	s_branch .LBB46_12
.LBB46_11:                              ;   in Loop: Header=BB46_12 Depth=2
	s_or_b32 exec_lo, exec_lo, s11
	v_mov_b32_e32 v1, v6
	v_add_nc_u32_e32 v13, v13, v9
	v_mov_b32_e32 v2, v7
	s_andn2_b32 exec_lo, exec_lo, s14
	s_cbranch_execz .LBB46_80
.LBB46_12:                              ;   Parent Loop BB46_6 Depth=1
                                        ; =>  This Inner Loop Header: Depth=2
	v_mov_b32_e32 v6, 0
	v_add_nc_u32_e32 v22, v22, v8
	v_mov_b32_e32 v7, 0
	s_mov_b32 s11, exec_lo
	v_cmp_le_u32_e32 vcc_lo, s36, v22
	v_cmpx_gt_u32_e64 s36, v22
	s_cbranch_execz .LBB46_14
; %bb.13:                               ;   in Loop: Header=BB46_12 Depth=2
	v_lshlrev_b64 v[6:7], 3, v[13:14]
	v_add_co_u32 v6, s10, s31, v6
	v_add_co_ci_u32_e64 v7, null, s33, v7, s10
	global_load_dwordx2 v[6:7], v[6:7], off
.LBB46_14:                              ;   in Loop: Header=BB46_12 Depth=2
	s_or_b32 exec_lo, exec_lo, s11
	s_waitcnt vmcnt(0) lgkmcnt(0)
	v_xor_b32_e32 v23, 0x80000000, v2
	v_and_b32_e32 v24, v23, v21
	v_and_b32_e32 v23, v1, v20
	v_cmp_eq_u64_e64 s10, v[23:24], v[18:19]
	v_mov_b32_e32 v23, 0
	s_cmp_lg_u32 s10, 0
	s_cselect_b32 s11, -1, 0
	s_and_b32 s11, s0, s11
	s_and_saveexec_b32 s15, s11
	s_cbranch_execz .LBB46_18
; %bb.15:                               ;   in Loop: Header=BB46_12 Depth=2
	s_mov_b32 s18, exec_lo
	s_bcnt1_i32_b32 s16, s10
	v_mbcnt_lo_u32_b32 v23, s18, 0
	s_mov_b32 s17, exec_lo
                                        ; implicit-def: $vgpr24
	v_cmpx_eq_u32_e32 0, v23
; %bb.16:                               ;   in Loop: Header=BB46_12 Depth=2
	s_bcnt1_i32_b32 s11, s18
	s_mul_i32 s11, s16, s11
	v_mov_b32_e32 v24, s11
	ds_add_rtn_u32 v24, v14, v24 offset:4104
; %bb.17:                               ;   in Loop: Header=BB46_12 Depth=2
	s_or_b32 exec_lo, exec_lo, s17
	s_waitcnt lgkmcnt(0)
	v_readfirstlane_b32 s11, v24
	v_mad_u32_u24 v23, s16, v23, s11
.LBB46_18:                              ;   in Loop: Header=BB46_12 Depth=2
	s_or_b32 exec_lo, exec_lo, s15
	ds_bpermute_b32 v23, v14, v23
	s_and_b32 s11, exec_lo, vcc_lo
	s_or_b32 s14, s11, s14
	s_and_saveexec_b32 s11, s10
	s_cbranch_execz .LBB46_11
; %bb.19:                               ;   in Loop: Header=BB46_12 Depth=2
	v_and_b32_e32 v24, s10, v26
	v_bcnt_u32_b32 v24, v24, 0
	v_lshlrev_b32_e32 v24, 3, v24
	s_waitcnt lgkmcnt(0)
	v_lshl_add_u32 v23, v23, 3, v24
	ds_write_b64 v23, v[1:2]
	s_branch .LBB46_11
.LBB46_20:                              ;   in Loop: Header=BB46_6 Depth=1
	s_mov_b32 s12, -1
	s_mov_b32 s10, 0
.LBB46_21:                              ;   in Loop: Header=BB46_6 Depth=1
	s_and_b32 vcc_lo, exec_lo, s12
	s_cbranch_vccz .LBB46_31
.LBB46_22:                              ;   in Loop: Header=BB46_6 Depth=1
	s_and_saveexec_b32 s10, s2
	s_cbranch_execz .LBB46_28
; %bb.23:                               ;   in Loop: Header=BB46_6 Depth=1
	global_load_ushort v8, v14, s[38:39]
	global_load_dwordx2 v[1:2], v[10:11], off
	v_mov_b32_e32 v9, v0
	s_mov_b32 s11, exec_lo
	s_waitcnt vmcnt(1)
	v_add_nc_u32_e32 v6, v0, v8
	v_cmpx_gt_u32_e64 s36, v6
	s_cbranch_execz .LBB46_27
; %bb.24:                               ;   in Loop: Header=BB46_6 Depth=1
	v_mul_lo_u32 v13, s30, v6
	v_mul_lo_u32 v22, s30, v8
	v_lshlrev_b32_e32 v23, 3, v8
	v_mov_b32_e32 v24, v29
	v_mov_b32_e32 v9, v0
	s_mov_b32 s12, 0
	.p2align	6
.LBB46_25:                              ;   Parent Loop BB46_6 Depth=1
                                        ; =>  This Inner Loop Header: Depth=2
	v_lshlrev_b64 v[6:7], 3, v[13:14]
	v_add_nc_u32_e32 v9, v9, v8
	s_waitcnt vmcnt(0)
	ds_write_b64 v24, v[1:2]
	v_add_nc_u32_e32 v24, v24, v23
	v_add_nc_u32_e32 v13, v13, v22
	;; [unrolled: 1-line block ×3, first 2 shown]
	v_add_co_u32 v6, vcc_lo, s31, v6
	v_add_co_ci_u32_e64 v7, null, s33, v7, vcc_lo
	v_cmp_le_u32_e32 vcc_lo, s36, v25
	global_load_dwordx2 v[6:7], v[6:7], off
	s_or_b32 s12, vcc_lo, s12
	s_waitcnt vmcnt(0)
	v_mov_b32_e32 v1, v6
	v_mov_b32_e32 v2, v7
	s_andn2_b32 exec_lo, exec_lo, s12
	s_cbranch_execnz .LBB46_25
; %bb.26:                               ;   in Loop: Header=BB46_6 Depth=1
	s_or_b32 exec_lo, exec_lo, s12
	v_mov_b32_e32 v1, v6
	v_mov_b32_e32 v2, v7
.LBB46_27:                              ;   in Loop: Header=BB46_6 Depth=1
	s_or_b32 exec_lo, exec_lo, s11
	v_lshlrev_b32_e32 v6, 3, v9
	s_waitcnt vmcnt(0)
	ds_write_b64 v6, v[1:2]
.LBB46_28:                              ;   in Loop: Header=BB46_6 Depth=1
	s_or_b32 exec_lo, exec_lo, s10
	s_waitcnt lgkmcnt(0)
	s_barrier
	buffer_gl0_inv
	s_and_saveexec_b32 s10, s3
; %bb.29:                               ;   in Loop: Header=BB46_6 Depth=1
	v_mov_b32_e32 v1, s36
	ds_write_b32 v14, v1 offset:4096
; %bb.30:                               ;   in Loop: Header=BB46_6 Depth=1
	s_or_b32 exec_lo, exec_lo, s10
	s_mov_b32 s10, -1
	s_waitcnt lgkmcnt(0)
	s_barrier
.LBB46_31:                              ;   in Loop: Header=BB46_6 Depth=1
	s_and_b32 vcc_lo, exec_lo, s10
	s_mov_b32 s83, 0
	s_cbranch_vccz .LBB46_33
; %bb.32:                               ;   in Loop: Header=BB46_6 Depth=1
	buffer_gl0_inv
	ds_read_b32 v1, v14 offset:4096
	s_waitcnt lgkmcnt(0)
	v_readfirstlane_b32 s83, v1
.LBB46_33:                              ;   in Loop: Header=BB46_6 Depth=1
	s_cmp_lt_i32 s83, 1
	s_mov_b32 s10, -1
                                        ; implicit-def: $vgpr6
	s_cbranch_scc1 .LBB46_43
; %bb.34:                               ;   in Loop: Header=BB46_6 Depth=1
	s_and_b32 vcc_lo, exec_lo, s10
	s_cbranch_vccnz .LBB46_54
.LBB46_35:                              ;   in Loop: Header=BB46_6 Depth=1
	s_lshl_b32 s10, s72, 7
	s_and_saveexec_b32 s11, s0
.LBB46_36:                              ;   in Loop: Header=BB46_6 Depth=1
	v_lshl_add_u32 v1, s10, 2, v32
	ds_write_b128 v1, v[6:9]
.LBB46_37:                              ;   in Loop: Header=BB46_6 Depth=1
	s_or_b32 exec_lo, exec_lo, s11
	s_waitcnt lgkmcnt(0)
	s_barrier
	buffer_gl0_inv
	s_and_saveexec_b32 s11, s57
	s_cbranch_execz .LBB46_67
; %bb.38:                               ;   in Loop: Header=BB46_6 Depth=1
	v_mov_b32_e32 v1, 0
	s_andn2_b32 vcc_lo, exec_lo, s59
	s_cbranch_vccnz .LBB46_66
; %bb.39:                               ;   in Loop: Header=BB46_6 Depth=1
	s_andn2_b32 vcc_lo, exec_lo, s62
	s_cbranch_vccnz .LBB46_63
; %bb.40:                               ;   in Loop: Header=BB46_6 Depth=1
	v_lshl_add_u32 v2, s72, 9, v38
	v_mov_b32_e32 v1, 0
	s_mov_b32 s12, 0
	.p2align	6
.LBB46_41:                              ;   Parent Loop BB46_6 Depth=1
                                        ; =>  This Inner Loop Header: Depth=2
	ds_read2_b32 v[6:7], v2 offset1:4
	ds_read2_b32 v[8:9], v2 offset0:8 offset1:12
	ds_read2_b32 v[22:23], v2 offset0:16 offset1:20
	;; [unrolled: 1-line block ×3, first 2 shown]
	v_add_nc_u32_e32 v2, 0x80, v2
	s_add_i32 s12, s12, 8
	s_cmp_eq_u32 s56, s12
	s_waitcnt lgkmcnt(3)
	v_add3_u32 v1, v6, v1, v7
	s_waitcnt lgkmcnt(2)
	v_add3_u32 v1, v8, v1, v9
	s_waitcnt lgkmcnt(1)
	v_add3_u32 v1, v22, v1, v23
	s_waitcnt lgkmcnt(0)
	v_add3_u32 v1, v24, v1, v25
	s_cbranch_scc0 .LBB46_41
; %bb.42:                               ;   in Loop: Header=BB46_6 Depth=1
	s_mov_b32 s12, s56
	s_andn2_b32 vcc_lo, exec_lo, s63
	s_cbranch_vccz .LBB46_64
	s_branch .LBB46_66
.LBB46_43:                              ;   in Loop: Header=BB46_6 Depth=1
	v_mov_b32_e32 v6, 0
	v_mov_b32_e32 v7, 0
	;; [unrolled: 1-line block ×4, first 2 shown]
	s_and_saveexec_b32 s24, s7
	s_cbranch_execz .LBB46_47
; %bb.44:                               ;   in Loop: Header=BB46_6 Depth=1
	v_mov_b32_e32 v1, v28
	s_mov_b32 s25, 0
	s_mov_b32 s26, 0
	;; [unrolled: 1-line block ×6, first 2 shown]
.LBB46_45:                              ;   Parent Loop BB46_6 Depth=1
                                        ; =>  This Inner Loop Header: Depth=2
	v_add_nc_u32_e32 v13, s26, v35
	v_mov_b32_e32 v41, v14
	v_mov_b32_e32 v43, v14
	;; [unrolled: 1-line block ×3, first 2 shown]
	v_add_nc_u32_e32 v1, s55, v1
	v_lshlrev_b64 v[6:7], 3, v[13:14]
	v_add_nc_u32_e32 v13, s26, v17
	v_lshlrev_b64 v[8:9], 3, v[13:14]
	v_add_nc_u32_e32 v13, s26, v33
	v_add_co_u32 v6, vcc_lo, s31, v6
	v_add_co_ci_u32_e64 v7, null, s33, v7, vcc_lo
	v_lshlrev_b64 v[22:23], 3, v[13:14]
	v_add_co_u32 v8, vcc_lo, s31, v8
	global_load_dwordx2 v[6:7], v[6:7], off
	v_add_nc_u32_e32 v13, s26, v34
	v_add_co_ci_u32_e64 v9, null, s33, v9, vcc_lo
	v_add_co_u32 v22, vcc_lo, s31, v22
	v_add_co_ci_u32_e64 v23, null, s33, v23, vcc_lo
	v_lshlrev_b64 v[24:25], 3, v[13:14]
	s_clause 0x1
	global_load_dwordx2 v[8:9], v[8:9], off
	global_load_dwordx2 v[22:23], v[22:23], off
	s_add_i32 s26, s26, s68
	v_add_co_u32 v24, vcc_lo, s31, v24
	v_add_co_ci_u32_e64 v25, null, s33, v25, vcc_lo
	v_cmp_le_u32_e32 vcc_lo, s65, v1
	global_load_dwordx2 v[24:25], v[24:25], off
	s_waitcnt vmcnt(3)
	v_xor_b32_e32 v7, 0x80000000, v7
	v_and_b32_e32 v46, v6, v20
	v_and_b32_e32 v47, v7, v21
	v_lshrrev_b64 v[6:7], s76, v[6:7]
	s_waitcnt vmcnt(2)
	v_xor_b32_e32 v9, 0x80000000, v9
	s_waitcnt vmcnt(1)
	v_xor_b32_e32 v23, 0x80000000, v23
	v_cmp_eq_u64_e64 s10, v[46:47], v[18:19]
	v_and_b32_e32 v13, 3, v6
	v_and_b32_e32 v48, v8, v20
	v_lshrrev_b64 v[46:47], s76, v[8:9]
	v_and_b32_e32 v7, v22, v20
	v_and_b32_e32 v8, v23, v21
	v_cmp_eq_u64_e64 s12, 0, v[13:14]
	v_lshrrev_b64 v[22:23], s76, v[22:23]
	v_and_b32_e32 v49, v9, v21
	v_and_b32_e32 v40, 3, v46
	v_cmp_eq_u64_e64 s13, 1, v[13:14]
	s_waitcnt vmcnt(0)
	v_xor_b32_e32 v25, 0x80000000, v25
	v_cmp_eq_u64_e64 s14, 2, v[13:14]
	v_cmp_eq_u64_e64 s15, 3, v[13:14]
	s_and_b32 s12, s10, s12
	v_cmp_eq_u64_e64 s11, v[48:49], v[18:19]
	v_and_b32_e32 v42, 3, v22
	v_cmp_eq_u64_e64 s17, 0, v[40:41]
	v_cmp_eq_u64_e64 s18, 1, v[40:41]
	;; [unrolled: 1-line block ×4, first 2 shown]
	v_lshrrev_b64 v[8:9], s76, v[24:25]
	v_cndmask_b32_e64 v2, 0, 1, s12
	s_and_b32 s12, s10, s13
	v_cmp_eq_u64_e64 s20, 3, v[40:41]
	v_and_b32_e32 v6, v24, v20
	v_and_b32_e32 v7, v25, v21
	v_cndmask_b32_e64 v9, 0, 1, s12
	s_and_b32 s12, s10, s14
	s_and_b32 s10, s10, s15
	v_cndmask_b32_e64 v13, 0, 1, s12
	v_cmp_eq_u64_e64 s12, 0, v[42:43]
	v_cmp_eq_u64_e64 s13, 1, v[42:43]
	v_cndmask_b32_e64 v22, 0, 1, s10
	s_and_b32 s17, s11, s17
	s_and_b32 s18, s11, s18
	;; [unrolled: 1-line block ×3, first 2 shown]
	v_and_b32_e32 v44, 3, v8
	v_cmp_eq_u64_e64 s14, 2, v[42:43]
	v_cmp_eq_u64_e64 s15, 3, v[42:43]
	;; [unrolled: 1-line block ×3, first 2 shown]
	v_cmp_ne_u32_e64 s21, 0, v2
	v_cndmask_b32_e64 v2, 0, 1, s17
	v_cndmask_b32_e64 v6, 0, 1, s18
	;; [unrolled: 1-line block ×3, first 2 shown]
	s_and_b32 s11, s11, s20
	v_cmp_ne_u32_e64 s19, 0, v22
	v_cndmask_b32_e64 v8, 0, 1, s11
	s_and_b32 s12, s16, s12
	s_and_b32 s13, s16, s13
	v_cmp_eq_u64_e64 s11, 0, v[44:45]
	v_cmp_eq_u64_e64 s20, 1, v[44:45]
	;; [unrolled: 1-line block ×4, first 2 shown]
	s_bcnt1_i32_b32 s85, s21
	v_cmp_ne_u32_e64 s21, 0, v2
	v_cndmask_b32_e64 v2, 0, 1, s12
	v_cmp_ne_u32_e64 s12, 0, v6
	v_cndmask_b32_e64 v6, 0, 1, s13
	v_cmp_ne_u32_e64 s13, 0, v7
	s_and_b32 s14, s16, s14
	s_and_b32 s15, s16, s15
	v_cndmask_b32_e64 v7, 0, 1, s14
	v_cmp_ne_u32_e64 s14, 0, v8
	v_cndmask_b32_e64 v8, 0, 1, s15
	v_cmp_ne_u32_e64 s18, 0, v13
	s_bcnt1_i32_b32 s19, s19
	s_and_b32 s11, s10, s11
	s_add_i32 s19, s19, s27
	s_bcnt1_i32_b32 s27, s12
	s_and_b32 s12, s10, s20
	s_bcnt1_i32_b32 s20, s13
	s_and_b32 s13, s10, s22
	s_and_b32 s10, s10, s23
	v_cmp_ne_u32_e64 s17, 0, v9
	v_cmp_ne_u32_e64 s15, 0, v2
	v_cndmask_b32_e64 v2, 0, 1, s11
	v_cmp_ne_u32_e64 s11, 0, v6
	v_cndmask_b32_e64 v6, 0, 1, s12
	;; [unrolled: 2-line block ×4, first 2 shown]
	s_bcnt1_i32_b32 s18, s18
	s_add_i32 s16, s85, s84
	s_add_i32 s18, s18, s28
	s_bcnt1_i32_b32 s21, s21
	s_bcnt1_i32_b32 s14, s14
	;; [unrolled: 1-line block ×3, first 2 shown]
	s_add_i32 s16, s16, s21
	s_add_i32 s18, s18, s20
	;; [unrolled: 1-line block ×3, first 2 shown]
	v_cmp_ne_u32_e64 s10, 0, v2
	s_bcnt1_i32_b32 s19, s11
	v_cmp_ne_u32_e64 s11, 0, v6
	s_bcnt1_i32_b32 s20, s12
	;; [unrolled: 2-line block ×3, first 2 shown]
	v_cmp_ne_u32_e64 s13, 0, v8
	s_add_i32 s17, s17, s29
	s_bcnt1_i32_b32 s15, s15
	s_add_i32 s17, s17, s27
	s_add_i32 s15, s16, s15
	;; [unrolled: 1-line block ×5, first 2 shown]
	s_bcnt1_i32_b32 s10, s10
	s_bcnt1_i32_b32 s11, s11
	;; [unrolled: 1-line block ×4, first 2 shown]
	s_add_i32 s84, s15, s10
	s_add_i32 s29, s16, s11
	;; [unrolled: 1-line block ×4, first 2 shown]
	v_mov_b32_e32 v6, s84
	v_mov_b32_e32 v7, s29
	;; [unrolled: 1-line block ×4, first 2 shown]
	s_or_b32 s25, vcc_lo, s25
	s_andn2_b32 exec_lo, exec_lo, s25
	s_cbranch_execnz .LBB46_45
; %bb.46:                               ;   in Loop: Header=BB46_6 Depth=1
	s_or_b32 exec_lo, exec_lo, s25
.LBB46_47:                              ;   in Loop: Header=BB46_6 Depth=1
	s_or_b32 exec_lo, exec_lo, s24
	s_and_saveexec_b32 s14, s8
	s_cbranch_execz .LBB46_53
; %bb.48:                               ;   in Loop: Header=BB46_6 Depth=1
	global_load_dwordx2 v[24:25], v[15:16], off
	v_mov_b32_e32 v1, v36
	v_mov_b32_e32 v40, v30
	s_mov_b32 s15, 0
	s_branch .LBB46_50
.LBB46_49:                              ;   in Loop: Header=BB46_50 Depth=2
	s_or_b32 exec_lo, exec_lo, s11
	s_waitcnt vmcnt(0)
	v_xor_b32_e32 v25, 0x80000000, v25
	s_and_b32 s12, exec_lo, vcc_lo
	v_add_nc_u32_e32 v1, s48, v1
	s_or_b32 s15, s12, s15
	v_lshrrev_b64 v[41:42], s76, v[24:25]
	v_and_b32_e32 v24, v24, v20
	v_and_b32_e32 v25, v25, v21
	;; [unrolled: 1-line block ×3, first 2 shown]
	v_cmp_eq_u64_e64 s10, v[24:25], v[18:19]
	v_cmp_eq_u64_e64 s11, 0, v[13:14]
	v_cmp_eq_u64_e32 vcc_lo, 1, v[13:14]
	v_cmp_eq_u64_e64 s12, 2, v[13:14]
	v_cmp_eq_u64_e64 s13, 3, v[13:14]
	s_and_b32 s11, s10, s11
	v_cndmask_b32_e64 v2, 0, 1, s11
	s_and_b32 s11, s10, vcc_lo
	v_cndmask_b32_e64 v13, 0, 1, s11
	s_and_b32 s11, s10, s12
	s_and_b32 s10, s10, s13
	v_cndmask_b32_e64 v24, 0, 1, s11
	v_cndmask_b32_e64 v25, 0, 1, s10
	v_cmp_ne_u32_e32 vcc_lo, 0, v2
	v_cmp_ne_u32_e64 s10, 0, v13
	v_cmp_ne_u32_e64 s11, 0, v24
	;; [unrolled: 1-line block ×3, first 2 shown]
	s_bcnt1_i32_b32 s13, vcc_lo
	s_bcnt1_i32_b32 s10, s10
	v_mov_b32_e32 v25, v23
	s_bcnt1_i32_b32 s11, s11
	s_bcnt1_i32_b32 s12, s12
	v_add_nc_u32_e32 v6, s13, v6
	v_add_nc_u32_e32 v7, s10, v7
	v_add_nc_u32_e32 v8, s11, v8
	v_add_nc_u32_e32 v9, s12, v9
	v_mov_b32_e32 v24, v22
	s_andn2_b32 exec_lo, exec_lo, s15
	s_cbranch_execz .LBB46_52
.LBB46_50:                              ;   Parent Loop BB46_6 Depth=1
                                        ; =>  This Inner Loop Header: Depth=2
	v_mov_b32_e32 v22, 0
	v_add_nc_u32_e32 v40, s46, v40
	v_mov_b32_e32 v23, 0
	s_mov_b32 s11, exec_lo
	v_cmp_le_u32_e32 vcc_lo, s36, v40
	v_cmpx_gt_u32_e64 s36, v40
	s_cbranch_execz .LBB46_49
; %bb.51:                               ;   in Loop: Header=BB46_50 Depth=2
	v_mov_b32_e32 v2, v14
	v_lshlrev_b64 v[22:23], 3, v[1:2]
	v_add_co_u32 v22, s10, s31, v22
	v_add_co_ci_u32_e64 v23, null, s33, v23, s10
	global_load_dwordx2 v[22:23], v[22:23], off
	s_branch .LBB46_49
.LBB46_52:                              ;   in Loop: Header=BB46_6 Depth=1
	s_or_b32 exec_lo, exec_lo, s15
.LBB46_53:                              ;   in Loop: Header=BB46_6 Depth=1
	s_or_b32 exec_lo, exec_lo, s14
	s_branch .LBB46_35
.LBB46_54:                              ;   in Loop: Header=BB46_6 Depth=1
	s_mul_hi_u32 s10, s83, s64
	v_mov_b32_e32 v6, 0
	s_mul_i32 s10, s10, s55
	v_mov_b32_e32 v7, 0
	s_sub_i32 s10, s83, s10
	v_mov_b32_e32 v8, 0
	s_sub_i32 s11, s10, s55
	s_cmp_ge_u32 s10, s55
	v_mov_b32_e32 v9, 0
	s_cselect_b32 s10, s11, s10
	s_mov_b32 s85, exec_lo
	s_sub_i32 s11, s10, s55
	s_cmp_ge_u32 s10, s55
	s_cselect_b32 s10, s11, s10
	s_sub_i32 s84, s83, s10
	v_cmpx_gt_u32_e64 s84, v28
	s_cbranch_execz .LBB46_58
; %bb.55:                               ;   in Loop: Header=BB46_6 Depth=1
	v_mov_b32_e32 v1, v37
	v_mov_b32_e32 v2, v28
	s_mov_b32 s86, 0
	s_mov_b32 s87, 0
	;; [unrolled: 1-line block ×5, first 2 shown]
.LBB46_56:                              ;   Parent Loop BB46_6 Depth=1
                                        ; =>  This Inner Loop Header: Depth=2
	ds_read_b128 v[6:9], v1
	ds_read_b128 v[22:25], v1 offset:16
	v_mov_b32_e32 v41, v14
	v_mov_b32_e32 v43, v14
	;; [unrolled: 1-line block ×3, first 2 shown]
	v_add_nc_u32_e32 v2, s55, v2
	v_add_nc_u32_e32 v1, s69, v1
	v_cmp_le_u32_e32 vcc_lo, s84, v2
	s_waitcnt lgkmcnt(1)
	v_xor_b32_e32 v7, 0x80000000, v7
	v_xor_b32_e32 v9, 0x80000000, v9
	s_waitcnt lgkmcnt(0)
	v_xor_b32_e32 v23, 0x80000000, v23
	v_and_b32_e32 v46, v6, v20
	v_xor_b32_e32 v25, 0x80000000, v25
	v_and_b32_e32 v47, v7, v21
	v_lshrrev_b64 v[6:7], s76, v[6:7]
	v_and_b32_e32 v48, v8, v20
	v_lshrrev_b64 v[7:8], s76, v[8:9]
	;; [unrolled: 2-line block ×3, first 2 shown]
	v_and_b32_e32 v50, v22, v20
	v_and_b32_e32 v51, v23, v21
	v_lshrrev_b64 v[22:23], s76, v[24:25]
	v_and_b32_e32 v13, 3, v6
	v_and_b32_e32 v40, 3, v7
	;; [unrolled: 1-line block ×3, first 2 shown]
	v_cmp_eq_u64_e64 s10, v[46:47], v[18:19]
	v_and_b32_e32 v52, v24, v20
	v_cmp_eq_u64_e64 s14, 0, v[13:14]
	v_and_b32_e32 v53, v25, v21
	v_and_b32_e32 v44, 3, v22
	v_cmp_eq_u64_e64 s11, v[48:49], v[18:19]
	v_cmp_eq_u64_e64 s15, 0, v[40:41]
	;; [unrolled: 1-line block ×6, first 2 shown]
	s_and_b32 s14, s10, s14
	v_cmp_eq_u64_e64 s18, 1, v[13:14]
	v_cndmask_b32_e64 v6, 0, 1, s14
	s_and_b32 s14, s11, s15
	v_cmp_eq_u64_e64 s19, 1, v[40:41]
	v_cndmask_b32_e64 v7, 0, 1, s14
	;; [unrolled: 3-line block ×4, first 2 shown]
	s_and_b32 s14, s10, s18
	v_cmp_eq_u64_e64 s22, 2, v[13:14]
	v_cmp_eq_u64_e64 s26, 3, v[13:14]
	v_cndmask_b32_e64 v13, 0, 1, s14
	s_and_b32 s14, s11, s19
	v_cmp_eq_u64_e64 s23, 2, v[40:41]
	v_cmp_eq_u64_e64 s27, 3, v[40:41]
	v_cndmask_b32_e64 v22, 0, 1, s14
	;; [unrolled: 4-line block ×4, first 2 shown]
	s_and_b32 s14, s10, s22
	s_and_b32 s10, s10, s26
	v_cndmask_b32_e64 v25, 0, 1, s14
	s_and_b32 s14, s11, s23
	v_cndmask_b32_e64 v43, 0, 1, s10
	;; [unrolled: 2-line block ×7, first 2 shown]
	v_cndmask_b32_e64 v46, 0, 1, s10
	v_cmp_ne_u32_e64 s10, 0, v6
	v_cmp_ne_u32_e64 s14, 0, v13
	;; [unrolled: 1-line block ×12, first 2 shown]
	s_bcnt1_i32_b32 s10, s10
	s_bcnt1_i32_b32 s14, s14
	;; [unrolled: 1-line block ×4, first 2 shown]
	v_cmp_ne_u32_e64 s13, 0, v9
	v_cmp_ne_u32_e64 s17, 0, v24
	;; [unrolled: 1-line block ×4, first 2 shown]
	s_bcnt1_i32_b32 s11, s11
	s_bcnt1_i32_b32 s15, s15
	s_bcnt1_i32_b32 s19, s19
	s_bcnt1_i32_b32 s23, s23
	s_add_i32 s10, s10, s90
	s_add_i32 s14, s14, s89
	s_add_i32 s18, s18, s88
	s_add_i32 s22, s22, s87
	s_bcnt1_i32_b32 s12, s12
	s_bcnt1_i32_b32 s16, s16
	s_bcnt1_i32_b32 s20, s20
	s_bcnt1_i32_b32 s24, s24
	s_add_i32 s10, s10, s11
	s_add_i32 s11, s14, s15
	s_add_i32 s14, s18, s19
	s_add_i32 s15, s22, s23
	;; [unrolled: 8-line block ×3, first 2 shown]
	s_add_i32 s90, s10, s13
	s_add_i32 s89, s11, s17
	;; [unrolled: 1-line block ×4, first 2 shown]
	v_mov_b32_e32 v6, s90
	v_mov_b32_e32 v7, s89
	;; [unrolled: 1-line block ×4, first 2 shown]
	s_or_b32 s86, vcc_lo, s86
	s_andn2_b32 exec_lo, exec_lo, s86
	s_cbranch_execnz .LBB46_56
; %bb.57:                               ;   in Loop: Header=BB46_6 Depth=1
	s_or_b32 exec_lo, exec_lo, s86
.LBB46_58:                              ;   in Loop: Header=BB46_6 Depth=1
	s_or_b32 exec_lo, exec_lo, s85
	v_add_nc_u32_e32 v1, s84, v0
	s_mov_b32 s15, exec_lo
	v_cmpx_gt_u32_e64 s83, v1
	s_cbranch_execz .LBB46_62
; %bb.59:                               ;   in Loop: Header=BB46_6 Depth=1
	v_lshlrev_b32_e32 v2, 3, v1
	s_mov_b32 s16, 0
.LBB46_60:                              ;   Parent Loop BB46_6 Depth=1
                                        ; =>  This Inner Loop Header: Depth=2
	ds_read_b64 v[22:23], v2
	v_add_nc_u32_e32 v1, s46, v1
	v_add_nc_u32_e32 v2, s70, v2
	v_cmp_le_u32_e32 vcc_lo, s83, v1
	s_waitcnt lgkmcnt(0)
	v_xor_b32_e32 v23, 0x80000000, v23
	v_and_b32_e32 v24, v22, v20
	v_and_b32_e32 v25, v23, v21
	v_lshrrev_b64 v[22:23], s76, v[22:23]
	v_cmp_eq_u64_e64 s10, v[24:25], v[18:19]
	v_and_b32_e32 v13, 3, v22
	v_cmp_eq_u64_e64 s11, 0, v[13:14]
	v_cmp_eq_u64_e64 s12, 1, v[13:14]
	;; [unrolled: 1-line block ×4, first 2 shown]
	s_and_b32 s11, s10, s11
	v_cndmask_b32_e64 v13, 0, 1, s11
	s_and_b32 s11, s10, s12
	v_cndmask_b32_e64 v22, 0, 1, s11
	s_and_b32 s11, s10, s13
	s_and_b32 s10, s10, s14
	v_cndmask_b32_e64 v23, 0, 1, s11
	v_cndmask_b32_e64 v24, 0, 1, s10
	v_cmp_ne_u32_e64 s10, 0, v13
	v_cmp_ne_u32_e64 s11, 0, v22
	;; [unrolled: 1-line block ×4, first 2 shown]
	s_bcnt1_i32_b32 s10, s10
	s_bcnt1_i32_b32 s11, s11
	v_add_nc_u32_e32 v6, s10, v6
	s_bcnt1_i32_b32 s12, s12
	s_bcnt1_i32_b32 s13, s13
	v_add_nc_u32_e32 v7, s11, v7
	v_add_nc_u32_e32 v8, s12, v8
	;; [unrolled: 1-line block ×3, first 2 shown]
	s_or_b32 s16, vcc_lo, s16
	s_andn2_b32 exec_lo, exec_lo, s16
	s_cbranch_execnz .LBB46_60
; %bb.61:                               ;   in Loop: Header=BB46_6 Depth=1
	s_or_b32 exec_lo, exec_lo, s16
.LBB46_62:                              ;   in Loop: Header=BB46_6 Depth=1
	s_or_b32 exec_lo, exec_lo, s15
	s_lshl_b32 s10, s72, 7
	s_and_saveexec_b32 s11, s0
	s_cbranch_execnz .LBB46_36
	s_branch .LBB46_37
.LBB46_63:                              ;   in Loop: Header=BB46_6 Depth=1
	v_mov_b32_e32 v1, 0
	s_mov_b32 s12, 0
	s_andn2_b32 vcc_lo, exec_lo, s63
	s_cbranch_vccnz .LBB46_66
.LBB46_64:                              ;   in Loop: Header=BB46_6 Depth=1
	s_lshl_b32 s13, s72, 9
	s_lshl_b32 s12, s12, 4
	v_add3_u32 v2, s13, s12, v38
	s_mov_b32 s12, s61
.LBB46_65:                              ;   Parent Loop BB46_6 Depth=1
                                        ; =>  This Inner Loop Header: Depth=2
	ds_read_b32 v6, v2
	v_add_nc_u32_e32 v2, 16, v2
	s_add_i32 s12, s12, -1
	s_cmp_lg_u32 s12, 0
	s_waitcnt lgkmcnt(0)
	v_add_nc_u32_e32 v1, v6, v1
	s_cbranch_scc1 .LBB46_65
.LBB46_66:                              ;   in Loop: Header=BB46_6 Depth=1
	v_add_lshl_u32 v2, s10, v27, 2
	ds_write_b32 v2, v1 offset:3072
.LBB46_67:                              ;   in Loop: Header=BB46_6 Depth=1
	s_or_b32 exec_lo, exec_lo, s11
	s_lshl_b32 s10, s10, 2
	s_waitcnt lgkmcnt(0)
	v_mov_b32_e32 v1, s10
	s_barrier
	buffer_gl0_inv
	v_cmp_eq_u32_e64 s10, 1, v39
	s_lshl_b64 s[12:13], 3, s76
	ds_read_b128 v[6:9], v1 offset:3072
	s_mov_b32 s24, -1
	s_not_b64 s[14:15], s[12:13]
	s_mov_b32 s16, 0
	s_andn2_b32 vcc_lo, exec_lo, s54
	s_mov_b32 s21, 0
	s_mov_b32 s11, 0
                                        ; implicit-def: $sgpr22
                                        ; implicit-def: $sgpr23
                                        ; implicit-def: $vgpr25
                                        ; implicit-def: $vgpr24
                                        ; implicit-def: $vgpr22_vgpr23
                                        ; implicit-def: $vgpr1_vgpr2
	s_waitcnt lgkmcnt(0)
	v_readfirstlane_b32 s17, v6
	v_readfirstlane_b32 s18, v7
	;; [unrolled: 1-line block ×4, first 2 shown]
                                        ; implicit-def: $vgpr8_vgpr9
	s_cbranch_vccnz .LBB46_228
; %bb.68:                               ;   in Loop: Header=BB46_6 Depth=1
	s_cmp_eq_u32 s17, 1
	v_mov_b32_e32 v23, v19
	v_mov_b32_e32 v1, v20
	;; [unrolled: 1-line block ×6, first 2 shown]
	s_cselect_b32 s11, -1, 0
	s_mov_b32 s27, -1
	s_and_b32 s26, s11, s10
                                        ; implicit-def: $sgpr23
                                        ; implicit-def: $sgpr22
	s_and_saveexec_b32 s11, s26
	s_cbranch_execz .LBB46_97
; %bb.69:                               ;   in Loop: Header=BB46_6 Depth=1
	ds_read_b32 v1, v14 offset:4096
	s_waitcnt lgkmcnt(0)
	s_barrier
	buffer_gl0_inv
	v_readfirstlane_b32 s24, v1
	s_and_saveexec_b32 s21, s6
; %bb.70:                               ;   in Loop: Header=BB46_6 Depth=1
	v_mov_b32_e32 v13, v14
	ds_write_b64 v31, v[13:14]
; %bb.71:                               ;   in Loop: Header=BB46_6 Depth=1
	s_or_b32 exec_lo, exec_lo, s21
	v_and_b32_e32 v23, s15, v19
	v_and_b32_e32 v22, s14, v18
	v_or_b32_e32 v2, s13, v21
	v_or_b32_e32 v1, s12, v20
	s_mov_b32 s22, -1
	s_mov_b32 s23, 0
	s_cmp_eq_u32 s24, 0
	s_mov_b32 s21, 0
	s_mov_b32 s25, -1
	s_waitcnt lgkmcnt(0)
	s_barrier
	buffer_gl0_inv
                                        ; implicit-def: $vgpr8_vgpr9
	s_cbranch_scc1 .LBB46_85
; %bb.72:                               ;   in Loop: Header=BB46_6 Depth=1
	s_add_i32 s21, s24, s60
                                        ; implicit-def: $vgpr8_vgpr9
	s_mul_hi_u32 s25, s21, s66
	s_mul_i32 s25, s25, s46
	s_sub_i32 s25, s21, s25
	s_sub_i32 s27, s25, s46
	s_cmp_ge_u32 s25, s46
	s_cselect_b32 s25, s27, s25
	s_sub_i32 s27, s25, s46
	s_cmp_ge_u32 s25, s46
	s_cselect_b32 s25, s27, s25
	s_mov_b32 s27, exec_lo
	s_sub_i32 s28, s21, s25
	s_mov_b32 s25, 0
	s_mov_b32 s21, 0
	v_cmpx_gt_u32_e64 s28, v0
	s_cbranch_execz .LBB46_84
; %bb.73:                               ;   in Loop: Header=BB46_6 Depth=1
	v_mov_b32_e32 v13, v29
	v_mov_b32_e32 v24, v0
                                        ; implicit-def: $sgpr29
	s_inst_prefetch 0x1
	s_branch .LBB46_76
	.p2align	6
.LBB46_74:                              ;   in Loop: Header=BB46_76 Depth=2
	s_or_b32 exec_lo, exec_lo, s83
	s_waitcnt lgkmcnt(0)
	s_barrier
	buffer_gl0_inv
	ds_read_b128 v[6:9], v14 offset:3072
	s_mov_b32 s83, -1
	s_mov_b32 s84, -1
	s_waitcnt lgkmcnt(0)
	s_barrier
	buffer_gl0_inv
	v_cmp_ne_u64_e32 vcc_lo, 0, v[6:7]
	s_cbranch_vccz .LBB46_79
.LBB46_75:                              ;   in Loop: Header=BB46_76 Depth=2
	s_and_b32 s83, exec_lo, s83
	s_or_b32 s21, s83, s21
	s_andn2_b32 s29, s29, exec_lo
	s_and_b32 s83, s84, exec_lo
	s_or_b32 s29, s29, s83
	s_andn2_b32 exec_lo, exec_lo, s21
	s_cbranch_execz .LBB46_83
.LBB46_76:                              ;   Parent Loop BB46_6 Depth=1
                                        ; =>  This Inner Loop Header: Depth=2
	s_mov_b32 s83, exec_lo
	v_cmpx_gt_u32_e64 s24, v24
	s_cbranch_execz .LBB46_74
; %bb.77:                               ;   in Loop: Header=BB46_76 Depth=2
	ds_read_b64 v[7:8], v13
	s_waitcnt lgkmcnt(0)
	v_xor_b32_e32 v6, 0x80000000, v8
	v_and_b32_e32 v40, v7, v1
	v_and_b32_e32 v41, v6, v2
	v_cmp_eq_u64_e32 vcc_lo, v[40:41], v[22:23]
	s_and_b32 exec_lo, exec_lo, vcc_lo
	s_cbranch_execz .LBB46_74
; %bb.78:                               ;   in Loop: Header=BB46_76 Depth=2
	v_mov_b32_e32 v6, v14
	ds_write_b128 v14, v[5:8] offset:3072
	s_branch .LBB46_74
	.p2align	6
.LBB46_79:                              ;   in Loop: Header=BB46_76 Depth=2
	v_add_nc_u32_e32 v24, s46, v24
	v_add_nc_u32_e32 v13, s70, v13
	s_mov_b32 s84, 0
	v_cmp_le_u32_e32 vcc_lo, s28, v24
	s_orn2_b32 s83, vcc_lo, exec_lo
	s_branch .LBB46_75
.LBB46_80:                              ;   in Loop: Header=BB46_6 Depth=1
	s_or_b32 exec_lo, exec_lo, s13
	s_waitcnt lgkmcnt(0)
	s_barrier
	buffer_gl0_inv
	s_and_saveexec_b32 s10, s3
	s_cbranch_execz .LBB46_82
; %bb.81:                               ;   in Loop: Header=BB46_6 Depth=1
	ds_read_b32 v1, v14 offset:4104
	s_waitcnt lgkmcnt(0)
	ds_write_b32 v14, v1 offset:4096
.LBB46_82:                              ;   in Loop: Header=BB46_6 Depth=1
	s_or_b32 exec_lo, exec_lo, s10
	s_waitcnt lgkmcnt(0)
	s_mov_b32 s10, -1
	s_barrier
	s_and_b32 vcc_lo, exec_lo, s12
	s_cbranch_vccnz .LBB46_22
	s_branch .LBB46_31
.LBB46_83:                              ;   in Loop: Header=BB46_6 Depth=1
	s_inst_prefetch 0x2
	s_or_b32 exec_lo, exec_lo, s21
	s_and_b32 s21, s29, exec_lo
.LBB46_84:                              ;   in Loop: Header=BB46_6 Depth=1
	s_or_b32 exec_lo, exec_lo, s27
.LBB46_85:                              ;   in Loop: Header=BB46_6 Depth=1
	s_and_b32 vcc_lo, exec_lo, s25
	s_cbranch_vccz .LBB46_96
; %bb.86:                               ;   in Loop: Header=BB46_6 Depth=1
                                        ; implicit-def: $vgpr8_vgpr9
	s_and_saveexec_b32 s22, s9
	s_cbranch_execz .LBB46_95
; %bb.87:                               ;   in Loop: Header=BB46_6 Depth=1
	v_mov_b32_e32 v13, v12
	v_mov_b32_e32 v24, v0
	s_mov_b32 s24, 0
                                        ; implicit-def: $sgpr23
	s_inst_prefetch 0x1
	s_branch .LBB46_90
	.p2align	6
.LBB46_88:                              ;   in Loop: Header=BB46_90 Depth=2
	s_or_b32 exec_lo, exec_lo, s25
	s_waitcnt lgkmcnt(0)
	s_barrier
	buffer_gl0_inv
	ds_read_b128 v[6:9], v14 offset:3072
	s_mov_b32 s25, -1
	s_mov_b32 s27, -1
	s_waitcnt lgkmcnt(0)
	s_barrier
	buffer_gl0_inv
	v_cmp_ne_u64_e32 vcc_lo, 0, v[6:7]
	s_cbranch_vccz .LBB46_93
.LBB46_89:                              ;   in Loop: Header=BB46_90 Depth=2
	s_and_b32 s25, exec_lo, s25
	s_or_b32 s24, s25, s24
	s_andn2_b32 s23, s23, exec_lo
	s_and_b32 s25, s27, exec_lo
	s_or_b32 s23, s23, s25
	s_andn2_b32 exec_lo, exec_lo, s24
	s_cbranch_execz .LBB46_94
.LBB46_90:                              ;   Parent Loop BB46_6 Depth=1
                                        ; =>  This Inner Loop Header: Depth=2
	s_mov_b32 s25, exec_lo
	v_cmpx_gt_u32_e64 s36, v24
	s_cbranch_execz .LBB46_88
; %bb.91:                               ;   in Loop: Header=BB46_90 Depth=2
	v_lshlrev_b64 v[6:7], 3, v[13:14]
	v_add_co_u32 v6, vcc_lo, s31, v6
	v_add_co_ci_u32_e64 v7, null, s33, v7, vcc_lo
	global_load_dwordx2 v[7:8], v[6:7], off
	s_waitcnt vmcnt(0)
	v_xor_b32_e32 v6, 0x80000000, v8
	v_and_b32_e32 v40, v7, v1
	v_and_b32_e32 v41, v6, v2
	v_cmp_eq_u64_e32 vcc_lo, v[40:41], v[22:23]
	s_and_b32 exec_lo, exec_lo, vcc_lo
	s_cbranch_execz .LBB46_88
; %bb.92:                               ;   in Loop: Header=BB46_90 Depth=2
	v_mov_b32_e32 v6, v14
	ds_write_b128 v14, v[5:8] offset:3072
	s_branch .LBB46_88
.LBB46_93:                              ;   in Loop: Header=BB46_90 Depth=2
	v_add_nc_u32_e32 v24, s46, v24
	v_add_nc_u32_e32 v13, s48, v13
	s_mov_b32 s27, 0
	v_cmp_le_u32_e32 vcc_lo, s67, v24
	s_orn2_b32 s25, vcc_lo, exec_lo
	s_branch .LBB46_89
.LBB46_94:                              ;   in Loop: Header=BB46_6 Depth=1
	s_inst_prefetch 0x2
	s_or_b32 exec_lo, exec_lo, s24
	s_andn2_b32 s21, s21, exec_lo
	s_and_b32 s23, s23, exec_lo
	s_or_b32 s21, s21, s23
.LBB46_95:                              ;   in Loop: Header=BB46_6 Depth=1
	s_or_b32 exec_lo, exec_lo, s22
	s_mov_b32 s22, 0
	s_mov_b32 s23, -1
.LBB46_96:                              ;   in Loop: Header=BB46_6 Depth=1
	s_orn2_b32 s27, s21, exec_lo
.LBB46_97:                              ;   in Loop: Header=BB46_6 Depth=1
	s_or_b32 exec_lo, exec_lo, s11
	s_mov_b32 s24, 0
	s_mov_b32 s21, 0
	;; [unrolled: 1-line block ×3, first 2 shown]
                                        ; implicit-def: $vgpr25
                                        ; implicit-def: $vgpr24
	s_and_saveexec_b32 s25, s27
	s_cbranch_execz .LBB46_227
; %bb.98:                               ;   in Loop: Header=BB46_6 Depth=1
	v_mov_b32_e32 v25, 1
	v_mov_b32_e32 v24, 1
	s_xor_b32 s21, s26, -1
	s_mov_b32 s28, 0
	s_and_saveexec_b32 s11, s21
	s_cbranch_execz .LBB46_107
; %bb.99:                               ;   in Loop: Header=BB46_6 Depth=1
	s_mov_b32 s21, exec_lo
	v_cmpx_ge_u32_e64 s17, v39
	s_xor_b32 s21, exec_lo, s21
	s_cbranch_execz .LBB46_104
; %bb.100:                              ;   in Loop: Header=BB46_6 Depth=1
	ds_read_b32 v6, v14 offset:4096
	v_and_b32_e32 v23, s15, v23
	v_and_b32_e32 v22, s14, v22
	v_or_b32_e32 v2, s13, v2
	v_or_b32_e32 v1, s12, v1
	s_waitcnt lgkmcnt(0)
	v_cmp_ne_u32_e32 vcc_lo, 0, v6
	s_cbranch_vccnz .LBB46_104
; %bb.101:                              ;   in Loop: Header=BB46_6 Depth=1
	s_and_saveexec_b32 s26, s3
; %bb.102:                              ;   in Loop: Header=BB46_6 Depth=1
	v_mov_b32_e32 v6, s17
	ds_write_b32 v14, v6 offset:4100
; %bb.103:                              ;   in Loop: Header=BB46_6 Depth=1
	s_or_b32 exec_lo, exec_lo, s26
	s_waitcnt lgkmcnt(0)
	s_barrier
	buffer_gl0_inv
.LBB46_104:                             ;   in Loop: Header=BB46_6 Depth=1
	s_or_saveexec_b32 s21, s21
	v_mov_b32_e32 v24, 8
	v_mov_b32_e32 v25, v39
	s_mov_b32 s26, 0
	s_xor_b32 exec_lo, exec_lo, s21
; %bb.105:                              ;   in Loop: Header=BB46_6 Depth=1
	v_subrev_nc_u32_e32 v25, s17, v39
	v_mov_b32_e32 v24, 0
	s_mov_b32 s26, exec_lo
; %bb.106:                              ;   in Loop: Header=BB46_6 Depth=1
	s_or_b32 exec_lo, exec_lo, s21
	s_and_b32 s28, s26, exec_lo
.LBB46_107:                             ;   in Loop: Header=BB46_6 Depth=1
	s_or_b32 exec_lo, exec_lo, s11
	s_mov_b32 s27, -1
                                        ; implicit-def: $sgpr21
                                        ; implicit-def: $sgpr26
	s_and_saveexec_b32 s11, s28
	s_xor_b32 s11, exec_lo, s11
	s_cbranch_execz .LBB46_224
; %bb.108:                              ;   in Loop: Header=BB46_6 Depth=1
	v_cmp_eq_u32_e32 vcc_lo, 1, v25
	s_cmp_eq_u32 s18, 1
	s_mov_b32 s29, -1
	s_cselect_b32 s21, -1, 0
                                        ; implicit-def: $sgpr26
	s_and_b32 s28, s21, vcc_lo
                                        ; implicit-def: $sgpr21
	s_and_saveexec_b32 s27, s28
	s_cbranch_execz .LBB46_134
; %bb.109:                              ;   in Loop: Header=BB46_6 Depth=1
	ds_read_b32 v6, v14 offset:4096
	s_waitcnt lgkmcnt(0)
	s_barrier
	buffer_gl0_inv
	v_readfirstlane_b32 s83, v6
	s_and_saveexec_b32 s21, s6
; %bb.110:                              ;   in Loop: Header=BB46_6 Depth=1
	v_mov_b32_e32 v13, v14
	ds_write_b64 v31, v[13:14]
; %bb.111:                              ;   in Loop: Header=BB46_6 Depth=1
	s_or_b32 exec_lo, exec_lo, s21
	v_and_b32_e32 v6, s15, v23
	v_and_b32_e32 v7, s14, v22
	s_lshl_b64 s[84:85], 1, s76
	v_or_b32_e32 v2, s13, v2
	v_or_b32_e32 v1, s12, v1
	;; [unrolled: 1-line block ×4, first 2 shown]
	s_mov_b32 s21, -1
	s_mov_b32 s26, 0
	s_cmp_eq_u32 s83, 0
	s_mov_b32 s29, 0
	s_mov_b32 s84, -1
	s_waitcnt lgkmcnt(0)
	s_barrier
	buffer_gl0_inv
                                        ; implicit-def: $vgpr8_vgpr9
	s_cbranch_scc1 .LBB46_122
; %bb.112:                              ;   in Loop: Header=BB46_6 Depth=1
	s_add_i32 s29, s83, s60
                                        ; implicit-def: $vgpr8_vgpr9
	s_mul_hi_u32 s84, s29, s66
	s_mul_i32 s84, s84, s46
	s_sub_i32 s84, s29, s84
	s_sub_i32 s85, s84, s46
	s_cmp_ge_u32 s84, s46
	s_cselect_b32 s84, s85, s84
	s_sub_i32 s85, s84, s46
	s_cmp_ge_u32 s84, s46
	s_cselect_b32 s84, s85, s84
	s_mov_b32 s85, exec_lo
	s_sub_i32 s86, s29, s84
	s_mov_b32 s84, 0
	s_mov_b32 s29, 0
	v_cmpx_gt_u32_e64 s86, v0
	s_cbranch_execz .LBB46_121
; %bb.113:                              ;   in Loop: Header=BB46_6 Depth=1
	v_mov_b32_e32 v13, v29
	v_mov_b32_e32 v40, v0
                                        ; implicit-def: $sgpr87
	s_inst_prefetch 0x1
	s_branch .LBB46_116
	.p2align	6
.LBB46_114:                             ;   in Loop: Header=BB46_116 Depth=2
	s_or_b32 exec_lo, exec_lo, s88
	s_waitcnt lgkmcnt(0)
	s_barrier
	buffer_gl0_inv
	ds_read_b128 v[6:9], v14 offset:3072
	s_mov_b32 s88, -1
	s_mov_b32 s89, -1
	s_waitcnt lgkmcnt(0)
	s_barrier
	buffer_gl0_inv
	v_cmp_ne_u64_e32 vcc_lo, 0, v[6:7]
	s_cbranch_vccz .LBB46_119
.LBB46_115:                             ;   in Loop: Header=BB46_116 Depth=2
	s_and_b32 s88, exec_lo, s88
	s_or_b32 s29, s88, s29
	s_andn2_b32 s87, s87, exec_lo
	s_and_b32 s88, s89, exec_lo
	s_or_b32 s87, s87, s88
	s_andn2_b32 exec_lo, exec_lo, s29
	s_cbranch_execz .LBB46_120
.LBB46_116:                             ;   Parent Loop BB46_6 Depth=1
                                        ; =>  This Inner Loop Header: Depth=2
	s_mov_b32 s88, exec_lo
	v_cmpx_gt_u32_e64 s83, v40
	s_cbranch_execz .LBB46_114
; %bb.117:                              ;   in Loop: Header=BB46_116 Depth=2
	ds_read_b64 v[7:8], v13
	s_waitcnt lgkmcnt(0)
	v_xor_b32_e32 v6, 0x80000000, v8
	v_and_b32_e32 v41, v7, v1
	v_and_b32_e32 v42, v6, v2
	v_cmp_eq_u64_e32 vcc_lo, v[41:42], v[22:23]
	s_and_b32 exec_lo, exec_lo, vcc_lo
	s_cbranch_execz .LBB46_114
; %bb.118:                              ;   in Loop: Header=BB46_116 Depth=2
	v_mov_b32_e32 v6, v14
	ds_write_b128 v14, v[5:8] offset:3072
	s_branch .LBB46_114
	.p2align	6
.LBB46_119:                             ;   in Loop: Header=BB46_116 Depth=2
	v_add_nc_u32_e32 v40, s46, v40
	v_add_nc_u32_e32 v13, s70, v13
	s_mov_b32 s89, 0
	v_cmp_le_u32_e32 vcc_lo, s86, v40
	s_orn2_b32 s88, vcc_lo, exec_lo
	s_branch .LBB46_115
.LBB46_120:                             ;   in Loop: Header=BB46_6 Depth=1
	s_inst_prefetch 0x2
	s_or_b32 exec_lo, exec_lo, s29
	s_and_b32 s29, s87, exec_lo
.LBB46_121:                             ;   in Loop: Header=BB46_6 Depth=1
	s_or_b32 exec_lo, exec_lo, s85
.LBB46_122:                             ;   in Loop: Header=BB46_6 Depth=1
	s_and_b32 vcc_lo, exec_lo, s84
	s_cbranch_vccz .LBB46_133
; %bb.123:                              ;   in Loop: Header=BB46_6 Depth=1
                                        ; implicit-def: $vgpr8_vgpr9
	s_and_saveexec_b32 s21, s9
	s_cbranch_execz .LBB46_132
; %bb.124:                              ;   in Loop: Header=BB46_6 Depth=1
	v_mov_b32_e32 v13, v12
	v_mov_b32_e32 v40, v0
	s_mov_b32 s26, 0
                                        ; implicit-def: $sgpr83
	s_inst_prefetch 0x1
	s_branch .LBB46_127
	.p2align	6
.LBB46_125:                             ;   in Loop: Header=BB46_127 Depth=2
	s_or_b32 exec_lo, exec_lo, s84
	s_waitcnt lgkmcnt(0)
	s_barrier
	buffer_gl0_inv
	ds_read_b128 v[6:9], v14 offset:3072
	s_mov_b32 s84, -1
	s_mov_b32 s85, -1
	s_waitcnt lgkmcnt(0)
	s_barrier
	buffer_gl0_inv
	v_cmp_eq_u64_e32 vcc_lo, 0, v[6:7]
	s_cbranch_vccnz .LBB46_130
.LBB46_126:                             ;   in Loop: Header=BB46_127 Depth=2
	s_and_b32 s84, exec_lo, s84
	s_or_b32 s26, s84, s26
	s_andn2_b32 s83, s83, exec_lo
	s_and_b32 s84, s85, exec_lo
	s_or_b32 s83, s83, s84
	s_andn2_b32 exec_lo, exec_lo, s26
	s_cbranch_execz .LBB46_131
.LBB46_127:                             ;   Parent Loop BB46_6 Depth=1
                                        ; =>  This Inner Loop Header: Depth=2
	s_mov_b32 s84, exec_lo
	v_cmpx_gt_u32_e64 s36, v40
	s_cbranch_execz .LBB46_125
; %bb.128:                              ;   in Loop: Header=BB46_127 Depth=2
	v_lshlrev_b64 v[6:7], 3, v[13:14]
	v_add_co_u32 v6, vcc_lo, s31, v6
	v_add_co_ci_u32_e64 v7, null, s33, v7, vcc_lo
	global_load_dwordx2 v[7:8], v[6:7], off
	s_waitcnt vmcnt(0)
	v_xor_b32_e32 v6, 0x80000000, v8
	v_and_b32_e32 v41, v7, v1
	v_and_b32_e32 v42, v6, v2
	v_cmp_eq_u64_e32 vcc_lo, v[41:42], v[22:23]
	s_and_b32 exec_lo, exec_lo, vcc_lo
	s_cbranch_execz .LBB46_125
; %bb.129:                              ;   in Loop: Header=BB46_127 Depth=2
	v_mov_b32_e32 v6, v14
	ds_write_b128 v14, v[5:8] offset:3072
	s_branch .LBB46_125
.LBB46_130:                             ;   in Loop: Header=BB46_127 Depth=2
	v_add_nc_u32_e32 v40, s46, v40
	v_add_nc_u32_e32 v13, s48, v13
	s_mov_b32 s85, 0
	v_cmp_le_u32_e32 vcc_lo, s67, v40
	s_orn2_b32 s84, vcc_lo, exec_lo
	s_branch .LBB46_126
.LBB46_131:                             ;   in Loop: Header=BB46_6 Depth=1
	s_inst_prefetch 0x2
	s_or_b32 exec_lo, exec_lo, s26
	s_andn2_b32 s26, s29, exec_lo
	s_and_b32 s29, s83, exec_lo
	s_or_b32 s29, s26, s29
.LBB46_132:                             ;   in Loop: Header=BB46_6 Depth=1
	s_or_b32 exec_lo, exec_lo, s21
	s_mov_b32 s21, 0
	s_mov_b32 s26, -1
.LBB46_133:                             ;   in Loop: Header=BB46_6 Depth=1
	s_orn2_b32 s29, s29, exec_lo
.LBB46_134:                             ;   in Loop: Header=BB46_6 Depth=1
	s_or_b32 exec_lo, exec_lo, s27
	s_mov_b32 s83, 0
	s_and_saveexec_b32 s27, s29
	s_cbranch_execz .LBB46_223
; %bb.135:                              ;   in Loop: Header=BB46_6 Depth=1
	v_mov_b32_e32 v40, 1
	v_mov_b32_e32 v24, 1
	s_xor_b32 s29, s28, -1
	s_mov_b32 s85, 0
	s_and_saveexec_b32 s28, s29
	s_cbranch_execz .LBB46_144
; %bb.136:                              ;   in Loop: Header=BB46_6 Depth=1
	s_mov_b32 s29, exec_lo
	v_cmpx_ge_u32_e64 s18, v25
	s_xor_b32 s29, exec_lo, s29
	s_cbranch_execz .LBB46_141
; %bb.137:                              ;   in Loop: Header=BB46_6 Depth=1
	ds_read_b32 v6, v14 offset:4096
	v_and_b32_e32 v7, s15, v23
	v_and_b32_e32 v13, s14, v22
	s_lshl_b64 s[84:85], 1, s76
	v_or_b32_e32 v2, s13, v2
	v_or_b32_e32 v1, s12, v1
	;; [unrolled: 1-line block ×4, first 2 shown]
	s_waitcnt lgkmcnt(0)
	v_cmp_ne_u32_e32 vcc_lo, 0, v6
	s_cbranch_vccnz .LBB46_141
; %bb.138:                              ;   in Loop: Header=BB46_6 Depth=1
	s_and_saveexec_b32 s83, s3
; %bb.139:                              ;   in Loop: Header=BB46_6 Depth=1
	v_mov_b32_e32 v6, s18
	ds_write_b32 v14, v6 offset:4100
; %bb.140:                              ;   in Loop: Header=BB46_6 Depth=1
	s_or_b32 exec_lo, exec_lo, s83
	s_waitcnt lgkmcnt(0)
	s_barrier
	buffer_gl0_inv
.LBB46_141:                             ;   in Loop: Header=BB46_6 Depth=1
	s_or_saveexec_b32 s29, s29
	v_mov_b32_e32 v24, 8
	s_mov_b32 s83, 0
	s_xor_b32 exec_lo, exec_lo, s29
; %bb.142:                              ;   in Loop: Header=BB46_6 Depth=1
	v_subrev_nc_u32_e32 v25, s18, v25
	v_mov_b32_e32 v24, 0
	s_mov_b32 s83, exec_lo
; %bb.143:                              ;   in Loop: Header=BB46_6 Depth=1
	s_or_b32 exec_lo, exec_lo, s29
	v_mov_b32_e32 v40, v25
	s_and_b32 s85, s83, exec_lo
.LBB46_144:                             ;   in Loop: Header=BB46_6 Depth=1
	s_or_b32 exec_lo, exec_lo, s28
	s_mov_b32 s84, -1
                                        ; implicit-def: $sgpr29
                                        ; implicit-def: $sgpr83
	s_and_saveexec_b32 s28, s85
	s_cbranch_execz .LBB46_222
; %bb.145:                              ;   in Loop: Header=BB46_6 Depth=1
	v_cmp_eq_u32_e32 vcc_lo, 1, v40
	s_cmp_eq_u32 s19, 1
	s_mov_b32 s86, -1
	s_cselect_b32 s29, -1, 0
                                        ; implicit-def: $sgpr83
	s_and_b32 s85, s29, vcc_lo
                                        ; implicit-def: $sgpr29
	s_and_saveexec_b32 s84, s85
	s_cbranch_execz .LBB46_171
; %bb.146:                              ;   in Loop: Header=BB46_6 Depth=1
	ds_read_b32 v6, v14 offset:4096
	s_waitcnt lgkmcnt(0)
	s_barrier
	buffer_gl0_inv
	v_readfirstlane_b32 s87, v6
	s_and_saveexec_b32 s29, s6
; %bb.147:                              ;   in Loop: Header=BB46_6 Depth=1
	v_mov_b32_e32 v13, v14
	ds_write_b64 v31, v[13:14]
; %bb.148:                              ;   in Loop: Header=BB46_6 Depth=1
	s_or_b32 exec_lo, exec_lo, s29
	v_and_b32_e32 v6, s15, v23
	v_and_b32_e32 v7, s14, v22
	s_lshl_b64 s[88:89], 2, s76
	v_or_b32_e32 v2, s13, v2
	v_or_b32_e32 v1, s12, v1
	;; [unrolled: 1-line block ×4, first 2 shown]
	s_mov_b32 s29, -1
	s_mov_b32 s83, 0
	s_cmp_eq_u32 s87, 0
	s_mov_b32 s86, 0
	s_mov_b32 s88, -1
	s_waitcnt lgkmcnt(0)
	s_barrier
	buffer_gl0_inv
                                        ; implicit-def: $vgpr8_vgpr9
	s_cbranch_scc1 .LBB46_159
; %bb.149:                              ;   in Loop: Header=BB46_6 Depth=1
	s_add_i32 s86, s87, s60
                                        ; implicit-def: $vgpr8_vgpr9
	s_mul_hi_u32 s88, s86, s66
	s_mul_i32 s88, s88, s46
	s_sub_i32 s88, s86, s88
	s_sub_i32 s89, s88, s46
	s_cmp_ge_u32 s88, s46
	s_cselect_b32 s88, s89, s88
	s_sub_i32 s89, s88, s46
	s_cmp_ge_u32 s88, s46
	s_cselect_b32 s88, s89, s88
	s_mov_b32 s89, exec_lo
	s_sub_i32 s90, s86, s88
	s_mov_b32 s88, 0
	s_mov_b32 s86, 0
	v_cmpx_gt_u32_e64 s90, v0
	s_cbranch_execz .LBB46_158
; %bb.150:                              ;   in Loop: Header=BB46_6 Depth=1
	v_mov_b32_e32 v13, v29
	v_mov_b32_e32 v25, v0
                                        ; implicit-def: $sgpr91
	s_inst_prefetch 0x1
	s_branch .LBB46_153
	.p2align	6
.LBB46_151:                             ;   in Loop: Header=BB46_153 Depth=2
	s_or_b32 exec_lo, exec_lo, s92
	s_waitcnt lgkmcnt(0)
	s_barrier
	buffer_gl0_inv
	ds_read_b128 v[6:9], v14 offset:3072
	s_mov_b32 s92, -1
	s_mov_b32 s93, -1
	s_waitcnt lgkmcnt(0)
	s_barrier
	buffer_gl0_inv
	v_cmp_ne_u64_e32 vcc_lo, 0, v[6:7]
	s_cbranch_vccz .LBB46_156
.LBB46_152:                             ;   in Loop: Header=BB46_153 Depth=2
	s_and_b32 s92, exec_lo, s92
	s_or_b32 s86, s92, s86
	s_andn2_b32 s91, s91, exec_lo
	s_and_b32 s92, s93, exec_lo
	s_or_b32 s91, s91, s92
	s_andn2_b32 exec_lo, exec_lo, s86
	s_cbranch_execz .LBB46_157
.LBB46_153:                             ;   Parent Loop BB46_6 Depth=1
                                        ; =>  This Inner Loop Header: Depth=2
	s_mov_b32 s92, exec_lo
	v_cmpx_gt_u32_e64 s87, v25
	s_cbranch_execz .LBB46_151
; %bb.154:                              ;   in Loop: Header=BB46_153 Depth=2
	ds_read_b64 v[7:8], v13
	s_waitcnt lgkmcnt(0)
	v_xor_b32_e32 v6, 0x80000000, v8
	v_and_b32_e32 v41, v7, v1
	v_and_b32_e32 v42, v6, v2
	v_cmp_eq_u64_e32 vcc_lo, v[41:42], v[22:23]
	s_and_b32 exec_lo, exec_lo, vcc_lo
	s_cbranch_execz .LBB46_151
; %bb.155:                              ;   in Loop: Header=BB46_153 Depth=2
	v_mov_b32_e32 v6, v14
	ds_write_b128 v14, v[5:8] offset:3072
	s_branch .LBB46_151
	.p2align	6
.LBB46_156:                             ;   in Loop: Header=BB46_153 Depth=2
	v_add_nc_u32_e32 v25, s46, v25
	v_add_nc_u32_e32 v13, s70, v13
	s_mov_b32 s93, 0
	v_cmp_le_u32_e32 vcc_lo, s90, v25
	s_orn2_b32 s92, vcc_lo, exec_lo
	s_branch .LBB46_152
.LBB46_157:                             ;   in Loop: Header=BB46_6 Depth=1
	s_inst_prefetch 0x2
	s_or_b32 exec_lo, exec_lo, s86
	s_and_b32 s86, s91, exec_lo
.LBB46_158:                             ;   in Loop: Header=BB46_6 Depth=1
	s_or_b32 exec_lo, exec_lo, s89
.LBB46_159:                             ;   in Loop: Header=BB46_6 Depth=1
	s_and_b32 vcc_lo, exec_lo, s88
	s_cbranch_vccz .LBB46_170
; %bb.160:                              ;   in Loop: Header=BB46_6 Depth=1
                                        ; implicit-def: $vgpr8_vgpr9
	s_and_saveexec_b32 s29, s9
	s_cbranch_execz .LBB46_169
; %bb.161:                              ;   in Loop: Header=BB46_6 Depth=1
	v_mov_b32_e32 v13, v12
	v_mov_b32_e32 v25, v0
	s_mov_b32 s83, 0
                                        ; implicit-def: $sgpr87
	s_inst_prefetch 0x1
	s_branch .LBB46_164
	.p2align	6
.LBB46_162:                             ;   in Loop: Header=BB46_164 Depth=2
	s_or_b32 exec_lo, exec_lo, s88
	s_waitcnt lgkmcnt(0)
	s_barrier
	buffer_gl0_inv
	ds_read_b128 v[6:9], v14 offset:3072
	s_mov_b32 s88, -1
	s_mov_b32 s89, -1
	s_waitcnt lgkmcnt(0)
	s_barrier
	buffer_gl0_inv
	v_cmp_eq_u64_e32 vcc_lo, 0, v[6:7]
	s_cbranch_vccnz .LBB46_167
.LBB46_163:                             ;   in Loop: Header=BB46_164 Depth=2
	s_and_b32 s88, exec_lo, s88
	s_or_b32 s83, s88, s83
	s_andn2_b32 s87, s87, exec_lo
	s_and_b32 s88, s89, exec_lo
	s_or_b32 s87, s87, s88
	s_andn2_b32 exec_lo, exec_lo, s83
	s_cbranch_execz .LBB46_168
.LBB46_164:                             ;   Parent Loop BB46_6 Depth=1
                                        ; =>  This Inner Loop Header: Depth=2
	s_mov_b32 s88, exec_lo
	v_cmpx_gt_u32_e64 s36, v25
	s_cbranch_execz .LBB46_162
; %bb.165:                              ;   in Loop: Header=BB46_164 Depth=2
	v_lshlrev_b64 v[6:7], 3, v[13:14]
	v_add_co_u32 v6, vcc_lo, s31, v6
	v_add_co_ci_u32_e64 v7, null, s33, v7, vcc_lo
	global_load_dwordx2 v[7:8], v[6:7], off
	s_waitcnt vmcnt(0)
	v_xor_b32_e32 v6, 0x80000000, v8
	v_and_b32_e32 v41, v7, v1
	v_and_b32_e32 v42, v6, v2
	v_cmp_eq_u64_e32 vcc_lo, v[41:42], v[22:23]
	s_and_b32 exec_lo, exec_lo, vcc_lo
	s_cbranch_execz .LBB46_162
; %bb.166:                              ;   in Loop: Header=BB46_164 Depth=2
	v_mov_b32_e32 v6, v14
	ds_write_b128 v14, v[5:8] offset:3072
	s_branch .LBB46_162
.LBB46_167:                             ;   in Loop: Header=BB46_164 Depth=2
	v_add_nc_u32_e32 v25, s46, v25
	v_add_nc_u32_e32 v13, s48, v13
	s_mov_b32 s89, 0
	v_cmp_le_u32_e32 vcc_lo, s67, v25
	s_orn2_b32 s88, vcc_lo, exec_lo
	s_branch .LBB46_163
.LBB46_168:                             ;   in Loop: Header=BB46_6 Depth=1
	s_inst_prefetch 0x2
	s_or_b32 exec_lo, exec_lo, s83
	s_andn2_b32 s83, s86, exec_lo
	s_and_b32 s86, s87, exec_lo
	s_or_b32 s86, s83, s86
.LBB46_169:                             ;   in Loop: Header=BB46_6 Depth=1
	s_or_b32 exec_lo, exec_lo, s29
	s_mov_b32 s29, 0
	s_mov_b32 s83, -1
.LBB46_170:                             ;   in Loop: Header=BB46_6 Depth=1
	s_orn2_b32 s86, s86, exec_lo
.LBB46_171:                             ;   in Loop: Header=BB46_6 Depth=1
	s_or_b32 exec_lo, exec_lo, s84
	s_mov_b32 s87, 0
	s_and_saveexec_b32 s84, s86
	s_cbranch_execz .LBB46_221
; %bb.172:                              ;   in Loop: Header=BB46_6 Depth=1
	v_mov_b32_e32 v25, 1
	v_mov_b32_e32 v24, 1
	s_xor_b32 s86, s85, -1
	s_mov_b32 s89, 0
	s_and_saveexec_b32 s85, s86
	s_cbranch_execz .LBB46_181
; %bb.173:                              ;   in Loop: Header=BB46_6 Depth=1
	s_mov_b32 s86, exec_lo
	v_cmpx_ge_u32_e64 s19, v40
	s_xor_b32 s86, exec_lo, s86
	s_cbranch_execz .LBB46_178
; %bb.174:                              ;   in Loop: Header=BB46_6 Depth=1
	ds_read_b32 v6, v14 offset:4096
	v_and_b32_e32 v7, s15, v23
	v_and_b32_e32 v13, s14, v22
	s_lshl_b64 s[88:89], 2, s76
	v_or_b32_e32 v2, s13, v2
	v_or_b32_e32 v1, s12, v1
	;; [unrolled: 1-line block ×4, first 2 shown]
	s_waitcnt lgkmcnt(0)
	v_cmp_ne_u32_e32 vcc_lo, 0, v6
	s_cbranch_vccnz .LBB46_178
; %bb.175:                              ;   in Loop: Header=BB46_6 Depth=1
	s_and_saveexec_b32 s87, s3
; %bb.176:                              ;   in Loop: Header=BB46_6 Depth=1
	v_mov_b32_e32 v6, s19
	ds_write_b32 v14, v6 offset:4100
; %bb.177:                              ;   in Loop: Header=BB46_6 Depth=1
	s_or_b32 exec_lo, exec_lo, s87
	s_waitcnt lgkmcnt(0)
	s_barrier
	buffer_gl0_inv
.LBB46_178:                             ;   in Loop: Header=BB46_6 Depth=1
	s_or_saveexec_b32 s86, s86
	v_mov_b32_e32 v24, 8
	s_mov_b32 s87, 0
	s_xor_b32 exec_lo, exec_lo, s86
; %bb.179:                              ;   in Loop: Header=BB46_6 Depth=1
	v_subrev_nc_u32_e32 v40, s19, v40
	v_mov_b32_e32 v24, 0
	s_mov_b32 s87, exec_lo
; %bb.180:                              ;   in Loop: Header=BB46_6 Depth=1
	s_or_b32 exec_lo, exec_lo, s86
	v_mov_b32_e32 v25, v40
	s_and_b32 s89, s87, exec_lo
.LBB46_181:                             ;   in Loop: Header=BB46_6 Depth=1
	s_or_b32 exec_lo, exec_lo, s85
	s_mov_b32 s86, -1
                                        ; implicit-def: $sgpr88
                                        ; implicit-def: $sgpr87
	s_and_saveexec_b32 s85, s89
	s_cbranch_execz .LBB46_220
; %bb.182:                              ;   in Loop: Header=BB46_6 Depth=1
	v_cmp_eq_u32_e32 vcc_lo, 1, v25
	s_cmp_eq_u32 s20, 1
	s_mov_b32 s90, -1
	s_cselect_b32 s86, -1, 0
                                        ; implicit-def: $sgpr88
                                        ; implicit-def: $sgpr87
	s_and_b32 s86, s86, vcc_lo
	s_and_saveexec_b32 s89, s86
	s_cbranch_execz .LBB46_208
; %bb.183:                              ;   in Loop: Header=BB46_6 Depth=1
	ds_read_b32 v6, v14 offset:4096
	s_waitcnt lgkmcnt(0)
	s_barrier
	buffer_gl0_inv
	v_readfirstlane_b32 s91, v6
	s_and_saveexec_b32 s87, s6
; %bb.184:                              ;   in Loop: Header=BB46_6 Depth=1
	v_mov_b32_e32 v13, v14
	ds_write_b64 v31, v[13:14]
; %bb.185:                              ;   in Loop: Header=BB46_6 Depth=1
	s_or_b32 exec_lo, exec_lo, s87
	v_or_b32_e32 v23, s13, v23
	v_or_b32_e32 v22, s12, v22
	;; [unrolled: 1-line block ×4, first 2 shown]
	s_mov_b32 s87, -1
	s_mov_b32 s88, 0
	s_cmp_eq_u32 s91, 0
	s_mov_b32 s90, 0
	s_mov_b32 s92, -1
	s_waitcnt lgkmcnt(0)
	s_barrier
	buffer_gl0_inv
                                        ; implicit-def: $vgpr8_vgpr9
	s_cbranch_scc1 .LBB46_196
; %bb.186:                              ;   in Loop: Header=BB46_6 Depth=1
	s_add_i32 s90, s91, s60
                                        ; implicit-def: $vgpr8_vgpr9
	s_mul_hi_u32 s92, s90, s66
	s_mul_i32 s92, s92, s46
	s_sub_i32 s92, s90, s92
	s_sub_i32 s93, s92, s46
	s_cmp_ge_u32 s92, s46
	s_cselect_b32 s92, s93, s92
	s_sub_i32 s93, s92, s46
	s_cmp_ge_u32 s92, s46
	s_cselect_b32 s92, s93, s92
	s_mov_b32 s93, exec_lo
	s_sub_i32 s94, s90, s92
	s_mov_b32 s92, 0
	s_mov_b32 s90, 0
	v_cmpx_gt_u32_e64 s94, v0
	s_cbranch_execz .LBB46_195
; %bb.187:                              ;   in Loop: Header=BB46_6 Depth=1
	v_mov_b32_e32 v13, v29
	v_mov_b32_e32 v40, v0
                                        ; implicit-def: $sgpr95
	s_inst_prefetch 0x1
	s_branch .LBB46_190
	.p2align	6
.LBB46_188:                             ;   in Loop: Header=BB46_190 Depth=2
	s_or_b32 exec_lo, exec_lo, s96
	s_waitcnt lgkmcnt(0)
	s_barrier
	buffer_gl0_inv
	ds_read_b128 v[6:9], v14 offset:3072
	s_mov_b32 s96, -1
	s_mov_b32 s97, -1
	s_waitcnt lgkmcnt(0)
	s_barrier
	buffer_gl0_inv
	v_cmp_ne_u64_e32 vcc_lo, 0, v[6:7]
	s_cbranch_vccz .LBB46_193
.LBB46_189:                             ;   in Loop: Header=BB46_190 Depth=2
	s_and_b32 s96, exec_lo, s96
	s_or_b32 s90, s96, s90
	s_andn2_b32 s95, s95, exec_lo
	s_and_b32 s96, s97, exec_lo
	s_or_b32 s95, s95, s96
	s_andn2_b32 exec_lo, exec_lo, s90
	s_cbranch_execz .LBB46_194
.LBB46_190:                             ;   Parent Loop BB46_6 Depth=1
                                        ; =>  This Inner Loop Header: Depth=2
	s_mov_b32 s96, exec_lo
	v_cmpx_gt_u32_e64 s91, v40
	s_cbranch_execz .LBB46_188
; %bb.191:                              ;   in Loop: Header=BB46_190 Depth=2
	ds_read_b64 v[7:8], v13
	s_waitcnt lgkmcnt(0)
	v_xor_b32_e32 v6, 0x80000000, v8
	v_and_b32_e32 v41, v7, v1
	v_and_b32_e32 v42, v6, v2
	v_cmp_eq_u64_e32 vcc_lo, v[41:42], v[22:23]
	s_and_b32 exec_lo, exec_lo, vcc_lo
	s_cbranch_execz .LBB46_188
; %bb.192:                              ;   in Loop: Header=BB46_190 Depth=2
	v_mov_b32_e32 v6, v14
	ds_write_b128 v14, v[5:8] offset:3072
	s_branch .LBB46_188
	.p2align	6
.LBB46_193:                             ;   in Loop: Header=BB46_190 Depth=2
	v_add_nc_u32_e32 v40, s46, v40
	v_add_nc_u32_e32 v13, s70, v13
	s_mov_b32 s97, 0
	v_cmp_le_u32_e32 vcc_lo, s94, v40
	s_orn2_b32 s96, vcc_lo, exec_lo
	s_branch .LBB46_189
.LBB46_194:                             ;   in Loop: Header=BB46_6 Depth=1
	s_inst_prefetch 0x2
	s_or_b32 exec_lo, exec_lo, s90
	s_and_b32 s90, s95, exec_lo
.LBB46_195:                             ;   in Loop: Header=BB46_6 Depth=1
	s_or_b32 exec_lo, exec_lo, s93
.LBB46_196:                             ;   in Loop: Header=BB46_6 Depth=1
	s_and_b32 vcc_lo, exec_lo, s92
	s_cbranch_vccz .LBB46_207
; %bb.197:                              ;   in Loop: Header=BB46_6 Depth=1
                                        ; implicit-def: $vgpr8_vgpr9
	s_and_saveexec_b32 s87, s9
	s_cbranch_execz .LBB46_206
; %bb.198:                              ;   in Loop: Header=BB46_6 Depth=1
	v_mov_b32_e32 v13, v12
	v_mov_b32_e32 v40, v0
	s_mov_b32 s88, 0
                                        ; implicit-def: $sgpr91
	s_inst_prefetch 0x1
	s_branch .LBB46_201
	.p2align	6
.LBB46_199:                             ;   in Loop: Header=BB46_201 Depth=2
	s_or_b32 exec_lo, exec_lo, s92
	s_waitcnt lgkmcnt(0)
	s_barrier
	buffer_gl0_inv
	ds_read_b128 v[6:9], v14 offset:3072
	s_mov_b32 s92, -1
	s_mov_b32 s93, -1
	s_waitcnt lgkmcnt(0)
	s_barrier
	buffer_gl0_inv
	v_cmp_eq_u64_e32 vcc_lo, 0, v[6:7]
	s_cbranch_vccnz .LBB46_204
.LBB46_200:                             ;   in Loop: Header=BB46_201 Depth=2
	s_and_b32 s92, exec_lo, s92
	s_or_b32 s88, s92, s88
	s_andn2_b32 s91, s91, exec_lo
	s_and_b32 s92, s93, exec_lo
	s_or_b32 s91, s91, s92
	s_andn2_b32 exec_lo, exec_lo, s88
	s_cbranch_execz .LBB46_205
.LBB46_201:                             ;   Parent Loop BB46_6 Depth=1
                                        ; =>  This Inner Loop Header: Depth=2
	s_mov_b32 s92, exec_lo
	v_cmpx_gt_u32_e64 s36, v40
	s_cbranch_execz .LBB46_199
; %bb.202:                              ;   in Loop: Header=BB46_201 Depth=2
	v_lshlrev_b64 v[6:7], 3, v[13:14]
	v_add_co_u32 v6, vcc_lo, s31, v6
	v_add_co_ci_u32_e64 v7, null, s33, v7, vcc_lo
	global_load_dwordx2 v[7:8], v[6:7], off
	s_waitcnt vmcnt(0)
	v_xor_b32_e32 v6, 0x80000000, v8
	v_and_b32_e32 v41, v7, v1
	v_and_b32_e32 v42, v6, v2
	v_cmp_eq_u64_e32 vcc_lo, v[41:42], v[22:23]
	s_and_b32 exec_lo, exec_lo, vcc_lo
	s_cbranch_execz .LBB46_199
; %bb.203:                              ;   in Loop: Header=BB46_201 Depth=2
	v_mov_b32_e32 v6, v14
	ds_write_b128 v14, v[5:8] offset:3072
	s_branch .LBB46_199
.LBB46_204:                             ;   in Loop: Header=BB46_201 Depth=2
	v_add_nc_u32_e32 v40, s46, v40
	v_add_nc_u32_e32 v13, s48, v13
	s_mov_b32 s93, 0
	v_cmp_le_u32_e32 vcc_lo, s67, v40
	s_orn2_b32 s92, vcc_lo, exec_lo
	s_branch .LBB46_200
.LBB46_205:                             ;   in Loop: Header=BB46_6 Depth=1
	s_inst_prefetch 0x2
	s_or_b32 exec_lo, exec_lo, s88
	s_andn2_b32 s88, s90, exec_lo
	s_and_b32 s90, s91, exec_lo
	s_or_b32 s90, s88, s90
.LBB46_206:                             ;   in Loop: Header=BB46_6 Depth=1
	s_or_b32 exec_lo, exec_lo, s87
	s_mov_b32 s87, 0
	s_mov_b32 s88, -1
.LBB46_207:                             ;   in Loop: Header=BB46_6 Depth=1
	s_orn2_b32 s90, s90, exec_lo
.LBB46_208:                             ;   in Loop: Header=BB46_6 Depth=1
	s_or_b32 exec_lo, exec_lo, s89
	s_mov_b32 s91, 0
	s_and_saveexec_b32 s89, s90
	s_cbranch_execz .LBB46_219
; %bb.209:                              ;   in Loop: Header=BB46_6 Depth=1
	v_mov_b32_e32 v24, 1
	v_mov_b32_e32 v6, 1
	s_xor_b32 s90, s86, -1
	s_and_saveexec_b32 s86, s90
	s_cbranch_execz .LBB46_218
; %bb.210:                              ;   in Loop: Header=BB46_6 Depth=1
	s_mov_b32 s90, exec_lo
	v_cmpx_ge_u32_e64 s20, v25
	s_xor_b32 s90, exec_lo, s90
	s_cbranch_execz .LBB46_215
; %bb.211:                              ;   in Loop: Header=BB46_6 Depth=1
	ds_read_b32 v6, v14 offset:4096
	v_or_b32_e32 v23, s13, v23
	v_or_b32_e32 v22, s12, v22
	;; [unrolled: 1-line block ×4, first 2 shown]
	s_waitcnt lgkmcnt(0)
	v_cmp_ne_u32_e32 vcc_lo, 0, v6
	s_cbranch_vccnz .LBB46_215
; %bb.212:                              ;   in Loop: Header=BB46_6 Depth=1
	s_and_saveexec_b32 s91, s3
; %bb.213:                              ;   in Loop: Header=BB46_6 Depth=1
	v_mov_b32_e32 v6, s20
	ds_write_b32 v14, v6 offset:4100
; %bb.214:                              ;   in Loop: Header=BB46_6 Depth=1
	s_or_b32 exec_lo, exec_lo, s91
	s_waitcnt lgkmcnt(0)
	s_barrier
	buffer_gl0_inv
.LBB46_215:                             ;   in Loop: Header=BB46_6 Depth=1
	s_andn2_saveexec_b32 s90, s90
; %bb.216:                              ;   in Loop: Header=BB46_6 Depth=1
	v_subrev_nc_u32_e32 v25, s20, v25
; %bb.217:                              ;   in Loop: Header=BB46_6 Depth=1
	s_or_b32 exec_lo, exec_lo, s90
	v_mov_b32_e32 v24, 8
	v_mov_b32_e32 v6, v25
.LBB46_218:                             ;   in Loop: Header=BB46_6 Depth=1
	s_or_b32 exec_lo, exec_lo, s86
	v_mov_b32_e32 v25, v6
	s_mov_b32 s91, exec_lo
.LBB46_219:                             ;   in Loop: Header=BB46_6 Depth=1
	s_or_b32 exec_lo, exec_lo, s89
	s_orn2_b32 s86, s91, exec_lo
.LBB46_220:                             ;   in Loop: Header=BB46_6 Depth=1
	s_or_b32 exec_lo, exec_lo, s85
	v_mov_b32_e32 v40, v25
	s_andn2_b32 s83, s83, exec_lo
	s_and_b32 s85, s88, exec_lo
	s_andn2_b32 s29, s29, exec_lo
	s_and_b32 s87, s87, exec_lo
	s_or_b32 s83, s83, s85
	s_or_b32 s29, s29, s87
	s_and_b32 s87, s86, exec_lo
.LBB46_221:                             ;   in Loop: Header=BB46_6 Depth=1
	s_or_b32 exec_lo, exec_lo, s84
	s_orn2_b32 s84, s87, exec_lo
.LBB46_222:                             ;   in Loop: Header=BB46_6 Depth=1
	s_or_b32 exec_lo, exec_lo, s28
	v_mov_b32_e32 v25, v40
	s_andn2_b32 s26, s26, exec_lo
	s_and_b32 s28, s83, exec_lo
	s_andn2_b32 s21, s21, exec_lo
	s_and_b32 s29, s29, exec_lo
	s_or_b32 s26, s26, s28
	s_or_b32 s21, s21, s29
	s_and_b32 s83, s84, exec_lo
.LBB46_223:                             ;   in Loop: Header=BB46_6 Depth=1
	s_or_b32 exec_lo, exec_lo, s27
	s_orn2_b32 s27, s83, exec_lo
.LBB46_224:                             ;   in Loop: Header=BB46_6 Depth=1
	s_or_b32 exec_lo, exec_lo, s11
	s_mov_b32 s28, 0
	s_mov_b32 s29, 0
	s_and_saveexec_b32 s11, s27
	s_xor_b32 s27, exec_lo, s11
; %bb.225:                              ;   in Loop: Header=BB46_6 Depth=1
	v_cmp_ne_u32_e32 vcc_lo, 8, v24
	v_cmp_eq_u32_e64 s11, 8, v24
	s_and_b32 s29, vcc_lo, exec_lo
	s_and_b32 s28, s11, exec_lo
; %bb.226:                              ;   in Loop: Header=BB46_6 Depth=1
	s_or_b32 exec_lo, exec_lo, s27
	s_andn2_b32 s11, s23, exec_lo
	s_and_b32 s23, s26, exec_lo
	s_andn2_b32 s22, s22, exec_lo
	s_and_b32 s21, s21, exec_lo
	s_or_b32 s23, s11, s23
	s_or_b32 s22, s22, s21
	s_and_b32 s11, s29, exec_lo
	s_and_b32 s21, s28, exec_lo
.LBB46_227:                             ;   in Loop: Header=BB46_6 Depth=1
	s_or_b32 exec_lo, exec_lo, s25
.LBB46_228:                             ;   in Loop: Header=BB46_6 Depth=1
	s_and_b32 vcc_lo, exec_lo, s24
	s_cbranch_vccz .LBB46_241
; %bb.229:                              ;   in Loop: Header=BB46_6 Depth=1
	s_cmp_eq_u32 s20, 1
	s_mov_b32 s23, -1
	s_cselect_b32 s16, -1, 0
                                        ; implicit-def: $sgpr24
	s_and_b32 s10, s16, s10
                                        ; implicit-def: $sgpr16
	s_and_saveexec_b32 s22, s10
	s_cbranch_execz .LBB46_256
; %bb.230:                              ;   in Loop: Header=BB46_6 Depth=1
	ds_read_b32 v1, v14 offset:4096
	s_waitcnt lgkmcnt(0)
	s_barrier
	buffer_gl0_inv
	v_readfirstlane_b32 s25, v1
	s_and_saveexec_b32 s16, s6
; %bb.231:                              ;   in Loop: Header=BB46_6 Depth=1
	v_mov_b32_e32 v13, v14
	ds_write_b64 v31, v[13:14]
; %bb.232:                              ;   in Loop: Header=BB46_6 Depth=1
	s_or_b32 exec_lo, exec_lo, s16
	v_or_b32_e32 v19, s13, v19
	v_or_b32_e32 v18, s12, v18
	;; [unrolled: 1-line block ×4, first 2 shown]
	s_mov_b32 s16, -1
	s_mov_b32 s24, 0
	s_cmp_eq_u32 s25, 0
	s_mov_b32 s23, 0
	s_mov_b32 s26, -1
	s_waitcnt lgkmcnt(0)
	s_barrier
	buffer_gl0_inv
                                        ; implicit-def: $vgpr3_vgpr4
	s_cbranch_scc1 .LBB46_244
; %bb.233:                              ;   in Loop: Header=BB46_6 Depth=1
	s_add_i32 s23, s25, s60
                                        ; implicit-def: $vgpr3_vgpr4
	s_mul_hi_u32 s26, s23, s66
	s_mul_i32 s26, s26, s46
	s_sub_i32 s26, s23, s26
	s_sub_i32 s27, s26, s46
	s_cmp_ge_u32 s26, s46
	s_cselect_b32 s26, s27, s26
	s_sub_i32 s27, s26, s46
	s_cmp_ge_u32 s26, s46
	s_cselect_b32 s26, s27, s26
	s_mov_b32 s27, exec_lo
	s_sub_i32 s28, s23, s26
	s_mov_b32 s26, 0
	s_mov_b32 s23, 0
	v_cmpx_gt_u32_e64 s28, v0
	s_cbranch_execz .LBB46_243
; %bb.234:                              ;   in Loop: Header=BB46_6 Depth=1
	v_mov_b32_e32 v9, v29
	v_mov_b32_e32 v13, v0
                                        ; implicit-def: $sgpr29
	s_inst_prefetch 0x1
	s_branch .LBB46_237
	.p2align	6
.LBB46_235:                             ;   in Loop: Header=BB46_237 Depth=2
	s_or_b32 exec_lo, exec_lo, s83
	s_waitcnt lgkmcnt(0)
	s_barrier
	buffer_gl0_inv
	ds_read_b128 v[1:4], v14 offset:3072
	s_mov_b32 s83, -1
	s_mov_b32 s84, -1
	s_waitcnt lgkmcnt(0)
	s_barrier
	buffer_gl0_inv
	v_cmp_ne_u64_e32 vcc_lo, 0, v[1:2]
	s_cbranch_vccz .LBB46_240
.LBB46_236:                             ;   in Loop: Header=BB46_237 Depth=2
	s_and_b32 s83, exec_lo, s83
	s_or_b32 s23, s83, s23
	s_andn2_b32 s29, s29, exec_lo
	s_and_b32 s83, s84, exec_lo
	s_or_b32 s29, s29, s83
	s_andn2_b32 exec_lo, exec_lo, s23
	s_cbranch_execz .LBB46_242
.LBB46_237:                             ;   Parent Loop BB46_6 Depth=1
                                        ; =>  This Inner Loop Header: Depth=2
	s_mov_b32 s83, exec_lo
	v_cmpx_gt_u32_e64 s25, v13
	s_cbranch_execz .LBB46_235
; %bb.238:                              ;   in Loop: Header=BB46_237 Depth=2
	ds_read_b64 v[7:8], v9
	s_waitcnt lgkmcnt(0)
	v_xor_b32_e32 v1, 0x80000000, v8
	v_and_b32_e32 v2, v1, v21
	v_and_b32_e32 v1, v7, v20
	v_cmp_eq_u64_e32 vcc_lo, v[1:2], v[18:19]
	s_and_b32 exec_lo, exec_lo, vcc_lo
	s_cbranch_execz .LBB46_235
; %bb.239:                              ;   in Loop: Header=BB46_237 Depth=2
	v_mov_b32_e32 v6, v14
	ds_write_b128 v14, v[5:8] offset:3072
	s_branch .LBB46_235
	.p2align	6
.LBB46_240:                             ;   in Loop: Header=BB46_237 Depth=2
	v_add_nc_u32_e32 v13, s46, v13
	v_add_nc_u32_e32 v9, s70, v9
	s_mov_b32 s84, 0
	v_cmp_le_u32_e32 vcc_lo, s28, v13
	s_orn2_b32 s83, vcc_lo, exec_lo
	s_branch .LBB46_236
.LBB46_241:                             ;   in Loop: Header=BB46_6 Depth=1
	v_mov_b32_e32 v18, v22
	v_mov_b32_e32 v21, v2
	;; [unrolled: 1-line block ×6, first 2 shown]
	s_mov_b32 s24, 0
	s_and_saveexec_b32 s10, s21
	s_cbranch_execnz .LBB46_387
	s_branch .LBB46_388
.LBB46_242:                             ;   in Loop: Header=BB46_6 Depth=1
	s_inst_prefetch 0x2
	s_or_b32 exec_lo, exec_lo, s23
	s_and_b32 s23, s29, exec_lo
.LBB46_243:                             ;   in Loop: Header=BB46_6 Depth=1
	s_or_b32 exec_lo, exec_lo, s27
.LBB46_244:                             ;   in Loop: Header=BB46_6 Depth=1
	s_and_b32 vcc_lo, exec_lo, s26
	s_cbranch_vccz .LBB46_255
; %bb.245:                              ;   in Loop: Header=BB46_6 Depth=1
                                        ; implicit-def: $vgpr3_vgpr4
	s_and_saveexec_b32 s16, s9
	s_cbranch_execz .LBB46_254
; %bb.246:                              ;   in Loop: Header=BB46_6 Depth=1
	v_mov_b32_e32 v13, v12
	v_mov_b32_e32 v9, v0
	s_mov_b32 s25, 0
                                        ; implicit-def: $sgpr24
	s_inst_prefetch 0x1
	s_branch .LBB46_249
	.p2align	6
.LBB46_247:                             ;   in Loop: Header=BB46_249 Depth=2
	s_or_b32 exec_lo, exec_lo, s26
	s_waitcnt lgkmcnt(0)
	s_barrier
	buffer_gl0_inv
	ds_read_b128 v[1:4], v14 offset:3072
	s_mov_b32 s26, -1
	s_mov_b32 s27, -1
	s_waitcnt lgkmcnt(0)
	s_barrier
	buffer_gl0_inv
	v_cmp_ne_u64_e32 vcc_lo, 0, v[1:2]
	s_cbranch_vccz .LBB46_252
.LBB46_248:                             ;   in Loop: Header=BB46_249 Depth=2
	s_and_b32 s26, exec_lo, s26
	s_or_b32 s25, s26, s25
	s_andn2_b32 s24, s24, exec_lo
	s_and_b32 s26, s27, exec_lo
	s_or_b32 s24, s24, s26
	s_andn2_b32 exec_lo, exec_lo, s25
	s_cbranch_execz .LBB46_253
.LBB46_249:                             ;   Parent Loop BB46_6 Depth=1
                                        ; =>  This Inner Loop Header: Depth=2
	s_mov_b32 s26, exec_lo
	v_cmpx_gt_u32_e64 s36, v9
	s_cbranch_execz .LBB46_247
; %bb.250:                              ;   in Loop: Header=BB46_249 Depth=2
	v_lshlrev_b64 v[1:2], 3, v[13:14]
	v_add_co_u32 v1, vcc_lo, s31, v1
	v_add_co_ci_u32_e64 v2, null, s33, v2, vcc_lo
	global_load_dwordx2 v[7:8], v[1:2], off
	s_waitcnt vmcnt(0)
	v_xor_b32_e32 v1, 0x80000000, v8
	v_and_b32_e32 v2, v1, v21
	v_and_b32_e32 v1, v7, v20
	v_cmp_eq_u64_e32 vcc_lo, v[1:2], v[18:19]
	s_and_b32 exec_lo, exec_lo, vcc_lo
	s_cbranch_execz .LBB46_247
; %bb.251:                              ;   in Loop: Header=BB46_249 Depth=2
	v_mov_b32_e32 v6, v14
	ds_write_b128 v14, v[5:8] offset:3072
	s_branch .LBB46_247
.LBB46_252:                             ;   in Loop: Header=BB46_249 Depth=2
	v_add_nc_u32_e32 v9, s46, v9
	v_add_nc_u32_e32 v13, s48, v13
	s_mov_b32 s27, 0
	v_cmp_le_u32_e32 vcc_lo, s67, v9
	s_orn2_b32 s26, vcc_lo, exec_lo
	s_branch .LBB46_248
.LBB46_253:                             ;   in Loop: Header=BB46_6 Depth=1
	s_inst_prefetch 0x2
	s_or_b32 exec_lo, exec_lo, s25
	s_andn2_b32 s23, s23, exec_lo
	s_and_b32 s24, s24, exec_lo
	s_or_b32 s23, s23, s24
.LBB46_254:                             ;   in Loop: Header=BB46_6 Depth=1
	s_or_b32 exec_lo, exec_lo, s16
	s_mov_b32 s16, 0
	s_mov_b32 s24, -1
.LBB46_255:                             ;   in Loop: Header=BB46_6 Depth=1
	s_orn2_b32 s23, s23, exec_lo
.LBB46_256:                             ;   in Loop: Header=BB46_6 Depth=1
	s_or_b32 exec_lo, exec_lo, s22
                                        ; implicit-def: $vgpr25
                                        ; implicit-def: $vgpr24
	s_and_saveexec_b32 s22, s23
	s_cbranch_execz .LBB46_386
; %bb.257:                              ;   in Loop: Header=BB46_6 Depth=1
	v_mov_b32_e32 v25, 1
	v_mov_b32_e32 v24, 1
	s_xor_b32 s23, s10, -1
	s_mov_b32 s26, 0
	s_and_saveexec_b32 s10, s23
	s_cbranch_execz .LBB46_266
; %bb.258:                              ;   in Loop: Header=BB46_6 Depth=1
	s_mov_b32 s23, exec_lo
	v_cmpx_ge_u32_e64 s20, v39
	s_xor_b32 s23, exec_lo, s23
	s_cbranch_execz .LBB46_263
; %bb.259:                              ;   in Loop: Header=BB46_6 Depth=1
	ds_read_b32 v1, v14 offset:4096
	v_or_b32_e32 v19, s13, v19
	v_or_b32_e32 v18, s12, v18
	;; [unrolled: 1-line block ×4, first 2 shown]
	s_waitcnt lgkmcnt(0)
	v_cmp_ne_u32_e32 vcc_lo, 0, v1
	s_cbranch_vccnz .LBB46_263
; %bb.260:                              ;   in Loop: Header=BB46_6 Depth=1
	s_and_saveexec_b32 s25, s3
; %bb.261:                              ;   in Loop: Header=BB46_6 Depth=1
	v_mov_b32_e32 v1, s20
	ds_write_b32 v14, v1 offset:4100
; %bb.262:                              ;   in Loop: Header=BB46_6 Depth=1
	s_or_b32 exec_lo, exec_lo, s25
	s_waitcnt lgkmcnt(0)
	s_barrier
	buffer_gl0_inv
.LBB46_263:                             ;   in Loop: Header=BB46_6 Depth=1
	s_or_saveexec_b32 s23, s23
	v_mov_b32_e32 v24, 5
	s_mov_b32 s25, 0
	s_xor_b32 exec_lo, exec_lo, s23
; %bb.264:                              ;   in Loop: Header=BB46_6 Depth=1
	v_subrev_nc_u32_e32 v39, s20, v39
	v_mov_b32_e32 v24, 0
	s_mov_b32 s25, exec_lo
; %bb.265:                              ;   in Loop: Header=BB46_6 Depth=1
	s_or_b32 exec_lo, exec_lo, s23
	v_mov_b32_e32 v25, v39
	s_and_b32 s26, s25, exec_lo
.LBB46_266:                             ;   in Loop: Header=BB46_6 Depth=1
	s_or_b32 exec_lo, exec_lo, s10
	s_mov_b32 s25, -1
                                        ; implicit-def: $sgpr20
                                        ; implicit-def: $sgpr23
	s_and_saveexec_b32 s10, s26
	s_xor_b32 s10, exec_lo, s10
	s_cbranch_execz .LBB46_383
; %bb.267:                              ;   in Loop: Header=BB46_6 Depth=1
	v_cmp_eq_u32_e32 vcc_lo, 1, v25
	s_cmp_eq_u32 s19, 1
	s_mov_b32 s27, -1
	s_cselect_b32 s20, -1, 0
                                        ; implicit-def: $sgpr23
	s_and_b32 s26, s20, vcc_lo
                                        ; implicit-def: $sgpr20
	s_and_saveexec_b32 s25, s26
	s_cbranch_execz .LBB46_293
; %bb.268:                              ;   in Loop: Header=BB46_6 Depth=1
	ds_read_b32 v1, v14 offset:4096
	s_waitcnt lgkmcnt(0)
	s_barrier
	buffer_gl0_inv
	v_readfirstlane_b32 s28, v1
	s_and_saveexec_b32 s20, s6
; %bb.269:                              ;   in Loop: Header=BB46_6 Depth=1
	v_mov_b32_e32 v13, v14
	ds_write_b64 v31, v[13:14]
; %bb.270:                              ;   in Loop: Header=BB46_6 Depth=1
	s_or_b32 exec_lo, exec_lo, s20
	v_and_b32_e32 v1, s15, v19
	v_and_b32_e32 v2, s14, v18
	s_lshl_b64 s[84:85], 2, s76
	v_or_b32_e32 v21, s13, v21
	v_or_b32_e32 v20, s12, v20
	;; [unrolled: 1-line block ×4, first 2 shown]
	s_mov_b32 s20, -1
	s_mov_b32 s23, 0
	s_cmp_eq_u32 s28, 0
	s_mov_b32 s27, 0
	s_mov_b32 s29, -1
	s_waitcnt lgkmcnt(0)
	s_barrier
	buffer_gl0_inv
                                        ; implicit-def: $vgpr3_vgpr4
	s_cbranch_scc1 .LBB46_281
; %bb.271:                              ;   in Loop: Header=BB46_6 Depth=1
	s_add_i32 s27, s28, s60
                                        ; implicit-def: $vgpr3_vgpr4
	s_mul_hi_u32 s29, s27, s66
	s_mul_i32 s29, s29, s46
	s_sub_i32 s29, s27, s29
	s_sub_i32 s83, s29, s46
	s_cmp_ge_u32 s29, s46
	s_cselect_b32 s29, s83, s29
	s_sub_i32 s83, s29, s46
	s_cmp_ge_u32 s29, s46
	s_cselect_b32 s29, s83, s29
	s_mov_b32 s83, exec_lo
	s_sub_i32 s84, s27, s29
	s_mov_b32 s29, 0
	s_mov_b32 s27, 0
	v_cmpx_gt_u32_e64 s84, v0
	s_cbranch_execz .LBB46_280
; %bb.272:                              ;   in Loop: Header=BB46_6 Depth=1
	v_mov_b32_e32 v9, v29
	v_mov_b32_e32 v13, v0
                                        ; implicit-def: $sgpr85
	s_inst_prefetch 0x1
	s_branch .LBB46_275
	.p2align	6
.LBB46_273:                             ;   in Loop: Header=BB46_275 Depth=2
	s_or_b32 exec_lo, exec_lo, s86
	s_waitcnt lgkmcnt(0)
	s_barrier
	buffer_gl0_inv
	ds_read_b128 v[1:4], v14 offset:3072
	s_mov_b32 s86, -1
	s_mov_b32 s87, -1
	s_waitcnt lgkmcnt(0)
	s_barrier
	buffer_gl0_inv
	v_cmp_ne_u64_e32 vcc_lo, 0, v[1:2]
	s_cbranch_vccz .LBB46_278
.LBB46_274:                             ;   in Loop: Header=BB46_275 Depth=2
	s_and_b32 s86, exec_lo, s86
	s_or_b32 s27, s86, s27
	s_andn2_b32 s85, s85, exec_lo
	s_and_b32 s86, s87, exec_lo
	s_or_b32 s85, s85, s86
	s_andn2_b32 exec_lo, exec_lo, s27
	s_cbranch_execz .LBB46_279
.LBB46_275:                             ;   Parent Loop BB46_6 Depth=1
                                        ; =>  This Inner Loop Header: Depth=2
	s_mov_b32 s86, exec_lo
	v_cmpx_gt_u32_e64 s28, v13
	s_cbranch_execz .LBB46_273
; %bb.276:                              ;   in Loop: Header=BB46_275 Depth=2
	ds_read_b64 v[7:8], v9
	s_waitcnt lgkmcnt(0)
	v_xor_b32_e32 v1, 0x80000000, v8
	v_and_b32_e32 v2, v1, v21
	v_and_b32_e32 v1, v7, v20
	v_cmp_eq_u64_e32 vcc_lo, v[1:2], v[18:19]
	s_and_b32 exec_lo, exec_lo, vcc_lo
	s_cbranch_execz .LBB46_273
; %bb.277:                              ;   in Loop: Header=BB46_275 Depth=2
	v_mov_b32_e32 v6, v14
	ds_write_b128 v14, v[5:8] offset:3072
	s_branch .LBB46_273
	.p2align	6
.LBB46_278:                             ;   in Loop: Header=BB46_275 Depth=2
	v_add_nc_u32_e32 v13, s46, v13
	v_add_nc_u32_e32 v9, s70, v9
	s_mov_b32 s87, 0
	v_cmp_le_u32_e32 vcc_lo, s84, v13
	s_orn2_b32 s86, vcc_lo, exec_lo
	s_branch .LBB46_274
.LBB46_279:                             ;   in Loop: Header=BB46_6 Depth=1
	s_inst_prefetch 0x2
	s_or_b32 exec_lo, exec_lo, s27
	s_and_b32 s27, s85, exec_lo
.LBB46_280:                             ;   in Loop: Header=BB46_6 Depth=1
	s_or_b32 exec_lo, exec_lo, s83
.LBB46_281:                             ;   in Loop: Header=BB46_6 Depth=1
	s_and_b32 vcc_lo, exec_lo, s29
	s_cbranch_vccz .LBB46_292
; %bb.282:                              ;   in Loop: Header=BB46_6 Depth=1
                                        ; implicit-def: $vgpr3_vgpr4
	s_and_saveexec_b32 s20, s9
	s_cbranch_execz .LBB46_291
; %bb.283:                              ;   in Loop: Header=BB46_6 Depth=1
	v_mov_b32_e32 v13, v12
	v_mov_b32_e32 v9, v0
	s_mov_b32 s23, 0
                                        ; implicit-def: $sgpr28
	s_inst_prefetch 0x1
	s_branch .LBB46_286
	.p2align	6
.LBB46_284:                             ;   in Loop: Header=BB46_286 Depth=2
	s_or_b32 exec_lo, exec_lo, s29
	s_waitcnt lgkmcnt(0)
	s_barrier
	buffer_gl0_inv
	ds_read_b128 v[1:4], v14 offset:3072
	s_mov_b32 s29, -1
	s_mov_b32 s83, -1
	s_waitcnt lgkmcnt(0)
	s_barrier
	buffer_gl0_inv
	v_cmp_eq_u64_e32 vcc_lo, 0, v[1:2]
	s_cbranch_vccnz .LBB46_289
.LBB46_285:                             ;   in Loop: Header=BB46_286 Depth=2
	s_and_b32 s29, exec_lo, s29
	s_or_b32 s23, s29, s23
	s_andn2_b32 s28, s28, exec_lo
	s_and_b32 s29, s83, exec_lo
	s_or_b32 s28, s28, s29
	s_andn2_b32 exec_lo, exec_lo, s23
	s_cbranch_execz .LBB46_290
.LBB46_286:                             ;   Parent Loop BB46_6 Depth=1
                                        ; =>  This Inner Loop Header: Depth=2
	s_mov_b32 s29, exec_lo
	v_cmpx_gt_u32_e64 s36, v9
	s_cbranch_execz .LBB46_284
; %bb.287:                              ;   in Loop: Header=BB46_286 Depth=2
	v_lshlrev_b64 v[1:2], 3, v[13:14]
	v_add_co_u32 v1, vcc_lo, s31, v1
	v_add_co_ci_u32_e64 v2, null, s33, v2, vcc_lo
	global_load_dwordx2 v[7:8], v[1:2], off
	s_waitcnt vmcnt(0)
	v_xor_b32_e32 v1, 0x80000000, v8
	v_and_b32_e32 v2, v1, v21
	v_and_b32_e32 v1, v7, v20
	v_cmp_eq_u64_e32 vcc_lo, v[1:2], v[18:19]
	s_and_b32 exec_lo, exec_lo, vcc_lo
	s_cbranch_execz .LBB46_284
; %bb.288:                              ;   in Loop: Header=BB46_286 Depth=2
	v_mov_b32_e32 v6, v14
	ds_write_b128 v14, v[5:8] offset:3072
	s_branch .LBB46_284
.LBB46_289:                             ;   in Loop: Header=BB46_286 Depth=2
	v_add_nc_u32_e32 v9, s46, v9
	v_add_nc_u32_e32 v13, s48, v13
	s_mov_b32 s83, 0
	v_cmp_le_u32_e32 vcc_lo, s67, v9
	s_orn2_b32 s29, vcc_lo, exec_lo
	s_branch .LBB46_285
.LBB46_290:                             ;   in Loop: Header=BB46_6 Depth=1
	s_inst_prefetch 0x2
	s_or_b32 exec_lo, exec_lo, s23
	s_andn2_b32 s23, s27, exec_lo
	s_and_b32 s27, s28, exec_lo
	s_or_b32 s27, s23, s27
.LBB46_291:                             ;   in Loop: Header=BB46_6 Depth=1
	s_or_b32 exec_lo, exec_lo, s20
	s_mov_b32 s20, 0
	s_mov_b32 s23, -1
.LBB46_292:                             ;   in Loop: Header=BB46_6 Depth=1
	s_orn2_b32 s27, s27, exec_lo
.LBB46_293:                             ;   in Loop: Header=BB46_6 Depth=1
	s_or_b32 exec_lo, exec_lo, s25
	s_mov_b32 s28, 0
	s_and_saveexec_b32 s25, s27
	s_cbranch_execz .LBB46_382
; %bb.294:                              ;   in Loop: Header=BB46_6 Depth=1
	v_mov_b32_e32 v9, 1
	v_mov_b32_e32 v24, 1
	s_xor_b32 s27, s26, -1
	s_mov_b32 s29, 0
	s_and_saveexec_b32 s26, s27
	s_cbranch_execz .LBB46_303
; %bb.295:                              ;   in Loop: Header=BB46_6 Depth=1
	s_mov_b32 s27, exec_lo
	v_cmpx_ge_u32_e64 s19, v25
	s_xor_b32 s27, exec_lo, s27
	s_cbranch_execz .LBB46_300
; %bb.296:                              ;   in Loop: Header=BB46_6 Depth=1
	ds_read_b32 v1, v14 offset:4096
	v_and_b32_e32 v2, s15, v19
	v_and_b32_e32 v6, s14, v18
	s_lshl_b64 s[28:29], 2, s76
	v_or_b32_e32 v21, s13, v21
	v_or_b32_e32 v20, s12, v20
	;; [unrolled: 1-line block ×4, first 2 shown]
	s_waitcnt lgkmcnt(0)
	v_cmp_ne_u32_e32 vcc_lo, 0, v1
	s_cbranch_vccnz .LBB46_300
; %bb.297:                              ;   in Loop: Header=BB46_6 Depth=1
	s_and_saveexec_b32 s28, s3
; %bb.298:                              ;   in Loop: Header=BB46_6 Depth=1
	v_mov_b32_e32 v1, s19
	ds_write_b32 v14, v1 offset:4100
; %bb.299:                              ;   in Loop: Header=BB46_6 Depth=1
	s_or_b32 exec_lo, exec_lo, s28
	s_waitcnt lgkmcnt(0)
	s_barrier
	buffer_gl0_inv
.LBB46_300:                             ;   in Loop: Header=BB46_6 Depth=1
	s_or_saveexec_b32 s27, s27
	v_mov_b32_e32 v24, 5
	s_mov_b32 s28, 0
	s_xor_b32 exec_lo, exec_lo, s27
; %bb.301:                              ;   in Loop: Header=BB46_6 Depth=1
	v_subrev_nc_u32_e32 v25, s19, v25
	v_mov_b32_e32 v24, 0
	s_mov_b32 s28, exec_lo
; %bb.302:                              ;   in Loop: Header=BB46_6 Depth=1
	s_or_b32 exec_lo, exec_lo, s27
	v_mov_b32_e32 v9, v25
	s_and_b32 s29, s28, exec_lo
.LBB46_303:                             ;   in Loop: Header=BB46_6 Depth=1
	s_or_b32 exec_lo, exec_lo, s26
	s_mov_b32 s28, -1
                                        ; implicit-def: $sgpr26
                                        ; implicit-def: $sgpr27
	s_and_saveexec_b32 s19, s29
	s_cbranch_execz .LBB46_381
; %bb.304:                              ;   in Loop: Header=BB46_6 Depth=1
	v_cmp_eq_u32_e32 vcc_lo, 1, v9
	s_cmp_eq_u32 s18, 1
	s_mov_b32 s83, -1
	s_cselect_b32 s26, -1, 0
                                        ; implicit-def: $sgpr27
	s_and_b32 s29, s26, vcc_lo
                                        ; implicit-def: $sgpr26
	s_and_saveexec_b32 s28, s29
	s_cbranch_execz .LBB46_330
; %bb.305:                              ;   in Loop: Header=BB46_6 Depth=1
	ds_read_b32 v1, v14 offset:4096
	s_waitcnt lgkmcnt(0)
	s_barrier
	buffer_gl0_inv
	v_readfirstlane_b32 s84, v1
	s_and_saveexec_b32 s26, s6
; %bb.306:                              ;   in Loop: Header=BB46_6 Depth=1
	v_mov_b32_e32 v13, v14
	ds_write_b64 v31, v[13:14]
; %bb.307:                              ;   in Loop: Header=BB46_6 Depth=1
	s_or_b32 exec_lo, exec_lo, s26
	v_and_b32_e32 v1, s15, v19
	v_and_b32_e32 v2, s14, v18
	s_lshl_b64 s[26:27], 1, s76
	v_or_b32_e32 v21, s13, v21
	v_or_b32_e32 v20, s12, v20
	;; [unrolled: 1-line block ×4, first 2 shown]
	s_mov_b32 s26, -1
	s_mov_b32 s27, 0
	s_cmp_eq_u32 s84, 0
	s_mov_b32 s83, 0
	s_mov_b32 s85, -1
	s_waitcnt lgkmcnt(0)
	s_barrier
	buffer_gl0_inv
                                        ; implicit-def: $vgpr3_vgpr4
	s_cbranch_scc1 .LBB46_318
; %bb.308:                              ;   in Loop: Header=BB46_6 Depth=1
	s_add_i32 s83, s84, s60
                                        ; implicit-def: $vgpr3_vgpr4
	s_mul_hi_u32 s85, s83, s66
	s_mul_i32 s85, s85, s46
	s_sub_i32 s85, s83, s85
	s_sub_i32 s86, s85, s46
	s_cmp_ge_u32 s85, s46
	s_cselect_b32 s85, s86, s85
	s_sub_i32 s86, s85, s46
	s_cmp_ge_u32 s85, s46
	s_cselect_b32 s85, s86, s85
	s_mov_b32 s86, exec_lo
	s_sub_i32 s87, s83, s85
	s_mov_b32 s85, 0
	s_mov_b32 s83, 0
	v_cmpx_gt_u32_e64 s87, v0
	s_cbranch_execz .LBB46_317
; %bb.309:                              ;   in Loop: Header=BB46_6 Depth=1
	v_mov_b32_e32 v13, v29
	v_mov_b32_e32 v22, v0
                                        ; implicit-def: $sgpr88
	s_inst_prefetch 0x1
	s_branch .LBB46_312
	.p2align	6
.LBB46_310:                             ;   in Loop: Header=BB46_312 Depth=2
	s_or_b32 exec_lo, exec_lo, s89
	s_waitcnt lgkmcnt(0)
	s_barrier
	buffer_gl0_inv
	ds_read_b128 v[1:4], v14 offset:3072
	s_mov_b32 s89, -1
	s_mov_b32 s90, -1
	s_waitcnt lgkmcnt(0)
	s_barrier
	buffer_gl0_inv
	v_cmp_ne_u64_e32 vcc_lo, 0, v[1:2]
	s_cbranch_vccz .LBB46_315
.LBB46_311:                             ;   in Loop: Header=BB46_312 Depth=2
	s_and_b32 s89, exec_lo, s89
	s_or_b32 s83, s89, s83
	s_andn2_b32 s88, s88, exec_lo
	s_and_b32 s89, s90, exec_lo
	s_or_b32 s88, s88, s89
	s_andn2_b32 exec_lo, exec_lo, s83
	s_cbranch_execz .LBB46_316
.LBB46_312:                             ;   Parent Loop BB46_6 Depth=1
                                        ; =>  This Inner Loop Header: Depth=2
	s_mov_b32 s89, exec_lo
	v_cmpx_gt_u32_e64 s84, v22
	s_cbranch_execz .LBB46_310
; %bb.313:                              ;   in Loop: Header=BB46_312 Depth=2
	ds_read_b64 v[7:8], v13
	s_waitcnt lgkmcnt(0)
	v_xor_b32_e32 v1, 0x80000000, v8
	v_and_b32_e32 v2, v1, v21
	v_and_b32_e32 v1, v7, v20
	v_cmp_eq_u64_e32 vcc_lo, v[1:2], v[18:19]
	s_and_b32 exec_lo, exec_lo, vcc_lo
	s_cbranch_execz .LBB46_310
; %bb.314:                              ;   in Loop: Header=BB46_312 Depth=2
	v_mov_b32_e32 v6, v14
	ds_write_b128 v14, v[5:8] offset:3072
	s_branch .LBB46_310
	.p2align	6
.LBB46_315:                             ;   in Loop: Header=BB46_312 Depth=2
	v_add_nc_u32_e32 v22, s46, v22
	v_add_nc_u32_e32 v13, s70, v13
	s_mov_b32 s90, 0
	v_cmp_le_u32_e32 vcc_lo, s87, v22
	s_orn2_b32 s89, vcc_lo, exec_lo
	s_branch .LBB46_311
.LBB46_316:                             ;   in Loop: Header=BB46_6 Depth=1
	s_inst_prefetch 0x2
	s_or_b32 exec_lo, exec_lo, s83
	s_and_b32 s83, s88, exec_lo
.LBB46_317:                             ;   in Loop: Header=BB46_6 Depth=1
	s_or_b32 exec_lo, exec_lo, s86
.LBB46_318:                             ;   in Loop: Header=BB46_6 Depth=1
	s_and_b32 vcc_lo, exec_lo, s85
	s_cbranch_vccz .LBB46_329
; %bb.319:                              ;   in Loop: Header=BB46_6 Depth=1
                                        ; implicit-def: $vgpr3_vgpr4
	s_and_saveexec_b32 s26, s9
	s_cbranch_execz .LBB46_328
; %bb.320:                              ;   in Loop: Header=BB46_6 Depth=1
	v_mov_b32_e32 v13, v12
	v_mov_b32_e32 v22, v0
	s_mov_b32 s27, 0
                                        ; implicit-def: $sgpr84
	s_inst_prefetch 0x1
	s_branch .LBB46_323
	.p2align	6
.LBB46_321:                             ;   in Loop: Header=BB46_323 Depth=2
	s_or_b32 exec_lo, exec_lo, s85
	s_waitcnt lgkmcnt(0)
	s_barrier
	buffer_gl0_inv
	ds_read_b128 v[1:4], v14 offset:3072
	s_mov_b32 s85, -1
	s_mov_b32 s86, -1
	s_waitcnt lgkmcnt(0)
	s_barrier
	buffer_gl0_inv
	v_cmp_eq_u64_e32 vcc_lo, 0, v[1:2]
	s_cbranch_vccnz .LBB46_326
.LBB46_322:                             ;   in Loop: Header=BB46_323 Depth=2
	s_and_b32 s85, exec_lo, s85
	s_or_b32 s27, s85, s27
	s_andn2_b32 s84, s84, exec_lo
	s_and_b32 s85, s86, exec_lo
	s_or_b32 s84, s84, s85
	s_andn2_b32 exec_lo, exec_lo, s27
	s_cbranch_execz .LBB46_327
.LBB46_323:                             ;   Parent Loop BB46_6 Depth=1
                                        ; =>  This Inner Loop Header: Depth=2
	s_mov_b32 s85, exec_lo
	v_cmpx_gt_u32_e64 s36, v22
	s_cbranch_execz .LBB46_321
; %bb.324:                              ;   in Loop: Header=BB46_323 Depth=2
	v_lshlrev_b64 v[1:2], 3, v[13:14]
	v_add_co_u32 v1, vcc_lo, s31, v1
	v_add_co_ci_u32_e64 v2, null, s33, v2, vcc_lo
	global_load_dwordx2 v[7:8], v[1:2], off
	s_waitcnt vmcnt(0)
	v_xor_b32_e32 v1, 0x80000000, v8
	v_and_b32_e32 v2, v1, v21
	v_and_b32_e32 v1, v7, v20
	v_cmp_eq_u64_e32 vcc_lo, v[1:2], v[18:19]
	s_and_b32 exec_lo, exec_lo, vcc_lo
	s_cbranch_execz .LBB46_321
; %bb.325:                              ;   in Loop: Header=BB46_323 Depth=2
	v_mov_b32_e32 v6, v14
	ds_write_b128 v14, v[5:8] offset:3072
	s_branch .LBB46_321
.LBB46_326:                             ;   in Loop: Header=BB46_323 Depth=2
	v_add_nc_u32_e32 v22, s46, v22
	v_add_nc_u32_e32 v13, s48, v13
	s_mov_b32 s86, 0
	v_cmp_le_u32_e32 vcc_lo, s67, v22
	s_orn2_b32 s85, vcc_lo, exec_lo
	s_branch .LBB46_322
.LBB46_327:                             ;   in Loop: Header=BB46_6 Depth=1
	s_inst_prefetch 0x2
	s_or_b32 exec_lo, exec_lo, s27
	s_andn2_b32 s27, s83, exec_lo
	s_and_b32 s83, s84, exec_lo
	s_or_b32 s83, s27, s83
.LBB46_328:                             ;   in Loop: Header=BB46_6 Depth=1
	s_or_b32 exec_lo, exec_lo, s26
	s_mov_b32 s26, 0
	s_mov_b32 s27, -1
.LBB46_329:                             ;   in Loop: Header=BB46_6 Depth=1
	s_orn2_b32 s83, s83, exec_lo
.LBB46_330:                             ;   in Loop: Header=BB46_6 Depth=1
	s_or_b32 exec_lo, exec_lo, s28
	s_mov_b32 s84, 0
	s_and_saveexec_b32 s28, s83
	s_cbranch_execz .LBB46_380
; %bb.331:                              ;   in Loop: Header=BB46_6 Depth=1
	v_mov_b32_e32 v22, 1
	v_mov_b32_e32 v24, 1
	s_xor_b32 s83, s29, -1
	s_mov_b32 s85, 0
	s_and_saveexec_b32 s29, s83
	s_cbranch_execz .LBB46_340
; %bb.332:                              ;   in Loop: Header=BB46_6 Depth=1
	s_mov_b32 s83, exec_lo
	v_cmpx_ge_u32_e64 s18, v9
	s_xor_b32 s83, exec_lo, s83
	s_cbranch_execz .LBB46_337
; %bb.333:                              ;   in Loop: Header=BB46_6 Depth=1
	ds_read_b32 v1, v14 offset:4096
	v_and_b32_e32 v2, s15, v19
	v_and_b32_e32 v6, s14, v18
	s_lshl_b64 s[84:85], 1, s76
	v_or_b32_e32 v21, s13, v21
	v_or_b32_e32 v20, s12, v20
	;; [unrolled: 1-line block ×4, first 2 shown]
	s_waitcnt lgkmcnt(0)
	v_cmp_ne_u32_e32 vcc_lo, 0, v1
	s_cbranch_vccnz .LBB46_337
; %bb.334:                              ;   in Loop: Header=BB46_6 Depth=1
	s_and_saveexec_b32 s84, s3
; %bb.335:                              ;   in Loop: Header=BB46_6 Depth=1
	v_mov_b32_e32 v1, s18
	ds_write_b32 v14, v1 offset:4100
; %bb.336:                              ;   in Loop: Header=BB46_6 Depth=1
	s_or_b32 exec_lo, exec_lo, s84
	s_waitcnt lgkmcnt(0)
	s_barrier
	buffer_gl0_inv
.LBB46_337:                             ;   in Loop: Header=BB46_6 Depth=1
	s_or_saveexec_b32 s83, s83
	v_mov_b32_e32 v24, 5
	s_mov_b32 s84, 0
	s_xor_b32 exec_lo, exec_lo, s83
; %bb.338:                              ;   in Loop: Header=BB46_6 Depth=1
	v_subrev_nc_u32_e32 v9, s18, v9
	v_mov_b32_e32 v24, 0
	s_mov_b32 s84, exec_lo
; %bb.339:                              ;   in Loop: Header=BB46_6 Depth=1
	s_or_b32 exec_lo, exec_lo, s83
	v_mov_b32_e32 v22, v9
	s_and_b32 s85, s84, exec_lo
.LBB46_340:                             ;   in Loop: Header=BB46_6 Depth=1
	s_or_b32 exec_lo, exec_lo, s29
	s_mov_b32 s29, -1
                                        ; implicit-def: $sgpr84
                                        ; implicit-def: $sgpr83
	s_and_saveexec_b32 s18, s85
	s_cbranch_execz .LBB46_379
; %bb.341:                              ;   in Loop: Header=BB46_6 Depth=1
	v_cmp_eq_u32_e32 vcc_lo, 1, v22
	s_cmp_eq_u32 s17, 1
	s_mov_b32 s86, -1
	s_cselect_b32 s29, -1, 0
                                        ; implicit-def: $sgpr84
                                        ; implicit-def: $sgpr83
	s_and_b32 s29, s29, vcc_lo
	s_and_saveexec_b32 s85, s29
	s_cbranch_execz .LBB46_367
; %bb.342:                              ;   in Loop: Header=BB46_6 Depth=1
	ds_read_b32 v1, v14 offset:4096
	s_waitcnt lgkmcnt(0)
	s_barrier
	buffer_gl0_inv
	v_readfirstlane_b32 s87, v1
	s_and_saveexec_b32 s83, s6
; %bb.343:                              ;   in Loop: Header=BB46_6 Depth=1
	v_mov_b32_e32 v13, v14
	ds_write_b64 v31, v[13:14]
; %bb.344:                              ;   in Loop: Header=BB46_6 Depth=1
	s_or_b32 exec_lo, exec_lo, s83
	v_and_b32_e32 v19, s15, v19
	v_and_b32_e32 v18, s14, v18
	v_or_b32_e32 v21, s13, v21
	v_or_b32_e32 v20, s12, v20
	s_mov_b32 s83, -1
	s_mov_b32 s84, 0
	s_cmp_eq_u32 s87, 0
	s_mov_b32 s86, 0
	s_mov_b32 s88, -1
	s_waitcnt lgkmcnt(0)
	s_barrier
	buffer_gl0_inv
                                        ; implicit-def: $vgpr3_vgpr4
	s_cbranch_scc1 .LBB46_355
; %bb.345:                              ;   in Loop: Header=BB46_6 Depth=1
	s_add_i32 s86, s87, s60
                                        ; implicit-def: $vgpr3_vgpr4
	s_mul_hi_u32 s88, s86, s66
	s_mul_i32 s88, s88, s46
	s_sub_i32 s88, s86, s88
	s_sub_i32 s89, s88, s46
	s_cmp_ge_u32 s88, s46
	s_cselect_b32 s88, s89, s88
	s_sub_i32 s89, s88, s46
	s_cmp_ge_u32 s88, s46
	s_cselect_b32 s88, s89, s88
	s_mov_b32 s89, exec_lo
	s_sub_i32 s90, s86, s88
	s_mov_b32 s88, 0
	s_mov_b32 s86, 0
	v_cmpx_gt_u32_e64 s90, v0
	s_cbranch_execz .LBB46_354
; %bb.346:                              ;   in Loop: Header=BB46_6 Depth=1
	v_mov_b32_e32 v9, v29
	v_mov_b32_e32 v13, v0
                                        ; implicit-def: $sgpr91
	s_inst_prefetch 0x1
	s_branch .LBB46_349
	.p2align	6
.LBB46_347:                             ;   in Loop: Header=BB46_349 Depth=2
	s_or_b32 exec_lo, exec_lo, s92
	s_waitcnt lgkmcnt(0)
	s_barrier
	buffer_gl0_inv
	ds_read_b128 v[1:4], v14 offset:3072
	s_mov_b32 s92, -1
	s_mov_b32 s93, -1
	s_waitcnt lgkmcnt(0)
	s_barrier
	buffer_gl0_inv
	v_cmp_ne_u64_e32 vcc_lo, 0, v[1:2]
	s_cbranch_vccz .LBB46_352
.LBB46_348:                             ;   in Loop: Header=BB46_349 Depth=2
	s_and_b32 s92, exec_lo, s92
	s_or_b32 s86, s92, s86
	s_andn2_b32 s91, s91, exec_lo
	s_and_b32 s92, s93, exec_lo
	s_or_b32 s91, s91, s92
	s_andn2_b32 exec_lo, exec_lo, s86
	s_cbranch_execz .LBB46_353
.LBB46_349:                             ;   Parent Loop BB46_6 Depth=1
                                        ; =>  This Inner Loop Header: Depth=2
	s_mov_b32 s92, exec_lo
	v_cmpx_gt_u32_e64 s87, v13
	s_cbranch_execz .LBB46_347
; %bb.350:                              ;   in Loop: Header=BB46_349 Depth=2
	ds_read_b64 v[7:8], v9
	s_waitcnt lgkmcnt(0)
	v_xor_b32_e32 v1, 0x80000000, v8
	v_and_b32_e32 v2, v1, v21
	v_and_b32_e32 v1, v7, v20
	v_cmp_eq_u64_e32 vcc_lo, v[1:2], v[18:19]
	s_and_b32 exec_lo, exec_lo, vcc_lo
	s_cbranch_execz .LBB46_347
; %bb.351:                              ;   in Loop: Header=BB46_349 Depth=2
	v_mov_b32_e32 v6, v14
	ds_write_b128 v14, v[5:8] offset:3072
	s_branch .LBB46_347
	.p2align	6
.LBB46_352:                             ;   in Loop: Header=BB46_349 Depth=2
	v_add_nc_u32_e32 v13, s46, v13
	v_add_nc_u32_e32 v9, s70, v9
	s_mov_b32 s93, 0
	v_cmp_le_u32_e32 vcc_lo, s90, v13
	s_orn2_b32 s92, vcc_lo, exec_lo
	s_branch .LBB46_348
.LBB46_353:                             ;   in Loop: Header=BB46_6 Depth=1
	s_inst_prefetch 0x2
	s_or_b32 exec_lo, exec_lo, s86
	s_and_b32 s86, s91, exec_lo
.LBB46_354:                             ;   in Loop: Header=BB46_6 Depth=1
	s_or_b32 exec_lo, exec_lo, s89
.LBB46_355:                             ;   in Loop: Header=BB46_6 Depth=1
	s_and_b32 vcc_lo, exec_lo, s88
	s_cbranch_vccz .LBB46_366
; %bb.356:                              ;   in Loop: Header=BB46_6 Depth=1
                                        ; implicit-def: $vgpr3_vgpr4
	s_and_saveexec_b32 s83, s9
	s_cbranch_execz .LBB46_365
; %bb.357:                              ;   in Loop: Header=BB46_6 Depth=1
	v_mov_b32_e32 v13, v12
	v_mov_b32_e32 v9, v0
	s_mov_b32 s84, 0
                                        ; implicit-def: $sgpr87
	s_inst_prefetch 0x1
	s_branch .LBB46_360
	.p2align	6
.LBB46_358:                             ;   in Loop: Header=BB46_360 Depth=2
	s_or_b32 exec_lo, exec_lo, s88
	s_waitcnt lgkmcnt(0)
	s_barrier
	buffer_gl0_inv
	ds_read_b128 v[1:4], v14 offset:3072
	s_mov_b32 s88, -1
	s_mov_b32 s89, -1
	s_waitcnt lgkmcnt(0)
	s_barrier
	buffer_gl0_inv
	v_cmp_eq_u64_e32 vcc_lo, 0, v[1:2]
	s_cbranch_vccnz .LBB46_363
.LBB46_359:                             ;   in Loop: Header=BB46_360 Depth=2
	s_and_b32 s88, exec_lo, s88
	s_or_b32 s84, s88, s84
	s_andn2_b32 s87, s87, exec_lo
	s_and_b32 s88, s89, exec_lo
	s_or_b32 s87, s87, s88
	s_andn2_b32 exec_lo, exec_lo, s84
	s_cbranch_execz .LBB46_364
.LBB46_360:                             ;   Parent Loop BB46_6 Depth=1
                                        ; =>  This Inner Loop Header: Depth=2
	s_mov_b32 s88, exec_lo
	v_cmpx_gt_u32_e64 s36, v9
	s_cbranch_execz .LBB46_358
; %bb.361:                              ;   in Loop: Header=BB46_360 Depth=2
	v_lshlrev_b64 v[1:2], 3, v[13:14]
	v_add_co_u32 v1, vcc_lo, s31, v1
	v_add_co_ci_u32_e64 v2, null, s33, v2, vcc_lo
	global_load_dwordx2 v[7:8], v[1:2], off
	s_waitcnt vmcnt(0)
	v_xor_b32_e32 v1, 0x80000000, v8
	v_and_b32_e32 v2, v1, v21
	v_and_b32_e32 v1, v7, v20
	v_cmp_eq_u64_e32 vcc_lo, v[1:2], v[18:19]
	s_and_b32 exec_lo, exec_lo, vcc_lo
	s_cbranch_execz .LBB46_358
; %bb.362:                              ;   in Loop: Header=BB46_360 Depth=2
	v_mov_b32_e32 v6, v14
	ds_write_b128 v14, v[5:8] offset:3072
	s_branch .LBB46_358
.LBB46_363:                             ;   in Loop: Header=BB46_360 Depth=2
	v_add_nc_u32_e32 v9, s46, v9
	v_add_nc_u32_e32 v13, s48, v13
	s_mov_b32 s89, 0
	v_cmp_le_u32_e32 vcc_lo, s67, v9
	s_orn2_b32 s88, vcc_lo, exec_lo
	s_branch .LBB46_359
.LBB46_364:                             ;   in Loop: Header=BB46_6 Depth=1
	s_inst_prefetch 0x2
	s_or_b32 exec_lo, exec_lo, s84
	s_andn2_b32 s84, s86, exec_lo
	s_and_b32 s86, s87, exec_lo
	s_or_b32 s86, s84, s86
.LBB46_365:                             ;   in Loop: Header=BB46_6 Depth=1
	s_or_b32 exec_lo, exec_lo, s83
	s_mov_b32 s83, 0
	s_mov_b32 s84, -1
.LBB46_366:                             ;   in Loop: Header=BB46_6 Depth=1
	s_orn2_b32 s86, s86, exec_lo
.LBB46_367:                             ;   in Loop: Header=BB46_6 Depth=1
	s_or_b32 exec_lo, exec_lo, s85
	s_mov_b32 s87, 0
	s_and_saveexec_b32 s85, s86
	s_cbranch_execz .LBB46_378
; %bb.368:                              ;   in Loop: Header=BB46_6 Depth=1
	v_mov_b32_e32 v24, 1
	v_mov_b32_e32 v1, 1
	s_xor_b32 s86, s29, -1
	s_and_saveexec_b32 s29, s86
	s_cbranch_execz .LBB46_377
; %bb.369:                              ;   in Loop: Header=BB46_6 Depth=1
	s_mov_b32 s86, exec_lo
	v_cmpx_ge_u32_e64 s17, v22
	s_xor_b32 s86, exec_lo, s86
	s_cbranch_execz .LBB46_374
; %bb.370:                              ;   in Loop: Header=BB46_6 Depth=1
	ds_read_b32 v1, v14 offset:4096
	v_and_b32_e32 v19, s15, v19
	v_and_b32_e32 v18, s14, v18
	v_or_b32_e32 v21, s13, v21
	v_or_b32_e32 v20, s12, v20
	s_waitcnt lgkmcnt(0)
	v_cmp_ne_u32_e32 vcc_lo, 0, v1
	s_cbranch_vccnz .LBB46_374
; %bb.371:                              ;   in Loop: Header=BB46_6 Depth=1
	s_and_saveexec_b32 s12, s3
; %bb.372:                              ;   in Loop: Header=BB46_6 Depth=1
	v_mov_b32_e32 v1, s17
	ds_write_b32 v14, v1 offset:4100
; %bb.373:                              ;   in Loop: Header=BB46_6 Depth=1
	s_or_b32 exec_lo, exec_lo, s12
	s_waitcnt lgkmcnt(0)
	s_barrier
	buffer_gl0_inv
.LBB46_374:                             ;   in Loop: Header=BB46_6 Depth=1
	s_andn2_saveexec_b32 s12, s86
; %bb.375:                              ;   in Loop: Header=BB46_6 Depth=1
	v_subrev_nc_u32_e32 v22, s17, v22
; %bb.376:                              ;   in Loop: Header=BB46_6 Depth=1
	s_or_b32 exec_lo, exec_lo, s12
	v_mov_b32_e32 v24, 5
	v_mov_b32_e32 v1, v22
.LBB46_377:                             ;   in Loop: Header=BB46_6 Depth=1
	s_or_b32 exec_lo, exec_lo, s29
	v_mov_b32_e32 v22, v1
	s_mov_b32 s87, exec_lo
.LBB46_378:                             ;   in Loop: Header=BB46_6 Depth=1
	s_or_b32 exec_lo, exec_lo, s85
	s_orn2_b32 s29, s87, exec_lo
.LBB46_379:                             ;   in Loop: Header=BB46_6 Depth=1
	s_or_b32 exec_lo, exec_lo, s18
	v_mov_b32_e32 v9, v22
	s_andn2_b32 s12, s27, exec_lo
	s_and_b32 s13, s84, exec_lo
	s_andn2_b32 s14, s26, exec_lo
	s_and_b32 s15, s83, exec_lo
	s_or_b32 s27, s12, s13
	s_or_b32 s26, s14, s15
	s_and_b32 s84, s29, exec_lo
.LBB46_380:                             ;   in Loop: Header=BB46_6 Depth=1
	s_or_b32 exec_lo, exec_lo, s28
	s_orn2_b32 s28, s84, exec_lo
.LBB46_381:                             ;   in Loop: Header=BB46_6 Depth=1
	s_or_b32 exec_lo, exec_lo, s19
	v_mov_b32_e32 v25, v9
	s_andn2_b32 s12, s23, exec_lo
	s_and_b32 s13, s27, exec_lo
	s_andn2_b32 s14, s20, exec_lo
	s_and_b32 s15, s26, exec_lo
	s_or_b32 s23, s12, s13
	s_or_b32 s20, s14, s15
	s_and_b32 s28, s28, exec_lo
.LBB46_382:                             ;   in Loop: Header=BB46_6 Depth=1
	s_or_b32 exec_lo, exec_lo, s25
	s_orn2_b32 s25, s28, exec_lo
.LBB46_383:                             ;   in Loop: Header=BB46_6 Depth=1
	s_or_b32 exec_lo, exec_lo, s10
	s_mov_b32 s10, s21
	s_mov_b32 s12, s11
	s_and_saveexec_b32 s13, s25
; %bb.384:                              ;   in Loop: Header=BB46_6 Depth=1
	v_cmp_ne_u32_e32 vcc_lo, 5, v24
	v_cmp_eq_u32_e64 s10, 5, v24
	s_andn2_b32 s12, s11, exec_lo
	s_andn2_b32 s14, s21, exec_lo
	s_and_b32 s15, vcc_lo, exec_lo
	s_and_b32 s10, s10, exec_lo
	s_or_b32 s12, s12, s15
	s_or_b32 s10, s14, s10
; %bb.385:                              ;   in Loop: Header=BB46_6 Depth=1
	s_or_b32 exec_lo, exec_lo, s13
	s_andn2_b32 s13, s24, exec_lo
	s_and_b32 s14, s23, exec_lo
	s_andn2_b32 s15, s16, exec_lo
	s_and_b32 s16, s20, exec_lo
	s_or_b32 s24, s13, s14
	s_andn2_b32 s11, s11, exec_lo
	s_and_b32 s12, s12, exec_lo
	s_andn2_b32 s13, s21, exec_lo
	s_and_b32 s10, s10, exec_lo
	s_or_b32 s16, s15, s16
	s_or_b32 s11, s11, s12
	;; [unrolled: 1-line block ×3, first 2 shown]
.LBB46_386:                             ;   in Loop: Header=BB46_6 Depth=1
	s_or_b32 exec_lo, exec_lo, s22
	s_mov_b32 s22, 0
	s_mov_b32 s23, 0
	s_and_saveexec_b32 s10, s21
.LBB46_387:                             ;   in Loop: Header=BB46_6 Depth=1
	v_mov_b32_e32 v24, 0
	s_or_b32 s11, s11, exec_lo
.LBB46_388:                             ;   in Loop: Header=BB46_6 Depth=1
	s_or_b32 exec_lo, exec_lo, s10
	s_andn2_b32 s10, s80, exec_lo
	s_and_b32 s13, s24, exec_lo
	s_andn2_b32 s14, s78, exec_lo
	s_and_b32 s15, s16, exec_lo
	v_mov_b32_e32 v39, v25
	s_or_b32 s80, s10, s13
	s_or_b32 s78, s14, s15
	s_andn2_b32 s10, s82, exec_lo
	s_and_b32 s13, s23, exec_lo
	s_andn2_b32 s14, s81, exec_lo
	s_and_b32 s15, s22, exec_lo
	s_mov_b32 s12, -1
	s_andn2_b32 s79, s79, exec_lo
	s_or_b32 s82, s10, s13
	s_or_b32 s81, s14, s15
	s_and_saveexec_b32 s10, s11
	s_xor_b32 s10, exec_lo, s10
	s_cbranch_execz .LBB46_5
; %bb.389:                              ;   in Loop: Header=BB46_6 Depth=1
	s_mov_b32 s11, -1
	s_mov_b32 s13, exec_lo
	v_cmpx_eq_u32_e32 0, v24
	s_cbranch_execz .LBB46_4
; %bb.390:                              ;   in Loop: Header=BB46_6 Depth=1
	s_xor_b32 s72, s72, 1
	s_add_i32 s14, s76, -2
	s_cmp_eq_u32 s76, 0
	s_mov_b32 s76, s14
	s_cselect_b32 s11, -1, 0
	s_xor_b32 s12, exec_lo, -1
	s_orn2_b32 s11, s11, exec_lo
	s_branch .LBB46_4
.LBB46_391:
	s_or_b32 exec_lo, exec_lo, s47
	s_xor_b32 s7, s77, -1
	s_xor_b32 s12, s74, -1
	s_xor_b32 s11, s75, -1
	s_xor_b32 s8, s71, -1
	s_xor_b32 s6, s73, -1
	s_mov_b32 s9, 0
	s_and_saveexec_b32 s10, s8
	s_xor_b32 s8, exec_lo, s10
	s_cbranch_execnz .LBB46_396
; %bb.392:
	s_andn2_saveexec_b32 s0, s8
	s_cbranch_execnz .LBB46_415
.LBB46_393:
	s_or_b32 exec_lo, exec_lo, s0
	s_and_saveexec_b32 s0, s9
.LBB46_394:
	; divergent unreachable
.LBB46_395:
	s_endpgm
.LBB46_396:
	s_mov_b32 s10, 0
	s_and_saveexec_b32 s9, s11
	s_xor_b32 s9, exec_lo, s9
	s_cbranch_execz .LBB46_413
; %bb.397:
	s_mov_b32 s11, 0
	s_and_saveexec_b32 s10, s12
	s_xor_b32 s10, exec_lo, s10
	s_cbranch_execz .LBB46_411
; %bb.398:
	;; [unrolled: 5-line block ×3, first 2 shown]
	s_and_saveexec_b32 s7, s6
	s_xor_b32 s6, exec_lo, s7
; %bb.400:
	v_xor_b32_e32 v19, 0x80000000, v19
	v_mov_b32_e32 v3, v18
	v_mov_b32_e32 v4, v19
; %bb.401:
	s_or_b32 exec_lo, exec_lo, s6
	s_and_saveexec_b32 s6, s3
; %bb.402:
	v_mov_b32_e32 v1, 0
	ds_write_b32 v1, v1 offset:4108
; %bb.403:
	s_or_b32 exec_lo, exec_lo, s6
	v_mov_b32_e32 v1, 0
	v_mov_b32_e32 v2, 0
	s_waitcnt lgkmcnt(0)
	s_barrier
	buffer_gl0_inv
	s_and_saveexec_b32 s3, s2
	s_cbranch_execz .LBB46_405
; %bb.404:
	global_load_dwordx2 v[1:2], v[10:11], off
.LBB46_405:
	s_or_b32 exec_lo, exec_lo, s3
	s_mul_i32 s3, s53, s51
	s_add_i32 s12, s36, 31
	s_sub_i32 s3, s49, s3
	s_andn2_b32 s12, s12, 31
	s_add_i32 s6, s53, 1
	s_sub_i32 s7, s3, s51
	s_cmp_ge_u32 s3, s51
	v_cmp_gt_u32_e32 vcc_lo, s12, v0
	s_cselect_b32 s6, s6, s53
	s_cselect_b32 s3, s7, s3
	s_add_i32 s7, s6, 1
	s_cmp_ge_u32 s3, s51
	s_mul_i32 s3, s52, s50
	s_cselect_b32 s6, s7, s6
	s_sub_i32 s3, s49, s3
	s_mul_i32 s7, s6, s51
	s_mul_i32 s6, s6, s44
	s_sub_i32 s7, s49, s7
	s_add_i32 s13, s52, 1
	s_mul_i32 s7, s7, s45
	s_sub_i32 s14, s3, s50
	s_add_i32 s6, s6, s7
	s_cmp_ge_u32 s3, s50
	s_mov_b32 s18, -1
	s_cselect_b32 s7, s13, s52
	s_clause 0x1
	s_load_dword s13, s[4:5], 0x1c8
	s_load_dword s5, s[4:5], 0x2a8
	s_cselect_b32 s3, s14, s3
	s_add_i32 s14, s7, 1
	s_cmp_ge_u32 s3, s50
	s_cselect_b32 s3, s14, s7
	s_mov_b32 s7, 0
	s_mul_i32 s4, s3, s50
	s_mul_i32 s3, s3, s42
	s_sub_i32 s4, s49, s4
	s_lshl_b64 s[14:15], s[6:7], 3
	s_mul_i32 s4, s4, s43
	s_mov_b32 s17, s7
	s_add_i32 s16, s3, s4
	s_add_u32 s6, s34, s14
	s_addc_u32 s14, s35, s15
	s_lshl_b64 s[16:17], s[16:17], 3
	s_mov_b32 s3, 0
	s_add_u32 s15, s40, s16
	s_addc_u32 s16, s41, s17
	s_and_saveexec_b32 s17, vcc_lo
	s_cbranch_execnz .LBB46_416
; %bb.406:
	s_or_b32 exec_lo, exec_lo, s17
	s_and_saveexec_b32 s4, s18
	s_cbranch_execnz .LBB46_431
.LBB46_407:
	s_or_b32 exec_lo, exec_lo, s4
	s_and_saveexec_b32 s0, s3
	s_xor_b32 s0, exec_lo, s0
	s_cbranch_execnz .LBB46_454
.LBB46_408:
	s_or_b32 exec_lo, exec_lo, s0
	s_and_b32 s12, s7, exec_lo
.LBB46_409:
	s_andn2_saveexec_b32 s0, s11
	s_cbranch_execnz .LBB46_456
.LBB46_410:
	s_or_b32 exec_lo, exec_lo, s0
	s_and_b32 s11, s12, exec_lo
.LBB46_411:
	s_andn2_saveexec_b32 s0, s10
	s_cbranch_execnz .LBB46_455
.LBB46_412:
	s_or_b32 exec_lo, exec_lo, s0
	s_and_b32 s10, s11, exec_lo
.LBB46_413:
	s_andn2_saveexec_b32 s0, s9
	s_cbranch_execnz .LBB46_450
.LBB46_414:
	s_or_b32 exec_lo, exec_lo, s0
	s_and_b32 s9, s10, exec_lo
	s_andn2_saveexec_b32 s0, s8
	s_cbranch_execz .LBB46_393
.LBB46_415:
	s_or_b32 s9, s9, exec_lo
	s_trap 2
	s_or_b32 exec_lo, exec_lo, s0
	s_and_saveexec_b32 s0, s9
	s_cbranch_execnz .LBB46_394
	s_branch .LBB46_395
.LBB46_416:
	v_add_nc_u32_e32 v5, s46, v0
	v_xor_b32_e32 v6, 0x80000000, v4
	v_mov_b32_e32 v8, 0
	v_mov_b32_e32 v14, v0
	s_mov_b32 s18, 0
	v_mul_lo_u32 v7, s30, v5
	v_mov_b32_e32 v5, v3
                                        ; implicit-def: $sgpr19
                                        ; implicit-def: $vgpr16
	s_branch .LBB46_418
.LBB46_417:                             ;   in Loop: Header=BB46_418 Depth=1
	s_or_b32 exec_lo, exec_lo, s21
	s_xor_b32 s3, s20, -1
	s_and_b32 s4, exec_lo, s4
	v_mov_b32_e32 v1, v12
	v_mov_b32_e32 v2, v13
	s_or_b32 s18, s4, s18
	v_mov_b32_e32 v14, v9
	s_andn2_b32 s4, s19, exec_lo
	s_and_b32 s3, s3, exec_lo
	s_or_b32 s19, s4, s3
	s_andn2_b32 exec_lo, exec_lo, s18
	s_cbranch_execz .LBB46_430
.LBB46_418:                             ; =>This Inner Loop Header: Depth=1
	v_mov_b32_e32 v12, 0
	v_add_nc_u32_e32 v9, s46, v14
	v_mov_b32_e32 v13, 0
	s_mov_b32 s4, exec_lo
	v_cmpx_gt_u32_e64 s36, v9
	s_cbranch_execz .LBB46_420
; %bb.419:                              ;   in Loop: Header=BB46_418 Depth=1
	v_lshlrev_b64 v[12:13], 3, v[7:8]
	v_add_co_u32 v12, s3, s31, v12
	v_add_co_ci_u32_e64 v13, null, s33, v13, s3
	global_load_dwordx2 v[12:13], v[12:13], off
.LBB46_420:                             ;   in Loop: Header=BB46_418 Depth=1
	s_or_b32 exec_lo, exec_lo, s4
	s_waitcnt vmcnt(0)
	v_xor_b32_e32 v18, 0x80000000, v2
	v_mov_b32_e32 v17, v1
	v_cmp_gt_u64_e64 s3, v[17:18], v[5:6]
	v_cndmask_b32_e64 v15, 0, 1, s3
	v_cmp_lt_u64_e64 s3, v[17:18], v[5:6]
	v_cndmask_b32_e64 v17, 0, 1, s3
	v_cmp_gt_u32_e64 s3, s36, v14
	v_cndmask_b32_e64 v15, v17, v15, s1
	v_and_b32_e32 v15, 1, v15
	v_cmp_eq_u32_e64 s4, 1, v15
	s_and_b32 s21, s3, s4
	v_cndmask_b32_e64 v15, 0, 1, s21
	v_cmp_ne_u32_e64 s3, 0, v15
	s_cmp_lg_u32 s3, 0
	s_cselect_b32 s4, -1, 0
	s_and_b32 s4, s0, s4
	s_and_saveexec_b32 s20, s4
	s_cbranch_execz .LBB46_424
; %bb.421:                              ;   in Loop: Header=BB46_418 Depth=1
	s_mov_b32 s24, exec_lo
	s_bcnt1_i32_b32 s22, s3
	v_mbcnt_lo_u32_b32 v15, s24, 0
	s_mov_b32 s23, exec_lo
                                        ; implicit-def: $vgpr16
	v_cmpx_eq_u32_e32 0, v15
	s_cbranch_execz .LBB46_423
; %bb.422:                              ;   in Loop: Header=BB46_418 Depth=1
	s_bcnt1_i32_b32 s4, s24
	s_mul_i32 s4, s22, s4
	s_waitcnt lgkmcnt(0)
	v_mov_b32_e32 v16, s4
	ds_add_rtn_u32 v16, v8, v16 offset:4108
.LBB46_423:                             ;   in Loop: Header=BB46_418 Depth=1
	s_or_b32 exec_lo, exec_lo, s23
	s_waitcnt lgkmcnt(0)
	v_readfirstlane_b32 s4, v16
	v_mad_u32_u24 v16, s22, v15, s4
.LBB46_424:                             ;   in Loop: Header=BB46_418 Depth=1
	s_or_b32 exec_lo, exec_lo, s20
	s_waitcnt lgkmcnt(0)
	ds_bpermute_b32 v16, v8, v16
	s_mov_b32 s4, -1
	s_mov_b32 s22, -1
	s_and_saveexec_b32 s20, s21
	s_cbranch_execz .LBB46_428
; %bb.425:                              ;   in Loop: Header=BB46_418 Depth=1
	v_and_b32_e32 v15, s3, v26
	s_mov_b32 s21, 0
	s_mov_b32 s22, exec_lo
	s_waitcnt lgkmcnt(0)
	v_bcnt_u32_b32 v15, v15, v16
	v_cmpx_gt_u32_e64 s37, v15
; %bb.426:                              ;   in Loop: Header=BB46_418 Depth=1
	v_mul_lo_u32 v17, v15, s13
	v_mul_lo_u32 v19, v15, s5
	v_mov_b32_e32 v18, v8
	v_mov_b32_e32 v20, v8
	;; [unrolled: 1-line block ×3, first 2 shown]
	s_mov_b32 s21, exec_lo
	v_lshlrev_b64 v[17:18], 3, v[17:18]
	v_lshlrev_b64 v[19:20], 3, v[19:20]
	v_add_co_u32 v17, s3, s6, v17
	v_add_co_ci_u32_e64 v18, null, s14, v18, s3
	v_add_co_u32 v19, s3, s15, v19
	v_add_co_ci_u32_e64 v20, null, s16, v20, s3
	global_store_dwordx2 v[17:18], v[1:2], off
	global_store_dwordx2 v[19:20], v[14:15], off
; %bb.427:                              ;   in Loop: Header=BB46_418 Depth=1
	s_or_b32 exec_lo, exec_lo, s22
	s_orn2_b32 s22, s21, exec_lo
.LBB46_428:                             ;   in Loop: Header=BB46_418 Depth=1
	s_or_b32 exec_lo, exec_lo, s20
	s_mov_b32 s20, -1
	s_and_saveexec_b32 s21, s22
	s_cbranch_execz .LBB46_417
; %bb.429:                              ;   in Loop: Header=BB46_418 Depth=1
	v_cmp_le_u32_e64 s3, s12, v9
	v_add_nc_u32_e32 v7, s48, v7
	s_xor_b32 s20, exec_lo, -1
	s_orn2_b32 s4, s3, exec_lo
	s_branch .LBB46_417
.LBB46_430:
	s_or_b32 exec_lo, exec_lo, s18
	s_mov_b32 s3, exec_lo
	s_orn2_b32 s18, s19, exec_lo
	s_or_b32 exec_lo, exec_lo, s17
	s_and_saveexec_b32 s4, s18
	s_cbranch_execz .LBB46_407
.LBB46_431:
	s_waitcnt vmcnt(0)
	v_mov_b32_e32 v1, 0
	v_mov_b32_e32 v2, 0
	s_waitcnt lgkmcnt(0)
	s_waitcnt_vscnt null, 0x0
	s_barrier
	buffer_gl0_inv
	s_and_saveexec_b32 s1, s2
	s_cbranch_execz .LBB46_433
; %bb.432:
	global_load_dwordx2 v[1:2], v[10:11], off
.LBB46_433:
	s_or_b32 exec_lo, exec_lo, s1
	s_mov_b32 s1, 0
	s_and_saveexec_b32 s2, vcc_lo
	s_cbranch_execz .LBB46_453
; %bb.434:
	v_add_nc_u32_e32 v5, s46, v0
	v_mov_b32_e32 v6, 0
	s_mov_b32 s7, 0
                                        ; implicit-def: $sgpr17
                                        ; implicit-def: $vgpr10
	v_mul_lo_u32 v5, s30, v5
	s_branch .LBB46_437
.LBB46_435:                             ;   in Loop: Header=BB46_437 Depth=1
	s_or_b32 exec_lo, exec_lo, s19
	s_orn2_b32 s20, s21, exec_lo
	s_orn2_b32 s18, s18, exec_lo
.LBB46_436:                             ;   in Loop: Header=BB46_437 Depth=1
	s_or_b32 exec_lo, exec_lo, s1
	s_xor_b32 s1, s20, -1
	s_and_b32 s18, exec_lo, s18
	v_mov_b32_e32 v1, v7
	v_mov_b32_e32 v0, v9
	s_or_b32 s7, s18, s7
	v_mov_b32_e32 v2, v8
	s_andn2_b32 s17, s17, exec_lo
	s_and_b32 s1, s1, exec_lo
	s_or_b32 s17, s17, s1
	s_andn2_b32 exec_lo, exec_lo, s7
	s_cbranch_execz .LBB46_451
.LBB46_437:                             ; =>This Inner Loop Header: Depth=1
	v_mov_b32_e32 v7, 0
	v_add_nc_u32_e32 v9, s46, v0
	v_mov_b32_e32 v8, 0
	s_mov_b32 s1, exec_lo
	v_cmpx_gt_u32_e64 s36, v9
	s_cbranch_execz .LBB46_439
; %bb.438:                              ;   in Loop: Header=BB46_437 Depth=1
	v_lshlrev_b64 v[7:8], 3, v[5:6]
	v_add_co_u32 v7, vcc_lo, s31, v7
	v_add_co_ci_u32_e64 v8, null, s33, v8, vcc_lo
	global_load_dwordx2 v[7:8], v[7:8], off
.LBB46_439:                             ;   in Loop: Header=BB46_437 Depth=1
	s_or_b32 exec_lo, exec_lo, s1
	s_waitcnt vmcnt(0)
	v_cmp_eq_u64_e32 vcc_lo, v[1:2], v[3:4]
	v_cmp_gt_u32_e64 s1, s36, v0
	s_and_b32 s19, s1, vcc_lo
	v_cndmask_b32_e64 v1, 0, 1, s19
	v_cmp_ne_u32_e32 vcc_lo, 0, v1
	s_cmp_lg_u32 vcc_lo, 0
	s_cselect_b32 s1, -1, 0
	s_and_b32 s1, s0, s1
	s_and_saveexec_b32 s18, s1
	s_cbranch_execz .LBB46_443
; %bb.440:                              ;   in Loop: Header=BB46_437 Depth=1
	s_mov_b32 s22, exec_lo
	s_bcnt1_i32_b32 s20, vcc_lo
	v_mbcnt_lo_u32_b32 v1, s22, 0
	s_mov_b32 s21, exec_lo
                                        ; implicit-def: $vgpr2
	v_cmpx_eq_u32_e32 0, v1
; %bb.441:                              ;   in Loop: Header=BB46_437 Depth=1
	s_bcnt1_i32_b32 s1, s22
	s_mul_i32 s1, s20, s1
	v_mov_b32_e32 v2, s1
	ds_add_rtn_u32 v2, v6, v2 offset:4108
; %bb.442:                              ;   in Loop: Header=BB46_437 Depth=1
	s_or_b32 exec_lo, exec_lo, s21
	s_waitcnt lgkmcnt(0)
	v_readfirstlane_b32 s1, v2
	v_mad_u32_u24 v10, s20, v1, s1
.LBB46_443:                             ;   in Loop: Header=BB46_437 Depth=1
	s_or_b32 exec_lo, exec_lo, s18
	ds_bpermute_b32 v10, v6, v10
	s_cmp_eq_u32 vcc_lo, 0
	s_mov_b32 s18, -1
	s_cselect_b32 s20, -1, 0
	s_waitcnt lgkmcnt(0)
	v_cmp_gt_u32_e64 s1, s37, v10
	s_or_b32 s21, s20, s1
	s_mov_b32 s20, -1
	s_and_saveexec_b32 s1, s21
	s_cbranch_execz .LBB46_436
; %bb.444:                              ;   in Loop: Header=BB46_437 Depth=1
	v_and_b32_e32 v1, vcc_lo, v26
	v_sub_nc_u32_e32 v2, s37, v10
	s_mov_b32 s21, -1
	v_bcnt_u32_b32 v1, v1, 0
	v_bcnt_u32_b32 v1, 0, v1
	v_cmp_gt_u32_e32 vcc_lo, v2, v1
	s_and_b32 s22, s19, vcc_lo
	s_and_saveexec_b32 s19, s22
	s_cbranch_execz .LBB46_448
; %bb.445:                              ;   in Loop: Header=BB46_437 Depth=1
	v_add_nc_u32_e32 v1, v10, v1
	s_mov_b32 s20, 0
	s_mov_b32 s21, exec_lo
	v_cmpx_gt_u32_e64 s37, v1
; %bb.446:                              ;   in Loop: Header=BB46_437 Depth=1
	v_mul_lo_u32 v11, v1, s13
	v_mul_lo_u32 v13, v1, s5
	v_mov_b32_e32 v12, v6
	v_mov_b32_e32 v14, v6
	;; [unrolled: 1-line block ×3, first 2 shown]
	s_mov_b32 s20, exec_lo
	v_lshlrev_b64 v[11:12], 3, v[11:12]
	v_lshlrev_b64 v[13:14], 3, v[13:14]
	v_add_co_u32 v11, vcc_lo, s6, v11
	v_add_co_ci_u32_e64 v12, null, s14, v12, vcc_lo
	v_add_co_u32 v13, vcc_lo, s15, v13
	v_add_co_ci_u32_e64 v14, null, s16, v14, vcc_lo
	global_store_dwordx2 v[11:12], v[3:4], off
	global_store_dwordx2 v[13:14], v[0:1], off
; %bb.447:                              ;   in Loop: Header=BB46_437 Depth=1
	s_or_b32 exec_lo, exec_lo, s21
	s_xor_b32 s21, exec_lo, -1
	s_orn2_b32 s20, s20, exec_lo
.LBB46_448:                             ;   in Loop: Header=BB46_437 Depth=1
	s_or_b32 exec_lo, exec_lo, s19
	s_and_saveexec_b32 s19, s20
	s_cbranch_execz .LBB46_435
; %bb.449:                              ;   in Loop: Header=BB46_437 Depth=1
	v_cmp_le_u32_e32 vcc_lo, s12, v9
	v_add_nc_u32_e32 v5, s48, v5
	s_or_b32 s21, s21, exec_lo
	s_orn2_b32 s18, vcc_lo, exec_lo
	s_branch .LBB46_435
.LBB46_450:
	s_or_b32 s10, s10, exec_lo
	s_trap 2
	s_branch .LBB46_414
.LBB46_451:
	s_or_b32 exec_lo, exec_lo, s7
	s_mov_b32 s0, 0
	s_and_saveexec_b32 s1, s17
	s_xor_b32 s1, exec_lo, s1
	s_cbranch_execnz .LBB46_457
.LBB46_452:
	s_or_b32 exec_lo, exec_lo, s1
	s_and_b32 s1, s0, exec_lo
.LBB46_453:
	s_or_b32 exec_lo, exec_lo, s2
	s_and_b32 s7, s1, exec_lo
	s_andn2_b32 s3, s3, exec_lo
	s_or_b32 exec_lo, exec_lo, s4
	s_and_saveexec_b32 s0, s3
	s_xor_b32 s0, exec_lo, s0
	s_cbranch_execz .LBB46_408
.LBB46_454:
	s_or_b32 s7, s7, exec_lo
	s_trap 2
	s_branch .LBB46_408
.LBB46_455:
	s_or_b32 s11, s11, exec_lo
	s_trap 2
	s_branch .LBB46_412
.LBB46_456:
	s_or_b32 s12, s12, exec_lo
	s_trap 2
	s_branch .LBB46_410
.LBB46_457:
	s_mov_b32 s0, exec_lo
	s_trap 2
	s_branch .LBB46_452
	.section	.rodata,"a",@progbits
	.p2align	6, 0x0
	.amdhsa_kernel _ZN2at6native6sbtopk10gatherTopKIljLi2ELb0EEEvNS_4cuda6detail10TensorInfoIKT_T0_EES8_S8_bS8_S8_NS5_IS6_S8_EES8_NS5_IlS8_EES8_PS6_
		.amdhsa_group_segment_fixed_size 4112
		.amdhsa_private_segment_fixed_size 0
		.amdhsa_kernarg_size 952
		.amdhsa_user_sgpr_count 6
		.amdhsa_user_sgpr_private_segment_buffer 1
		.amdhsa_user_sgpr_dispatch_ptr 0
		.amdhsa_user_sgpr_queue_ptr 0
		.amdhsa_user_sgpr_kernarg_segment_ptr 1
		.amdhsa_user_sgpr_dispatch_id 0
		.amdhsa_user_sgpr_flat_scratch_init 0
		.amdhsa_user_sgpr_private_segment_size 0
		.amdhsa_wavefront_size32 1
		.amdhsa_uses_dynamic_stack 0
		.amdhsa_system_sgpr_private_segment_wavefront_offset 0
		.amdhsa_system_sgpr_workgroup_id_x 1
		.amdhsa_system_sgpr_workgroup_id_y 1
		.amdhsa_system_sgpr_workgroup_id_z 1
		.amdhsa_system_sgpr_workgroup_info 0
		.amdhsa_system_vgpr_workitem_id 0
		.amdhsa_next_free_vgpr 54
		.amdhsa_next_free_sgpr 98
		.amdhsa_reserve_vcc 1
		.amdhsa_reserve_flat_scratch 0
		.amdhsa_float_round_mode_32 0
		.amdhsa_float_round_mode_16_64 0
		.amdhsa_float_denorm_mode_32 3
		.amdhsa_float_denorm_mode_16_64 3
		.amdhsa_dx10_clamp 1
		.amdhsa_ieee_mode 1
		.amdhsa_fp16_overflow 0
		.amdhsa_workgroup_processor_mode 1
		.amdhsa_memory_ordered 1
		.amdhsa_forward_progress 1
		.amdhsa_shared_vgpr_count 0
		.amdhsa_exception_fp_ieee_invalid_op 0
		.amdhsa_exception_fp_denorm_src 0
		.amdhsa_exception_fp_ieee_div_zero 0
		.amdhsa_exception_fp_ieee_overflow 0
		.amdhsa_exception_fp_ieee_underflow 0
		.amdhsa_exception_fp_ieee_inexact 0
		.amdhsa_exception_int_div_zero 0
	.end_amdhsa_kernel
	.section	.text._ZN2at6native6sbtopk10gatherTopKIljLi2ELb0EEEvNS_4cuda6detail10TensorInfoIKT_T0_EES8_S8_bS8_S8_NS5_IS6_S8_EES8_NS5_IlS8_EES8_PS6_,"axG",@progbits,_ZN2at6native6sbtopk10gatherTopKIljLi2ELb0EEEvNS_4cuda6detail10TensorInfoIKT_T0_EES8_S8_bS8_S8_NS5_IS6_S8_EES8_NS5_IlS8_EES8_PS6_,comdat
.Lfunc_end46:
	.size	_ZN2at6native6sbtopk10gatherTopKIljLi2ELb0EEEvNS_4cuda6detail10TensorInfoIKT_T0_EES8_S8_bS8_S8_NS5_IS6_S8_EES8_NS5_IlS8_EES8_PS6_, .Lfunc_end46-_ZN2at6native6sbtopk10gatherTopKIljLi2ELb0EEEvNS_4cuda6detail10TensorInfoIKT_T0_EES8_S8_bS8_S8_NS5_IS6_S8_EES8_NS5_IlS8_EES8_PS6_
                                        ; -- End function
	.set _ZN2at6native6sbtopk10gatherTopKIljLi2ELb0EEEvNS_4cuda6detail10TensorInfoIKT_T0_EES8_S8_bS8_S8_NS5_IS6_S8_EES8_NS5_IlS8_EES8_PS6_.num_vgpr, 54
	.set _ZN2at6native6sbtopk10gatherTopKIljLi2ELb0EEEvNS_4cuda6detail10TensorInfoIKT_T0_EES8_S8_bS8_S8_NS5_IS6_S8_EES8_NS5_IlS8_EES8_PS6_.num_agpr, 0
	.set _ZN2at6native6sbtopk10gatherTopKIljLi2ELb0EEEvNS_4cuda6detail10TensorInfoIKT_T0_EES8_S8_bS8_S8_NS5_IS6_S8_EES8_NS5_IlS8_EES8_PS6_.numbered_sgpr, 98
	.set _ZN2at6native6sbtopk10gatherTopKIljLi2ELb0EEEvNS_4cuda6detail10TensorInfoIKT_T0_EES8_S8_bS8_S8_NS5_IS6_S8_EES8_NS5_IlS8_EES8_PS6_.num_named_barrier, 0
	.set _ZN2at6native6sbtopk10gatherTopKIljLi2ELb0EEEvNS_4cuda6detail10TensorInfoIKT_T0_EES8_S8_bS8_S8_NS5_IS6_S8_EES8_NS5_IlS8_EES8_PS6_.private_seg_size, 0
	.set _ZN2at6native6sbtopk10gatherTopKIljLi2ELb0EEEvNS_4cuda6detail10TensorInfoIKT_T0_EES8_S8_bS8_S8_NS5_IS6_S8_EES8_NS5_IlS8_EES8_PS6_.uses_vcc, 1
	.set _ZN2at6native6sbtopk10gatherTopKIljLi2ELb0EEEvNS_4cuda6detail10TensorInfoIKT_T0_EES8_S8_bS8_S8_NS5_IS6_S8_EES8_NS5_IlS8_EES8_PS6_.uses_flat_scratch, 0
	.set _ZN2at6native6sbtopk10gatherTopKIljLi2ELb0EEEvNS_4cuda6detail10TensorInfoIKT_T0_EES8_S8_bS8_S8_NS5_IS6_S8_EES8_NS5_IlS8_EES8_PS6_.has_dyn_sized_stack, 0
	.set _ZN2at6native6sbtopk10gatherTopKIljLi2ELb0EEEvNS_4cuda6detail10TensorInfoIKT_T0_EES8_S8_bS8_S8_NS5_IS6_S8_EES8_NS5_IlS8_EES8_PS6_.has_recursion, 0
	.set _ZN2at6native6sbtopk10gatherTopKIljLi2ELb0EEEvNS_4cuda6detail10TensorInfoIKT_T0_EES8_S8_bS8_S8_NS5_IS6_S8_EES8_NS5_IlS8_EES8_PS6_.has_indirect_call, 0
	.section	.AMDGPU.csdata,"",@progbits
; Kernel info:
; codeLenInByte = 15276
; TotalNumSgprs: 100
; NumVgprs: 54
; ScratchSize: 0
; MemoryBound: 0
; FloatMode: 240
; IeeeMode: 1
; LDSByteSize: 4112 bytes/workgroup (compile time only)
; SGPRBlocks: 0
; VGPRBlocks: 6
; NumSGPRsForWavesPerEU: 100
; NumVGPRsForWavesPerEU: 54
; Occupancy: 16
; WaveLimiterHint : 1
; COMPUTE_PGM_RSRC2:SCRATCH_EN: 0
; COMPUTE_PGM_RSRC2:USER_SGPR: 6
; COMPUTE_PGM_RSRC2:TRAP_HANDLER: 0
; COMPUTE_PGM_RSRC2:TGID_X_EN: 1
; COMPUTE_PGM_RSRC2:TGID_Y_EN: 1
; COMPUTE_PGM_RSRC2:TGID_Z_EN: 1
; COMPUTE_PGM_RSRC2:TIDIG_COMP_CNT: 0
	.section	.text._ZN2at6native6mbtopk23computeBlockDigitCountsIljmLi3EEEvNS_4cuda6detail10TensorInfoIKT_T0_EEjPjjS8_iijT1_PSB_Ps,"axG",@progbits,_ZN2at6native6mbtopk23computeBlockDigitCountsIljmLi3EEEvNS_4cuda6detail10TensorInfoIKT_T0_EEjPjjS8_iijT1_PSB_Ps,comdat
	.protected	_ZN2at6native6mbtopk23computeBlockDigitCountsIljmLi3EEEvNS_4cuda6detail10TensorInfoIKT_T0_EEjPjjS8_iijT1_PSB_Ps ; -- Begin function _ZN2at6native6mbtopk23computeBlockDigitCountsIljmLi3EEEvNS_4cuda6detail10TensorInfoIKT_T0_EEjPjjS8_iijT1_PSB_Ps
	.globl	_ZN2at6native6mbtopk23computeBlockDigitCountsIljmLi3EEEvNS_4cuda6detail10TensorInfoIKT_T0_EEjPjjS8_iijT1_PSB_Ps
	.p2align	8
	.type	_ZN2at6native6mbtopk23computeBlockDigitCountsIljmLi3EEEvNS_4cuda6detail10TensorInfoIKT_T0_EEjPjjS8_iijT1_PSB_Ps,@function
_ZN2at6native6mbtopk23computeBlockDigitCountsIljmLi3EEEvNS_4cuda6detail10TensorInfoIKT_T0_EEjPjjS8_iijT1_PSB_Ps: ; @_ZN2at6native6mbtopk23computeBlockDigitCountsIljmLi3EEEvNS_4cuda6detail10TensorInfoIKT_T0_EEjPjjS8_iijT1_PSB_Ps
; %bb.0:
	s_clause 0x2
	s_load_dword s20, s[4:5], 0xf8
	s_load_dwordx4 s[0:3], s[4:5], 0xe8
	s_load_dwordx2 s[10:11], s[4:5], 0x118
	s_mov_b32 s15, 0
	s_waitcnt lgkmcnt(0)
	v_cvt_f32_u32_e32 v1, s20
	s_mul_i32 s8, s11, s8
	s_sub_i32 s11, 0, s20
	s_add_i32 s7, s8, s7
	v_rcp_iflag_f32_e32 v1, v1
	s_mul_i32 s18, s7, s10
	s_add_i32 s18, s18, s6
	v_mul_f32_e32 v1, 0x4f7ffffe, v1
	v_cvt_u32_f32_e32 v1, v1
	v_readfirstlane_b32 s9, v1
	s_mul_i32 s11, s11, s9
	s_mul_hi_u32 s7, s9, s11
	s_add_i32 s9, s9, s7
	s_mul_hi_u32 s6, s18, s9
	s_mul_i32 s7, s6, s20
	s_add_i32 s8, s6, 1
	s_sub_i32 s7, s18, s7
	s_sub_i32 s9, s7, s20
	s_cmp_ge_u32 s7, s20
	s_cselect_b32 s6, s8, s6
	s_cselect_b32 s7, s9, s7
	s_add_i32 s8, s6, 1
	s_cmp_ge_u32 s7, s20
	s_cselect_b32 s14, s8, s6
	s_cmp_ge_u32 s14, s0
	s_cbranch_scc1 .LBB47_27
; %bb.1:
	s_clause 0x1
	s_load_dwordx2 s[12:13], s[4:5], 0xc
	s_load_dwordx4 s[8:11], s[4:5], 0x100
	s_lshl_b64 s[6:7], s[14:15], 3
	v_cmp_gt_u32_e32 vcc_lo, 0x100, v0
	v_lshlrev_b32_e32 v5, 2, v0
	s_waitcnt lgkmcnt(0)
	v_cvt_f32_u32_e32 v1, s13
	v_cvt_f32_u32_e32 v2, s12
	s_add_u32 s16, s10, s6
	s_addc_u32 s17, s11, s7
	s_sub_i32 s6, 0, s13
	v_rcp_iflag_f32_e32 v1, v1
	v_rcp_iflag_f32_e32 v2, v2
	v_mul_f32_e32 v1, 0x4f7ffffe, v1
	v_cvt_u32_f32_e32 v1, v1
	v_readfirstlane_b32 s0, v1
	v_mul_f32_e32 v1, 0x4f7ffffe, v2
	s_mul_i32 s10, s6, s0
	s_load_dwordx2 s[6:7], s[4:5], 0x110
	s_mul_hi_u32 s10, s0, s10
	v_cvt_u32_f32_e32 v1, v1
	s_add_i32 s0, s0, s10
	s_mul_hi_u32 s0, s14, s0
	s_mul_i32 s10, s0, s13
	s_add_i32 s15, s0, 1
	s_sub_i32 s11, s14, s10
	v_readfirstlane_b32 s10, v1
	s_sub_i32 s19, s11, s13
	s_cmp_ge_u32 s11, s13
	s_cselect_b32 s0, s15, s0
	s_cselect_b32 s11, s19, s11
	s_add_i32 s15, s0, 1
	s_cmp_ge_u32 s11, s13
	s_cselect_b32 s0, s15, s0
	s_and_saveexec_b32 s11, vcc_lo
; %bb.2:
	v_mov_b32_e32 v1, 0
	ds_write_b32 v5, v1
; %bb.3:
	s_or_b32 exec_lo, exec_lo, s11
	s_load_dword s15, s[4:5], 0xd8
	s_mul_i32 s11, s14, s20
	s_waitcnt lgkmcnt(0)
	s_sub_i32 s11, s18, s11
	s_barrier
	s_mul_i32 s19, s3, s11
	s_add_i32 s11, s11, 1
	s_lshl_b32 s19, s19, 8
	buffer_gl0_inv
	s_sub_i32 s21, s15, s19
	s_add_u32 s22, s21, 0xff
	s_addc_u32 s23, 0, 0
	s_lshr_b64 s[22:23], s[22:23], 8
	s_cmp_lt_u32 s11, s20
	s_mov_b32 s11, 0
	s_cselect_b32 s20, s3, s22
	s_cmp_lt_i32 s20, 1
	s_cbranch_scc1 .LBB47_25
; %bb.4:
	s_sub_i32 s3, 0, s12
	s_clause 0x1
	s_load_dwordx4 s[24:27], s[4:5], 0x6c
	s_load_dwordx2 s[22:23], s[4:5], 0x0
	s_mul_i32 s3, s3, s10
	s_mul_hi_u32 s3, s10, s3
	s_add_i32 s10, s10, s3
	s_mul_hi_u32 s3, s0, s10
	s_mul_i32 s10, s0, s13
	s_mul_i32 s13, s3, s12
	s_sub_i32 s10, s14, s10
	s_sub_i32 s13, s0, s13
	s_add_i32 s14, s3, 1
	s_sub_i32 s21, s13, s12
	s_cmp_ge_u32 s13, s12
	s_cselect_b32 s3, s14, s3
	s_cselect_b32 s4, s21, s13
	s_add_i32 s13, s3, 1
	s_cmp_ge_u32 s4, s12
	s_load_dwordx2 s[4:5], s[16:17], 0x0
	s_cselect_b32 s3, s13, s3
	s_waitcnt lgkmcnt(0)
	s_mul_i32 s10, s10, s26
	s_mul_i32 s12, s3, s12
	;; [unrolled: 1-line block ×3, first 2 shown]
	s_sub_i32 s0, s0, s12
	s_mul_i32 s0, s0, s25
	s_add_i32 s0, s0, s10
	s_add_i32 s10, s0, s3
	s_lshl_b64 s[12:13], s[10:11], 3
	s_add_u32 s3, s22, s12
	s_addc_u32 s10, s23, s13
	s_and_b32 s2, s2, 0xff
	s_cmp_lt_u32 s20, 4
	s_cbranch_scc1 .LBB47_19
; %bb.5:
	v_add_nc_u32_e32 v1, s19, v0
	v_mov_b32_e32 v11, 1
	v_mov_b32_e32 v12, 2
	s_and_b32 s11, s20, 0x7ffffffc
	s_lshl_b32 s12, s1, 10
	v_add_nc_u32_e32 v6, 0x300, v1
	v_add_nc_u32_e32 v2, 0x200, v1
	;; [unrolled: 1-line block ×3, first 2 shown]
	v_mul_lo_u32 v10, s1, v1
	s_mov_b32 s13, 0
	v_mul_lo_u32 v7, s1, v6
	v_mul_lo_u32 v8, s1, v2
	;; [unrolled: 1-line block ×3, first 2 shown]
	v_mov_b32_e32 v2, 0
	s_mov_b32 s14, 0
	s_branch .LBB47_7
.LBB47_6:                               ;   in Loop: Header=BB47_7 Depth=1
	s_or_b32 exec_lo, exec_lo, s16
	v_add_nc_u32_e32 v6, 0x400, v6
	s_add_i32 s14, s14, 4
	s_add_i32 s13, s13, s12
	s_cmp_eq_u32 s11, s14
	s_cbranch_scc1 .LBB47_19
.LBB47_7:                               ; =>This Inner Loop Header: Depth=1
	v_add_nc_u32_e32 v1, 0xfffffd00, v6
	s_mov_b32 s16, exec_lo
	v_cmpx_gt_u32_e64 s15, v1
	s_cbranch_execz .LBB47_10
; %bb.8:                                ;   in Loop: Header=BB47_7 Depth=1
	v_add_nc_u32_e32 v1, s13, v10
	v_lshlrev_b64 v[3:4], 3, v[1:2]
	v_add_co_u32 v3, s0, s3, v3
	v_add_co_ci_u32_e64 v4, null, s10, v4, s0
	global_load_dwordx2 v[3:4], v[3:4], off
	s_waitcnt vmcnt(0)
	v_xor_b32_e32 v4, 0x80000000, v4
	v_xor_b32_e32 v13, s4, v3
	;; [unrolled: 1-line block ×3, first 2 shown]
	v_and_b32_e32 v13, s8, v13
	v_and_b32_e32 v14, s9, v1
	v_cmp_eq_u64_e64 s0, 0, v[13:14]
	s_and_b32 exec_lo, exec_lo, s0
; %bb.9:                                ;   in Loop: Header=BB47_7 Depth=1
	v_lshrrev_b64 v[3:4], s2, v[3:4]
	v_lshlrev_b32_sdwa v1, v12, v3 dst_sel:DWORD dst_unused:UNUSED_PAD src0_sel:DWORD src1_sel:BYTE_0
	ds_add_u32 v1, v11
.LBB47_10:                              ;   in Loop: Header=BB47_7 Depth=1
	s_or_b32 exec_lo, exec_lo, s16
	v_add_nc_u32_e32 v1, 0xfffffe00, v6
	s_mov_b32 s16, exec_lo
	v_cmpx_gt_u32_e64 s15, v1
	s_cbranch_execz .LBB47_13
; %bb.11:                               ;   in Loop: Header=BB47_7 Depth=1
	v_add_nc_u32_e32 v1, s13, v9
	v_lshlrev_b64 v[3:4], 3, v[1:2]
	v_add_co_u32 v3, s0, s3, v3
	v_add_co_ci_u32_e64 v4, null, s10, v4, s0
	global_load_dwordx2 v[3:4], v[3:4], off
	s_waitcnt vmcnt(0)
	v_xor_b32_e32 v4, 0x80000000, v4
	v_xor_b32_e32 v13, s4, v3
	;; [unrolled: 1-line block ×3, first 2 shown]
	v_and_b32_e32 v13, s8, v13
	v_and_b32_e32 v14, s9, v1
	v_cmp_eq_u64_e64 s0, 0, v[13:14]
	s_and_b32 exec_lo, exec_lo, s0
; %bb.12:                               ;   in Loop: Header=BB47_7 Depth=1
	v_lshrrev_b64 v[3:4], s2, v[3:4]
	v_lshlrev_b32_sdwa v1, v12, v3 dst_sel:DWORD dst_unused:UNUSED_PAD src0_sel:DWORD src1_sel:BYTE_0
	ds_add_u32 v1, v11
.LBB47_13:                              ;   in Loop: Header=BB47_7 Depth=1
	s_or_b32 exec_lo, exec_lo, s16
	v_add_nc_u32_e32 v1, 0xffffff00, v6
	s_mov_b32 s16, exec_lo
	v_cmpx_gt_u32_e64 s15, v1
	s_cbranch_execz .LBB47_16
; %bb.14:                               ;   in Loop: Header=BB47_7 Depth=1
	v_add_nc_u32_e32 v1, s13, v8
	v_lshlrev_b64 v[3:4], 3, v[1:2]
	v_add_co_u32 v3, s0, s3, v3
	v_add_co_ci_u32_e64 v4, null, s10, v4, s0
	global_load_dwordx2 v[3:4], v[3:4], off
	s_waitcnt vmcnt(0)
	v_xor_b32_e32 v4, 0x80000000, v4
	v_xor_b32_e32 v13, s4, v3
	;; [unrolled: 1-line block ×3, first 2 shown]
	v_and_b32_e32 v13, s8, v13
	v_and_b32_e32 v14, s9, v1
	v_cmp_eq_u64_e64 s0, 0, v[13:14]
	s_and_b32 exec_lo, exec_lo, s0
; %bb.15:                               ;   in Loop: Header=BB47_7 Depth=1
	v_lshrrev_b64 v[3:4], s2, v[3:4]
	v_lshlrev_b32_sdwa v1, v12, v3 dst_sel:DWORD dst_unused:UNUSED_PAD src0_sel:DWORD src1_sel:BYTE_0
	ds_add_u32 v1, v11
.LBB47_16:                              ;   in Loop: Header=BB47_7 Depth=1
	s_or_b32 exec_lo, exec_lo, s16
	s_mov_b32 s16, exec_lo
	v_cmpx_gt_u32_e64 s15, v6
	s_cbranch_execz .LBB47_6
; %bb.17:                               ;   in Loop: Header=BB47_7 Depth=1
	v_add_nc_u32_e32 v1, s13, v7
	v_lshlrev_b64 v[3:4], 3, v[1:2]
	v_add_co_u32 v3, s0, s3, v3
	v_add_co_ci_u32_e64 v4, null, s10, v4, s0
	global_load_dwordx2 v[3:4], v[3:4], off
	s_waitcnt vmcnt(0)
	v_xor_b32_e32 v4, 0x80000000, v4
	v_xor_b32_e32 v13, s4, v3
	;; [unrolled: 1-line block ×3, first 2 shown]
	v_and_b32_e32 v13, s8, v13
	v_and_b32_e32 v14, s9, v1
	v_cmp_eq_u64_e64 s0, 0, v[13:14]
	s_and_b32 exec_lo, exec_lo, s0
	s_cbranch_execz .LBB47_6
; %bb.18:                               ;   in Loop: Header=BB47_7 Depth=1
	v_lshrrev_b64 v[3:4], s2, v[3:4]
	v_lshlrev_b32_sdwa v1, v12, v3 dst_sel:DWORD dst_unused:UNUSED_PAD src0_sel:DWORD src1_sel:BYTE_0
	ds_add_u32 v1, v11
	s_branch .LBB47_6
.LBB47_19:
	s_and_b32 s12, s20, 3
	s_cmp_eq_u32 s12, 0
	s_cbranch_scc1 .LBB47_25
; %bb.20:
	s_lshl_b32 s0, s11, 8
	v_mov_b32_e32 v2, 0
	v_add3_u32 v6, s0, s19, v0
	v_mov_b32_e32 v7, 1
	v_mov_b32_e32 v8, 2
	v_mul_lo_u32 v1, s1, v6
	s_lshl_b32 s1, s1, 8
	s_inst_prefetch 0x1
	s_branch .LBB47_22
	.p2align	6
.LBB47_21:                              ;   in Loop: Header=BB47_22 Depth=1
	s_or_b32 exec_lo, exec_lo, s11
	v_add_nc_u32_e32 v1, s1, v1
	v_add_nc_u32_e32 v6, 0x100, v6
	s_add_i32 s12, s12, -1
	s_cmp_lg_u32 s12, 0
	s_cbranch_scc0 .LBB47_25
.LBB47_22:                              ; =>This Inner Loop Header: Depth=1
	s_mov_b32 s11, exec_lo
	v_cmpx_gt_u32_e64 s15, v6
	s_cbranch_execz .LBB47_21
; %bb.23:                               ;   in Loop: Header=BB47_22 Depth=1
	v_lshlrev_b64 v[3:4], 3, v[1:2]
	v_add_co_u32 v3, s0, s3, v3
	v_add_co_ci_u32_e64 v4, null, s10, v4, s0
	global_load_dwordx2 v[3:4], v[3:4], off
	s_waitcnt vmcnt(0)
	v_xor_b32_e32 v4, 0x80000000, v4
	v_xor_b32_e32 v11, s4, v3
	;; [unrolled: 1-line block ×3, first 2 shown]
	v_and_b32_e32 v10, s9, v9
	v_and_b32_e32 v9, s8, v11
	v_cmp_eq_u64_e64 s0, 0, v[9:10]
	s_and_b32 exec_lo, exec_lo, s0
	s_cbranch_execz .LBB47_21
; %bb.24:                               ;   in Loop: Header=BB47_22 Depth=1
	v_lshrrev_b64 v[3:4], s2, v[3:4]
	v_lshlrev_b32_sdwa v3, v8, v3 dst_sel:DWORD dst_unused:UNUSED_PAD src0_sel:DWORD src1_sel:BYTE_0
	ds_add_u32 v3, v7
	s_branch .LBB47_21
.LBB47_25:
	s_inst_prefetch 0x2
	s_waitcnt lgkmcnt(0)
	s_barrier
	buffer_gl0_inv
	s_and_saveexec_b32 s0, vcc_lo
	s_cbranch_execz .LBB47_27
; %bb.26:
	ds_read_b32 v2, v5
	v_lshl_or_b32 v0, s18, 8, v0
	v_mov_b32_e32 v1, 0
	v_lshlrev_b64 v[0:1], 1, v[0:1]
	v_add_co_u32 v0, vcc_lo, s6, v0
	v_add_co_ci_u32_e64 v1, null, s7, v1, vcc_lo
	s_waitcnt lgkmcnt(0)
	global_store_short v[0:1], v2, off
.LBB47_27:
	s_endpgm
	.section	.rodata,"a",@progbits
	.p2align	6, 0x0
	.amdhsa_kernel _ZN2at6native6mbtopk23computeBlockDigitCountsIljmLi3EEEvNS_4cuda6detail10TensorInfoIKT_T0_EEjPjjS8_iijT1_PSB_Ps
		.amdhsa_group_segment_fixed_size 1024
		.amdhsa_private_segment_fixed_size 0
		.amdhsa_kernarg_size 536
		.amdhsa_user_sgpr_count 6
		.amdhsa_user_sgpr_private_segment_buffer 1
		.amdhsa_user_sgpr_dispatch_ptr 0
		.amdhsa_user_sgpr_queue_ptr 0
		.amdhsa_user_sgpr_kernarg_segment_ptr 1
		.amdhsa_user_sgpr_dispatch_id 0
		.amdhsa_user_sgpr_flat_scratch_init 0
		.amdhsa_user_sgpr_private_segment_size 0
		.amdhsa_wavefront_size32 1
		.amdhsa_uses_dynamic_stack 0
		.amdhsa_system_sgpr_private_segment_wavefront_offset 0
		.amdhsa_system_sgpr_workgroup_id_x 1
		.amdhsa_system_sgpr_workgroup_id_y 1
		.amdhsa_system_sgpr_workgroup_id_z 1
		.amdhsa_system_sgpr_workgroup_info 0
		.amdhsa_system_vgpr_workitem_id 0
		.amdhsa_next_free_vgpr 15
		.amdhsa_next_free_sgpr 28
		.amdhsa_reserve_vcc 1
		.amdhsa_reserve_flat_scratch 0
		.amdhsa_float_round_mode_32 0
		.amdhsa_float_round_mode_16_64 0
		.amdhsa_float_denorm_mode_32 3
		.amdhsa_float_denorm_mode_16_64 3
		.amdhsa_dx10_clamp 1
		.amdhsa_ieee_mode 1
		.amdhsa_fp16_overflow 0
		.amdhsa_workgroup_processor_mode 1
		.amdhsa_memory_ordered 1
		.amdhsa_forward_progress 1
		.amdhsa_shared_vgpr_count 0
		.amdhsa_exception_fp_ieee_invalid_op 0
		.amdhsa_exception_fp_denorm_src 0
		.amdhsa_exception_fp_ieee_div_zero 0
		.amdhsa_exception_fp_ieee_overflow 0
		.amdhsa_exception_fp_ieee_underflow 0
		.amdhsa_exception_fp_ieee_inexact 0
		.amdhsa_exception_int_div_zero 0
	.end_amdhsa_kernel
	.section	.text._ZN2at6native6mbtopk23computeBlockDigitCountsIljmLi3EEEvNS_4cuda6detail10TensorInfoIKT_T0_EEjPjjS8_iijT1_PSB_Ps,"axG",@progbits,_ZN2at6native6mbtopk23computeBlockDigitCountsIljmLi3EEEvNS_4cuda6detail10TensorInfoIKT_T0_EEjPjjS8_iijT1_PSB_Ps,comdat
.Lfunc_end47:
	.size	_ZN2at6native6mbtopk23computeBlockDigitCountsIljmLi3EEEvNS_4cuda6detail10TensorInfoIKT_T0_EEjPjjS8_iijT1_PSB_Ps, .Lfunc_end47-_ZN2at6native6mbtopk23computeBlockDigitCountsIljmLi3EEEvNS_4cuda6detail10TensorInfoIKT_T0_EEjPjjS8_iijT1_PSB_Ps
                                        ; -- End function
	.set _ZN2at6native6mbtopk23computeBlockDigitCountsIljmLi3EEEvNS_4cuda6detail10TensorInfoIKT_T0_EEjPjjS8_iijT1_PSB_Ps.num_vgpr, 15
	.set _ZN2at6native6mbtopk23computeBlockDigitCountsIljmLi3EEEvNS_4cuda6detail10TensorInfoIKT_T0_EEjPjjS8_iijT1_PSB_Ps.num_agpr, 0
	.set _ZN2at6native6mbtopk23computeBlockDigitCountsIljmLi3EEEvNS_4cuda6detail10TensorInfoIKT_T0_EEjPjjS8_iijT1_PSB_Ps.numbered_sgpr, 28
	.set _ZN2at6native6mbtopk23computeBlockDigitCountsIljmLi3EEEvNS_4cuda6detail10TensorInfoIKT_T0_EEjPjjS8_iijT1_PSB_Ps.num_named_barrier, 0
	.set _ZN2at6native6mbtopk23computeBlockDigitCountsIljmLi3EEEvNS_4cuda6detail10TensorInfoIKT_T0_EEjPjjS8_iijT1_PSB_Ps.private_seg_size, 0
	.set _ZN2at6native6mbtopk23computeBlockDigitCountsIljmLi3EEEvNS_4cuda6detail10TensorInfoIKT_T0_EEjPjjS8_iijT1_PSB_Ps.uses_vcc, 1
	.set _ZN2at6native6mbtopk23computeBlockDigitCountsIljmLi3EEEvNS_4cuda6detail10TensorInfoIKT_T0_EEjPjjS8_iijT1_PSB_Ps.uses_flat_scratch, 0
	.set _ZN2at6native6mbtopk23computeBlockDigitCountsIljmLi3EEEvNS_4cuda6detail10TensorInfoIKT_T0_EEjPjjS8_iijT1_PSB_Ps.has_dyn_sized_stack, 0
	.set _ZN2at6native6mbtopk23computeBlockDigitCountsIljmLi3EEEvNS_4cuda6detail10TensorInfoIKT_T0_EEjPjjS8_iijT1_PSB_Ps.has_recursion, 0
	.set _ZN2at6native6mbtopk23computeBlockDigitCountsIljmLi3EEEvNS_4cuda6detail10TensorInfoIKT_T0_EEjPjjS8_iijT1_PSB_Ps.has_indirect_call, 0
	.section	.AMDGPU.csdata,"",@progbits
; Kernel info:
; codeLenInByte = 1516
; TotalNumSgprs: 30
; NumVgprs: 15
; ScratchSize: 0
; MemoryBound: 0
; FloatMode: 240
; IeeeMode: 1
; LDSByteSize: 1024 bytes/workgroup (compile time only)
; SGPRBlocks: 0
; VGPRBlocks: 1
; NumSGPRsForWavesPerEU: 30
; NumVGPRsForWavesPerEU: 15
; Occupancy: 16
; WaveLimiterHint : 1
; COMPUTE_PGM_RSRC2:SCRATCH_EN: 0
; COMPUTE_PGM_RSRC2:USER_SGPR: 6
; COMPUTE_PGM_RSRC2:TRAP_HANDLER: 0
; COMPUTE_PGM_RSRC2:TGID_X_EN: 1
; COMPUTE_PGM_RSRC2:TGID_Y_EN: 1
; COMPUTE_PGM_RSRC2:TGID_Z_EN: 1
; COMPUTE_PGM_RSRC2:TIDIG_COMP_CNT: 0
	.section	.text._ZN2at6native6mbtopk10gatherTopKIljLi3EEEvNS_4cuda6detail10TensorInfoIKT_T0_EES8_S8_bjS8_NS5_IS6_S8_EES8_NS5_IlS8_EES8_jjPS6_PjSD_j,"axG",@progbits,_ZN2at6native6mbtopk10gatherTopKIljLi3EEEvNS_4cuda6detail10TensorInfoIKT_T0_EES8_S8_bjS8_NS5_IS6_S8_EES8_NS5_IlS8_EES8_jjPS6_PjSD_j,comdat
	.protected	_ZN2at6native6mbtopk10gatherTopKIljLi3EEEvNS_4cuda6detail10TensorInfoIKT_T0_EES8_S8_bjS8_NS5_IS6_S8_EES8_NS5_IlS8_EES8_jjPS6_PjSD_j ; -- Begin function _ZN2at6native6mbtopk10gatherTopKIljLi3EEEvNS_4cuda6detail10TensorInfoIKT_T0_EES8_S8_bjS8_NS5_IS6_S8_EES8_NS5_IlS8_EES8_jjPS6_PjSD_j
	.globl	_ZN2at6native6mbtopk10gatherTopKIljLi3EEEvNS_4cuda6detail10TensorInfoIKT_T0_EES8_S8_bjS8_NS5_IS6_S8_EES8_NS5_IlS8_EES8_jjPS6_PjSD_j
	.p2align	8
	.type	_ZN2at6native6mbtopk10gatherTopKIljLi3EEEvNS_4cuda6detail10TensorInfoIKT_T0_EES8_S8_bjS8_NS5_IS6_S8_EES8_NS5_IlS8_EES8_jjPS6_PjSD_j,@function
_ZN2at6native6mbtopk10gatherTopKIljLi3EEEvNS_4cuda6detail10TensorInfoIKT_T0_EES8_S8_bjS8_NS5_IS6_S8_EES8_NS5_IlS8_EES8_jjPS6_PjSD_j: ; @_ZN2at6native6mbtopk10gatherTopKIljLi3EEEvNS_4cuda6detail10TensorInfoIKT_T0_EES8_S8_bjS8_NS5_IS6_S8_EES8_NS5_IlS8_EES8_jjPS6_PjSD_j
; %bb.0:
	s_clause 0x1
	s_load_dwordx2 s[0:1], s[4:5], 0x2d8
	s_load_dword s2, s[4:5], 0x2d0
	s_waitcnt lgkmcnt(0)
	s_mul_i32 s1, s1, s8
	s_add_i32 s1, s1, s7
	s_mul_i32 s0, s1, s0
	s_add_i32 s0, s0, s6
	s_cmp_ge_u32 s0, s2
	s_cbranch_scc1 .LBB48_40
; %bb.1:
	s_clause 0x5
	s_load_dwordx8 s[8:15], s[4:5], 0x2a8
	s_load_dwordx2 s[40:41], s[4:5], 0xc
	s_load_dwordx2 s[38:39], s[4:5], 0xfc
	;; [unrolled: 1-line block ×4, first 2 shown]
	s_load_dwordx4 s[20:23], s[4:5], 0x15c
	s_mov_b32 s43, 0
	s_load_dwordx2 s[2:3], s[4:5], 0x1d0
	s_waitcnt lgkmcnt(0)
	v_cvt_f32_u32_e32 v1, s10
	v_cvt_f32_u32_e32 v2, s41
	s_sub_i32 s1, 0, s10
	v_cvt_f32_u32_e32 v4, s39
	v_cvt_f32_u32_e32 v3, s40
	v_rcp_iflag_f32_e32 v1, v1
	v_rcp_iflag_f32_e32 v2, v2
	v_cvt_f32_u32_e32 v5, s38
	v_rcp_iflag_f32_e32 v4, v4
	v_rcp_iflag_f32_e32 v3, v3
	;; [unrolled: 3-line block ×3, first 2 shown]
	v_mul_f32_e32 v1, 0x4f7ffffe, v1
	v_mul_f32_e32 v2, 0x4f7ffffe, v2
	;; [unrolled: 1-line block ×3, first 2 shown]
	v_cvt_u32_f32_e32 v1, v1
	v_cvt_u32_f32_e32 v2, v2
	;; [unrolled: 1-line block ×3, first 2 shown]
	v_readfirstlane_b32 s6, v1
	v_readfirstlane_b32 s16, v2
	v_mul_f32_e32 v2, 0x4f7ffffe, v4
	v_mul_f32_e32 v4, 0x4f7ffffe, v5
	;; [unrolled: 1-line block ×3, first 2 shown]
	s_mul_i32 s1, s1, s6
	v_cvt_f32_u32_e32 v1, s36
	s_mul_hi_u32 s1, s6, s1
	v_cvt_u32_f32_e32 v2, v2
	s_add_i32 s6, s6, s1
	s_mul_hi_u32 s1, s0, s6
	v_rcp_iflag_f32_e32 v1, v1
	s_mul_i32 s6, s1, s10
	s_add_i32 s7, s1, 1
	s_sub_i32 s6, s0, s6
	s_sub_i32 s11, s6, s10
	s_cmp_ge_u32 s6, s10
	s_cselect_b32 s1, s7, s1
	s_cselect_b32 s6, s11, s6
	s_add_i32 s7, s1, 1
	s_cmp_ge_u32 s6, s10
	v_mul_f32_e32 v1, 0x4f7ffffe, v1
	s_cselect_b32 s42, s7, s1
	s_sub_i32 s1, 0, s41
	s_mul_i32 s28, s42, s10
	s_mul_i32 s1, s1, s16
	s_sub_i32 s11, s0, s28
	s_mul_hi_u32 s1, s16, s1
	v_cvt_u32_f32_e32 v1, v1
	s_add_i32 s16, s16, s1
	s_mul_hi_u32 s1, s42, s16
	v_readfirstlane_b32 s16, v2
	s_mul_i32 s6, s1, s41
	v_cvt_u32_f32_e32 v2, v4
	s_sub_i32 s0, s42, s6
	s_add_i32 s6, s1, 1
	s_sub_i32 s7, s0, s41
	s_cmp_ge_u32 s0, s41
	v_readfirstlane_b32 s24, v1
	s_cselect_b32 s1, s6, s1
	s_cselect_b32 s0, s7, s0
	s_add_i32 s6, s1, 1
	s_cmp_ge_u32 s0, s41
	s_cselect_b32 s50, s6, s1
	s_sub_i32 s0, 0, s39
	v_readfirstlane_b32 s1, v3
	s_mul_i32 s0, s0, s16
	s_sub_i32 s6, 0, s40
	s_mul_hi_u32 s0, s16, s0
	v_cvt_u32_f32_e32 v3, v5
	s_add_i32 s16, s16, s0
	s_mul_i32 s6, s6, s1
	s_mul_hi_u32 s0, s42, s16
	s_mul_hi_u32 s6, s1, s6
	s_mul_i32 s7, s0, s39
	s_add_i32 s29, s1, s6
	s_sub_i32 s1, s42, s7
	s_add_i32 s6, s0, 1
	s_sub_i32 s7, s1, s39
	s_cmp_ge_u32 s1, s39
	v_readfirstlane_b32 s16, v3
	s_cselect_b32 s0, s6, s0
	s_cselect_b32 s1, s7, s1
	s_add_i32 s6, s0, 1
	s_cmp_ge_u32 s1, s39
	v_readfirstlane_b32 s1, v2
	s_cselect_b32 s33, s6, s0
	s_sub_i32 s0, 0, s37
	s_sub_i32 s6, 0, s38
	s_mul_i32 s0, s0, s16
	s_mul_i32 s6, s6, s1
	s_mul_hi_u32 s0, s16, s0
	s_mul_hi_u32 s6, s1, s6
	s_add_i32 s16, s16, s0
	s_add_i32 s30, s1, s6
	s_mul_hi_u32 s0, s42, s16
	s_load_dwordx4 s[16:19], s[4:5], 0x23c
	s_mul_i32 s7, s0, s37
	s_add_i32 s6, s0, 1
	s_sub_i32 s1, s42, s7
	s_mul_hi_u32 s51, s50, s29
	s_sub_i32 s7, s1, s37
	s_cmp_ge_u32 s1, s37
	s_cselect_b32 s0, s6, s0
	s_cselect_b32 s1, s7, s1
	s_add_i32 s6, s0, 1
	s_cmp_ge_u32 s1, s37
	s_cselect_b32 s23, s6, s0
	s_sub_i32 s0, 0, s36
	s_mul_i32 s0, s0, s24
	s_mul_hi_u32 s6, s24, s0
	s_lshl_b64 s[0:1], s[42:43], 3
	s_waitcnt lgkmcnt(0)
	s_add_i32 s19, s24, s6
	s_add_u32 s0, s12, s0
	s_addc_u32 s1, s13, s1
	s_clause 0x1
	s_load_dwordx2 s[44:45], s[4:5], 0xf0
	s_load_dwordx4 s[24:27], s[4:5], 0x6c
	s_load_dwordx2 s[6:7], s[0:1], 0x0
	v_cmp_ne_u32_e64 s0, 0, v0
	v_cmp_eq_u32_e64 s1, 0, v0
	s_waitcnt lgkmcnt(0)
	s_mul_hi_u32 s27, s33, s30
	s_mul_hi_u32 s19, s23, s19
	s_and_saveexec_b32 s52, s1
	s_cbranch_execz .LBB48_17
; %bb.2:
	s_load_dwordx2 s[12:13], s[4:5], 0x2c8
	s_mov_b32 s29, s43
	s_lshl_b64 s[46:47], s[28:29], 2
	s_add_u32 s28, s14, s46
	s_addc_u32 s29, s15, s47
	s_waitcnt lgkmcnt(0)
	s_add_u32 s30, s12, s46
	s_addc_u32 s31, s13, s47
	s_cmp_lt_u32 s10, 4
	s_cbranch_scc1 .LBB48_14
; %bb.3:
	s_mov_b32 s53, s43
	s_mov_b32 s54, s43
	;; [unrolled: 1-line block ×3, first 2 shown]
.LBB48_4:                               ; =>This Inner Loop Header: Depth=1
	s_add_u32 s28, s14, s46
	s_addc_u32 s29, s15, s47
	s_add_u32 s48, s12, s46
	s_load_dwordx4 s[28:31], s[28:29], 0x0
	s_addc_u32 s49, s13, s47
	s_cmp_ge_u32 s55, s11
	s_cbranch_scc0 .LBB48_11
; %bb.5:                                ;   in Loop: Header=BB48_4 Depth=1
	s_add_i32 s56, s55, 1
	s_cmp_ge_u32 s56, s11
	s_cbranch_scc0 .LBB48_12
.LBB48_6:                               ;   in Loop: Header=BB48_4 Depth=1
	s_add_i32 s56, s56, 1
	s_cmp_ge_u32 s56, s11
	s_cbranch_scc0 .LBB48_13
.LBB48_7:                               ;   in Loop: Header=BB48_4 Depth=1
	s_add_i32 s56, s56, 1
	s_cmp_ge_u32 s56, s11
	s_cbranch_scc1 .LBB48_9
.LBB48_8:                               ;   in Loop: Header=BB48_4 Depth=1
	s_load_dword s48, s[48:49], 0xc
	s_waitcnt lgkmcnt(0)
	s_add_i32 s43, s43, s31
	s_add_i32 s53, s48, s53
.LBB48_9:                               ;   in Loop: Header=BB48_4 Depth=1
	s_waitcnt lgkmcnt(0)
	s_add_i32 s28, s28, s54
	s_add_i32 s28, s28, s29
	;; [unrolled: 1-line block ×4, first 2 shown]
	s_add_u32 s14, s14, 16
	s_addc_u32 s15, s15, 0
	s_add_u32 s12, s12, 16
	s_addc_u32 s13, s13, 0
	s_add_i32 s49, s56, 4
	s_add_u32 s30, s12, s46
	s_addc_u32 s31, s13, s47
	s_add_u32 s28, s14, s46
	s_addc_u32 s29, s15, s47
	s_add_i32 s48, s56, 1
	s_cmp_ge_u32 s49, s10
	s_cbranch_scc1 .LBB48_15
; %bb.10:                               ;   in Loop: Header=BB48_4 Depth=1
	s_mov_b32 s55, s48
	s_branch .LBB48_4
.LBB48_11:                              ;   in Loop: Header=BB48_4 Depth=1
	s_load_dword s56, s[48:49], 0x0
	s_waitcnt lgkmcnt(0)
	s_add_i32 s43, s28, s43
	s_add_i32 s53, s56, s53
	;; [unrolled: 1-line block ×3, first 2 shown]
	s_cmp_ge_u32 s56, s11
	s_cbranch_scc1 .LBB48_6
.LBB48_12:                              ;   in Loop: Header=BB48_4 Depth=1
	s_load_dword s57, s[48:49], 0x4
	s_waitcnt lgkmcnt(0)
	s_add_i32 s43, s43, s29
	s_add_i32 s53, s57, s53
	;; [unrolled: 1-line block ×3, first 2 shown]
	s_cmp_ge_u32 s56, s11
	s_cbranch_scc1 .LBB48_7
.LBB48_13:                              ;   in Loop: Header=BB48_4 Depth=1
	s_load_dword s57, s[48:49], 0x8
	s_waitcnt lgkmcnt(0)
	s_add_i32 s43, s43, s30
	s_add_i32 s53, s57, s53
	s_add_i32 s56, s56, 1
	s_cmp_ge_u32 s56, s11
	s_cbranch_scc0 .LBB48_8
	s_branch .LBB48_9
.LBB48_14:
	s_mov_b32 s53, 0
	s_mov_b32 s54, 0
	;; [unrolled: 1-line block ×3, first 2 shown]
	s_cmp_ge_u32 s12, s10
	s_cbranch_scc0 .LBB48_38
	s_branch .LBB48_16
.LBB48_15:
	s_add_i32 s12, s55, 4
	s_cmp_ge_u32 s12, s10
	s_cbranch_scc0 .LBB48_38
.LBB48_16:
	v_mov_b32_e32 v1, s53
	v_mov_b32_e32 v2, s54
	;; [unrolled: 1-line block ×4, first 2 shown]
	ds_write_b96 v4, v[1:3] offset:1056
.LBB48_17:
	s_or_b32 exec_lo, exec_lo, s52
	s_load_dwordx4 s[12:15], s[4:5], 0xd8
	s_waitcnt lgkmcnt(0)
	s_mul_i32 s15, s9, s11
	s_add_i32 s11, s11, 1
	s_lshl_b32 s28, s15, 8
	s_barrier
	buffer_gl0_inv
	s_sub_i32 s15, s12, s28
	s_add_u32 s30, s15, 0xff
	s_addc_u32 s31, 0, 0
	s_lshr_b64 s[30:31], s[30:31], 8
	s_cmp_lt_u32 s11, s10
	s_mov_b32 s11, 0
	s_cselect_b32 s9, s9, s30
	s_cmp_eq_u32 s9, 0
	s_cbranch_scc1 .LBB48_40
; %bb.18:
	s_mul_i32 s15, s51, s40
	s_mul_i32 s10, s50, s41
	s_sub_i32 s15, s50, s15
	s_sub_i32 s10, s42, s10
	s_add_i32 s29, s51, 1
	s_sub_i32 s30, s15, s40
	s_cmp_ge_u32 s15, s40
	s_mul_i32 s10, s10, s26
	s_cselect_b32 s29, s29, s51
	s_cselect_b32 s15, s30, s15
	s_add_i32 s30, s29, 1
	s_cmp_ge_u32 s15, s40
	s_mul_i32 s15, s33, s39
	s_cselect_b32 s29, s30, s29
	s_mul_i32 s30, s27, s38
	s_mul_i32 s31, s29, s40
	;; [unrolled: 1-line block ×3, first 2 shown]
	s_sub_i32 s26, s50, s31
	s_sub_i32 s24, s33, s30
	s_mul_i32 s25, s26, s25
	s_sub_i32 s15, s42, s15
	s_add_i32 s10, s25, s10
	s_add_i32 s25, s27, 1
	;; [unrolled: 1-line block ×3, first 2 shown]
	s_sub_i32 s26, s24, s38
	s_cmp_ge_u32 s24, s38
	s_mul_i32 s15, s15, s22
	s_cselect_b32 s25, s25, s27
	s_cselect_b32 s24, s26, s24
	s_add_i32 s26, s25, 1
	s_cmp_ge_u32 s24, s38
	s_mul_i32 s27, s19, s36
	s_cselect_b32 s24, s26, s25
	s_mul_i32 s25, s23, s37
	s_mul_i32 s26, s24, s38
	;; [unrolled: 1-line block ×3, first 2 shown]
	s_sub_i32 s26, s33, s26
	s_add_i32 s22, s19, 1
	s_mul_i32 s21, s26, s21
	v_mov_b32_e32 v5, 0
	s_add_i32 s15, s21, s15
	s_sub_i32 s21, s42, s25
	s_add_i32 s20, s15, s24
	s_sub_i32 s15, s23, s27
	s_mul_i32 s21, s21, s18
	s_sub_i32 s24, s15, s36
	s_cmp_ge_u32 s15, s36
	ds_read_b96 v[1:3], v5 offset:1056
	s_cselect_b32 s19, s22, s19
	s_cselect_b32 s15, s24, s15
	s_add_i32 s22, s19, 1
	s_cmp_ge_u32 s15, s36
	v_lshrrev_b32_e32 v4, 3, v0
	s_cselect_b32 s15, s22, s19
	v_add_nc_u32_e32 v6, -1, v0
	s_mul_i32 s19, s15, s36
	s_mul_i32 s15, s15, s16
	s_sub_i32 s19, s23, s19
	v_and_b32_e32 v4, 28, v4
	s_mul_i32 s17, s19, s17
	v_lshrrev_b32_e32 v7, 3, v6
	s_add_i32 s18, s17, s21
	s_lshl_b64 s[16:17], s[10:11], 3
	s_add_i32 s10, s18, s15
	s_mov_b32 s21, s11
	s_add_u32 s15, s34, s16
	s_addc_u32 s16, s35, s17
	s_lshl_b64 s[18:19], s[20:21], 3
	s_clause 0x1
	s_load_dword s21, s[4:5], 0xe8
	s_load_dword s4, s[4:5], 0x1c8
	s_waitcnt lgkmcnt(0)
	v_add_nc_u32_e32 v8, v1, v2
	v_lshl_add_u32 v9, v0, 2, v4
	v_and_b32_e32 v4, 0x1ffffffc, v7
	v_add_nc_u32_e32 v1, s28, v0
	s_add_u32 s17, s44, s18
	s_addc_u32 s18, s45, s19
	s_lshl_b64 s[10:11], s[10:11], 3
	v_and_b32_e32 v2, 0xfc, v0
	v_lshlrev_b32_e32 v7, 5, v0
	v_mbcnt_lo_u32_b32 v10, -1, 0
	s_add_u32 s19, s2, s10
	v_cmp_gt_u32_e64 s2, 32, v0
	v_lshl_add_u32 v0, v6, 2, v4
	s_addc_u32 s20, s3, s11
	s_xor_b32 s11, s7, 0x80000000
	v_add_nc_u32_e32 v11, v2, v7
	v_and_b32_e32 v12, 15, v10
	v_bfe_i32 v13, v10, 4, 1
	v_mul_lo_u32 v4, s21, v1
	v_add_nc_u32_e32 v14, -1, v10
	s_bitcmp1_b32 s14, 0
	s_mov_b32 s10, s6
	s_cselect_b32 s3, -1, 0
	s_lshl_b32 s5, s21, 8
                                        ; implicit-def: $vgpr6_vgpr7
	s_branch .LBB48_21
.LBB48_19:                              ;   in Loop: Header=BB48_21 Depth=1
	s_or_b32 exec_lo, exec_lo, s14
	v_add_nc_u32_e32 v8, v17, v8
.LBB48_20:                              ;   in Loop: Header=BB48_21 Depth=1
	v_add_nc_u32_e32 v3, v16, v3
	v_add_nc_u32_e32 v4, s5, v4
	;; [unrolled: 1-line block ×3, first 2 shown]
	s_add_i32 s9, s9, -1
	s_cmp_lg_u32 s9, 0
	s_cbranch_scc0 .LBB48_40
.LBB48_21:                              ; =>This Inner Loop Header: Depth=1
	v_mov_b32_e32 v2, 0
	v_mov_b32_e32 v15, 0
	s_mov_b32 s14, exec_lo
	v_cmpx_gt_u32_e64 s12, v1
	s_cbranch_execz .LBB48_23
; %bb.22:                               ;   in Loop: Header=BB48_21 Depth=1
	v_lshlrev_b64 v[6:7], 3, v[4:5]
	v_add_co_u32 v6, vcc_lo, s15, v6
	v_add_co_ci_u32_e64 v7, null, s16, v7, vcc_lo
	global_load_dwordx2 v[6:7], v[6:7], off
	s_waitcnt vmcnt(0)
	v_xor_b32_e32 v16, 0x80000000, v7
	v_mov_b32_e32 v15, v6
	v_cmp_lt_u64_e32 vcc_lo, s[10:11], v[15:16]
	v_cndmask_b32_e64 v2, 0, 1, vcc_lo
	v_cmp_gt_u64_e32 vcc_lo, s[10:11], v[15:16]
	v_cndmask_b32_e64 v15, 0, 1, vcc_lo
	v_cmp_eq_u64_e32 vcc_lo, s[6:7], v[6:7]
	v_cndmask_b32_e64 v2, v15, v2, s3
	v_cndmask_b32_e64 v15, 0, 1, vcc_lo
	v_and_b32_e32 v2, 1, v2
.LBB48_23:                              ;   in Loop: Header=BB48_21 Depth=1
	s_or_b32 exec_lo, exec_lo, s14
	ds_write_b32 v9, v2
	s_waitcnt lgkmcnt(0)
	s_barrier
	buffer_gl0_inv
	s_and_saveexec_b32 s14, s2
	s_cbranch_execz .LBB48_25
; %bb.24:                               ;   in Loop: Header=BB48_21 Depth=1
	ds_read2_b32 v[16:17], v11 offset1:1
	ds_read2_b32 v[18:19], v11 offset0:2 offset1:3
	ds_read2_b32 v[20:21], v11 offset0:4 offset1:5
	;; [unrolled: 1-line block ×3, first 2 shown]
	v_cmp_ne_u32_e32 vcc_lo, 0, v12
	; wave barrier
	s_waitcnt lgkmcnt(3)
	v_add_nc_u32_e32 v17, v17, v16
	s_waitcnt lgkmcnt(2)
	v_add3_u32 v17, v17, v18, v19
	s_waitcnt lgkmcnt(1)
	v_add3_u32 v17, v17, v20, v21
	;; [unrolled: 2-line block ×3, first 2 shown]
	v_mov_b32_dpp v18, v17 row_shr:1 row_mask:0xf bank_mask:0xf
	v_cndmask_b32_e32 v18, 0, v18, vcc_lo
	v_cmp_lt_u32_e32 vcc_lo, 1, v12
	v_add_nc_u32_e32 v17, v18, v17
	v_mov_b32_dpp v18, v17 row_shr:2 row_mask:0xf bank_mask:0xf
	v_cndmask_b32_e32 v18, 0, v18, vcc_lo
	v_cmp_lt_u32_e32 vcc_lo, 3, v12
	v_add_nc_u32_e32 v17, v17, v18
	;; [unrolled: 4-line block ×3, first 2 shown]
	v_mov_b32_dpp v18, v17 row_shr:8 row_mask:0xf bank_mask:0xf
	v_cndmask_b32_e32 v18, 0, v18, vcc_lo
	v_cmp_gt_i32_e32 vcc_lo, 0, v14
	v_add_nc_u32_e32 v17, v17, v18
	v_cndmask_b32_e32 v19, v14, v10, vcc_lo
	ds_swizzle_b32 v18, v17 offset:swizzle(BROADCAST,32,15)
	v_lshlrev_b32_e32 v19, 2, v19
	s_waitcnt lgkmcnt(0)
	v_and_b32_e32 v18, v13, v18
	v_add_nc_u32_e32 v17, v17, v18
	ds_bpermute_b32 v17, v19, v17
	s_waitcnt lgkmcnt(0)
	v_add_nc_u32_e32 v16, v17, v16
	v_cndmask_b32_e64 v22, v16, v2, s1
	ds_write_b32 v11, v22
	; wave barrier
	ds_read2_b32 v[16:17], v11 offset0:1 offset1:2
	ds_read2_b32 v[18:19], v11 offset0:3 offset1:4
	;; [unrolled: 1-line block ×3, first 2 shown]
	ds_read_b32 v23, v11 offset:28
	s_waitcnt lgkmcnt(3)
	v_add_nc_u32_e32 v16, v16, v22
	v_add_nc_u32_e32 v17, v17, v16
	s_waitcnt lgkmcnt(2)
	v_add_nc_u32_e32 v18, v18, v17
	v_add_nc_u32_e32 v19, v19, v18
	;; [unrolled: 3-line block ×3, first 2 shown]
	s_waitcnt lgkmcnt(0)
	v_add_nc_u32_e32 v22, v23, v21
	ds_write2_b32 v11, v16, v17 offset0:1 offset1:2
	ds_write2_b32 v11, v18, v19 offset0:3 offset1:4
	;; [unrolled: 1-line block ×3, first 2 shown]
	ds_write_b32 v11, v22 offset:28
.LBB48_25:                              ;   in Loop: Header=BB48_21 Depth=1
	s_or_b32 exec_lo, exec_lo, s14
	v_mov_b32_e32 v17, 0
	s_waitcnt lgkmcnt(0)
	s_barrier
	buffer_gl0_inv
	s_and_saveexec_b32 s14, s0
; %bb.26:                               ;   in Loop: Header=BB48_21 Depth=1
	ds_read_b32 v17, v0
; %bb.27:                               ;   in Loop: Header=BB48_21 Depth=1
	s_or_b32 exec_lo, exec_lo, s14
	ds_read_b32 v16, v5 offset:1048
	s_mov_b32 s14, exec_lo
	s_waitcnt lgkmcnt(0)
	s_barrier
	buffer_gl0_inv
	v_cmpx_ne_u32_e32 0, v2
	s_cbranch_execz .LBB48_29
; %bb.28:                               ;   in Loop: Header=BB48_21 Depth=1
	v_add_nc_u32_e32 v2, v17, v3
	v_mov_b32_e32 v18, v5
	v_mov_b32_e32 v20, v5
	v_mul_lo_u32 v17, v2, s4
	v_mul_lo_u32 v19, v2, s8
	v_mov_b32_e32 v2, v5
	v_lshlrev_b64 v[17:18], 3, v[17:18]
	v_lshlrev_b64 v[19:20], 3, v[19:20]
	v_add_co_u32 v17, vcc_lo, s17, v17
	v_add_co_ci_u32_e64 v18, null, s18, v18, vcc_lo
	v_add_co_u32 v19, vcc_lo, s19, v19
	v_add_co_ci_u32_e64 v20, null, s20, v20, vcc_lo
	global_store_dwordx2 v[17:18], v[6:7], off
	global_store_dwordx2 v[19:20], v[1:2], off
.LBB48_29:                              ;   in Loop: Header=BB48_21 Depth=1
	s_or_b32 exec_lo, exec_lo, s14
	v_cmp_le_u32_e32 vcc_lo, s13, v8
	s_cbranch_vccnz .LBB48_20
; %bb.30:                               ;   in Loop: Header=BB48_21 Depth=1
	ds_write_b32 v9, v15
	s_waitcnt lgkmcnt(0)
	s_waitcnt_vscnt null, 0x0
	s_barrier
	buffer_gl0_inv
	s_and_saveexec_b32 s14, s2
	s_cbranch_execz .LBB48_32
; %bb.31:                               ;   in Loop: Header=BB48_21 Depth=1
	ds_read2_b32 v[17:18], v11 offset1:1
	ds_read2_b32 v[19:20], v11 offset0:2 offset1:3
	ds_read2_b32 v[21:22], v11 offset0:4 offset1:5
	;; [unrolled: 1-line block ×3, first 2 shown]
	v_cmp_ne_u32_e32 vcc_lo, 0, v12
	; wave barrier
	s_waitcnt lgkmcnt(3)
	v_add_nc_u32_e32 v2, v18, v17
	s_waitcnt lgkmcnt(2)
	v_add3_u32 v2, v2, v19, v20
	s_waitcnt lgkmcnt(1)
	v_add3_u32 v2, v2, v21, v22
	;; [unrolled: 2-line block ×3, first 2 shown]
	v_mov_b32_dpp v18, v2 row_shr:1 row_mask:0xf bank_mask:0xf
	v_cndmask_b32_e32 v18, 0, v18, vcc_lo
	v_cmp_lt_u32_e32 vcc_lo, 1, v12
	v_add_nc_u32_e32 v2, v18, v2
	v_mov_b32_dpp v18, v2 row_shr:2 row_mask:0xf bank_mask:0xf
	v_cndmask_b32_e32 v18, 0, v18, vcc_lo
	v_cmp_lt_u32_e32 vcc_lo, 3, v12
	v_add_nc_u32_e32 v2, v2, v18
	;; [unrolled: 4-line block ×3, first 2 shown]
	v_mov_b32_dpp v18, v2 row_shr:8 row_mask:0xf bank_mask:0xf
	v_cndmask_b32_e32 v18, 0, v18, vcc_lo
	v_cmp_gt_i32_e32 vcc_lo, 0, v14
	v_add_nc_u32_e32 v2, v2, v18
	v_cndmask_b32_e32 v19, v14, v10, vcc_lo
	ds_swizzle_b32 v18, v2 offset:swizzle(BROADCAST,32,15)
	v_lshlrev_b32_e32 v19, 2, v19
	s_waitcnt lgkmcnt(0)
	v_and_b32_e32 v18, v13, v18
	v_add_nc_u32_e32 v2, v2, v18
	ds_bpermute_b32 v2, v19, v2
	s_waitcnt lgkmcnt(0)
	v_add_nc_u32_e32 v2, v2, v17
	v_cndmask_b32_e64 v2, v2, v15, s1
	ds_write_b32 v11, v2
	; wave barrier
	ds_read2_b32 v[17:18], v11 offset0:1 offset1:2
	ds_read2_b32 v[19:20], v11 offset0:3 offset1:4
	ds_read2_b32 v[21:22], v11 offset0:5 offset1:6
	ds_read_b32 v23, v11 offset:28
	s_waitcnt lgkmcnt(3)
	v_add_nc_u32_e32 v2, v17, v2
	v_add_nc_u32_e32 v17, v18, v2
	s_waitcnt lgkmcnt(2)
	v_add_nc_u32_e32 v18, v19, v17
	v_add_nc_u32_e32 v19, v20, v18
	;; [unrolled: 3-line block ×3, first 2 shown]
	s_waitcnt lgkmcnt(0)
	v_add_nc_u32_e32 v22, v23, v21
	ds_write2_b32 v11, v2, v17 offset0:1 offset1:2
	ds_write2_b32 v11, v18, v19 offset0:3 offset1:4
	;; [unrolled: 1-line block ×3, first 2 shown]
	ds_write_b32 v11, v22 offset:28
.LBB48_32:                              ;   in Loop: Header=BB48_21 Depth=1
	s_or_b32 exec_lo, exec_lo, s14
	v_mov_b32_e32 v2, 0
	s_waitcnt lgkmcnt(0)
	s_barrier
	buffer_gl0_inv
	s_and_saveexec_b32 s14, s0
; %bb.33:                               ;   in Loop: Header=BB48_21 Depth=1
	ds_read_b32 v2, v0
; %bb.34:                               ;   in Loop: Header=BB48_21 Depth=1
	s_or_b32 exec_lo, exec_lo, s14
	ds_read_b32 v17, v5 offset:1048
	s_mov_b32 s14, exec_lo
	s_waitcnt lgkmcnt(0)
	s_barrier
	buffer_gl0_inv
	v_cmpx_ne_u32_e32 0, v15
	s_cbranch_execz .LBB48_19
; %bb.35:                               ;   in Loop: Header=BB48_21 Depth=1
	v_add_nc_u32_e32 v2, v2, v8
	v_cmp_gt_u32_e32 vcc_lo, s13, v2
	s_and_b32 exec_lo, exec_lo, vcc_lo
	s_cbranch_execz .LBB48_19
; %bb.36:                               ;   in Loop: Header=BB48_21 Depth=1
	v_mul_lo_u32 v18, v2, s4
	v_mul_lo_u32 v20, v2, s8
	v_mov_b32_e32 v19, v5
	v_mov_b32_e32 v21, v5
	;; [unrolled: 1-line block ×3, first 2 shown]
	v_lshlrev_b64 v[18:19], 3, v[18:19]
	v_lshlrev_b64 v[20:21], 3, v[20:21]
	v_add_co_u32 v18, vcc_lo, s17, v18
	v_add_co_ci_u32_e64 v19, null, s18, v19, vcc_lo
	v_add_co_u32 v20, vcc_lo, s19, v20
	v_add_co_ci_u32_e64 v21, null, s20, v21, vcc_lo
	global_store_dwordx2 v[18:19], v[6:7], off
	global_store_dwordx2 v[20:21], v[1:2], off
	s_branch .LBB48_19
	.p2align	6
.LBB48_37:                              ;   in Loop: Header=BB48_38 Depth=1
	s_add_u32 s28, s28, 4
	s_addc_u32 s29, s29, 0
	s_waitcnt lgkmcnt(0)
	s_add_i32 s54, s13, s54
	s_add_u32 s30, s30, 4
	s_addc_u32 s31, s31, 0
	s_add_i32 s12, s12, 1
	s_cmp_lt_u32 s12, s10
	s_cbranch_scc0 .LBB48_16
.LBB48_38:                              ; =>This Inner Loop Header: Depth=1
	s_load_dword s13, s[28:29], 0x0
	s_cmp_ge_u32 s12, s11
	s_cbranch_scc1 .LBB48_37
; %bb.39:                               ;   in Loop: Header=BB48_38 Depth=1
	s_load_dword s14, s[30:31], 0x0
	s_waitcnt lgkmcnt(0)
	s_add_i32 s43, s13, s43
	s_add_i32 s53, s14, s53
	s_branch .LBB48_37
.LBB48_40:
	s_endpgm
	.section	.rodata,"a",@progbits
	.p2align	6, 0x0
	.amdhsa_kernel _ZN2at6native6mbtopk10gatherTopKIljLi3EEEvNS_4cuda6detail10TensorInfoIKT_T0_EES8_S8_bjS8_NS5_IS6_S8_EES8_NS5_IlS8_EES8_jjPS6_PjSD_j
		.amdhsa_group_segment_fixed_size 1068
		.amdhsa_private_segment_fixed_size 0
		.amdhsa_kernarg_size 984
		.amdhsa_user_sgpr_count 6
		.amdhsa_user_sgpr_private_segment_buffer 1
		.amdhsa_user_sgpr_dispatch_ptr 0
		.amdhsa_user_sgpr_queue_ptr 0
		.amdhsa_user_sgpr_kernarg_segment_ptr 1
		.amdhsa_user_sgpr_dispatch_id 0
		.amdhsa_user_sgpr_flat_scratch_init 0
		.amdhsa_user_sgpr_private_segment_size 0
		.amdhsa_wavefront_size32 1
		.amdhsa_uses_dynamic_stack 0
		.amdhsa_system_sgpr_private_segment_wavefront_offset 0
		.amdhsa_system_sgpr_workgroup_id_x 1
		.amdhsa_system_sgpr_workgroup_id_y 1
		.amdhsa_system_sgpr_workgroup_id_z 1
		.amdhsa_system_sgpr_workgroup_info 0
		.amdhsa_system_vgpr_workitem_id 0
		.amdhsa_next_free_vgpr 25
		.amdhsa_next_free_sgpr 58
		.amdhsa_reserve_vcc 1
		.amdhsa_reserve_flat_scratch 0
		.amdhsa_float_round_mode_32 0
		.amdhsa_float_round_mode_16_64 0
		.amdhsa_float_denorm_mode_32 3
		.amdhsa_float_denorm_mode_16_64 3
		.amdhsa_dx10_clamp 1
		.amdhsa_ieee_mode 1
		.amdhsa_fp16_overflow 0
		.amdhsa_workgroup_processor_mode 1
		.amdhsa_memory_ordered 1
		.amdhsa_forward_progress 1
		.amdhsa_shared_vgpr_count 0
		.amdhsa_exception_fp_ieee_invalid_op 0
		.amdhsa_exception_fp_denorm_src 0
		.amdhsa_exception_fp_ieee_div_zero 0
		.amdhsa_exception_fp_ieee_overflow 0
		.amdhsa_exception_fp_ieee_underflow 0
		.amdhsa_exception_fp_ieee_inexact 0
		.amdhsa_exception_int_div_zero 0
	.end_amdhsa_kernel
	.section	.text._ZN2at6native6mbtopk10gatherTopKIljLi3EEEvNS_4cuda6detail10TensorInfoIKT_T0_EES8_S8_bjS8_NS5_IS6_S8_EES8_NS5_IlS8_EES8_jjPS6_PjSD_j,"axG",@progbits,_ZN2at6native6mbtopk10gatherTopKIljLi3EEEvNS_4cuda6detail10TensorInfoIKT_T0_EES8_S8_bjS8_NS5_IS6_S8_EES8_NS5_IlS8_EES8_jjPS6_PjSD_j,comdat
.Lfunc_end48:
	.size	_ZN2at6native6mbtopk10gatherTopKIljLi3EEEvNS_4cuda6detail10TensorInfoIKT_T0_EES8_S8_bjS8_NS5_IS6_S8_EES8_NS5_IlS8_EES8_jjPS6_PjSD_j, .Lfunc_end48-_ZN2at6native6mbtopk10gatherTopKIljLi3EEEvNS_4cuda6detail10TensorInfoIKT_T0_EES8_S8_bjS8_NS5_IS6_S8_EES8_NS5_IlS8_EES8_jjPS6_PjSD_j
                                        ; -- End function
	.set _ZN2at6native6mbtopk10gatherTopKIljLi3EEEvNS_4cuda6detail10TensorInfoIKT_T0_EES8_S8_bjS8_NS5_IS6_S8_EES8_NS5_IlS8_EES8_jjPS6_PjSD_j.num_vgpr, 25
	.set _ZN2at6native6mbtopk10gatherTopKIljLi3EEEvNS_4cuda6detail10TensorInfoIKT_T0_EES8_S8_bjS8_NS5_IS6_S8_EES8_NS5_IlS8_EES8_jjPS6_PjSD_j.num_agpr, 0
	.set _ZN2at6native6mbtopk10gatherTopKIljLi3EEEvNS_4cuda6detail10TensorInfoIKT_T0_EES8_S8_bjS8_NS5_IS6_S8_EES8_NS5_IlS8_EES8_jjPS6_PjSD_j.numbered_sgpr, 58
	.set _ZN2at6native6mbtopk10gatherTopKIljLi3EEEvNS_4cuda6detail10TensorInfoIKT_T0_EES8_S8_bjS8_NS5_IS6_S8_EES8_NS5_IlS8_EES8_jjPS6_PjSD_j.num_named_barrier, 0
	.set _ZN2at6native6mbtopk10gatherTopKIljLi3EEEvNS_4cuda6detail10TensorInfoIKT_T0_EES8_S8_bjS8_NS5_IS6_S8_EES8_NS5_IlS8_EES8_jjPS6_PjSD_j.private_seg_size, 0
	.set _ZN2at6native6mbtopk10gatherTopKIljLi3EEEvNS_4cuda6detail10TensorInfoIKT_T0_EES8_S8_bjS8_NS5_IS6_S8_EES8_NS5_IlS8_EES8_jjPS6_PjSD_j.uses_vcc, 1
	.set _ZN2at6native6mbtopk10gatherTopKIljLi3EEEvNS_4cuda6detail10TensorInfoIKT_T0_EES8_S8_bjS8_NS5_IS6_S8_EES8_NS5_IlS8_EES8_jjPS6_PjSD_j.uses_flat_scratch, 0
	.set _ZN2at6native6mbtopk10gatherTopKIljLi3EEEvNS_4cuda6detail10TensorInfoIKT_T0_EES8_S8_bjS8_NS5_IS6_S8_EES8_NS5_IlS8_EES8_jjPS6_PjSD_j.has_dyn_sized_stack, 0
	.set _ZN2at6native6mbtopk10gatherTopKIljLi3EEEvNS_4cuda6detail10TensorInfoIKT_T0_EES8_S8_bjS8_NS5_IS6_S8_EES8_NS5_IlS8_EES8_jjPS6_PjSD_j.has_recursion, 0
	.set _ZN2at6native6mbtopk10gatherTopKIljLi3EEEvNS_4cuda6detail10TensorInfoIKT_T0_EES8_S8_bjS8_NS5_IS6_S8_EES8_NS5_IlS8_EES8_jjPS6_PjSD_j.has_indirect_call, 0
	.section	.AMDGPU.csdata,"",@progbits
; Kernel info:
; codeLenInByte = 2960
; TotalNumSgprs: 60
; NumVgprs: 25
; ScratchSize: 0
; MemoryBound: 0
; FloatMode: 240
; IeeeMode: 1
; LDSByteSize: 1068 bytes/workgroup (compile time only)
; SGPRBlocks: 0
; VGPRBlocks: 3
; NumSGPRsForWavesPerEU: 60
; NumVGPRsForWavesPerEU: 25
; Occupancy: 16
; WaveLimiterHint : 1
; COMPUTE_PGM_RSRC2:SCRATCH_EN: 0
; COMPUTE_PGM_RSRC2:USER_SGPR: 6
; COMPUTE_PGM_RSRC2:TRAP_HANDLER: 0
; COMPUTE_PGM_RSRC2:TGID_X_EN: 1
; COMPUTE_PGM_RSRC2:TGID_Y_EN: 1
; COMPUTE_PGM_RSRC2:TGID_Z_EN: 1
; COMPUTE_PGM_RSRC2:TIDIG_COMP_CNT: 0
	.section	.text._ZN2at6native6sbtopk10gatherTopKIljLi3ELb0EEEvNS_4cuda6detail10TensorInfoIKT_T0_EES8_S8_bS8_S8_NS5_IS6_S8_EES8_NS5_IlS8_EES8_PS6_,"axG",@progbits,_ZN2at6native6sbtopk10gatherTopKIljLi3ELb0EEEvNS_4cuda6detail10TensorInfoIKT_T0_EES8_S8_bS8_S8_NS5_IS6_S8_EES8_NS5_IlS8_EES8_PS6_,comdat
	.protected	_ZN2at6native6sbtopk10gatherTopKIljLi3ELb0EEEvNS_4cuda6detail10TensorInfoIKT_T0_EES8_S8_bS8_S8_NS5_IS6_S8_EES8_NS5_IlS8_EES8_PS6_ ; -- Begin function _ZN2at6native6sbtopk10gatherTopKIljLi3ELb0EEEvNS_4cuda6detail10TensorInfoIKT_T0_EES8_S8_bS8_S8_NS5_IS6_S8_EES8_NS5_IlS8_EES8_PS6_
	.globl	_ZN2at6native6sbtopk10gatherTopKIljLi3ELb0EEEvNS_4cuda6detail10TensorInfoIKT_T0_EES8_S8_bS8_S8_NS5_IS6_S8_EES8_NS5_IlS8_EES8_PS6_
	.p2align	8
	.type	_ZN2at6native6sbtopk10gatherTopKIljLi3ELb0EEEvNS_4cuda6detail10TensorInfoIKT_T0_EES8_S8_bS8_S8_NS5_IS6_S8_EES8_NS5_IlS8_EES8_PS6_,@function
_ZN2at6native6sbtopk10gatherTopKIljLi3ELb0EEEvNS_4cuda6detail10TensorInfoIKT_T0_EES8_S8_bS8_S8_NS5_IS6_S8_EES8_NS5_IlS8_EES8_PS6_: ; @_ZN2at6native6sbtopk10gatherTopKIljLi3ELb0EEEvNS_4cuda6detail10TensorInfoIKT_T0_EES8_S8_bS8_S8_NS5_IS6_S8_EES8_NS5_IlS8_EES8_PS6_
; %bb.0:
	s_clause 0x1
	s_load_dwordx2 s[12:13], s[4:5], 0x2b8
	s_load_dwordx4 s[36:39], s[4:5], 0xd8
	s_add_u32 s10, s4, 0x2b8
	s_addc_u32 s11, s5, 0
	s_waitcnt lgkmcnt(0)
	s_mul_i32 s0, s13, s8
	s_add_i32 s0, s0, s7
	s_mul_i32 s56, s0, s12
	s_add_i32 s56, s56, s6
	s_cmp_ge_u32 s56, s39
	s_cbranch_scc1 .LBB49_395
; %bb.1:
	s_clause 0x8
	s_load_dwordx2 s[14:15], s[4:5], 0xc
	s_load_dwordx2 s[52:53], s[4:5], 0xfc
	;; [unrolled: 1-line block ×4, first 2 shown]
	s_load_dwordx4 s[40:43], s[4:5], 0x23c
	s_load_dwordx2 s[34:35], s[4:5], 0x1d0
	s_load_dwordx2 s[48:49], s[4:5], 0xf0
	s_load_dword s30, s[4:5], 0xe8
	s_load_dwordx4 s[0:3], s[4:5], 0x6c
	s_mov_b32 s55, 0
	s_waitcnt lgkmcnt(0)
	v_cvt_f32_u32_e32 v1, s15
	v_cvt_f32_u32_e32 v3, s53
	v_cvt_f32_u32_e32 v2, s14
	s_sub_i32 s3, 0, s15
	v_cvt_f32_u32_e32 v5, s51
	v_rcp_iflag_f32_e32 v1, v1
	v_rcp_iflag_f32_e32 v3, v3
	;; [unrolled: 1-line block ×3, first 2 shown]
	v_cvt_f32_u32_e32 v4, s52
	v_rcp_iflag_f32_e32 v5, v5
	v_cvt_f32_u32_e32 v6, s50
	v_rcp_iflag_f32_e32 v4, v4
	v_mul_f32_e32 v1, 0x4f7ffffe, v1
	v_mul_f32_e32 v3, 0x4f7ffffe, v3
	;; [unrolled: 1-line block ×4, first 2 shown]
	v_cvt_u32_f32_e32 v1, v1
	v_cvt_u32_f32_e32 v3, v3
	;; [unrolled: 1-line block ×3, first 2 shown]
	v_mul_f32_e32 v4, 0x4f7ffffe, v4
	v_readfirstlane_b32 s7, v1
	v_readfirstlane_b32 s17, v3
	v_rcp_iflag_f32_e32 v1, v6
	v_cvt_u32_f32_e32 v3, v4
	s_mul_i32 s3, s3, s7
	s_mul_hi_u32 s3, s7, s3
	s_add_i32 s7, s7, s3
	s_mul_hi_u32 s3, s56, s7
	v_mul_f32_e32 v1, 0x4f7ffffe, v1
	s_mul_i32 s7, s3, s15
	s_add_i32 s13, s3, 1
	s_sub_i32 s7, s56, s7
	v_cvt_u32_f32_e32 v1, v1
	s_sub_i32 s16, s7, s15
	s_cmp_ge_u32 s7, s15
	s_cselect_b32 s3, s13, s3
	s_cselect_b32 s7, s16, s7
	s_add_i32 s13, s3, 1
	s_cmp_ge_u32 s7, s15
	v_readfirstlane_b32 s20, v1
	s_cselect_b32 s7, s13, s3
	s_sub_i32 s3, 0, s53
	v_readfirstlane_b32 s13, v2
	s_mul_i32 s3, s3, s17
	s_sub_i32 s16, 0, s14
	s_mul_hi_u32 s3, s17, s3
	v_cvt_u32_f32_e32 v2, v5
	s_add_i32 s17, s17, s3
	s_mul_i32 s16, s16, s13
	s_mul_hi_u32 s3, s56, s17
	s_mul_hi_u32 s16, s13, s16
	s_mul_i32 s17, s3, s53
	s_add_i32 s13, s13, s16
	s_sub_i32 s16, s56, s17
	s_add_i32 s17, s3, 1
	s_sub_i32 s18, s16, s53
	s_cmp_ge_u32 s16, s53
	v_readfirstlane_b32 s19, v2
	s_cselect_b32 s3, s17, s3
	s_cselect_b32 s16, s18, s16
	s_add_i32 s17, s3, 1
	s_cmp_ge_u32 s16, s53
	v_readfirstlane_b32 s16, v3
	s_cselect_b32 s57, s17, s3
	s_sub_i32 s3, 0, s51
	s_sub_i32 s17, 0, s52
	s_mul_i32 s3, s3, s19
	s_mul_i32 s17, s17, s16
	s_mul_hi_u32 s3, s19, s3
	s_mul_hi_u32 s17, s16, s17
	s_add_i32 s19, s19, s3
	s_add_i32 s16, s16, s17
	s_mul_hi_u32 s3, s56, s19
	s_mul_hi_u32 s13, s7, s13
	s_mul_i32 s18, s3, s51
	s_mul_hi_u32 s60, s57, s16
	s_sub_i32 s17, s56, s18
	s_add_i32 s18, s3, 1
	s_sub_i32 s19, s17, s51
	s_cmp_ge_u32 s17, s51
	s_cselect_b32 s3, s18, s3
	s_cselect_b32 s17, s19, s17
	s_add_i32 s18, s3, 1
	s_cmp_ge_u32 s17, s51
	s_cselect_b32 s58, s18, s3
	s_sub_i32 s3, 0, s50
	s_mul_i32 s3, s3, s20
	s_mul_hi_u32 s17, s20, s3
	v_cmp_eq_u32_e64 s3, 0, v0
	s_add_i32 s20, s20, s17
	s_mul_hi_u32 s59, s58, s20
	s_and_saveexec_b32 s16, s3
	s_cbranch_execz .LBB49_3
; %bb.2:
	v_mov_b32_e32 v1, 0
	v_mov_b32_e32 v2, s36
	;; [unrolled: 1-line block ×3, first 2 shown]
	ds_write_b96 v1, v[1:3] offset:4096
.LBB49_3:
	s_or_b32 exec_lo, exec_lo, s16
	s_mul_i32 s16, s13, s14
	s_mul_i32 s15, s7, s15
	s_sub_i32 s16, s7, s16
	s_sub_i32 s15, s56, s15
	s_add_i32 s17, s13, 1
	s_sub_i32 s18, s16, s14
	s_cmp_ge_u32 s16, s14
	s_waitcnt lgkmcnt(0)
	s_cselect_b32 s13, s17, s13
	s_cselect_b32 s16, s18, s16
	s_add_i32 s17, s13, 1
	s_cmp_ge_u32 s16, s14
	s_barrier
	buffer_gl0_inv
	s_load_dword s16, s[10:11], 0xc
	s_cselect_b32 s13, s17, s13
	s_mul_i32 s15, s15, s2
	s_mul_i32 s14, s13, s14
	;; [unrolled: 1-line block ×3, first 2 shown]
	s_sub_i32 s7, s7, s14
	v_mbcnt_lo_u32_b32 v27, -1, 0
	s_mul_i32 s1, s7, s1
	v_cmp_gt_u32_e32 vcc_lo, 32, v0
	s_add_i32 s0, s1, s15
	v_mov_b32_e32 v14, 0
	s_add_i32 s54, s0, s13
	v_mul_lo_u32 v12, s30, v0
	s_lshl_b64 s[0:1], s[54:55], 3
	v_lshlrev_b32_e32 v28, 2, v0
	s_add_u32 s31, s8, s0
	s_addc_u32 s33, s9, s1
	s_bitcmp1_b32 s38, 0
	v_cmp_gt_i32_e64 s0, 4, v27
	s_cselect_b32 s1, -1, 0
	s_waitcnt lgkmcnt(0)
	s_and_b32 s43, s16, 0xffff
	s_xor_b32 s54, s1, -1
	s_lshl_b32 s61, s43, 2
	s_bfe_u32 s2, s43, 0x80008
	v_cvt_f32_u32_e32 v1, s61
	s_lshl_b32 s62, s2, 3
	s_bfe_u32 s2, s16, 0xb0005
	s_and_b32 s63, vcc_lo, s0
	s_cmpk_gt_u32 s36, 0x180
	v_rcp_iflag_f32_e32 v1, v1
	s_cselect_b32 s64, -1, 0
	s_cmp_gt_u32 s43, 31
	v_cvt_f32_u32_e32 v3, s43
	s_cselect_b32 s65, -1, 0
	s_add_i32 s66, s43, -1
	v_mov_b32_e32 v13, v14
	s_add_i32 s9, s66, s36
	s_cmp_lt_u32 s6, s12
	v_rcp_iflag_f32_e32 v3, v3
	v_mul_f32_e32 v1, 0x4f7ffffe, v1
	s_cselect_b32 s0, 12, 18
	v_lshlrev_b32_e32 v29, 3, v0
	s_add_u32 s38, s10, s0
	s_addc_u32 s39, s11, 0
	s_add_i32 s2, s2, -1
	v_cvt_u32_f32_e32 v1, v1
	s_and_b32 s0, s2, 0xffff
	s_bfe_u32 s67, s43, 0x30005
	s_cmp_gt_u32 s0, 6
	v_mad_u64_u32 v[17:18], null, s30, v28, s[30:31]
	v_readfirstlane_b32 s2, v1
	s_cselect_b32 s68, -1, 0
	s_cmp_lg_u32 s67, 0
	v_lshlrev_b64 v[1:2], 3, v[12:13]
	s_cselect_b32 s69, -1, 0
	s_sub_i32 s0, 0, s61
	v_mov_b32_e32 v18, 0
	s_mul_i32 s0, s0, s2
	v_mov_b32_e32 v20, 0
	s_mul_hi_u32 s6, s2, s0
	v_add_co_u32 v10, vcc_lo, s31, v1
	s_add_i32 s70, s2, s6
	v_mul_f32_e32 v1, 0x4f7ffffe, v3
	s_mul_hi_u32 s6, s36, s70
	v_add_co_ci_u32_e64 v11, null, s33, v2, vcc_lo
	s_mul_i32 s6, s6, s61
	v_cvt_u32_f32_e32 v1, v1
	s_sub_i32 s7, s36, s6
	v_or_b32_e32 v3, 3, v28
	s_sub_i32 s8, s7, s61
	s_cmp_ge_u32 s7, s61
	v_readfirstlane_b32 s10, v1
	s_cselect_b32 s7, s8, s7
	v_lshlrev_b64 v[1:2], v27, -1
	s_sub_i32 s8, s7, s61
	s_cmp_ge_u32 s7, s61
	v_mul_lo_u32 v34, s30, v3
	s_cselect_b32 s11, s8, s7
	s_sub_i32 s7, 0, s43
	s_sub_i32 s71, s36, s11
	s_mul_i32 s7, s7, s10
	v_add_nc_u32_e32 v30, s71, v0
	v_not_b32_e32 v26, v1
	v_lshrrev_b32_e32 v1, 1, v0
	s_mul_hi_u32 s7, s10, s7
	s_movk_i32 s8, 0x1f0
	v_mul_lo_u32 v13, v30, s30
	s_add_i32 s72, s10, s7
	v_and_or_b32 v32, v1, s8, 0xc00
	s_mul_hi_u32 s7, s9, s72
	v_mov_b32_e32 v3, 0
	s_mul_i32 s7, s7, s43
	v_cmp_eq_u32_e64 s0, 0, v27
	s_sub_i32 s7, s9, s7
	v_lshlrev_b64 v[1:2], 3, v[13:14]
	s_sub_i32 s10, s7, s43
	s_cmp_ge_u32 s7, s43
	v_cmp_gt_u32_e64 s2, s36, v0
	s_cselect_b32 s8, s10, s7
	v_cmp_gt_u32_e64 s6, 2, v0
	v_add_co_u32 v15, vcc_lo, s31, v1
	v_add3_u32 v1, s43, s36, v0
	v_add_co_ci_u32_e64 v16, null, s33, v2, vcc_lo
	v_or_b32_e32 v2, 2, v28
	s_sub_i32 s10, s8, s43
	v_subrev_nc_u32_e32 v1, s11, v1
	s_cmp_ge_u32 s8, s43
	v_add_nc_u32_e32 v31, 0xc00, v29
	s_cselect_b32 s10, s10, s8
	v_mul_lo_u32 v33, s30, v2
	v_mul_lo_u32 v36, s30, v1
	s_sub_i32 s73, s9, s10
	v_cmp_gt_u32_e64 s7, s71, v28
	v_cmp_gt_u32_e64 s8, s36, v30
	;; [unrolled: 1-line block ×3, first 2 shown]
	v_lshlrev_b32_e32 v35, 2, v12
	v_lshlrev_b32_e32 v37, 5, v0
	v_lshl_or_b32 v38, v27, 2, 0xc00
	v_mov_b32_e32 v4, 0
	v_mov_b32_e32 v39, s37
	;; [unrolled: 1-line block ×5, first 2 shown]
	s_mul_i32 s47, s30, s43
	s_lshl_b32 s75, s43, 5
	s_lshl_b32 s74, s47, 2
	;; [unrolled: 1-line block ×3, first 2 shown]
	s_mov_b32 s82, 62
	s_mov_b32 s78, 0
                                        ; implicit-def: $sgpr77
                                        ; implicit-def: $sgpr81
                                        ; implicit-def: $sgpr80
                                        ; implicit-def: $sgpr83
                                        ; implicit-def: $sgpr79
                                        ; implicit-def: $sgpr87
                                        ; implicit-def: $sgpr88
                                        ; implicit-def: $sgpr84
                                        ; implicit-def: $sgpr86
                                        ; implicit-def: $sgpr85
	s_branch .LBB49_6
.LBB49_4:                               ;   in Loop: Header=BB49_6 Depth=1
	s_or_b32 exec_lo, exec_lo, s13
	v_mov_b32_e32 v39, v25
	s_andn2_b32 s13, s85, exec_lo
	s_and_b32 s12, s12, exec_lo
	s_andn2_b32 s86, s86, exec_lo
	s_or_b32 s85, s13, s12
	s_andn2_b32 s84, s84, exec_lo
	s_andn2_b32 s88, s88, exec_lo
	;; [unrolled: 1-line block ×3, first 2 shown]
	s_orn2_b32 s12, s11, exec_lo
.LBB49_5:                               ;   in Loop: Header=BB49_6 Depth=1
	s_or_b32 exec_lo, exec_lo, s10
	s_and_b32 s10, exec_lo, s12
	s_or_b32 s55, s10, s55
	s_andn2_b32 s10, s79, exec_lo
	s_and_b32 s11, s85, exec_lo
	s_andn2_b32 s12, s83, exec_lo
	s_or_b32 s79, s10, s11
	s_and_b32 s10, s86, exec_lo
	s_andn2_b32 s11, s80, exec_lo
	s_and_b32 s13, s84, exec_lo
	s_or_b32 s83, s12, s10
	s_or_b32 s80, s11, s13
	s_andn2_b32 s10, s81, exec_lo
	s_and_b32 s11, s88, exec_lo
	s_andn2_b32 s12, s77, exec_lo
	s_and_b32 s13, s87, exec_lo
	s_or_b32 s81, s10, s11
	s_or_b32 s77, s12, s13
	s_andn2_b32 exec_lo, exec_lo, s55
	s_cbranch_execz .LBB49_391
.LBB49_6:                               ; =>This Loop Header: Depth=1
                                        ;     Child Loop BB49_12 Depth 2
                                        ;     Child Loop BB49_25 Depth 2
	;; [unrolled: 1-line block ×24, first 2 shown]
	ds_read_b64 v[1:2], v14 offset:4096
	s_waitcnt lgkmcnt(0)
	v_readfirstlane_b32 s89, v1
	s_cmp_lg_u32 s89, 0
	s_cbranch_scc1 .LBB49_33
; %bb.7:                                ;   in Loop: Header=BB49_6 Depth=1
	s_and_b32 vcc_lo, exec_lo, s64
	s_cbranch_vccz .LBB49_20
; %bb.8:                                ;   in Loop: Header=BB49_6 Depth=1
	v_cmp_gt_u32_e32 vcc_lo, 0x181, v2
	s_mov_b32 s12, 0
	s_mov_b32 s10, 0
	s_cbranch_vccz .LBB49_21
; %bb.9:                                ;   in Loop: Header=BB49_6 Depth=1
	s_and_saveexec_b32 s13, s2
	s_cbranch_execz .LBB49_80
; %bb.10:                               ;   in Loop: Header=BB49_6 Depth=1
	global_load_ushort v8, v14, s[38:39]
	global_load_dwordx2 v[1:2], v[10:11], off
	v_mov_b32_e32 v22, v0
	s_mov_b32 s14, 0
	s_waitcnt vmcnt(1)
	v_add_nc_u32_e32 v6, v0, v8
	v_mul_lo_u32 v9, s30, v8
	v_mul_lo_u32 v13, s30, v6
	s_branch .LBB49_12
.LBB49_11:                              ;   in Loop: Header=BB49_12 Depth=2
	s_or_b32 exec_lo, exec_lo, s11
	v_mov_b32_e32 v1, v6
	v_add_nc_u32_e32 v13, v13, v9
	v_mov_b32_e32 v2, v7
	s_andn2_b32 exec_lo, exec_lo, s14
	s_cbranch_execz .LBB49_80
.LBB49_12:                              ;   Parent Loop BB49_6 Depth=1
                                        ; =>  This Inner Loop Header: Depth=2
	v_mov_b32_e32 v6, 0
	v_add_nc_u32_e32 v22, v22, v8
	v_mov_b32_e32 v7, 0
	s_mov_b32 s11, exec_lo
	v_cmp_le_u32_e32 vcc_lo, s36, v22
	v_cmpx_gt_u32_e64 s36, v22
	s_cbranch_execz .LBB49_14
; %bb.13:                               ;   in Loop: Header=BB49_12 Depth=2
	v_lshlrev_b64 v[6:7], 3, v[13:14]
	v_add_co_u32 v6, s10, s31, v6
	v_add_co_ci_u32_e64 v7, null, s33, v7, s10
	global_load_dwordx2 v[6:7], v[6:7], off
.LBB49_14:                              ;   in Loop: Header=BB49_12 Depth=2
	s_or_b32 exec_lo, exec_lo, s11
	s_waitcnt vmcnt(0) lgkmcnt(0)
	v_xor_b32_e32 v23, 0x80000000, v2
	v_and_b32_e32 v24, v23, v21
	v_and_b32_e32 v23, v1, v20
	v_cmp_eq_u64_e64 s10, v[23:24], v[18:19]
	v_mov_b32_e32 v23, 0
	s_cmp_lg_u32 s10, 0
	s_cselect_b32 s11, -1, 0
	s_and_b32 s11, s0, s11
	s_and_saveexec_b32 s15, s11
	s_cbranch_execz .LBB49_18
; %bb.15:                               ;   in Loop: Header=BB49_12 Depth=2
	s_mov_b32 s18, exec_lo
	s_bcnt1_i32_b32 s16, s10
	v_mbcnt_lo_u32_b32 v23, s18, 0
	s_mov_b32 s17, exec_lo
                                        ; implicit-def: $vgpr24
	v_cmpx_eq_u32_e32 0, v23
; %bb.16:                               ;   in Loop: Header=BB49_12 Depth=2
	s_bcnt1_i32_b32 s11, s18
	s_mul_i32 s11, s16, s11
	v_mov_b32_e32 v24, s11
	ds_add_rtn_u32 v24, v14, v24 offset:4104
; %bb.17:                               ;   in Loop: Header=BB49_12 Depth=2
	s_or_b32 exec_lo, exec_lo, s17
	s_waitcnt lgkmcnt(0)
	v_readfirstlane_b32 s11, v24
	v_mad_u32_u24 v23, s16, v23, s11
.LBB49_18:                              ;   in Loop: Header=BB49_12 Depth=2
	s_or_b32 exec_lo, exec_lo, s15
	ds_bpermute_b32 v23, v14, v23
	s_and_b32 s11, exec_lo, vcc_lo
	s_or_b32 s14, s11, s14
	s_and_saveexec_b32 s11, s10
	s_cbranch_execz .LBB49_11
; %bb.19:                               ;   in Loop: Header=BB49_12 Depth=2
	v_and_b32_e32 v24, s10, v26
	v_bcnt_u32_b32 v24, v24, 0
	v_lshlrev_b32_e32 v24, 3, v24
	s_waitcnt lgkmcnt(0)
	v_lshl_add_u32 v23, v23, 3, v24
	ds_write_b64 v23, v[1:2]
	s_branch .LBB49_11
.LBB49_20:                              ;   in Loop: Header=BB49_6 Depth=1
	s_mov_b32 s12, -1
	s_mov_b32 s10, 0
.LBB49_21:                              ;   in Loop: Header=BB49_6 Depth=1
	s_and_b32 vcc_lo, exec_lo, s12
	s_cbranch_vccz .LBB49_31
.LBB49_22:                              ;   in Loop: Header=BB49_6 Depth=1
	s_and_saveexec_b32 s10, s2
	s_cbranch_execz .LBB49_28
; %bb.23:                               ;   in Loop: Header=BB49_6 Depth=1
	global_load_ushort v8, v14, s[38:39]
	global_load_dwordx2 v[1:2], v[10:11], off
	v_mov_b32_e32 v9, v0
	s_mov_b32 s11, exec_lo
	s_waitcnt vmcnt(1)
	v_add_nc_u32_e32 v6, v0, v8
	v_cmpx_gt_u32_e64 s36, v6
	s_cbranch_execz .LBB49_27
; %bb.24:                               ;   in Loop: Header=BB49_6 Depth=1
	v_mul_lo_u32 v13, s30, v6
	v_mul_lo_u32 v22, s30, v8
	v_lshlrev_b32_e32 v23, 3, v8
	v_mov_b32_e32 v24, v29
	v_mov_b32_e32 v9, v0
	s_mov_b32 s12, 0
	.p2align	6
.LBB49_25:                              ;   Parent Loop BB49_6 Depth=1
                                        ; =>  This Inner Loop Header: Depth=2
	v_lshlrev_b64 v[6:7], 3, v[13:14]
	v_add_nc_u32_e32 v9, v9, v8
	s_waitcnt vmcnt(0)
	ds_write_b64 v24, v[1:2]
	v_add_nc_u32_e32 v24, v24, v23
	v_add_nc_u32_e32 v13, v13, v22
	;; [unrolled: 1-line block ×3, first 2 shown]
	v_add_co_u32 v6, vcc_lo, s31, v6
	v_add_co_ci_u32_e64 v7, null, s33, v7, vcc_lo
	v_cmp_le_u32_e32 vcc_lo, s36, v25
	global_load_dwordx2 v[6:7], v[6:7], off
	s_or_b32 s12, vcc_lo, s12
	s_waitcnt vmcnt(0)
	v_mov_b32_e32 v1, v6
	v_mov_b32_e32 v2, v7
	s_andn2_b32 exec_lo, exec_lo, s12
	s_cbranch_execnz .LBB49_25
; %bb.26:                               ;   in Loop: Header=BB49_6 Depth=1
	s_or_b32 exec_lo, exec_lo, s12
	v_mov_b32_e32 v1, v6
	v_mov_b32_e32 v2, v7
.LBB49_27:                              ;   in Loop: Header=BB49_6 Depth=1
	s_or_b32 exec_lo, exec_lo, s11
	v_lshlrev_b32_e32 v6, 3, v9
	s_waitcnt vmcnt(0)
	ds_write_b64 v6, v[1:2]
.LBB49_28:                              ;   in Loop: Header=BB49_6 Depth=1
	s_or_b32 exec_lo, exec_lo, s10
	s_waitcnt lgkmcnt(0)
	s_barrier
	buffer_gl0_inv
	s_and_saveexec_b32 s10, s3
; %bb.29:                               ;   in Loop: Header=BB49_6 Depth=1
	v_mov_b32_e32 v1, s36
	ds_write_b32 v14, v1 offset:4096
; %bb.30:                               ;   in Loop: Header=BB49_6 Depth=1
	s_or_b32 exec_lo, exec_lo, s10
	s_mov_b32 s10, -1
	s_waitcnt lgkmcnt(0)
	s_barrier
.LBB49_31:                              ;   in Loop: Header=BB49_6 Depth=1
	s_and_b32 vcc_lo, exec_lo, s10
	s_mov_b32 s89, 0
	s_cbranch_vccz .LBB49_33
; %bb.32:                               ;   in Loop: Header=BB49_6 Depth=1
	buffer_gl0_inv
	ds_read_b32 v1, v14 offset:4096
	s_waitcnt lgkmcnt(0)
	v_readfirstlane_b32 s89, v1
.LBB49_33:                              ;   in Loop: Header=BB49_6 Depth=1
	s_cmp_lt_i32 s89, 1
	s_mov_b32 s10, -1
                                        ; implicit-def: $vgpr6
	s_cbranch_scc1 .LBB49_43
; %bb.34:                               ;   in Loop: Header=BB49_6 Depth=1
	s_and_b32 vcc_lo, exec_lo, s10
	s_cbranch_vccnz .LBB49_54
.LBB49_35:                              ;   in Loop: Header=BB49_6 Depth=1
	s_lshl_b32 s10, s78, 7
	s_and_saveexec_b32 s11, s0
.LBB49_36:                              ;   in Loop: Header=BB49_6 Depth=1
	v_lshl_add_u32 v1, s10, 2, v32
	ds_write_b128 v1, v[6:9]
.LBB49_37:                              ;   in Loop: Header=BB49_6 Depth=1
	s_or_b32 exec_lo, exec_lo, s11
	s_waitcnt lgkmcnt(0)
	s_barrier
	buffer_gl0_inv
	s_and_saveexec_b32 s11, s63
	s_cbranch_execz .LBB49_67
; %bb.38:                               ;   in Loop: Header=BB49_6 Depth=1
	v_mov_b32_e32 v1, 0
	s_andn2_b32 vcc_lo, exec_lo, s65
	s_cbranch_vccnz .LBB49_66
; %bb.39:                               ;   in Loop: Header=BB49_6 Depth=1
	s_andn2_b32 vcc_lo, exec_lo, s68
	s_cbranch_vccnz .LBB49_63
; %bb.40:                               ;   in Loop: Header=BB49_6 Depth=1
	v_lshl_add_u32 v2, s78, 9, v38
	v_mov_b32_e32 v1, 0
	s_mov_b32 s12, 0
	.p2align	6
.LBB49_41:                              ;   Parent Loop BB49_6 Depth=1
                                        ; =>  This Inner Loop Header: Depth=2
	ds_read2_b32 v[6:7], v2 offset1:4
	ds_read2_b32 v[8:9], v2 offset0:8 offset1:12
	ds_read2_b32 v[22:23], v2 offset0:16 offset1:20
	;; [unrolled: 1-line block ×3, first 2 shown]
	v_add_nc_u32_e32 v2, 0x80, v2
	s_add_i32 s12, s12, 8
	s_cmp_eq_u32 s62, s12
	s_waitcnt lgkmcnt(3)
	v_add3_u32 v1, v6, v1, v7
	s_waitcnt lgkmcnt(2)
	v_add3_u32 v1, v8, v1, v9
	;; [unrolled: 2-line block ×4, first 2 shown]
	s_cbranch_scc0 .LBB49_41
; %bb.42:                               ;   in Loop: Header=BB49_6 Depth=1
	s_mov_b32 s12, s62
	s_andn2_b32 vcc_lo, exec_lo, s69
	s_cbranch_vccz .LBB49_64
	s_branch .LBB49_66
.LBB49_43:                              ;   in Loop: Header=BB49_6 Depth=1
	v_mov_b32_e32 v6, 0
	v_mov_b32_e32 v7, 0
	;; [unrolled: 1-line block ×4, first 2 shown]
	s_and_saveexec_b32 s24, s7
	s_cbranch_execz .LBB49_47
; %bb.44:                               ;   in Loop: Header=BB49_6 Depth=1
	v_mov_b32_e32 v1, v28
	s_mov_b32 s25, 0
	s_mov_b32 s26, 0
	;; [unrolled: 1-line block ×6, first 2 shown]
.LBB49_45:                              ;   Parent Loop BB49_6 Depth=1
                                        ; =>  This Inner Loop Header: Depth=2
	v_add_nc_u32_e32 v13, s26, v35
	v_mov_b32_e32 v41, v14
	v_mov_b32_e32 v43, v14
	;; [unrolled: 1-line block ×3, first 2 shown]
	v_add_nc_u32_e32 v1, s61, v1
	v_lshlrev_b64 v[6:7], 3, v[13:14]
	v_add_nc_u32_e32 v13, s26, v17
	v_lshlrev_b64 v[8:9], 3, v[13:14]
	v_add_nc_u32_e32 v13, s26, v33
	v_add_co_u32 v6, vcc_lo, s31, v6
	v_add_co_ci_u32_e64 v7, null, s33, v7, vcc_lo
	v_lshlrev_b64 v[22:23], 3, v[13:14]
	v_add_co_u32 v8, vcc_lo, s31, v8
	global_load_dwordx2 v[6:7], v[6:7], off
	v_add_nc_u32_e32 v13, s26, v34
	v_add_co_ci_u32_e64 v9, null, s33, v9, vcc_lo
	v_add_co_u32 v22, vcc_lo, s31, v22
	v_add_co_ci_u32_e64 v23, null, s33, v23, vcc_lo
	v_lshlrev_b64 v[24:25], 3, v[13:14]
	s_clause 0x1
	global_load_dwordx2 v[8:9], v[8:9], off
	global_load_dwordx2 v[22:23], v[22:23], off
	s_add_i32 s26, s26, s74
	v_add_co_u32 v24, vcc_lo, s31, v24
	v_add_co_ci_u32_e64 v25, null, s33, v25, vcc_lo
	v_cmp_le_u32_e32 vcc_lo, s71, v1
	global_load_dwordx2 v[24:25], v[24:25], off
	s_waitcnt vmcnt(3)
	v_xor_b32_e32 v7, 0x80000000, v7
	v_and_b32_e32 v46, v6, v20
	v_and_b32_e32 v47, v7, v21
	v_lshrrev_b64 v[6:7], s82, v[6:7]
	s_waitcnt vmcnt(2)
	v_xor_b32_e32 v9, 0x80000000, v9
	s_waitcnt vmcnt(1)
	v_xor_b32_e32 v23, 0x80000000, v23
	v_cmp_eq_u64_e64 s10, v[46:47], v[18:19]
	v_and_b32_e32 v13, 3, v6
	v_and_b32_e32 v48, v8, v20
	v_lshrrev_b64 v[46:47], s82, v[8:9]
	v_and_b32_e32 v7, v22, v20
	v_and_b32_e32 v8, v23, v21
	v_cmp_eq_u64_e64 s12, 0, v[13:14]
	v_lshrrev_b64 v[22:23], s82, v[22:23]
	v_and_b32_e32 v49, v9, v21
	v_and_b32_e32 v40, 3, v46
	v_cmp_eq_u64_e64 s13, 1, v[13:14]
	s_waitcnt vmcnt(0)
	v_xor_b32_e32 v25, 0x80000000, v25
	v_cmp_eq_u64_e64 s14, 2, v[13:14]
	v_cmp_eq_u64_e64 s15, 3, v[13:14]
	s_and_b32 s12, s10, s12
	v_cmp_eq_u64_e64 s11, v[48:49], v[18:19]
	v_and_b32_e32 v42, 3, v22
	v_cmp_eq_u64_e64 s17, 0, v[40:41]
	v_cmp_eq_u64_e64 s18, 1, v[40:41]
	;; [unrolled: 1-line block ×4, first 2 shown]
	v_lshrrev_b64 v[8:9], s82, v[24:25]
	v_cndmask_b32_e64 v2, 0, 1, s12
	s_and_b32 s12, s10, s13
	v_cmp_eq_u64_e64 s20, 3, v[40:41]
	v_and_b32_e32 v6, v24, v20
	v_and_b32_e32 v7, v25, v21
	v_cndmask_b32_e64 v9, 0, 1, s12
	s_and_b32 s12, s10, s14
	s_and_b32 s10, s10, s15
	v_cndmask_b32_e64 v13, 0, 1, s12
	v_cmp_eq_u64_e64 s12, 0, v[42:43]
	v_cmp_eq_u64_e64 s13, 1, v[42:43]
	v_cndmask_b32_e64 v22, 0, 1, s10
	s_and_b32 s17, s11, s17
	s_and_b32 s18, s11, s18
	;; [unrolled: 1-line block ×3, first 2 shown]
	v_and_b32_e32 v44, 3, v8
	v_cmp_eq_u64_e64 s14, 2, v[42:43]
	v_cmp_eq_u64_e64 s15, 3, v[42:43]
	;; [unrolled: 1-line block ×3, first 2 shown]
	v_cmp_ne_u32_e64 s21, 0, v2
	v_cndmask_b32_e64 v2, 0, 1, s17
	v_cndmask_b32_e64 v6, 0, 1, s18
	;; [unrolled: 1-line block ×3, first 2 shown]
	s_and_b32 s11, s11, s20
	v_cmp_ne_u32_e64 s19, 0, v22
	v_cndmask_b32_e64 v8, 0, 1, s11
	s_and_b32 s12, s16, s12
	s_and_b32 s13, s16, s13
	v_cmp_eq_u64_e64 s11, 0, v[44:45]
	v_cmp_eq_u64_e64 s20, 1, v[44:45]
	;; [unrolled: 1-line block ×4, first 2 shown]
	s_bcnt1_i32_b32 s44, s21
	v_cmp_ne_u32_e64 s21, 0, v2
	v_cndmask_b32_e64 v2, 0, 1, s12
	v_cmp_ne_u32_e64 s12, 0, v6
	v_cndmask_b32_e64 v6, 0, 1, s13
	v_cmp_ne_u32_e64 s13, 0, v7
	s_and_b32 s14, s16, s14
	s_and_b32 s15, s16, s15
	v_cndmask_b32_e64 v7, 0, 1, s14
	v_cmp_ne_u32_e64 s14, 0, v8
	v_cndmask_b32_e64 v8, 0, 1, s15
	v_cmp_ne_u32_e64 s18, 0, v13
	s_bcnt1_i32_b32 s19, s19
	s_and_b32 s11, s10, s11
	s_add_i32 s19, s19, s27
	s_bcnt1_i32_b32 s27, s12
	s_and_b32 s12, s10, s20
	s_bcnt1_i32_b32 s20, s13
	s_and_b32 s13, s10, s22
	s_and_b32 s10, s10, s23
	v_cmp_ne_u32_e64 s17, 0, v9
	v_cmp_ne_u32_e64 s15, 0, v2
	v_cndmask_b32_e64 v2, 0, 1, s11
	v_cmp_ne_u32_e64 s11, 0, v6
	v_cndmask_b32_e64 v6, 0, 1, s12
	v_cmp_ne_u32_e64 s12, 0, v7
	v_cndmask_b32_e64 v7, 0, 1, s13
	v_cmp_ne_u32_e64 s13, 0, v8
	v_cndmask_b32_e64 v8, 0, 1, s10
	s_bcnt1_i32_b32 s18, s18
	s_add_i32 s16, s44, s90
	s_add_i32 s18, s18, s28
	s_bcnt1_i32_b32 s21, s21
	s_bcnt1_i32_b32 s14, s14
	;; [unrolled: 1-line block ×3, first 2 shown]
	s_add_i32 s16, s16, s21
	s_add_i32 s18, s18, s20
	;; [unrolled: 1-line block ×3, first 2 shown]
	v_cmp_ne_u32_e64 s10, 0, v2
	s_bcnt1_i32_b32 s19, s11
	v_cmp_ne_u32_e64 s11, 0, v6
	s_bcnt1_i32_b32 s20, s12
	;; [unrolled: 2-line block ×3, first 2 shown]
	v_cmp_ne_u32_e64 s13, 0, v8
	s_add_i32 s17, s17, s29
	s_bcnt1_i32_b32 s15, s15
	s_add_i32 s17, s17, s27
	s_add_i32 s15, s16, s15
	;; [unrolled: 1-line block ×5, first 2 shown]
	s_bcnt1_i32_b32 s10, s10
	s_bcnt1_i32_b32 s11, s11
	;; [unrolled: 1-line block ×4, first 2 shown]
	s_add_i32 s90, s15, s10
	s_add_i32 s29, s16, s11
	;; [unrolled: 1-line block ×4, first 2 shown]
	v_mov_b32_e32 v6, s90
	v_mov_b32_e32 v7, s29
	;; [unrolled: 1-line block ×4, first 2 shown]
	s_or_b32 s25, vcc_lo, s25
	s_andn2_b32 exec_lo, exec_lo, s25
	s_cbranch_execnz .LBB49_45
; %bb.46:                               ;   in Loop: Header=BB49_6 Depth=1
	s_or_b32 exec_lo, exec_lo, s25
.LBB49_47:                              ;   in Loop: Header=BB49_6 Depth=1
	s_or_b32 exec_lo, exec_lo, s24
	s_and_saveexec_b32 s14, s8
	s_cbranch_execz .LBB49_53
; %bb.48:                               ;   in Loop: Header=BB49_6 Depth=1
	global_load_dwordx2 v[24:25], v[15:16], off
	v_mov_b32_e32 v1, v36
	v_mov_b32_e32 v40, v30
	s_mov_b32 s15, 0
	s_branch .LBB49_50
.LBB49_49:                              ;   in Loop: Header=BB49_50 Depth=2
	s_or_b32 exec_lo, exec_lo, s11
	s_waitcnt vmcnt(0)
	v_xor_b32_e32 v25, 0x80000000, v25
	s_and_b32 s12, exec_lo, vcc_lo
	v_add_nc_u32_e32 v1, s47, v1
	s_or_b32 s15, s12, s15
	v_lshrrev_b64 v[41:42], s82, v[24:25]
	v_and_b32_e32 v24, v24, v20
	v_and_b32_e32 v25, v25, v21
	v_and_b32_e32 v13, 3, v41
	v_cmp_eq_u64_e64 s10, v[24:25], v[18:19]
	v_cmp_eq_u64_e64 s11, 0, v[13:14]
	v_cmp_eq_u64_e32 vcc_lo, 1, v[13:14]
	v_cmp_eq_u64_e64 s12, 2, v[13:14]
	v_cmp_eq_u64_e64 s13, 3, v[13:14]
	s_and_b32 s11, s10, s11
	v_cndmask_b32_e64 v2, 0, 1, s11
	s_and_b32 s11, s10, vcc_lo
	v_cndmask_b32_e64 v13, 0, 1, s11
	s_and_b32 s11, s10, s12
	s_and_b32 s10, s10, s13
	v_cndmask_b32_e64 v24, 0, 1, s11
	v_cndmask_b32_e64 v25, 0, 1, s10
	v_cmp_ne_u32_e32 vcc_lo, 0, v2
	v_cmp_ne_u32_e64 s10, 0, v13
	v_cmp_ne_u32_e64 s11, 0, v24
	;; [unrolled: 1-line block ×3, first 2 shown]
	s_bcnt1_i32_b32 s13, vcc_lo
	s_bcnt1_i32_b32 s10, s10
	v_mov_b32_e32 v25, v23
	s_bcnt1_i32_b32 s11, s11
	s_bcnt1_i32_b32 s12, s12
	v_add_nc_u32_e32 v6, s13, v6
	v_add_nc_u32_e32 v7, s10, v7
	;; [unrolled: 1-line block ×4, first 2 shown]
	v_mov_b32_e32 v24, v22
	s_andn2_b32 exec_lo, exec_lo, s15
	s_cbranch_execz .LBB49_52
.LBB49_50:                              ;   Parent Loop BB49_6 Depth=1
                                        ; =>  This Inner Loop Header: Depth=2
	v_mov_b32_e32 v22, 0
	v_add_nc_u32_e32 v40, s43, v40
	v_mov_b32_e32 v23, 0
	s_mov_b32 s11, exec_lo
	v_cmp_le_u32_e32 vcc_lo, s36, v40
	v_cmpx_gt_u32_e64 s36, v40
	s_cbranch_execz .LBB49_49
; %bb.51:                               ;   in Loop: Header=BB49_50 Depth=2
	v_mov_b32_e32 v2, v14
	v_lshlrev_b64 v[22:23], 3, v[1:2]
	v_add_co_u32 v22, s10, s31, v22
	v_add_co_ci_u32_e64 v23, null, s33, v23, s10
	global_load_dwordx2 v[22:23], v[22:23], off
	s_branch .LBB49_49
.LBB49_52:                              ;   in Loop: Header=BB49_6 Depth=1
	s_or_b32 exec_lo, exec_lo, s15
.LBB49_53:                              ;   in Loop: Header=BB49_6 Depth=1
	s_or_b32 exec_lo, exec_lo, s14
	s_branch .LBB49_35
.LBB49_54:                              ;   in Loop: Header=BB49_6 Depth=1
	s_mul_hi_u32 s10, s89, s70
	v_mov_b32_e32 v6, 0
	s_mul_i32 s10, s10, s61
	v_mov_b32_e32 v7, 0
	s_sub_i32 s10, s89, s10
	v_mov_b32_e32 v8, 0
	s_sub_i32 s11, s10, s61
	s_cmp_ge_u32 s10, s61
	v_mov_b32_e32 v9, 0
	s_cselect_b32 s10, s11, s10
	s_mov_b32 s91, exec_lo
	s_sub_i32 s11, s10, s61
	s_cmp_ge_u32 s10, s61
	s_cselect_b32 s10, s11, s10
	s_sub_i32 s90, s89, s10
	v_cmpx_gt_u32_e64 s90, v28
	s_cbranch_execz .LBB49_58
; %bb.55:                               ;   in Loop: Header=BB49_6 Depth=1
	v_mov_b32_e32 v1, v37
	v_mov_b32_e32 v2, v28
	s_mov_b32 s92, 0
	s_mov_b32 s93, 0
	;; [unrolled: 1-line block ×5, first 2 shown]
.LBB49_56:                              ;   Parent Loop BB49_6 Depth=1
                                        ; =>  This Inner Loop Header: Depth=2
	ds_read_b128 v[6:9], v1
	ds_read_b128 v[22:25], v1 offset:16
	v_mov_b32_e32 v41, v14
	v_mov_b32_e32 v43, v14
	;; [unrolled: 1-line block ×3, first 2 shown]
	v_add_nc_u32_e32 v2, s61, v2
	v_add_nc_u32_e32 v1, s75, v1
	v_cmp_le_u32_e32 vcc_lo, s90, v2
	s_waitcnt lgkmcnt(1)
	v_xor_b32_e32 v7, 0x80000000, v7
	v_xor_b32_e32 v9, 0x80000000, v9
	s_waitcnt lgkmcnt(0)
	v_xor_b32_e32 v23, 0x80000000, v23
	v_and_b32_e32 v46, v6, v20
	v_xor_b32_e32 v25, 0x80000000, v25
	v_and_b32_e32 v47, v7, v21
	v_lshrrev_b64 v[6:7], s82, v[6:7]
	v_and_b32_e32 v48, v8, v20
	v_lshrrev_b64 v[7:8], s82, v[8:9]
	;; [unrolled: 2-line block ×3, first 2 shown]
	v_and_b32_e32 v50, v22, v20
	v_and_b32_e32 v51, v23, v21
	v_lshrrev_b64 v[22:23], s82, v[24:25]
	v_and_b32_e32 v13, 3, v6
	v_and_b32_e32 v40, 3, v7
	;; [unrolled: 1-line block ×3, first 2 shown]
	v_cmp_eq_u64_e64 s10, v[46:47], v[18:19]
	v_and_b32_e32 v52, v24, v20
	v_cmp_eq_u64_e64 s14, 0, v[13:14]
	v_and_b32_e32 v53, v25, v21
	v_and_b32_e32 v44, 3, v22
	v_cmp_eq_u64_e64 s11, v[48:49], v[18:19]
	v_cmp_eq_u64_e64 s15, 0, v[40:41]
	;; [unrolled: 1-line block ×6, first 2 shown]
	s_and_b32 s14, s10, s14
	v_cmp_eq_u64_e64 s18, 1, v[13:14]
	v_cndmask_b32_e64 v6, 0, 1, s14
	s_and_b32 s14, s11, s15
	v_cmp_eq_u64_e64 s19, 1, v[40:41]
	v_cndmask_b32_e64 v7, 0, 1, s14
	;; [unrolled: 3-line block ×4, first 2 shown]
	s_and_b32 s14, s10, s18
	v_cmp_eq_u64_e64 s22, 2, v[13:14]
	v_cmp_eq_u64_e64 s26, 3, v[13:14]
	v_cndmask_b32_e64 v13, 0, 1, s14
	s_and_b32 s14, s11, s19
	v_cmp_eq_u64_e64 s23, 2, v[40:41]
	v_cmp_eq_u64_e64 s27, 3, v[40:41]
	v_cndmask_b32_e64 v22, 0, 1, s14
	;; [unrolled: 4-line block ×4, first 2 shown]
	s_and_b32 s14, s10, s22
	s_and_b32 s10, s10, s26
	v_cndmask_b32_e64 v25, 0, 1, s14
	s_and_b32 s14, s11, s23
	v_cndmask_b32_e64 v43, 0, 1, s10
	;; [unrolled: 2-line block ×7, first 2 shown]
	v_cndmask_b32_e64 v46, 0, 1, s10
	v_cmp_ne_u32_e64 s10, 0, v6
	v_cmp_ne_u32_e64 s14, 0, v13
	;; [unrolled: 1-line block ×12, first 2 shown]
	s_bcnt1_i32_b32 s10, s10
	s_bcnt1_i32_b32 s14, s14
	s_bcnt1_i32_b32 s18, s18
	s_bcnt1_i32_b32 s22, s22
	v_cmp_ne_u32_e64 s13, 0, v9
	v_cmp_ne_u32_e64 s17, 0, v24
	;; [unrolled: 1-line block ×4, first 2 shown]
	s_bcnt1_i32_b32 s11, s11
	s_bcnt1_i32_b32 s15, s15
	s_bcnt1_i32_b32 s19, s19
	s_bcnt1_i32_b32 s23, s23
	s_add_i32 s10, s10, s96
	s_add_i32 s14, s14, s95
	s_add_i32 s18, s18, s94
	s_add_i32 s22, s22, s93
	s_bcnt1_i32_b32 s12, s12
	s_bcnt1_i32_b32 s16, s16
	s_bcnt1_i32_b32 s20, s20
	s_bcnt1_i32_b32 s24, s24
	s_add_i32 s10, s10, s11
	s_add_i32 s11, s14, s15
	s_add_i32 s14, s18, s19
	s_add_i32 s15, s22, s23
	;; [unrolled: 8-line block ×3, first 2 shown]
	s_add_i32 s96, s10, s13
	s_add_i32 s95, s11, s17
	;; [unrolled: 1-line block ×4, first 2 shown]
	v_mov_b32_e32 v6, s96
	v_mov_b32_e32 v7, s95
	;; [unrolled: 1-line block ×4, first 2 shown]
	s_or_b32 s92, vcc_lo, s92
	s_andn2_b32 exec_lo, exec_lo, s92
	s_cbranch_execnz .LBB49_56
; %bb.57:                               ;   in Loop: Header=BB49_6 Depth=1
	s_or_b32 exec_lo, exec_lo, s92
.LBB49_58:                              ;   in Loop: Header=BB49_6 Depth=1
	s_or_b32 exec_lo, exec_lo, s91
	v_add_nc_u32_e32 v1, s90, v0
	s_mov_b32 s15, exec_lo
	v_cmpx_gt_u32_e64 s89, v1
	s_cbranch_execz .LBB49_62
; %bb.59:                               ;   in Loop: Header=BB49_6 Depth=1
	v_lshlrev_b32_e32 v2, 3, v1
	s_mov_b32 s16, 0
.LBB49_60:                              ;   Parent Loop BB49_6 Depth=1
                                        ; =>  This Inner Loop Header: Depth=2
	ds_read_b64 v[22:23], v2
	v_add_nc_u32_e32 v1, s43, v1
	v_add_nc_u32_e32 v2, s76, v2
	v_cmp_le_u32_e32 vcc_lo, s89, v1
	s_waitcnt lgkmcnt(0)
	v_xor_b32_e32 v23, 0x80000000, v23
	v_and_b32_e32 v24, v22, v20
	v_and_b32_e32 v25, v23, v21
	v_lshrrev_b64 v[22:23], s82, v[22:23]
	v_cmp_eq_u64_e64 s10, v[24:25], v[18:19]
	v_and_b32_e32 v13, 3, v22
	v_cmp_eq_u64_e64 s11, 0, v[13:14]
	v_cmp_eq_u64_e64 s12, 1, v[13:14]
	;; [unrolled: 1-line block ×4, first 2 shown]
	s_and_b32 s11, s10, s11
	v_cndmask_b32_e64 v13, 0, 1, s11
	s_and_b32 s11, s10, s12
	v_cndmask_b32_e64 v22, 0, 1, s11
	s_and_b32 s11, s10, s13
	s_and_b32 s10, s10, s14
	v_cndmask_b32_e64 v23, 0, 1, s11
	v_cndmask_b32_e64 v24, 0, 1, s10
	v_cmp_ne_u32_e64 s10, 0, v13
	v_cmp_ne_u32_e64 s11, 0, v22
	v_cmp_ne_u32_e64 s12, 0, v23
	v_cmp_ne_u32_e64 s13, 0, v24
	s_bcnt1_i32_b32 s10, s10
	s_bcnt1_i32_b32 s11, s11
	v_add_nc_u32_e32 v6, s10, v6
	s_bcnt1_i32_b32 s12, s12
	s_bcnt1_i32_b32 s13, s13
	v_add_nc_u32_e32 v7, s11, v7
	v_add_nc_u32_e32 v8, s12, v8
	v_add_nc_u32_e32 v9, s13, v9
	s_or_b32 s16, vcc_lo, s16
	s_andn2_b32 exec_lo, exec_lo, s16
	s_cbranch_execnz .LBB49_60
; %bb.61:                               ;   in Loop: Header=BB49_6 Depth=1
	s_or_b32 exec_lo, exec_lo, s16
.LBB49_62:                              ;   in Loop: Header=BB49_6 Depth=1
	s_or_b32 exec_lo, exec_lo, s15
	s_lshl_b32 s10, s78, 7
	s_and_saveexec_b32 s11, s0
	s_cbranch_execnz .LBB49_36
	s_branch .LBB49_37
.LBB49_63:                              ;   in Loop: Header=BB49_6 Depth=1
	v_mov_b32_e32 v1, 0
	s_mov_b32 s12, 0
	s_andn2_b32 vcc_lo, exec_lo, s69
	s_cbranch_vccnz .LBB49_66
.LBB49_64:                              ;   in Loop: Header=BB49_6 Depth=1
	s_lshl_b32 s13, s78, 9
	s_lshl_b32 s12, s12, 4
	v_add3_u32 v2, s13, s12, v38
	s_mov_b32 s12, s67
.LBB49_65:                              ;   Parent Loop BB49_6 Depth=1
                                        ; =>  This Inner Loop Header: Depth=2
	ds_read_b32 v6, v2
	v_add_nc_u32_e32 v2, 16, v2
	s_add_i32 s12, s12, -1
	s_cmp_lg_u32 s12, 0
	s_waitcnt lgkmcnt(0)
	v_add_nc_u32_e32 v1, v6, v1
	s_cbranch_scc1 .LBB49_65
.LBB49_66:                              ;   in Loop: Header=BB49_6 Depth=1
	v_add_lshl_u32 v2, s10, v27, 2
	ds_write_b32 v2, v1 offset:3072
.LBB49_67:                              ;   in Loop: Header=BB49_6 Depth=1
	s_or_b32 exec_lo, exec_lo, s11
	s_lshl_b32 s10, s10, 2
	s_waitcnt lgkmcnt(0)
	v_mov_b32_e32 v1, s10
	s_barrier
	buffer_gl0_inv
	v_cmp_eq_u32_e64 s10, 1, v39
	s_lshl_b64 s[12:13], 3, s82
	ds_read_b128 v[6:9], v1 offset:3072
	s_mov_b32 s24, -1
	s_not_b64 s[14:15], s[12:13]
	s_mov_b32 s16, 0
	s_andn2_b32 vcc_lo, exec_lo, s54
	s_mov_b32 s21, 0
	s_mov_b32 s11, 0
                                        ; implicit-def: $sgpr22
                                        ; implicit-def: $sgpr23
                                        ; implicit-def: $vgpr25
                                        ; implicit-def: $vgpr24
                                        ; implicit-def: $vgpr22_vgpr23
                                        ; implicit-def: $vgpr1_vgpr2
	s_waitcnt lgkmcnt(0)
	v_readfirstlane_b32 s17, v6
	v_readfirstlane_b32 s18, v7
	;; [unrolled: 1-line block ×4, first 2 shown]
                                        ; implicit-def: $vgpr8_vgpr9
	s_cbranch_vccnz .LBB49_228
; %bb.68:                               ;   in Loop: Header=BB49_6 Depth=1
	s_cmp_eq_u32 s17, 1
	v_mov_b32_e32 v23, v19
	v_mov_b32_e32 v1, v20
	;; [unrolled: 1-line block ×6, first 2 shown]
	s_cselect_b32 s11, -1, 0
	s_mov_b32 s27, -1
	s_and_b32 s26, s11, s10
                                        ; implicit-def: $sgpr23
                                        ; implicit-def: $sgpr22
	s_and_saveexec_b32 s11, s26
	s_cbranch_execz .LBB49_97
; %bb.69:                               ;   in Loop: Header=BB49_6 Depth=1
	ds_read_b32 v1, v14 offset:4096
	s_waitcnt lgkmcnt(0)
	s_barrier
	buffer_gl0_inv
	v_readfirstlane_b32 s24, v1
	s_and_saveexec_b32 s21, s6
; %bb.70:                               ;   in Loop: Header=BB49_6 Depth=1
	v_mov_b32_e32 v13, v14
	ds_write_b64 v31, v[13:14]
; %bb.71:                               ;   in Loop: Header=BB49_6 Depth=1
	s_or_b32 exec_lo, exec_lo, s21
	v_and_b32_e32 v23, s15, v19
	v_and_b32_e32 v22, s14, v18
	v_or_b32_e32 v2, s13, v21
	v_or_b32_e32 v1, s12, v20
	s_mov_b32 s22, -1
	s_mov_b32 s23, 0
	s_cmp_eq_u32 s24, 0
	s_mov_b32 s21, 0
	s_mov_b32 s25, -1
	s_waitcnt lgkmcnt(0)
	s_barrier
	buffer_gl0_inv
                                        ; implicit-def: $vgpr8_vgpr9
	s_cbranch_scc1 .LBB49_85
; %bb.72:                               ;   in Loop: Header=BB49_6 Depth=1
	s_add_i32 s21, s24, s66
                                        ; implicit-def: $vgpr8_vgpr9
	s_mul_hi_u32 s25, s21, s72
	s_mul_i32 s25, s25, s43
	s_sub_i32 s25, s21, s25
	s_sub_i32 s27, s25, s43
	s_cmp_ge_u32 s25, s43
	s_cselect_b32 s25, s27, s25
	s_sub_i32 s27, s25, s43
	s_cmp_ge_u32 s25, s43
	s_cselect_b32 s25, s27, s25
	s_mov_b32 s27, exec_lo
	s_sub_i32 s28, s21, s25
	s_mov_b32 s25, 0
	s_mov_b32 s21, 0
	v_cmpx_gt_u32_e64 s28, v0
	s_cbranch_execz .LBB49_84
; %bb.73:                               ;   in Loop: Header=BB49_6 Depth=1
	v_mov_b32_e32 v13, v29
	v_mov_b32_e32 v24, v0
                                        ; implicit-def: $sgpr29
	s_inst_prefetch 0x1
	s_branch .LBB49_76
	.p2align	6
.LBB49_74:                              ;   in Loop: Header=BB49_76 Depth=2
	s_or_b32 exec_lo, exec_lo, s44
	s_waitcnt lgkmcnt(0)
	s_barrier
	buffer_gl0_inv
	ds_read_b128 v[6:9], v14 offset:3072
	s_mov_b32 s44, -1
	s_mov_b32 s45, -1
	s_waitcnt lgkmcnt(0)
	s_barrier
	buffer_gl0_inv
	v_cmp_ne_u64_e32 vcc_lo, 0, v[6:7]
	s_cbranch_vccz .LBB49_79
.LBB49_75:                              ;   in Loop: Header=BB49_76 Depth=2
	s_and_b32 s44, exec_lo, s44
	s_or_b32 s21, s44, s21
	s_andn2_b32 s29, s29, exec_lo
	s_and_b32 s44, s45, exec_lo
	s_or_b32 s29, s29, s44
	s_andn2_b32 exec_lo, exec_lo, s21
	s_cbranch_execz .LBB49_83
.LBB49_76:                              ;   Parent Loop BB49_6 Depth=1
                                        ; =>  This Inner Loop Header: Depth=2
	s_mov_b32 s44, exec_lo
	v_cmpx_gt_u32_e64 s24, v24
	s_cbranch_execz .LBB49_74
; %bb.77:                               ;   in Loop: Header=BB49_76 Depth=2
	ds_read_b64 v[7:8], v13
	s_waitcnt lgkmcnt(0)
	v_xor_b32_e32 v6, 0x80000000, v8
	v_and_b32_e32 v40, v7, v1
	v_and_b32_e32 v41, v6, v2
	v_cmp_eq_u64_e32 vcc_lo, v[40:41], v[22:23]
	s_and_b32 exec_lo, exec_lo, vcc_lo
	s_cbranch_execz .LBB49_74
; %bb.78:                               ;   in Loop: Header=BB49_76 Depth=2
	v_mov_b32_e32 v6, v14
	ds_write_b128 v14, v[5:8] offset:3072
	s_branch .LBB49_74
	.p2align	6
.LBB49_79:                              ;   in Loop: Header=BB49_76 Depth=2
	v_add_nc_u32_e32 v24, s43, v24
	v_add_nc_u32_e32 v13, s76, v13
	s_mov_b32 s45, 0
	v_cmp_le_u32_e32 vcc_lo, s28, v24
	s_orn2_b32 s44, vcc_lo, exec_lo
	s_branch .LBB49_75
.LBB49_80:                              ;   in Loop: Header=BB49_6 Depth=1
	s_or_b32 exec_lo, exec_lo, s13
	s_waitcnt lgkmcnt(0)
	s_barrier
	buffer_gl0_inv
	s_and_saveexec_b32 s10, s3
	s_cbranch_execz .LBB49_82
; %bb.81:                               ;   in Loop: Header=BB49_6 Depth=1
	ds_read_b32 v1, v14 offset:4104
	s_waitcnt lgkmcnt(0)
	ds_write_b32 v14, v1 offset:4096
.LBB49_82:                              ;   in Loop: Header=BB49_6 Depth=1
	s_or_b32 exec_lo, exec_lo, s10
	s_waitcnt lgkmcnt(0)
	s_mov_b32 s10, -1
	s_barrier
	s_and_b32 vcc_lo, exec_lo, s12
	s_cbranch_vccnz .LBB49_22
	s_branch .LBB49_31
.LBB49_83:                              ;   in Loop: Header=BB49_6 Depth=1
	s_inst_prefetch 0x2
	s_or_b32 exec_lo, exec_lo, s21
	s_and_b32 s21, s29, exec_lo
.LBB49_84:                              ;   in Loop: Header=BB49_6 Depth=1
	s_or_b32 exec_lo, exec_lo, s27
.LBB49_85:                              ;   in Loop: Header=BB49_6 Depth=1
	s_and_b32 vcc_lo, exec_lo, s25
	s_cbranch_vccz .LBB49_96
; %bb.86:                               ;   in Loop: Header=BB49_6 Depth=1
                                        ; implicit-def: $vgpr8_vgpr9
	s_and_saveexec_b32 s22, s9
	s_cbranch_execz .LBB49_95
; %bb.87:                               ;   in Loop: Header=BB49_6 Depth=1
	v_mov_b32_e32 v13, v12
	v_mov_b32_e32 v24, v0
	s_mov_b32 s24, 0
                                        ; implicit-def: $sgpr23
	s_inst_prefetch 0x1
	s_branch .LBB49_90
	.p2align	6
.LBB49_88:                              ;   in Loop: Header=BB49_90 Depth=2
	s_or_b32 exec_lo, exec_lo, s25
	s_waitcnt lgkmcnt(0)
	s_barrier
	buffer_gl0_inv
	ds_read_b128 v[6:9], v14 offset:3072
	s_mov_b32 s25, -1
	s_mov_b32 s27, -1
	s_waitcnt lgkmcnt(0)
	s_barrier
	buffer_gl0_inv
	v_cmp_ne_u64_e32 vcc_lo, 0, v[6:7]
	s_cbranch_vccz .LBB49_93
.LBB49_89:                              ;   in Loop: Header=BB49_90 Depth=2
	s_and_b32 s25, exec_lo, s25
	s_or_b32 s24, s25, s24
	s_andn2_b32 s23, s23, exec_lo
	s_and_b32 s25, s27, exec_lo
	s_or_b32 s23, s23, s25
	s_andn2_b32 exec_lo, exec_lo, s24
	s_cbranch_execz .LBB49_94
.LBB49_90:                              ;   Parent Loop BB49_6 Depth=1
                                        ; =>  This Inner Loop Header: Depth=2
	s_mov_b32 s25, exec_lo
	v_cmpx_gt_u32_e64 s36, v24
	s_cbranch_execz .LBB49_88
; %bb.91:                               ;   in Loop: Header=BB49_90 Depth=2
	v_lshlrev_b64 v[6:7], 3, v[13:14]
	v_add_co_u32 v6, vcc_lo, s31, v6
	v_add_co_ci_u32_e64 v7, null, s33, v7, vcc_lo
	global_load_dwordx2 v[7:8], v[6:7], off
	s_waitcnt vmcnt(0)
	v_xor_b32_e32 v6, 0x80000000, v8
	v_and_b32_e32 v40, v7, v1
	v_and_b32_e32 v41, v6, v2
	v_cmp_eq_u64_e32 vcc_lo, v[40:41], v[22:23]
	s_and_b32 exec_lo, exec_lo, vcc_lo
	s_cbranch_execz .LBB49_88
; %bb.92:                               ;   in Loop: Header=BB49_90 Depth=2
	v_mov_b32_e32 v6, v14
	ds_write_b128 v14, v[5:8] offset:3072
	s_branch .LBB49_88
.LBB49_93:                              ;   in Loop: Header=BB49_90 Depth=2
	v_add_nc_u32_e32 v24, s43, v24
	v_add_nc_u32_e32 v13, s47, v13
	s_mov_b32 s27, 0
	v_cmp_le_u32_e32 vcc_lo, s73, v24
	s_orn2_b32 s25, vcc_lo, exec_lo
	s_branch .LBB49_89
.LBB49_94:                              ;   in Loop: Header=BB49_6 Depth=1
	s_inst_prefetch 0x2
	s_or_b32 exec_lo, exec_lo, s24
	s_andn2_b32 s21, s21, exec_lo
	s_and_b32 s23, s23, exec_lo
	s_or_b32 s21, s21, s23
.LBB49_95:                              ;   in Loop: Header=BB49_6 Depth=1
	s_or_b32 exec_lo, exec_lo, s22
	s_mov_b32 s22, 0
	s_mov_b32 s23, -1
.LBB49_96:                              ;   in Loop: Header=BB49_6 Depth=1
	s_orn2_b32 s27, s21, exec_lo
.LBB49_97:                              ;   in Loop: Header=BB49_6 Depth=1
	s_or_b32 exec_lo, exec_lo, s11
	s_mov_b32 s24, 0
	s_mov_b32 s21, 0
	;; [unrolled: 1-line block ×3, first 2 shown]
                                        ; implicit-def: $vgpr25
                                        ; implicit-def: $vgpr24
	s_and_saveexec_b32 s25, s27
	s_cbranch_execz .LBB49_227
; %bb.98:                               ;   in Loop: Header=BB49_6 Depth=1
	v_mov_b32_e32 v25, 1
	v_mov_b32_e32 v24, 1
	s_xor_b32 s21, s26, -1
	s_mov_b32 s28, 0
	s_and_saveexec_b32 s11, s21
	s_cbranch_execz .LBB49_107
; %bb.99:                               ;   in Loop: Header=BB49_6 Depth=1
	s_mov_b32 s21, exec_lo
	v_cmpx_ge_u32_e64 s17, v39
	s_xor_b32 s21, exec_lo, s21
	s_cbranch_execz .LBB49_104
; %bb.100:                              ;   in Loop: Header=BB49_6 Depth=1
	ds_read_b32 v6, v14 offset:4096
	v_and_b32_e32 v23, s15, v23
	v_and_b32_e32 v22, s14, v22
	v_or_b32_e32 v2, s13, v2
	v_or_b32_e32 v1, s12, v1
	s_waitcnt lgkmcnt(0)
	v_cmp_ne_u32_e32 vcc_lo, 0, v6
	s_cbranch_vccnz .LBB49_104
; %bb.101:                              ;   in Loop: Header=BB49_6 Depth=1
	s_and_saveexec_b32 s26, s3
; %bb.102:                              ;   in Loop: Header=BB49_6 Depth=1
	v_mov_b32_e32 v6, s17
	ds_write_b32 v14, v6 offset:4100
; %bb.103:                              ;   in Loop: Header=BB49_6 Depth=1
	s_or_b32 exec_lo, exec_lo, s26
	s_waitcnt lgkmcnt(0)
	s_barrier
	buffer_gl0_inv
.LBB49_104:                             ;   in Loop: Header=BB49_6 Depth=1
	s_or_saveexec_b32 s21, s21
	v_mov_b32_e32 v24, 8
	v_mov_b32_e32 v25, v39
	s_mov_b32 s26, 0
	s_xor_b32 exec_lo, exec_lo, s21
; %bb.105:                              ;   in Loop: Header=BB49_6 Depth=1
	v_subrev_nc_u32_e32 v25, s17, v39
	v_mov_b32_e32 v24, 0
	s_mov_b32 s26, exec_lo
; %bb.106:                              ;   in Loop: Header=BB49_6 Depth=1
	s_or_b32 exec_lo, exec_lo, s21
	s_and_b32 s28, s26, exec_lo
.LBB49_107:                             ;   in Loop: Header=BB49_6 Depth=1
	s_or_b32 exec_lo, exec_lo, s11
	s_mov_b32 s27, -1
                                        ; implicit-def: $sgpr21
                                        ; implicit-def: $sgpr26
	s_and_saveexec_b32 s11, s28
	s_xor_b32 s11, exec_lo, s11
	s_cbranch_execz .LBB49_224
; %bb.108:                              ;   in Loop: Header=BB49_6 Depth=1
	v_cmp_eq_u32_e32 vcc_lo, 1, v25
	s_cmp_eq_u32 s18, 1
	s_mov_b32 s29, -1
	s_cselect_b32 s21, -1, 0
                                        ; implicit-def: $sgpr26
	s_and_b32 s28, s21, vcc_lo
                                        ; implicit-def: $sgpr21
	s_and_saveexec_b32 s27, s28
	s_cbranch_execz .LBB49_134
; %bb.109:                              ;   in Loop: Header=BB49_6 Depth=1
	ds_read_b32 v6, v14 offset:4096
	s_waitcnt lgkmcnt(0)
	s_barrier
	buffer_gl0_inv
	v_readfirstlane_b32 s89, v6
	s_and_saveexec_b32 s21, s6
; %bb.110:                              ;   in Loop: Header=BB49_6 Depth=1
	v_mov_b32_e32 v13, v14
	ds_write_b64 v31, v[13:14]
; %bb.111:                              ;   in Loop: Header=BB49_6 Depth=1
	s_or_b32 exec_lo, exec_lo, s21
	v_and_b32_e32 v6, s15, v23
	v_and_b32_e32 v7, s14, v22
	s_lshl_b64 s[44:45], 1, s82
	v_or_b32_e32 v2, s13, v2
	v_or_b32_e32 v1, s12, v1
	;; [unrolled: 1-line block ×4, first 2 shown]
	s_mov_b32 s21, -1
	s_mov_b32 s26, 0
	s_cmp_eq_u32 s89, 0
	s_mov_b32 s29, 0
	s_mov_b32 s90, -1
	s_waitcnt lgkmcnt(0)
	s_barrier
	buffer_gl0_inv
                                        ; implicit-def: $vgpr8_vgpr9
	s_cbranch_scc1 .LBB49_122
; %bb.112:                              ;   in Loop: Header=BB49_6 Depth=1
	s_add_i32 s29, s89, s66
	s_mov_b32 s90, 0
	s_mul_hi_u32 s44, s29, s72
	s_mov_b32 s91, exec_lo
	s_mul_i32 s44, s44, s43
                                        ; implicit-def: $vgpr8_vgpr9
	s_sub_i32 s44, s29, s44
	s_sub_i32 s45, s44, s43
	s_cmp_ge_u32 s44, s43
	s_cselect_b32 s44, s45, s44
	s_sub_i32 s45, s44, s43
	s_cmp_ge_u32 s44, s43
	s_cselect_b32 s44, s45, s44
	s_sub_i32 s92, s29, s44
	s_mov_b32 s29, 0
	v_cmpx_gt_u32_e64 s92, v0
	s_cbranch_execz .LBB49_121
; %bb.113:                              ;   in Loop: Header=BB49_6 Depth=1
	v_mov_b32_e32 v13, v29
	v_mov_b32_e32 v40, v0
                                        ; implicit-def: $sgpr93
	s_inst_prefetch 0x1
	s_branch .LBB49_116
	.p2align	6
.LBB49_114:                             ;   in Loop: Header=BB49_116 Depth=2
	s_or_b32 exec_lo, exec_lo, s94
	s_waitcnt lgkmcnt(0)
	s_barrier
	buffer_gl0_inv
	ds_read_b128 v[6:9], v14 offset:3072
	s_mov_b32 s44, -1
	s_mov_b32 s45, -1
	s_waitcnt lgkmcnt(0)
	s_barrier
	buffer_gl0_inv
	v_cmp_ne_u64_e32 vcc_lo, 0, v[6:7]
	s_cbranch_vccz .LBB49_119
.LBB49_115:                             ;   in Loop: Header=BB49_116 Depth=2
	s_and_b32 s44, exec_lo, s44
	s_or_b32 s29, s44, s29
	s_andn2_b32 s44, s93, exec_lo
	s_and_b32 s45, s45, exec_lo
	s_or_b32 s93, s44, s45
	s_andn2_b32 exec_lo, exec_lo, s29
	s_cbranch_execz .LBB49_120
.LBB49_116:                             ;   Parent Loop BB49_6 Depth=1
                                        ; =>  This Inner Loop Header: Depth=2
	s_mov_b32 s94, exec_lo
	v_cmpx_gt_u32_e64 s89, v40
	s_cbranch_execz .LBB49_114
; %bb.117:                              ;   in Loop: Header=BB49_116 Depth=2
	ds_read_b64 v[7:8], v13
	s_waitcnt lgkmcnt(0)
	v_xor_b32_e32 v6, 0x80000000, v8
	v_and_b32_e32 v41, v7, v1
	v_and_b32_e32 v42, v6, v2
	v_cmp_eq_u64_e32 vcc_lo, v[41:42], v[22:23]
	s_and_b32 exec_lo, exec_lo, vcc_lo
	s_cbranch_execz .LBB49_114
; %bb.118:                              ;   in Loop: Header=BB49_116 Depth=2
	v_mov_b32_e32 v6, v14
	ds_write_b128 v14, v[5:8] offset:3072
	s_branch .LBB49_114
	.p2align	6
.LBB49_119:                             ;   in Loop: Header=BB49_116 Depth=2
	v_add_nc_u32_e32 v40, s43, v40
	v_add_nc_u32_e32 v13, s76, v13
	s_mov_b32 s45, 0
	v_cmp_le_u32_e32 vcc_lo, s92, v40
	s_orn2_b32 s44, vcc_lo, exec_lo
	s_branch .LBB49_115
.LBB49_120:                             ;   in Loop: Header=BB49_6 Depth=1
	s_inst_prefetch 0x2
	s_or_b32 exec_lo, exec_lo, s29
	s_and_b32 s29, s93, exec_lo
.LBB49_121:                             ;   in Loop: Header=BB49_6 Depth=1
	s_or_b32 exec_lo, exec_lo, s91
.LBB49_122:                             ;   in Loop: Header=BB49_6 Depth=1
	s_and_b32 vcc_lo, exec_lo, s90
	s_cbranch_vccz .LBB49_133
; %bb.123:                              ;   in Loop: Header=BB49_6 Depth=1
                                        ; implicit-def: $vgpr8_vgpr9
	s_and_saveexec_b32 s21, s9
	s_cbranch_execz .LBB49_132
; %bb.124:                              ;   in Loop: Header=BB49_6 Depth=1
	v_mov_b32_e32 v13, v12
	v_mov_b32_e32 v40, v0
	s_mov_b32 s26, 0
                                        ; implicit-def: $sgpr89
	s_inst_prefetch 0x1
	s_branch .LBB49_127
	.p2align	6
.LBB49_125:                             ;   in Loop: Header=BB49_127 Depth=2
	s_or_b32 exec_lo, exec_lo, s90
	s_waitcnt lgkmcnt(0)
	s_barrier
	buffer_gl0_inv
	ds_read_b128 v[6:9], v14 offset:3072
	s_mov_b32 s44, -1
	s_mov_b32 s45, -1
	s_waitcnt lgkmcnt(0)
	s_barrier
	buffer_gl0_inv
	v_cmp_eq_u64_e32 vcc_lo, 0, v[6:7]
	s_cbranch_vccnz .LBB49_130
.LBB49_126:                             ;   in Loop: Header=BB49_127 Depth=2
	s_and_b32 s44, exec_lo, s44
	s_or_b32 s26, s44, s26
	s_andn2_b32 s44, s89, exec_lo
	s_and_b32 s45, s45, exec_lo
	s_or_b32 s89, s44, s45
	s_andn2_b32 exec_lo, exec_lo, s26
	s_cbranch_execz .LBB49_131
.LBB49_127:                             ;   Parent Loop BB49_6 Depth=1
                                        ; =>  This Inner Loop Header: Depth=2
	s_mov_b32 s90, exec_lo
	v_cmpx_gt_u32_e64 s36, v40
	s_cbranch_execz .LBB49_125
; %bb.128:                              ;   in Loop: Header=BB49_127 Depth=2
	v_lshlrev_b64 v[6:7], 3, v[13:14]
	v_add_co_u32 v6, vcc_lo, s31, v6
	v_add_co_ci_u32_e64 v7, null, s33, v7, vcc_lo
	global_load_dwordx2 v[7:8], v[6:7], off
	s_waitcnt vmcnt(0)
	v_xor_b32_e32 v6, 0x80000000, v8
	v_and_b32_e32 v41, v7, v1
	v_and_b32_e32 v42, v6, v2
	v_cmp_eq_u64_e32 vcc_lo, v[41:42], v[22:23]
	s_and_b32 exec_lo, exec_lo, vcc_lo
	s_cbranch_execz .LBB49_125
; %bb.129:                              ;   in Loop: Header=BB49_127 Depth=2
	v_mov_b32_e32 v6, v14
	ds_write_b128 v14, v[5:8] offset:3072
	s_branch .LBB49_125
.LBB49_130:                             ;   in Loop: Header=BB49_127 Depth=2
	v_add_nc_u32_e32 v40, s43, v40
	v_add_nc_u32_e32 v13, s47, v13
	s_mov_b32 s45, 0
	v_cmp_le_u32_e32 vcc_lo, s73, v40
	s_orn2_b32 s44, vcc_lo, exec_lo
	s_branch .LBB49_126
.LBB49_131:                             ;   in Loop: Header=BB49_6 Depth=1
	s_inst_prefetch 0x2
	s_or_b32 exec_lo, exec_lo, s26
	s_andn2_b32 s26, s29, exec_lo
	s_and_b32 s29, s89, exec_lo
	s_or_b32 s29, s26, s29
.LBB49_132:                             ;   in Loop: Header=BB49_6 Depth=1
	s_or_b32 exec_lo, exec_lo, s21
	s_mov_b32 s21, 0
	s_mov_b32 s26, -1
.LBB49_133:                             ;   in Loop: Header=BB49_6 Depth=1
	s_orn2_b32 s29, s29, exec_lo
.LBB49_134:                             ;   in Loop: Header=BB49_6 Depth=1
	s_or_b32 exec_lo, exec_lo, s27
	s_mov_b32 s89, 0
	s_and_saveexec_b32 s27, s29
	s_cbranch_execz .LBB49_223
; %bb.135:                              ;   in Loop: Header=BB49_6 Depth=1
	v_mov_b32_e32 v40, 1
	v_mov_b32_e32 v24, 1
	s_xor_b32 s29, s28, -1
	s_mov_b32 s91, 0
	s_and_saveexec_b32 s28, s29
	s_cbranch_execz .LBB49_144
; %bb.136:                              ;   in Loop: Header=BB49_6 Depth=1
	s_mov_b32 s29, exec_lo
	v_cmpx_ge_u32_e64 s18, v25
	s_xor_b32 s29, exec_lo, s29
	s_cbranch_execz .LBB49_141
; %bb.137:                              ;   in Loop: Header=BB49_6 Depth=1
	ds_read_b32 v6, v14 offset:4096
	v_and_b32_e32 v7, s15, v23
	v_and_b32_e32 v13, s14, v22
	s_lshl_b64 s[44:45], 1, s82
	v_or_b32_e32 v2, s13, v2
	v_or_b32_e32 v1, s12, v1
	;; [unrolled: 1-line block ×4, first 2 shown]
	s_waitcnt lgkmcnt(0)
	v_cmp_ne_u32_e32 vcc_lo, 0, v6
	s_cbranch_vccnz .LBB49_141
; %bb.138:                              ;   in Loop: Header=BB49_6 Depth=1
	s_and_saveexec_b32 s44, s3
; %bb.139:                              ;   in Loop: Header=BB49_6 Depth=1
	v_mov_b32_e32 v6, s18
	ds_write_b32 v14, v6 offset:4100
; %bb.140:                              ;   in Loop: Header=BB49_6 Depth=1
	s_or_b32 exec_lo, exec_lo, s44
	s_waitcnt lgkmcnt(0)
	s_barrier
	buffer_gl0_inv
.LBB49_141:                             ;   in Loop: Header=BB49_6 Depth=1
	s_or_saveexec_b32 s29, s29
	v_mov_b32_e32 v24, 8
	s_xor_b32 exec_lo, exec_lo, s29
; %bb.142:                              ;   in Loop: Header=BB49_6 Depth=1
	v_subrev_nc_u32_e32 v25, s18, v25
	v_mov_b32_e32 v24, 0
	s_mov_b32 s89, exec_lo
; %bb.143:                              ;   in Loop: Header=BB49_6 Depth=1
	s_or_b32 exec_lo, exec_lo, s29
	v_mov_b32_e32 v40, v25
	s_and_b32 s91, s89, exec_lo
.LBB49_144:                             ;   in Loop: Header=BB49_6 Depth=1
	s_or_b32 exec_lo, exec_lo, s28
	s_mov_b32 s90, -1
                                        ; implicit-def: $sgpr29
                                        ; implicit-def: $sgpr89
	s_and_saveexec_b32 s28, s91
	s_cbranch_execz .LBB49_222
; %bb.145:                              ;   in Loop: Header=BB49_6 Depth=1
	v_cmp_eq_u32_e32 vcc_lo, 1, v40
	s_cmp_eq_u32 s19, 1
	s_mov_b32 s92, -1
	s_cselect_b32 s29, -1, 0
                                        ; implicit-def: $sgpr89
	s_and_b32 s91, s29, vcc_lo
                                        ; implicit-def: $sgpr29
	s_and_saveexec_b32 s90, s91
	s_cbranch_execz .LBB49_171
; %bb.146:                              ;   in Loop: Header=BB49_6 Depth=1
	ds_read_b32 v6, v14 offset:4096
	s_waitcnt lgkmcnt(0)
	s_barrier
	buffer_gl0_inv
	v_readfirstlane_b32 s93, v6
	s_and_saveexec_b32 s29, s6
; %bb.147:                              ;   in Loop: Header=BB49_6 Depth=1
	v_mov_b32_e32 v13, v14
	ds_write_b64 v31, v[13:14]
; %bb.148:                              ;   in Loop: Header=BB49_6 Depth=1
	s_or_b32 exec_lo, exec_lo, s29
	v_and_b32_e32 v6, s15, v23
	v_and_b32_e32 v7, s14, v22
	s_lshl_b64 s[44:45], 2, s82
	v_or_b32_e32 v2, s13, v2
	v_or_b32_e32 v1, s12, v1
	;; [unrolled: 1-line block ×4, first 2 shown]
	s_mov_b32 s29, -1
	s_mov_b32 s89, 0
	s_cmp_eq_u32 s93, 0
	s_mov_b32 s92, 0
	s_mov_b32 s94, -1
	s_waitcnt lgkmcnt(0)
	s_barrier
	buffer_gl0_inv
                                        ; implicit-def: $vgpr8_vgpr9
	s_cbranch_scc1 .LBB49_159
; %bb.149:                              ;   in Loop: Header=BB49_6 Depth=1
	s_add_i32 s44, s93, s66
	s_mov_b32 s94, 0
	s_mul_hi_u32 s45, s44, s72
	s_mov_b32 s95, exec_lo
	s_mul_i32 s45, s45, s43
                                        ; implicit-def: $vgpr8_vgpr9
	s_sub_i32 s45, s44, s45
	s_sub_i32 s46, s45, s43
	s_cmp_ge_u32 s45, s43
	s_cselect_b32 s45, s46, s45
	s_sub_i32 s46, s45, s43
	s_cmp_ge_u32 s45, s43
	s_cselect_b32 s45, s46, s45
	s_sub_i32 s96, s44, s45
	v_cmpx_gt_u32_e64 s96, v0
	s_cbranch_execz .LBB49_158
; %bb.150:                              ;   in Loop: Header=BB49_6 Depth=1
	v_mov_b32_e32 v13, v29
	v_mov_b32_e32 v25, v0
                                        ; implicit-def: $sgpr97
	s_inst_prefetch 0x1
	s_branch .LBB49_153
	.p2align	6
.LBB49_151:                             ;   in Loop: Header=BB49_153 Depth=2
	s_or_b32 exec_lo, exec_lo, s98
	s_waitcnt lgkmcnt(0)
	s_barrier
	buffer_gl0_inv
	ds_read_b128 v[6:9], v14 offset:3072
	s_mov_b32 s44, -1
	s_mov_b32 s45, -1
	s_waitcnt lgkmcnt(0)
	s_barrier
	buffer_gl0_inv
	v_cmp_ne_u64_e32 vcc_lo, 0, v[6:7]
	s_cbranch_vccz .LBB49_156
.LBB49_152:                             ;   in Loop: Header=BB49_153 Depth=2
	s_and_b32 s44, exec_lo, s44
	s_or_b32 s92, s44, s92
	s_andn2_b32 s44, s97, exec_lo
	s_and_b32 s45, s45, exec_lo
	s_or_b32 s97, s44, s45
	s_andn2_b32 exec_lo, exec_lo, s92
	s_cbranch_execz .LBB49_157
.LBB49_153:                             ;   Parent Loop BB49_6 Depth=1
                                        ; =>  This Inner Loop Header: Depth=2
	s_mov_b32 s98, exec_lo
	v_cmpx_gt_u32_e64 s93, v25
	s_cbranch_execz .LBB49_151
; %bb.154:                              ;   in Loop: Header=BB49_153 Depth=2
	ds_read_b64 v[7:8], v13
	s_waitcnt lgkmcnt(0)
	v_xor_b32_e32 v6, 0x80000000, v8
	v_and_b32_e32 v41, v7, v1
	v_and_b32_e32 v42, v6, v2
	v_cmp_eq_u64_e32 vcc_lo, v[41:42], v[22:23]
	s_and_b32 exec_lo, exec_lo, vcc_lo
	s_cbranch_execz .LBB49_151
; %bb.155:                              ;   in Loop: Header=BB49_153 Depth=2
	v_mov_b32_e32 v6, v14
	ds_write_b128 v14, v[5:8] offset:3072
	s_branch .LBB49_151
	.p2align	6
.LBB49_156:                             ;   in Loop: Header=BB49_153 Depth=2
	v_add_nc_u32_e32 v25, s43, v25
	v_add_nc_u32_e32 v13, s76, v13
	s_mov_b32 s45, 0
	v_cmp_le_u32_e32 vcc_lo, s96, v25
	s_orn2_b32 s44, vcc_lo, exec_lo
	s_branch .LBB49_152
.LBB49_157:                             ;   in Loop: Header=BB49_6 Depth=1
	s_inst_prefetch 0x2
	s_or_b32 exec_lo, exec_lo, s92
	s_and_b32 s92, s97, exec_lo
.LBB49_158:                             ;   in Loop: Header=BB49_6 Depth=1
	s_or_b32 exec_lo, exec_lo, s95
.LBB49_159:                             ;   in Loop: Header=BB49_6 Depth=1
	s_and_b32 vcc_lo, exec_lo, s94
	s_cbranch_vccz .LBB49_170
; %bb.160:                              ;   in Loop: Header=BB49_6 Depth=1
                                        ; implicit-def: $vgpr8_vgpr9
	s_and_saveexec_b32 s29, s9
	s_cbranch_execz .LBB49_169
; %bb.161:                              ;   in Loop: Header=BB49_6 Depth=1
	v_mov_b32_e32 v13, v12
	v_mov_b32_e32 v25, v0
	s_mov_b32 s89, 0
                                        ; implicit-def: $sgpr93
	s_inst_prefetch 0x1
	s_branch .LBB49_164
	.p2align	6
.LBB49_162:                             ;   in Loop: Header=BB49_164 Depth=2
	s_or_b32 exec_lo, exec_lo, s94
	s_waitcnt lgkmcnt(0)
	s_barrier
	buffer_gl0_inv
	ds_read_b128 v[6:9], v14 offset:3072
	s_mov_b32 s44, -1
	s_mov_b32 s45, -1
	s_waitcnt lgkmcnt(0)
	s_barrier
	buffer_gl0_inv
	v_cmp_eq_u64_e32 vcc_lo, 0, v[6:7]
	s_cbranch_vccnz .LBB49_167
.LBB49_163:                             ;   in Loop: Header=BB49_164 Depth=2
	s_and_b32 s44, exec_lo, s44
	s_or_b32 s89, s44, s89
	s_andn2_b32 s44, s93, exec_lo
	s_and_b32 s45, s45, exec_lo
	s_or_b32 s93, s44, s45
	s_andn2_b32 exec_lo, exec_lo, s89
	s_cbranch_execz .LBB49_168
.LBB49_164:                             ;   Parent Loop BB49_6 Depth=1
                                        ; =>  This Inner Loop Header: Depth=2
	s_mov_b32 s94, exec_lo
	v_cmpx_gt_u32_e64 s36, v25
	s_cbranch_execz .LBB49_162
; %bb.165:                              ;   in Loop: Header=BB49_164 Depth=2
	v_lshlrev_b64 v[6:7], 3, v[13:14]
	v_add_co_u32 v6, vcc_lo, s31, v6
	v_add_co_ci_u32_e64 v7, null, s33, v7, vcc_lo
	global_load_dwordx2 v[7:8], v[6:7], off
	s_waitcnt vmcnt(0)
	v_xor_b32_e32 v6, 0x80000000, v8
	v_and_b32_e32 v41, v7, v1
	v_and_b32_e32 v42, v6, v2
	v_cmp_eq_u64_e32 vcc_lo, v[41:42], v[22:23]
	s_and_b32 exec_lo, exec_lo, vcc_lo
	s_cbranch_execz .LBB49_162
; %bb.166:                              ;   in Loop: Header=BB49_164 Depth=2
	v_mov_b32_e32 v6, v14
	ds_write_b128 v14, v[5:8] offset:3072
	s_branch .LBB49_162
.LBB49_167:                             ;   in Loop: Header=BB49_164 Depth=2
	v_add_nc_u32_e32 v25, s43, v25
	v_add_nc_u32_e32 v13, s47, v13
	s_mov_b32 s45, 0
	v_cmp_le_u32_e32 vcc_lo, s73, v25
	s_orn2_b32 s44, vcc_lo, exec_lo
	s_branch .LBB49_163
.LBB49_168:                             ;   in Loop: Header=BB49_6 Depth=1
	s_inst_prefetch 0x2
	s_or_b32 exec_lo, exec_lo, s89
	s_andn2_b32 s44, s92, exec_lo
	s_and_b32 s45, s93, exec_lo
	s_or_b32 s92, s44, s45
.LBB49_169:                             ;   in Loop: Header=BB49_6 Depth=1
	s_or_b32 exec_lo, exec_lo, s29
	s_mov_b32 s29, 0
	s_mov_b32 s89, -1
.LBB49_170:                             ;   in Loop: Header=BB49_6 Depth=1
	s_orn2_b32 s92, s92, exec_lo
.LBB49_171:                             ;   in Loop: Header=BB49_6 Depth=1
	s_or_b32 exec_lo, exec_lo, s90
	s_mov_b32 s93, 0
	s_and_saveexec_b32 s90, s92
	s_cbranch_execz .LBB49_221
; %bb.172:                              ;   in Loop: Header=BB49_6 Depth=1
	v_mov_b32_e32 v25, 1
	v_mov_b32_e32 v24, 1
	s_xor_b32 s44, s91, -1
	s_mov_b32 s95, 0
	s_and_saveexec_b32 s91, s44
	s_cbranch_execz .LBB49_181
; %bb.173:                              ;   in Loop: Header=BB49_6 Depth=1
	s_mov_b32 s44, exec_lo
	v_cmpx_ge_u32_e64 s19, v40
	s_xor_b32 s92, exec_lo, s44
	s_cbranch_execz .LBB49_178
; %bb.174:                              ;   in Loop: Header=BB49_6 Depth=1
	ds_read_b32 v6, v14 offset:4096
	v_and_b32_e32 v7, s15, v23
	v_and_b32_e32 v13, s14, v22
	s_lshl_b64 s[44:45], 2, s82
	v_or_b32_e32 v2, s13, v2
	v_or_b32_e32 v1, s12, v1
	;; [unrolled: 1-line block ×4, first 2 shown]
	s_waitcnt lgkmcnt(0)
	v_cmp_ne_u32_e32 vcc_lo, 0, v6
	s_cbranch_vccnz .LBB49_178
; %bb.175:                              ;   in Loop: Header=BB49_6 Depth=1
	s_and_saveexec_b32 s44, s3
; %bb.176:                              ;   in Loop: Header=BB49_6 Depth=1
	v_mov_b32_e32 v6, s19
	ds_write_b32 v14, v6 offset:4100
; %bb.177:                              ;   in Loop: Header=BB49_6 Depth=1
	s_or_b32 exec_lo, exec_lo, s44
	s_waitcnt lgkmcnt(0)
	s_barrier
	buffer_gl0_inv
.LBB49_178:                             ;   in Loop: Header=BB49_6 Depth=1
	s_or_saveexec_b32 s92, s92
	v_mov_b32_e32 v24, 8
	s_xor_b32 exec_lo, exec_lo, s92
; %bb.179:                              ;   in Loop: Header=BB49_6 Depth=1
	v_subrev_nc_u32_e32 v40, s19, v40
	v_mov_b32_e32 v24, 0
	s_mov_b32 s93, exec_lo
; %bb.180:                              ;   in Loop: Header=BB49_6 Depth=1
	s_or_b32 exec_lo, exec_lo, s92
	v_mov_b32_e32 v25, v40
	s_and_b32 s95, s93, exec_lo
.LBB49_181:                             ;   in Loop: Header=BB49_6 Depth=1
	s_or_b32 exec_lo, exec_lo, s91
	s_mov_b32 s92, -1
                                        ; implicit-def: $sgpr94
                                        ; implicit-def: $sgpr93
	s_and_saveexec_b32 s91, s95
	s_cbranch_execz .LBB49_220
; %bb.182:                              ;   in Loop: Header=BB49_6 Depth=1
	v_cmp_eq_u32_e32 vcc_lo, 1, v25
	s_cmp_eq_u32 s20, 1
	s_mov_b32 s96, -1
	s_cselect_b32 s44, -1, 0
                                        ; implicit-def: $sgpr94
                                        ; implicit-def: $sgpr93
	s_and_b32 s92, s44, vcc_lo
	s_and_saveexec_b32 s95, s92
	s_cbranch_execz .LBB49_208
; %bb.183:                              ;   in Loop: Header=BB49_6 Depth=1
	ds_read_b32 v6, v14 offset:4096
	s_waitcnt lgkmcnt(0)
	s_barrier
	buffer_gl0_inv
	v_readfirstlane_b32 s97, v6
	s_and_saveexec_b32 s44, s6
; %bb.184:                              ;   in Loop: Header=BB49_6 Depth=1
	v_mov_b32_e32 v13, v14
	ds_write_b64 v31, v[13:14]
; %bb.185:                              ;   in Loop: Header=BB49_6 Depth=1
	s_or_b32 exec_lo, exec_lo, s44
	v_or_b32_e32 v23, s13, v23
	v_or_b32_e32 v22, s12, v22
	v_or_b32_e32 v2, s13, v2
	v_or_b32_e32 v1, s12, v1
	s_mov_b32 s93, -1
	s_mov_b32 s94, 0
	s_cmp_eq_u32 s97, 0
	s_mov_b32 s96, 0
	s_mov_b32 s98, -1
	s_waitcnt lgkmcnt(0)
	s_barrier
	buffer_gl0_inv
                                        ; implicit-def: $vgpr8_vgpr9
	s_cbranch_scc1 .LBB49_196
; %bb.186:                              ;   in Loop: Header=BB49_6 Depth=1
	s_add_i32 s44, s97, s66
	s_mov_b32 s98, 0
	s_mul_hi_u32 s45, s44, s72
	s_mov_b32 s99, exec_lo
	s_mul_i32 s45, s45, s43
                                        ; implicit-def: $vgpr8_vgpr9
	s_sub_i32 s45, s44, s45
	s_sub_i32 s46, s45, s43
	s_cmp_ge_u32 s45, s43
	s_cselect_b32 s45, s46, s45
	s_sub_i32 s46, s45, s43
	s_cmp_ge_u32 s45, s43
	s_cselect_b32 s45, s46, s45
	s_sub_i32 s104, s44, s45
	v_cmpx_gt_u32_e64 s104, v0
	s_cbranch_execz .LBB49_195
; %bb.187:                              ;   in Loop: Header=BB49_6 Depth=1
	v_mov_b32_e32 v13, v29
	v_mov_b32_e32 v40, v0
                                        ; implicit-def: $vcc_hi
	s_inst_prefetch 0x1
	s_branch .LBB49_190
	.p2align	6
.LBB49_188:                             ;   in Loop: Header=BB49_190 Depth=2
	s_or_b32 exec_lo, exec_lo, s44
	s_waitcnt lgkmcnt(0)
	s_barrier
	buffer_gl0_inv
	ds_read_b128 v[6:9], v14 offset:3072
	s_mov_b32 s44, -1
	s_mov_b32 s45, -1
	s_waitcnt lgkmcnt(0)
	s_barrier
	buffer_gl0_inv
	v_cmp_ne_u64_e32 vcc_lo, 0, v[6:7]
	s_cbranch_vccz .LBB49_193
.LBB49_189:                             ;   in Loop: Header=BB49_190 Depth=2
	s_and_b32 s44, exec_lo, s44
	s_or_b32 s96, s44, s96
	s_andn2_b32 s44, vcc_hi, exec_lo
	s_and_b32 s45, s45, exec_lo
	s_or_b32 vcc_hi, s44, s45
	s_andn2_b32 exec_lo, exec_lo, s96
	s_cbranch_execz .LBB49_194
.LBB49_190:                             ;   Parent Loop BB49_6 Depth=1
                                        ; =>  This Inner Loop Header: Depth=2
	s_mov_b32 s44, exec_lo
	v_cmpx_gt_u32_e64 s97, v40
	s_cbranch_execz .LBB49_188
; %bb.191:                              ;   in Loop: Header=BB49_190 Depth=2
	ds_read_b64 v[7:8], v13
	s_waitcnt lgkmcnt(0)
	v_xor_b32_e32 v6, 0x80000000, v8
	v_and_b32_e32 v41, v7, v1
	v_and_b32_e32 v42, v6, v2
	v_cmp_eq_u64_e32 vcc_lo, v[41:42], v[22:23]
	s_and_b32 exec_lo, exec_lo, vcc_lo
	s_cbranch_execz .LBB49_188
; %bb.192:                              ;   in Loop: Header=BB49_190 Depth=2
	v_mov_b32_e32 v6, v14
	ds_write_b128 v14, v[5:8] offset:3072
	s_branch .LBB49_188
	.p2align	6
.LBB49_193:                             ;   in Loop: Header=BB49_190 Depth=2
	v_add_nc_u32_e32 v40, s43, v40
	v_add_nc_u32_e32 v13, s76, v13
	s_mov_b32 s45, 0
	v_cmp_le_u32_e32 vcc_lo, s104, v40
	s_orn2_b32 s44, vcc_lo, exec_lo
	s_branch .LBB49_189
.LBB49_194:                             ;   in Loop: Header=BB49_6 Depth=1
	s_inst_prefetch 0x2
	s_or_b32 exec_lo, exec_lo, s96
	s_and_b32 s96, vcc_hi, exec_lo
.LBB49_195:                             ;   in Loop: Header=BB49_6 Depth=1
	s_or_b32 exec_lo, exec_lo, s99
.LBB49_196:                             ;   in Loop: Header=BB49_6 Depth=1
	s_and_b32 vcc_lo, exec_lo, s98
	s_cbranch_vccz .LBB49_207
; %bb.197:                              ;   in Loop: Header=BB49_6 Depth=1
                                        ; implicit-def: $vgpr8_vgpr9
	s_and_saveexec_b32 s93, s9
	s_cbranch_execz .LBB49_206
; %bb.198:                              ;   in Loop: Header=BB49_6 Depth=1
	v_mov_b32_e32 v13, v12
	v_mov_b32_e32 v40, v0
	s_mov_b32 s94, 0
                                        ; implicit-def: $sgpr97
	s_inst_prefetch 0x1
	s_branch .LBB49_201
	.p2align	6
.LBB49_199:                             ;   in Loop: Header=BB49_201 Depth=2
	s_or_b32 exec_lo, exec_lo, s98
	s_waitcnt lgkmcnt(0)
	s_barrier
	buffer_gl0_inv
	ds_read_b128 v[6:9], v14 offset:3072
	s_mov_b32 s44, -1
	s_mov_b32 s45, -1
	s_waitcnt lgkmcnt(0)
	s_barrier
	buffer_gl0_inv
	v_cmp_eq_u64_e32 vcc_lo, 0, v[6:7]
	s_cbranch_vccnz .LBB49_204
.LBB49_200:                             ;   in Loop: Header=BB49_201 Depth=2
	s_and_b32 s44, exec_lo, s44
	s_or_b32 s94, s44, s94
	s_andn2_b32 s44, s97, exec_lo
	s_and_b32 s45, s45, exec_lo
	s_or_b32 s97, s44, s45
	s_andn2_b32 exec_lo, exec_lo, s94
	s_cbranch_execz .LBB49_205
.LBB49_201:                             ;   Parent Loop BB49_6 Depth=1
                                        ; =>  This Inner Loop Header: Depth=2
	s_mov_b32 s98, exec_lo
	v_cmpx_gt_u32_e64 s36, v40
	s_cbranch_execz .LBB49_199
; %bb.202:                              ;   in Loop: Header=BB49_201 Depth=2
	v_lshlrev_b64 v[6:7], 3, v[13:14]
	v_add_co_u32 v6, vcc_lo, s31, v6
	v_add_co_ci_u32_e64 v7, null, s33, v7, vcc_lo
	global_load_dwordx2 v[7:8], v[6:7], off
	s_waitcnt vmcnt(0)
	v_xor_b32_e32 v6, 0x80000000, v8
	v_and_b32_e32 v41, v7, v1
	v_and_b32_e32 v42, v6, v2
	v_cmp_eq_u64_e32 vcc_lo, v[41:42], v[22:23]
	s_and_b32 exec_lo, exec_lo, vcc_lo
	s_cbranch_execz .LBB49_199
; %bb.203:                              ;   in Loop: Header=BB49_201 Depth=2
	v_mov_b32_e32 v6, v14
	ds_write_b128 v14, v[5:8] offset:3072
	s_branch .LBB49_199
.LBB49_204:                             ;   in Loop: Header=BB49_201 Depth=2
	v_add_nc_u32_e32 v40, s43, v40
	v_add_nc_u32_e32 v13, s47, v13
	s_mov_b32 s45, 0
	v_cmp_le_u32_e32 vcc_lo, s73, v40
	s_orn2_b32 s44, vcc_lo, exec_lo
	s_branch .LBB49_200
.LBB49_205:                             ;   in Loop: Header=BB49_6 Depth=1
	s_inst_prefetch 0x2
	s_or_b32 exec_lo, exec_lo, s94
	s_andn2_b32 s44, s96, exec_lo
	s_and_b32 s45, s97, exec_lo
	s_or_b32 s96, s44, s45
.LBB49_206:                             ;   in Loop: Header=BB49_6 Depth=1
	s_or_b32 exec_lo, exec_lo, s93
	s_mov_b32 s93, 0
	s_mov_b32 s94, -1
.LBB49_207:                             ;   in Loop: Header=BB49_6 Depth=1
	s_orn2_b32 s96, s96, exec_lo
.LBB49_208:                             ;   in Loop: Header=BB49_6 Depth=1
	s_or_b32 exec_lo, exec_lo, s95
	s_mov_b32 s44, 0
	s_and_saveexec_b32 s95, s96
	s_cbranch_execz .LBB49_219
; %bb.209:                              ;   in Loop: Header=BB49_6 Depth=1
	v_mov_b32_e32 v24, 1
	v_mov_b32_e32 v6, 1
	s_xor_b32 s44, s92, -1
	s_and_saveexec_b32 s92, s44
	s_cbranch_execz .LBB49_218
; %bb.210:                              ;   in Loop: Header=BB49_6 Depth=1
	s_mov_b32 s44, exec_lo
	v_cmpx_ge_u32_e64 s20, v25
	s_xor_b32 s96, exec_lo, s44
	s_cbranch_execz .LBB49_215
; %bb.211:                              ;   in Loop: Header=BB49_6 Depth=1
	ds_read_b32 v6, v14 offset:4096
	v_or_b32_e32 v23, s13, v23
	v_or_b32_e32 v22, s12, v22
	;; [unrolled: 1-line block ×4, first 2 shown]
	s_waitcnt lgkmcnt(0)
	v_cmp_ne_u32_e32 vcc_lo, 0, v6
	s_cbranch_vccnz .LBB49_215
; %bb.212:                              ;   in Loop: Header=BB49_6 Depth=1
	s_and_saveexec_b32 s44, s3
; %bb.213:                              ;   in Loop: Header=BB49_6 Depth=1
	v_mov_b32_e32 v6, s20
	ds_write_b32 v14, v6 offset:4100
; %bb.214:                              ;   in Loop: Header=BB49_6 Depth=1
	s_or_b32 exec_lo, exec_lo, s44
	s_waitcnt lgkmcnt(0)
	s_barrier
	buffer_gl0_inv
.LBB49_215:                             ;   in Loop: Header=BB49_6 Depth=1
	s_andn2_saveexec_b32 s44, s96
; %bb.216:                              ;   in Loop: Header=BB49_6 Depth=1
	v_subrev_nc_u32_e32 v25, s20, v25
; %bb.217:                              ;   in Loop: Header=BB49_6 Depth=1
	s_or_b32 exec_lo, exec_lo, s44
	v_mov_b32_e32 v24, 8
	v_mov_b32_e32 v6, v25
.LBB49_218:                             ;   in Loop: Header=BB49_6 Depth=1
	s_or_b32 exec_lo, exec_lo, s92
	v_mov_b32_e32 v25, v6
	s_mov_b32 s44, exec_lo
.LBB49_219:                             ;   in Loop: Header=BB49_6 Depth=1
	s_or_b32 exec_lo, exec_lo, s95
	s_orn2_b32 s92, s44, exec_lo
.LBB49_220:                             ;   in Loop: Header=BB49_6 Depth=1
	s_or_b32 exec_lo, exec_lo, s91
	v_mov_b32_e32 v40, v25
	s_andn2_b32 s44, s89, exec_lo
	s_and_b32 s45, s94, exec_lo
	s_andn2_b32 s29, s29, exec_lo
	s_and_b32 s46, s93, exec_lo
	s_or_b32 s89, s44, s45
	s_or_b32 s29, s29, s46
	s_and_b32 s93, s92, exec_lo
.LBB49_221:                             ;   in Loop: Header=BB49_6 Depth=1
	s_or_b32 exec_lo, exec_lo, s90
	s_orn2_b32 s90, s93, exec_lo
.LBB49_222:                             ;   in Loop: Header=BB49_6 Depth=1
	s_or_b32 exec_lo, exec_lo, s28
	v_mov_b32_e32 v25, v40
	s_andn2_b32 s26, s26, exec_lo
	s_and_b32 s28, s89, exec_lo
	s_andn2_b32 s21, s21, exec_lo
	s_and_b32 s29, s29, exec_lo
	s_or_b32 s26, s26, s28
	s_or_b32 s21, s21, s29
	s_and_b32 s89, s90, exec_lo
.LBB49_223:                             ;   in Loop: Header=BB49_6 Depth=1
	s_or_b32 exec_lo, exec_lo, s27
	s_orn2_b32 s27, s89, exec_lo
.LBB49_224:                             ;   in Loop: Header=BB49_6 Depth=1
	s_or_b32 exec_lo, exec_lo, s11
	s_mov_b32 s28, 0
	s_mov_b32 s29, 0
	s_and_saveexec_b32 s11, s27
	s_xor_b32 s27, exec_lo, s11
; %bb.225:                              ;   in Loop: Header=BB49_6 Depth=1
	v_cmp_ne_u32_e32 vcc_lo, 8, v24
	v_cmp_eq_u32_e64 s11, 8, v24
	s_and_b32 s29, vcc_lo, exec_lo
	s_and_b32 s28, s11, exec_lo
; %bb.226:                              ;   in Loop: Header=BB49_6 Depth=1
	s_or_b32 exec_lo, exec_lo, s27
	s_andn2_b32 s11, s23, exec_lo
	s_and_b32 s23, s26, exec_lo
	s_andn2_b32 s22, s22, exec_lo
	s_and_b32 s21, s21, exec_lo
	s_or_b32 s23, s11, s23
	s_or_b32 s22, s22, s21
	s_and_b32 s11, s29, exec_lo
	s_and_b32 s21, s28, exec_lo
.LBB49_227:                             ;   in Loop: Header=BB49_6 Depth=1
	s_or_b32 exec_lo, exec_lo, s25
.LBB49_228:                             ;   in Loop: Header=BB49_6 Depth=1
	s_and_b32 vcc_lo, exec_lo, s24
	s_cbranch_vccz .LBB49_241
; %bb.229:                              ;   in Loop: Header=BB49_6 Depth=1
	s_cmp_eq_u32 s20, 1
	s_mov_b32 s23, -1
	s_cselect_b32 s16, -1, 0
                                        ; implicit-def: $sgpr24
	s_and_b32 s10, s16, s10
                                        ; implicit-def: $sgpr16
	s_and_saveexec_b32 s22, s10
	s_cbranch_execz .LBB49_256
; %bb.230:                              ;   in Loop: Header=BB49_6 Depth=1
	ds_read_b32 v1, v14 offset:4096
	s_waitcnt lgkmcnt(0)
	s_barrier
	buffer_gl0_inv
	v_readfirstlane_b32 s25, v1
	s_and_saveexec_b32 s16, s6
; %bb.231:                              ;   in Loop: Header=BB49_6 Depth=1
	v_mov_b32_e32 v13, v14
	ds_write_b64 v31, v[13:14]
; %bb.232:                              ;   in Loop: Header=BB49_6 Depth=1
	s_or_b32 exec_lo, exec_lo, s16
	v_or_b32_e32 v19, s13, v19
	v_or_b32_e32 v18, s12, v18
	;; [unrolled: 1-line block ×4, first 2 shown]
	s_mov_b32 s16, -1
	s_mov_b32 s24, 0
	s_cmp_eq_u32 s25, 0
	s_mov_b32 s23, 0
	s_mov_b32 s26, -1
	s_waitcnt lgkmcnt(0)
	s_barrier
	buffer_gl0_inv
                                        ; implicit-def: $vgpr3_vgpr4
	s_cbranch_scc1 .LBB49_244
; %bb.233:                              ;   in Loop: Header=BB49_6 Depth=1
	s_add_i32 s23, s25, s66
                                        ; implicit-def: $vgpr3_vgpr4
	s_mul_hi_u32 s26, s23, s72
	s_mul_i32 s26, s26, s43
	s_sub_i32 s26, s23, s26
	s_sub_i32 s27, s26, s43
	s_cmp_ge_u32 s26, s43
	s_cselect_b32 s26, s27, s26
	s_sub_i32 s27, s26, s43
	s_cmp_ge_u32 s26, s43
	s_cselect_b32 s26, s27, s26
	s_mov_b32 s27, exec_lo
	s_sub_i32 s28, s23, s26
	s_mov_b32 s26, 0
	s_mov_b32 s23, 0
	v_cmpx_gt_u32_e64 s28, v0
	s_cbranch_execz .LBB49_243
; %bb.234:                              ;   in Loop: Header=BB49_6 Depth=1
	v_mov_b32_e32 v9, v29
	v_mov_b32_e32 v13, v0
                                        ; implicit-def: $sgpr29
	s_inst_prefetch 0x1
	s_branch .LBB49_237
	.p2align	6
.LBB49_235:                             ;   in Loop: Header=BB49_237 Depth=2
	s_or_b32 exec_lo, exec_lo, s89
	s_waitcnt lgkmcnt(0)
	s_barrier
	buffer_gl0_inv
	ds_read_b128 v[1:4], v14 offset:3072
	s_mov_b32 s44, -1
	s_mov_b32 s45, -1
	s_waitcnt lgkmcnt(0)
	s_barrier
	buffer_gl0_inv
	v_cmp_ne_u64_e32 vcc_lo, 0, v[1:2]
	s_cbranch_vccz .LBB49_240
.LBB49_236:                             ;   in Loop: Header=BB49_237 Depth=2
	s_and_b32 s44, exec_lo, s44
	s_or_b32 s23, s44, s23
	s_andn2_b32 s29, s29, exec_lo
	s_and_b32 s44, s45, exec_lo
	s_or_b32 s29, s29, s44
	s_andn2_b32 exec_lo, exec_lo, s23
	s_cbranch_execz .LBB49_242
.LBB49_237:                             ;   Parent Loop BB49_6 Depth=1
                                        ; =>  This Inner Loop Header: Depth=2
	s_mov_b32 s89, exec_lo
	v_cmpx_gt_u32_e64 s25, v13
	s_cbranch_execz .LBB49_235
; %bb.238:                              ;   in Loop: Header=BB49_237 Depth=2
	ds_read_b64 v[7:8], v9
	s_waitcnt lgkmcnt(0)
	v_xor_b32_e32 v1, 0x80000000, v8
	v_and_b32_e32 v2, v1, v21
	v_and_b32_e32 v1, v7, v20
	v_cmp_eq_u64_e32 vcc_lo, v[1:2], v[18:19]
	s_and_b32 exec_lo, exec_lo, vcc_lo
	s_cbranch_execz .LBB49_235
; %bb.239:                              ;   in Loop: Header=BB49_237 Depth=2
	v_mov_b32_e32 v6, v14
	ds_write_b128 v14, v[5:8] offset:3072
	s_branch .LBB49_235
	.p2align	6
.LBB49_240:                             ;   in Loop: Header=BB49_237 Depth=2
	v_add_nc_u32_e32 v13, s43, v13
	v_add_nc_u32_e32 v9, s76, v9
	s_mov_b32 s45, 0
	v_cmp_le_u32_e32 vcc_lo, s28, v13
	s_orn2_b32 s44, vcc_lo, exec_lo
	s_branch .LBB49_236
.LBB49_241:                             ;   in Loop: Header=BB49_6 Depth=1
	v_mov_b32_e32 v18, v22
	v_mov_b32_e32 v21, v2
	;; [unrolled: 1-line block ×6, first 2 shown]
	s_mov_b32 s24, 0
	s_and_saveexec_b32 s10, s21
	s_cbranch_execnz .LBB49_387
	s_branch .LBB49_388
.LBB49_242:                             ;   in Loop: Header=BB49_6 Depth=1
	s_inst_prefetch 0x2
	s_or_b32 exec_lo, exec_lo, s23
	s_and_b32 s23, s29, exec_lo
.LBB49_243:                             ;   in Loop: Header=BB49_6 Depth=1
	s_or_b32 exec_lo, exec_lo, s27
.LBB49_244:                             ;   in Loop: Header=BB49_6 Depth=1
	s_and_b32 vcc_lo, exec_lo, s26
	s_cbranch_vccz .LBB49_255
; %bb.245:                              ;   in Loop: Header=BB49_6 Depth=1
                                        ; implicit-def: $vgpr3_vgpr4
	s_and_saveexec_b32 s16, s9
	s_cbranch_execz .LBB49_254
; %bb.246:                              ;   in Loop: Header=BB49_6 Depth=1
	v_mov_b32_e32 v13, v12
	v_mov_b32_e32 v9, v0
	s_mov_b32 s25, 0
                                        ; implicit-def: $sgpr24
	s_inst_prefetch 0x1
	s_branch .LBB49_249
	.p2align	6
.LBB49_247:                             ;   in Loop: Header=BB49_249 Depth=2
	s_or_b32 exec_lo, exec_lo, s26
	s_waitcnt lgkmcnt(0)
	s_barrier
	buffer_gl0_inv
	ds_read_b128 v[1:4], v14 offset:3072
	s_mov_b32 s26, -1
	s_mov_b32 s27, -1
	s_waitcnt lgkmcnt(0)
	s_barrier
	buffer_gl0_inv
	v_cmp_ne_u64_e32 vcc_lo, 0, v[1:2]
	s_cbranch_vccz .LBB49_252
.LBB49_248:                             ;   in Loop: Header=BB49_249 Depth=2
	s_and_b32 s26, exec_lo, s26
	s_or_b32 s25, s26, s25
	s_andn2_b32 s24, s24, exec_lo
	s_and_b32 s26, s27, exec_lo
	s_or_b32 s24, s24, s26
	s_andn2_b32 exec_lo, exec_lo, s25
	s_cbranch_execz .LBB49_253
.LBB49_249:                             ;   Parent Loop BB49_6 Depth=1
                                        ; =>  This Inner Loop Header: Depth=2
	s_mov_b32 s26, exec_lo
	v_cmpx_gt_u32_e64 s36, v9
	s_cbranch_execz .LBB49_247
; %bb.250:                              ;   in Loop: Header=BB49_249 Depth=2
	v_lshlrev_b64 v[1:2], 3, v[13:14]
	v_add_co_u32 v1, vcc_lo, s31, v1
	v_add_co_ci_u32_e64 v2, null, s33, v2, vcc_lo
	global_load_dwordx2 v[7:8], v[1:2], off
	s_waitcnt vmcnt(0)
	v_xor_b32_e32 v1, 0x80000000, v8
	v_and_b32_e32 v2, v1, v21
	v_and_b32_e32 v1, v7, v20
	v_cmp_eq_u64_e32 vcc_lo, v[1:2], v[18:19]
	s_and_b32 exec_lo, exec_lo, vcc_lo
	s_cbranch_execz .LBB49_247
; %bb.251:                              ;   in Loop: Header=BB49_249 Depth=2
	v_mov_b32_e32 v6, v14
	ds_write_b128 v14, v[5:8] offset:3072
	s_branch .LBB49_247
.LBB49_252:                             ;   in Loop: Header=BB49_249 Depth=2
	v_add_nc_u32_e32 v9, s43, v9
	v_add_nc_u32_e32 v13, s47, v13
	s_mov_b32 s27, 0
	v_cmp_le_u32_e32 vcc_lo, s73, v9
	s_orn2_b32 s26, vcc_lo, exec_lo
	s_branch .LBB49_248
.LBB49_253:                             ;   in Loop: Header=BB49_6 Depth=1
	s_inst_prefetch 0x2
	s_or_b32 exec_lo, exec_lo, s25
	s_andn2_b32 s23, s23, exec_lo
	s_and_b32 s24, s24, exec_lo
	s_or_b32 s23, s23, s24
.LBB49_254:                             ;   in Loop: Header=BB49_6 Depth=1
	s_or_b32 exec_lo, exec_lo, s16
	s_mov_b32 s16, 0
	s_mov_b32 s24, -1
.LBB49_255:                             ;   in Loop: Header=BB49_6 Depth=1
	s_orn2_b32 s23, s23, exec_lo
.LBB49_256:                             ;   in Loop: Header=BB49_6 Depth=1
	s_or_b32 exec_lo, exec_lo, s22
                                        ; implicit-def: $vgpr25
                                        ; implicit-def: $vgpr24
	s_and_saveexec_b32 s22, s23
	s_cbranch_execz .LBB49_386
; %bb.257:                              ;   in Loop: Header=BB49_6 Depth=1
	v_mov_b32_e32 v25, 1
	v_mov_b32_e32 v24, 1
	s_xor_b32 s23, s10, -1
	s_mov_b32 s26, 0
	s_and_saveexec_b32 s10, s23
	s_cbranch_execz .LBB49_266
; %bb.258:                              ;   in Loop: Header=BB49_6 Depth=1
	s_mov_b32 s23, exec_lo
	v_cmpx_ge_u32_e64 s20, v39
	s_xor_b32 s23, exec_lo, s23
	s_cbranch_execz .LBB49_263
; %bb.259:                              ;   in Loop: Header=BB49_6 Depth=1
	ds_read_b32 v1, v14 offset:4096
	v_or_b32_e32 v19, s13, v19
	v_or_b32_e32 v18, s12, v18
	;; [unrolled: 1-line block ×4, first 2 shown]
	s_waitcnt lgkmcnt(0)
	v_cmp_ne_u32_e32 vcc_lo, 0, v1
	s_cbranch_vccnz .LBB49_263
; %bb.260:                              ;   in Loop: Header=BB49_6 Depth=1
	s_and_saveexec_b32 s25, s3
; %bb.261:                              ;   in Loop: Header=BB49_6 Depth=1
	v_mov_b32_e32 v1, s20
	ds_write_b32 v14, v1 offset:4100
; %bb.262:                              ;   in Loop: Header=BB49_6 Depth=1
	s_or_b32 exec_lo, exec_lo, s25
	s_waitcnt lgkmcnt(0)
	s_barrier
	buffer_gl0_inv
.LBB49_263:                             ;   in Loop: Header=BB49_6 Depth=1
	s_or_saveexec_b32 s23, s23
	v_mov_b32_e32 v24, 5
	s_mov_b32 s25, 0
	s_xor_b32 exec_lo, exec_lo, s23
; %bb.264:                              ;   in Loop: Header=BB49_6 Depth=1
	v_subrev_nc_u32_e32 v39, s20, v39
	v_mov_b32_e32 v24, 0
	s_mov_b32 s25, exec_lo
; %bb.265:                              ;   in Loop: Header=BB49_6 Depth=1
	s_or_b32 exec_lo, exec_lo, s23
	v_mov_b32_e32 v25, v39
	s_and_b32 s26, s25, exec_lo
.LBB49_266:                             ;   in Loop: Header=BB49_6 Depth=1
	s_or_b32 exec_lo, exec_lo, s10
	s_mov_b32 s25, -1
                                        ; implicit-def: $sgpr20
                                        ; implicit-def: $sgpr23
	s_and_saveexec_b32 s10, s26
	s_xor_b32 s10, exec_lo, s10
	s_cbranch_execz .LBB49_383
; %bb.267:                              ;   in Loop: Header=BB49_6 Depth=1
	v_cmp_eq_u32_e32 vcc_lo, 1, v25
	s_cmp_eq_u32 s19, 1
	s_mov_b32 s27, -1
	s_cselect_b32 s20, -1, 0
                                        ; implicit-def: $sgpr23
	s_and_b32 s26, s20, vcc_lo
                                        ; implicit-def: $sgpr20
	s_and_saveexec_b32 s25, s26
	s_cbranch_execz .LBB49_293
; %bb.268:                              ;   in Loop: Header=BB49_6 Depth=1
	ds_read_b32 v1, v14 offset:4096
	s_waitcnt lgkmcnt(0)
	s_barrier
	buffer_gl0_inv
	v_readfirstlane_b32 s28, v1
	s_and_saveexec_b32 s20, s6
; %bb.269:                              ;   in Loop: Header=BB49_6 Depth=1
	v_mov_b32_e32 v13, v14
	ds_write_b64 v31, v[13:14]
; %bb.270:                              ;   in Loop: Header=BB49_6 Depth=1
	s_or_b32 exec_lo, exec_lo, s20
	v_and_b32_e32 v1, s15, v19
	v_and_b32_e32 v2, s14, v18
	s_lshl_b64 s[44:45], 2, s82
	v_or_b32_e32 v21, s13, v21
	v_or_b32_e32 v20, s12, v20
	;; [unrolled: 1-line block ×4, first 2 shown]
	s_mov_b32 s20, -1
	s_mov_b32 s23, 0
	s_cmp_eq_u32 s28, 0
	s_mov_b32 s27, 0
	s_mov_b32 s29, -1
	s_waitcnt lgkmcnt(0)
	s_barrier
	buffer_gl0_inv
                                        ; implicit-def: $vgpr3_vgpr4
	s_cbranch_scc1 .LBB49_281
; %bb.271:                              ;   in Loop: Header=BB49_6 Depth=1
	s_add_i32 s27, s28, s66
	s_mov_b32 s89, exec_lo
	s_mul_hi_u32 s29, s27, s72
                                        ; implicit-def: $vgpr3_vgpr4
	s_mul_i32 s29, s29, s43
	s_sub_i32 s29, s27, s29
	s_sub_i32 s44, s29, s43
	s_cmp_ge_u32 s29, s43
	s_cselect_b32 s29, s44, s29
	s_sub_i32 s44, s29, s43
	s_cmp_ge_u32 s29, s43
	s_cselect_b32 s29, s44, s29
	s_sub_i32 s90, s27, s29
	s_mov_b32 s29, 0
	s_mov_b32 s27, 0
	v_cmpx_gt_u32_e64 s90, v0
	s_cbranch_execz .LBB49_280
; %bb.272:                              ;   in Loop: Header=BB49_6 Depth=1
	v_mov_b32_e32 v9, v29
	v_mov_b32_e32 v13, v0
                                        ; implicit-def: $sgpr91
	s_inst_prefetch 0x1
	s_branch .LBB49_275
	.p2align	6
.LBB49_273:                             ;   in Loop: Header=BB49_275 Depth=2
	s_or_b32 exec_lo, exec_lo, s92
	s_waitcnt lgkmcnt(0)
	s_barrier
	buffer_gl0_inv
	ds_read_b128 v[1:4], v14 offset:3072
	s_mov_b32 s44, -1
	s_mov_b32 s45, -1
	s_waitcnt lgkmcnt(0)
	s_barrier
	buffer_gl0_inv
	v_cmp_ne_u64_e32 vcc_lo, 0, v[1:2]
	s_cbranch_vccz .LBB49_278
.LBB49_274:                             ;   in Loop: Header=BB49_275 Depth=2
	s_and_b32 s44, exec_lo, s44
	s_or_b32 s27, s44, s27
	s_andn2_b32 s44, s91, exec_lo
	s_and_b32 s45, s45, exec_lo
	s_or_b32 s91, s44, s45
	s_andn2_b32 exec_lo, exec_lo, s27
	s_cbranch_execz .LBB49_279
.LBB49_275:                             ;   Parent Loop BB49_6 Depth=1
                                        ; =>  This Inner Loop Header: Depth=2
	s_mov_b32 s92, exec_lo
	v_cmpx_gt_u32_e64 s28, v13
	s_cbranch_execz .LBB49_273
; %bb.276:                              ;   in Loop: Header=BB49_275 Depth=2
	ds_read_b64 v[7:8], v9
	s_waitcnt lgkmcnt(0)
	v_xor_b32_e32 v1, 0x80000000, v8
	v_and_b32_e32 v2, v1, v21
	v_and_b32_e32 v1, v7, v20
	v_cmp_eq_u64_e32 vcc_lo, v[1:2], v[18:19]
	s_and_b32 exec_lo, exec_lo, vcc_lo
	s_cbranch_execz .LBB49_273
; %bb.277:                              ;   in Loop: Header=BB49_275 Depth=2
	v_mov_b32_e32 v6, v14
	ds_write_b128 v14, v[5:8] offset:3072
	s_branch .LBB49_273
	.p2align	6
.LBB49_278:                             ;   in Loop: Header=BB49_275 Depth=2
	v_add_nc_u32_e32 v13, s43, v13
	v_add_nc_u32_e32 v9, s76, v9
	s_mov_b32 s45, 0
	v_cmp_le_u32_e32 vcc_lo, s90, v13
	s_orn2_b32 s44, vcc_lo, exec_lo
	s_branch .LBB49_274
.LBB49_279:                             ;   in Loop: Header=BB49_6 Depth=1
	s_inst_prefetch 0x2
	s_or_b32 exec_lo, exec_lo, s27
	s_and_b32 s27, s91, exec_lo
.LBB49_280:                             ;   in Loop: Header=BB49_6 Depth=1
	s_or_b32 exec_lo, exec_lo, s89
.LBB49_281:                             ;   in Loop: Header=BB49_6 Depth=1
	s_and_b32 vcc_lo, exec_lo, s29
	s_cbranch_vccz .LBB49_292
; %bb.282:                              ;   in Loop: Header=BB49_6 Depth=1
                                        ; implicit-def: $vgpr3_vgpr4
	s_and_saveexec_b32 s20, s9
	s_cbranch_execz .LBB49_291
; %bb.283:                              ;   in Loop: Header=BB49_6 Depth=1
	v_mov_b32_e32 v13, v12
	v_mov_b32_e32 v9, v0
	s_mov_b32 s23, 0
                                        ; implicit-def: $sgpr28
	s_inst_prefetch 0x1
	s_branch .LBB49_286
	.p2align	6
.LBB49_284:                             ;   in Loop: Header=BB49_286 Depth=2
	s_or_b32 exec_lo, exec_lo, s29
	s_waitcnt lgkmcnt(0)
	s_barrier
	buffer_gl0_inv
	ds_read_b128 v[1:4], v14 offset:3072
	s_mov_b32 s29, -1
	s_mov_b32 s44, -1
	s_waitcnt lgkmcnt(0)
	s_barrier
	buffer_gl0_inv
	v_cmp_eq_u64_e32 vcc_lo, 0, v[1:2]
	s_cbranch_vccnz .LBB49_289
.LBB49_285:                             ;   in Loop: Header=BB49_286 Depth=2
	s_and_b32 s29, exec_lo, s29
	s_or_b32 s23, s29, s23
	s_andn2_b32 s28, s28, exec_lo
	s_and_b32 s29, s44, exec_lo
	s_or_b32 s28, s28, s29
	s_andn2_b32 exec_lo, exec_lo, s23
	s_cbranch_execz .LBB49_290
.LBB49_286:                             ;   Parent Loop BB49_6 Depth=1
                                        ; =>  This Inner Loop Header: Depth=2
	s_mov_b32 s29, exec_lo
	v_cmpx_gt_u32_e64 s36, v9
	s_cbranch_execz .LBB49_284
; %bb.287:                              ;   in Loop: Header=BB49_286 Depth=2
	v_lshlrev_b64 v[1:2], 3, v[13:14]
	v_add_co_u32 v1, vcc_lo, s31, v1
	v_add_co_ci_u32_e64 v2, null, s33, v2, vcc_lo
	global_load_dwordx2 v[7:8], v[1:2], off
	s_waitcnt vmcnt(0)
	v_xor_b32_e32 v1, 0x80000000, v8
	v_and_b32_e32 v2, v1, v21
	v_and_b32_e32 v1, v7, v20
	v_cmp_eq_u64_e32 vcc_lo, v[1:2], v[18:19]
	s_and_b32 exec_lo, exec_lo, vcc_lo
	s_cbranch_execz .LBB49_284
; %bb.288:                              ;   in Loop: Header=BB49_286 Depth=2
	v_mov_b32_e32 v6, v14
	ds_write_b128 v14, v[5:8] offset:3072
	s_branch .LBB49_284
.LBB49_289:                             ;   in Loop: Header=BB49_286 Depth=2
	v_add_nc_u32_e32 v9, s43, v9
	v_add_nc_u32_e32 v13, s47, v13
	s_mov_b32 s44, 0
	v_cmp_le_u32_e32 vcc_lo, s73, v9
	s_orn2_b32 s29, vcc_lo, exec_lo
	s_branch .LBB49_285
.LBB49_290:                             ;   in Loop: Header=BB49_6 Depth=1
	s_inst_prefetch 0x2
	s_or_b32 exec_lo, exec_lo, s23
	s_andn2_b32 s23, s27, exec_lo
	s_and_b32 s27, s28, exec_lo
	s_or_b32 s27, s23, s27
.LBB49_291:                             ;   in Loop: Header=BB49_6 Depth=1
	s_or_b32 exec_lo, exec_lo, s20
	s_mov_b32 s20, 0
	s_mov_b32 s23, -1
.LBB49_292:                             ;   in Loop: Header=BB49_6 Depth=1
	s_orn2_b32 s27, s27, exec_lo
.LBB49_293:                             ;   in Loop: Header=BB49_6 Depth=1
	s_or_b32 exec_lo, exec_lo, s25
	s_mov_b32 s28, 0
	s_and_saveexec_b32 s25, s27
	s_cbranch_execz .LBB49_382
; %bb.294:                              ;   in Loop: Header=BB49_6 Depth=1
	v_mov_b32_e32 v9, 1
	v_mov_b32_e32 v24, 1
	s_xor_b32 s27, s26, -1
	s_mov_b32 s29, 0
	s_and_saveexec_b32 s26, s27
	s_cbranch_execz .LBB49_303
; %bb.295:                              ;   in Loop: Header=BB49_6 Depth=1
	s_mov_b32 s27, exec_lo
	v_cmpx_ge_u32_e64 s19, v25
	s_xor_b32 s27, exec_lo, s27
	s_cbranch_execz .LBB49_300
; %bb.296:                              ;   in Loop: Header=BB49_6 Depth=1
	ds_read_b32 v1, v14 offset:4096
	v_and_b32_e32 v2, s15, v19
	v_and_b32_e32 v6, s14, v18
	s_lshl_b64 s[28:29], 2, s82
	v_or_b32_e32 v21, s13, v21
	v_or_b32_e32 v20, s12, v20
	;; [unrolled: 1-line block ×4, first 2 shown]
	s_waitcnt lgkmcnt(0)
	v_cmp_ne_u32_e32 vcc_lo, 0, v1
	s_cbranch_vccnz .LBB49_300
; %bb.297:                              ;   in Loop: Header=BB49_6 Depth=1
	s_and_saveexec_b32 s28, s3
; %bb.298:                              ;   in Loop: Header=BB49_6 Depth=1
	v_mov_b32_e32 v1, s19
	ds_write_b32 v14, v1 offset:4100
; %bb.299:                              ;   in Loop: Header=BB49_6 Depth=1
	s_or_b32 exec_lo, exec_lo, s28
	s_waitcnt lgkmcnt(0)
	s_barrier
	buffer_gl0_inv
.LBB49_300:                             ;   in Loop: Header=BB49_6 Depth=1
	s_or_saveexec_b32 s27, s27
	v_mov_b32_e32 v24, 5
	s_mov_b32 s28, 0
	s_xor_b32 exec_lo, exec_lo, s27
; %bb.301:                              ;   in Loop: Header=BB49_6 Depth=1
	v_subrev_nc_u32_e32 v25, s19, v25
	v_mov_b32_e32 v24, 0
	s_mov_b32 s28, exec_lo
; %bb.302:                              ;   in Loop: Header=BB49_6 Depth=1
	s_or_b32 exec_lo, exec_lo, s27
	v_mov_b32_e32 v9, v25
	s_and_b32 s29, s28, exec_lo
.LBB49_303:                             ;   in Loop: Header=BB49_6 Depth=1
	s_or_b32 exec_lo, exec_lo, s26
	s_mov_b32 s28, -1
                                        ; implicit-def: $sgpr26
                                        ; implicit-def: $sgpr27
	s_and_saveexec_b32 s19, s29
	s_cbranch_execz .LBB49_381
; %bb.304:                              ;   in Loop: Header=BB49_6 Depth=1
	v_cmp_eq_u32_e32 vcc_lo, 1, v9
	s_cmp_eq_u32 s18, 1
	s_mov_b32 s89, -1
	s_cselect_b32 s26, -1, 0
                                        ; implicit-def: $sgpr27
	s_and_b32 s29, s26, vcc_lo
                                        ; implicit-def: $sgpr26
	s_and_saveexec_b32 s28, s29
	s_cbranch_execz .LBB49_330
; %bb.305:                              ;   in Loop: Header=BB49_6 Depth=1
	ds_read_b32 v1, v14 offset:4096
	s_waitcnt lgkmcnt(0)
	s_barrier
	buffer_gl0_inv
	v_readfirstlane_b32 s90, v1
	s_and_saveexec_b32 s26, s6
; %bb.306:                              ;   in Loop: Header=BB49_6 Depth=1
	v_mov_b32_e32 v13, v14
	ds_write_b64 v31, v[13:14]
; %bb.307:                              ;   in Loop: Header=BB49_6 Depth=1
	s_or_b32 exec_lo, exec_lo, s26
	v_and_b32_e32 v1, s15, v19
	v_and_b32_e32 v2, s14, v18
	s_lshl_b64 s[26:27], 1, s82
	v_or_b32_e32 v21, s13, v21
	v_or_b32_e32 v20, s12, v20
	;; [unrolled: 1-line block ×4, first 2 shown]
	s_mov_b32 s26, -1
	s_mov_b32 s27, 0
	s_cmp_eq_u32 s90, 0
	s_mov_b32 s89, 0
	s_mov_b32 s91, -1
	s_waitcnt lgkmcnt(0)
	s_barrier
	buffer_gl0_inv
                                        ; implicit-def: $vgpr3_vgpr4
	s_cbranch_scc1 .LBB49_318
; %bb.308:                              ;   in Loop: Header=BB49_6 Depth=1
	s_add_i32 s44, s90, s66
	s_mov_b32 s91, 0
	s_mul_hi_u32 s45, s44, s72
	s_mov_b32 s92, exec_lo
	s_mul_i32 s45, s45, s43
                                        ; implicit-def: $vgpr3_vgpr4
	s_sub_i32 s45, s44, s45
	s_sub_i32 s46, s45, s43
	s_cmp_ge_u32 s45, s43
	s_cselect_b32 s45, s46, s45
	s_sub_i32 s46, s45, s43
	s_cmp_ge_u32 s45, s43
	s_cselect_b32 s45, s46, s45
	s_sub_i32 s93, s44, s45
	v_cmpx_gt_u32_e64 s93, v0
	s_cbranch_execz .LBB49_317
; %bb.309:                              ;   in Loop: Header=BB49_6 Depth=1
	v_mov_b32_e32 v13, v29
	v_mov_b32_e32 v22, v0
                                        ; implicit-def: $sgpr94
	s_inst_prefetch 0x1
	s_branch .LBB49_312
	.p2align	6
.LBB49_310:                             ;   in Loop: Header=BB49_312 Depth=2
	s_or_b32 exec_lo, exec_lo, s95
	s_waitcnt lgkmcnt(0)
	s_barrier
	buffer_gl0_inv
	ds_read_b128 v[1:4], v14 offset:3072
	s_mov_b32 s44, -1
	s_mov_b32 s45, -1
	s_waitcnt lgkmcnt(0)
	s_barrier
	buffer_gl0_inv
	v_cmp_ne_u64_e32 vcc_lo, 0, v[1:2]
	s_cbranch_vccz .LBB49_315
.LBB49_311:                             ;   in Loop: Header=BB49_312 Depth=2
	s_and_b32 s44, exec_lo, s44
	s_or_b32 s89, s44, s89
	s_andn2_b32 s44, s94, exec_lo
	s_and_b32 s45, s45, exec_lo
	s_or_b32 s94, s44, s45
	s_andn2_b32 exec_lo, exec_lo, s89
	s_cbranch_execz .LBB49_316
.LBB49_312:                             ;   Parent Loop BB49_6 Depth=1
                                        ; =>  This Inner Loop Header: Depth=2
	s_mov_b32 s95, exec_lo
	v_cmpx_gt_u32_e64 s90, v22
	s_cbranch_execz .LBB49_310
; %bb.313:                              ;   in Loop: Header=BB49_312 Depth=2
	ds_read_b64 v[7:8], v13
	s_waitcnt lgkmcnt(0)
	v_xor_b32_e32 v1, 0x80000000, v8
	v_and_b32_e32 v2, v1, v21
	v_and_b32_e32 v1, v7, v20
	v_cmp_eq_u64_e32 vcc_lo, v[1:2], v[18:19]
	s_and_b32 exec_lo, exec_lo, vcc_lo
	s_cbranch_execz .LBB49_310
; %bb.314:                              ;   in Loop: Header=BB49_312 Depth=2
	v_mov_b32_e32 v6, v14
	ds_write_b128 v14, v[5:8] offset:3072
	s_branch .LBB49_310
	.p2align	6
.LBB49_315:                             ;   in Loop: Header=BB49_312 Depth=2
	v_add_nc_u32_e32 v22, s43, v22
	v_add_nc_u32_e32 v13, s76, v13
	s_mov_b32 s45, 0
	v_cmp_le_u32_e32 vcc_lo, s93, v22
	s_orn2_b32 s44, vcc_lo, exec_lo
	s_branch .LBB49_311
.LBB49_316:                             ;   in Loop: Header=BB49_6 Depth=1
	s_inst_prefetch 0x2
	s_or_b32 exec_lo, exec_lo, s89
	s_and_b32 s89, s94, exec_lo
.LBB49_317:                             ;   in Loop: Header=BB49_6 Depth=1
	s_or_b32 exec_lo, exec_lo, s92
.LBB49_318:                             ;   in Loop: Header=BB49_6 Depth=1
	s_and_b32 vcc_lo, exec_lo, s91
	s_cbranch_vccz .LBB49_329
; %bb.319:                              ;   in Loop: Header=BB49_6 Depth=1
                                        ; implicit-def: $vgpr3_vgpr4
	s_and_saveexec_b32 s26, s9
	s_cbranch_execz .LBB49_328
; %bb.320:                              ;   in Loop: Header=BB49_6 Depth=1
	v_mov_b32_e32 v13, v12
	v_mov_b32_e32 v22, v0
	s_mov_b32 s27, 0
                                        ; implicit-def: $sgpr90
	s_inst_prefetch 0x1
	s_branch .LBB49_323
	.p2align	6
.LBB49_321:                             ;   in Loop: Header=BB49_323 Depth=2
	s_or_b32 exec_lo, exec_lo, s91
	s_waitcnt lgkmcnt(0)
	s_barrier
	buffer_gl0_inv
	ds_read_b128 v[1:4], v14 offset:3072
	s_mov_b32 s44, -1
	s_mov_b32 s45, -1
	s_waitcnt lgkmcnt(0)
	s_barrier
	buffer_gl0_inv
	v_cmp_eq_u64_e32 vcc_lo, 0, v[1:2]
	s_cbranch_vccnz .LBB49_326
.LBB49_322:                             ;   in Loop: Header=BB49_323 Depth=2
	s_and_b32 s44, exec_lo, s44
	s_or_b32 s27, s44, s27
	s_andn2_b32 s44, s90, exec_lo
	s_and_b32 s45, s45, exec_lo
	s_or_b32 s90, s44, s45
	s_andn2_b32 exec_lo, exec_lo, s27
	s_cbranch_execz .LBB49_327
.LBB49_323:                             ;   Parent Loop BB49_6 Depth=1
                                        ; =>  This Inner Loop Header: Depth=2
	s_mov_b32 s91, exec_lo
	v_cmpx_gt_u32_e64 s36, v22
	s_cbranch_execz .LBB49_321
; %bb.324:                              ;   in Loop: Header=BB49_323 Depth=2
	v_lshlrev_b64 v[1:2], 3, v[13:14]
	v_add_co_u32 v1, vcc_lo, s31, v1
	v_add_co_ci_u32_e64 v2, null, s33, v2, vcc_lo
	global_load_dwordx2 v[7:8], v[1:2], off
	s_waitcnt vmcnt(0)
	v_xor_b32_e32 v1, 0x80000000, v8
	v_and_b32_e32 v2, v1, v21
	v_and_b32_e32 v1, v7, v20
	v_cmp_eq_u64_e32 vcc_lo, v[1:2], v[18:19]
	s_and_b32 exec_lo, exec_lo, vcc_lo
	s_cbranch_execz .LBB49_321
; %bb.325:                              ;   in Loop: Header=BB49_323 Depth=2
	v_mov_b32_e32 v6, v14
	ds_write_b128 v14, v[5:8] offset:3072
	s_branch .LBB49_321
.LBB49_326:                             ;   in Loop: Header=BB49_323 Depth=2
	v_add_nc_u32_e32 v22, s43, v22
	v_add_nc_u32_e32 v13, s47, v13
	s_mov_b32 s45, 0
	v_cmp_le_u32_e32 vcc_lo, s73, v22
	s_orn2_b32 s44, vcc_lo, exec_lo
	s_branch .LBB49_322
.LBB49_327:                             ;   in Loop: Header=BB49_6 Depth=1
	s_inst_prefetch 0x2
	s_or_b32 exec_lo, exec_lo, s27
	s_andn2_b32 s27, s89, exec_lo
	s_and_b32 s44, s90, exec_lo
	s_or_b32 s89, s27, s44
.LBB49_328:                             ;   in Loop: Header=BB49_6 Depth=1
	s_or_b32 exec_lo, exec_lo, s26
	s_mov_b32 s26, 0
	s_mov_b32 s27, -1
.LBB49_329:                             ;   in Loop: Header=BB49_6 Depth=1
	s_orn2_b32 s89, s89, exec_lo
.LBB49_330:                             ;   in Loop: Header=BB49_6 Depth=1
	s_or_b32 exec_lo, exec_lo, s28
	s_mov_b32 s90, 0
	s_and_saveexec_b32 s28, s89
	s_cbranch_execz .LBB49_380
; %bb.331:                              ;   in Loop: Header=BB49_6 Depth=1
	v_mov_b32_e32 v22, 1
	v_mov_b32_e32 v24, 1
	s_xor_b32 s44, s29, -1
	s_mov_b32 s91, 0
	s_and_saveexec_b32 s29, s44
	s_cbranch_execz .LBB49_340
; %bb.332:                              ;   in Loop: Header=BB49_6 Depth=1
	s_mov_b32 s44, exec_lo
	v_cmpx_ge_u32_e64 s18, v9
	s_xor_b32 s89, exec_lo, s44
	s_cbranch_execz .LBB49_337
; %bb.333:                              ;   in Loop: Header=BB49_6 Depth=1
	ds_read_b32 v1, v14 offset:4096
	v_and_b32_e32 v2, s15, v19
	v_and_b32_e32 v6, s14, v18
	s_lshl_b64 s[44:45], 1, s82
	v_or_b32_e32 v21, s13, v21
	v_or_b32_e32 v20, s12, v20
	;; [unrolled: 1-line block ×4, first 2 shown]
	s_waitcnt lgkmcnt(0)
	v_cmp_ne_u32_e32 vcc_lo, 0, v1
	s_cbranch_vccnz .LBB49_337
; %bb.334:                              ;   in Loop: Header=BB49_6 Depth=1
	s_and_saveexec_b32 s44, s3
; %bb.335:                              ;   in Loop: Header=BB49_6 Depth=1
	v_mov_b32_e32 v1, s18
	ds_write_b32 v14, v1 offset:4100
; %bb.336:                              ;   in Loop: Header=BB49_6 Depth=1
	s_or_b32 exec_lo, exec_lo, s44
	s_waitcnt lgkmcnt(0)
	s_barrier
	buffer_gl0_inv
.LBB49_337:                             ;   in Loop: Header=BB49_6 Depth=1
	s_or_saveexec_b32 s89, s89
	v_mov_b32_e32 v24, 5
	s_xor_b32 exec_lo, exec_lo, s89
; %bb.338:                              ;   in Loop: Header=BB49_6 Depth=1
	v_subrev_nc_u32_e32 v9, s18, v9
	v_mov_b32_e32 v24, 0
	s_mov_b32 s90, exec_lo
; %bb.339:                              ;   in Loop: Header=BB49_6 Depth=1
	s_or_b32 exec_lo, exec_lo, s89
	v_mov_b32_e32 v22, v9
	s_and_b32 s91, s90, exec_lo
.LBB49_340:                             ;   in Loop: Header=BB49_6 Depth=1
	s_or_b32 exec_lo, exec_lo, s29
	s_mov_b32 s29, -1
                                        ; implicit-def: $sgpr90
                                        ; implicit-def: $sgpr89
	s_and_saveexec_b32 s18, s91
	s_cbranch_execz .LBB49_379
; %bb.341:                              ;   in Loop: Header=BB49_6 Depth=1
	v_cmp_eq_u32_e32 vcc_lo, 1, v22
	s_cmp_eq_u32 s17, 1
	s_mov_b32 s92, -1
	s_cselect_b32 s29, -1, 0
                                        ; implicit-def: $sgpr90
                                        ; implicit-def: $sgpr89
	s_and_b32 s29, s29, vcc_lo
	s_and_saveexec_b32 s91, s29
	s_cbranch_execz .LBB49_367
; %bb.342:                              ;   in Loop: Header=BB49_6 Depth=1
	ds_read_b32 v1, v14 offset:4096
	s_waitcnt lgkmcnt(0)
	s_barrier
	buffer_gl0_inv
	v_readfirstlane_b32 s93, v1
	s_and_saveexec_b32 s44, s6
; %bb.343:                              ;   in Loop: Header=BB49_6 Depth=1
	v_mov_b32_e32 v13, v14
	ds_write_b64 v31, v[13:14]
; %bb.344:                              ;   in Loop: Header=BB49_6 Depth=1
	s_or_b32 exec_lo, exec_lo, s44
	v_and_b32_e32 v19, s15, v19
	v_and_b32_e32 v18, s14, v18
	v_or_b32_e32 v21, s13, v21
	v_or_b32_e32 v20, s12, v20
	s_mov_b32 s89, -1
	s_mov_b32 s90, 0
	s_cmp_eq_u32 s93, 0
	s_mov_b32 s92, 0
	s_mov_b32 s94, -1
	s_waitcnt lgkmcnt(0)
	s_barrier
	buffer_gl0_inv
                                        ; implicit-def: $vgpr3_vgpr4
	s_cbranch_scc1 .LBB49_355
; %bb.345:                              ;   in Loop: Header=BB49_6 Depth=1
	s_add_i32 s44, s93, s66
	s_mov_b32 s94, 0
	s_mul_hi_u32 s45, s44, s72
	s_mov_b32 s95, exec_lo
	s_mul_i32 s45, s45, s43
                                        ; implicit-def: $vgpr3_vgpr4
	s_sub_i32 s45, s44, s45
	s_sub_i32 s46, s45, s43
	s_cmp_ge_u32 s45, s43
	s_cselect_b32 s45, s46, s45
	s_sub_i32 s46, s45, s43
	s_cmp_ge_u32 s45, s43
	s_cselect_b32 s45, s46, s45
	s_sub_i32 s96, s44, s45
	v_cmpx_gt_u32_e64 s96, v0
	s_cbranch_execz .LBB49_354
; %bb.346:                              ;   in Loop: Header=BB49_6 Depth=1
	v_mov_b32_e32 v9, v29
	v_mov_b32_e32 v13, v0
                                        ; implicit-def: $sgpr97
	s_inst_prefetch 0x1
	s_branch .LBB49_349
	.p2align	6
.LBB49_347:                             ;   in Loop: Header=BB49_349 Depth=2
	s_or_b32 exec_lo, exec_lo, s98
	s_waitcnt lgkmcnt(0)
	s_barrier
	buffer_gl0_inv
	ds_read_b128 v[1:4], v14 offset:3072
	s_mov_b32 s44, -1
	s_mov_b32 s45, -1
	s_waitcnt lgkmcnt(0)
	s_barrier
	buffer_gl0_inv
	v_cmp_ne_u64_e32 vcc_lo, 0, v[1:2]
	s_cbranch_vccz .LBB49_352
.LBB49_348:                             ;   in Loop: Header=BB49_349 Depth=2
	s_and_b32 s44, exec_lo, s44
	s_or_b32 s92, s44, s92
	s_andn2_b32 s44, s97, exec_lo
	s_and_b32 s45, s45, exec_lo
	s_or_b32 s97, s44, s45
	s_andn2_b32 exec_lo, exec_lo, s92
	s_cbranch_execz .LBB49_353
.LBB49_349:                             ;   Parent Loop BB49_6 Depth=1
                                        ; =>  This Inner Loop Header: Depth=2
	s_mov_b32 s98, exec_lo
	v_cmpx_gt_u32_e64 s93, v13
	s_cbranch_execz .LBB49_347
; %bb.350:                              ;   in Loop: Header=BB49_349 Depth=2
	ds_read_b64 v[7:8], v9
	s_waitcnt lgkmcnt(0)
	v_xor_b32_e32 v1, 0x80000000, v8
	v_and_b32_e32 v2, v1, v21
	v_and_b32_e32 v1, v7, v20
	v_cmp_eq_u64_e32 vcc_lo, v[1:2], v[18:19]
	s_and_b32 exec_lo, exec_lo, vcc_lo
	s_cbranch_execz .LBB49_347
; %bb.351:                              ;   in Loop: Header=BB49_349 Depth=2
	v_mov_b32_e32 v6, v14
	ds_write_b128 v14, v[5:8] offset:3072
	s_branch .LBB49_347
	.p2align	6
.LBB49_352:                             ;   in Loop: Header=BB49_349 Depth=2
	v_add_nc_u32_e32 v13, s43, v13
	v_add_nc_u32_e32 v9, s76, v9
	s_mov_b32 s45, 0
	v_cmp_le_u32_e32 vcc_lo, s96, v13
	s_orn2_b32 s44, vcc_lo, exec_lo
	s_branch .LBB49_348
.LBB49_353:                             ;   in Loop: Header=BB49_6 Depth=1
	s_inst_prefetch 0x2
	s_or_b32 exec_lo, exec_lo, s92
	s_and_b32 s92, s97, exec_lo
.LBB49_354:                             ;   in Loop: Header=BB49_6 Depth=1
	s_or_b32 exec_lo, exec_lo, s95
.LBB49_355:                             ;   in Loop: Header=BB49_6 Depth=1
	s_and_b32 vcc_lo, exec_lo, s94
	s_cbranch_vccz .LBB49_366
; %bb.356:                              ;   in Loop: Header=BB49_6 Depth=1
                                        ; implicit-def: $vgpr3_vgpr4
	s_and_saveexec_b32 s89, s9
	s_cbranch_execz .LBB49_365
; %bb.357:                              ;   in Loop: Header=BB49_6 Depth=1
	v_mov_b32_e32 v13, v12
	v_mov_b32_e32 v9, v0
	s_mov_b32 s90, 0
                                        ; implicit-def: $sgpr93
	s_inst_prefetch 0x1
	s_branch .LBB49_360
	.p2align	6
.LBB49_358:                             ;   in Loop: Header=BB49_360 Depth=2
	s_or_b32 exec_lo, exec_lo, s94
	s_waitcnt lgkmcnt(0)
	s_barrier
	buffer_gl0_inv
	ds_read_b128 v[1:4], v14 offset:3072
	s_mov_b32 s44, -1
	s_mov_b32 s45, -1
	s_waitcnt lgkmcnt(0)
	s_barrier
	buffer_gl0_inv
	v_cmp_eq_u64_e32 vcc_lo, 0, v[1:2]
	s_cbranch_vccnz .LBB49_363
.LBB49_359:                             ;   in Loop: Header=BB49_360 Depth=2
	s_and_b32 s44, exec_lo, s44
	s_or_b32 s90, s44, s90
	s_andn2_b32 s44, s93, exec_lo
	s_and_b32 s45, s45, exec_lo
	s_or_b32 s93, s44, s45
	s_andn2_b32 exec_lo, exec_lo, s90
	s_cbranch_execz .LBB49_364
.LBB49_360:                             ;   Parent Loop BB49_6 Depth=1
                                        ; =>  This Inner Loop Header: Depth=2
	s_mov_b32 s94, exec_lo
	v_cmpx_gt_u32_e64 s36, v9
	s_cbranch_execz .LBB49_358
; %bb.361:                              ;   in Loop: Header=BB49_360 Depth=2
	v_lshlrev_b64 v[1:2], 3, v[13:14]
	v_add_co_u32 v1, vcc_lo, s31, v1
	v_add_co_ci_u32_e64 v2, null, s33, v2, vcc_lo
	global_load_dwordx2 v[7:8], v[1:2], off
	s_waitcnt vmcnt(0)
	v_xor_b32_e32 v1, 0x80000000, v8
	v_and_b32_e32 v2, v1, v21
	v_and_b32_e32 v1, v7, v20
	v_cmp_eq_u64_e32 vcc_lo, v[1:2], v[18:19]
	s_and_b32 exec_lo, exec_lo, vcc_lo
	s_cbranch_execz .LBB49_358
; %bb.362:                              ;   in Loop: Header=BB49_360 Depth=2
	v_mov_b32_e32 v6, v14
	ds_write_b128 v14, v[5:8] offset:3072
	s_branch .LBB49_358
.LBB49_363:                             ;   in Loop: Header=BB49_360 Depth=2
	v_add_nc_u32_e32 v9, s43, v9
	v_add_nc_u32_e32 v13, s47, v13
	s_mov_b32 s45, 0
	v_cmp_le_u32_e32 vcc_lo, s73, v9
	s_orn2_b32 s44, vcc_lo, exec_lo
	s_branch .LBB49_359
.LBB49_364:                             ;   in Loop: Header=BB49_6 Depth=1
	s_inst_prefetch 0x2
	s_or_b32 exec_lo, exec_lo, s90
	s_andn2_b32 s44, s92, exec_lo
	s_and_b32 s45, s93, exec_lo
	s_or_b32 s92, s44, s45
.LBB49_365:                             ;   in Loop: Header=BB49_6 Depth=1
	s_or_b32 exec_lo, exec_lo, s89
	s_mov_b32 s89, 0
	s_mov_b32 s90, -1
.LBB49_366:                             ;   in Loop: Header=BB49_6 Depth=1
	s_orn2_b32 s92, s92, exec_lo
.LBB49_367:                             ;   in Loop: Header=BB49_6 Depth=1
	s_or_b32 exec_lo, exec_lo, s91
	s_mov_b32 s44, 0
	s_and_saveexec_b32 s91, s92
	s_cbranch_execz .LBB49_378
; %bb.368:                              ;   in Loop: Header=BB49_6 Depth=1
	v_mov_b32_e32 v24, 1
	v_mov_b32_e32 v1, 1
	s_xor_b32 s44, s29, -1
	s_and_saveexec_b32 s29, s44
	s_cbranch_execz .LBB49_377
; %bb.369:                              ;   in Loop: Header=BB49_6 Depth=1
	s_mov_b32 s44, exec_lo
	v_cmpx_ge_u32_e64 s17, v22
	s_xor_b32 s92, exec_lo, s44
	s_cbranch_execz .LBB49_374
; %bb.370:                              ;   in Loop: Header=BB49_6 Depth=1
	ds_read_b32 v1, v14 offset:4096
	v_and_b32_e32 v19, s15, v19
	v_and_b32_e32 v18, s14, v18
	v_or_b32_e32 v21, s13, v21
	v_or_b32_e32 v20, s12, v20
	s_waitcnt lgkmcnt(0)
	v_cmp_ne_u32_e32 vcc_lo, 0, v1
	s_cbranch_vccnz .LBB49_374
; %bb.371:                              ;   in Loop: Header=BB49_6 Depth=1
	s_and_saveexec_b32 s12, s3
; %bb.372:                              ;   in Loop: Header=BB49_6 Depth=1
	v_mov_b32_e32 v1, s17
	ds_write_b32 v14, v1 offset:4100
; %bb.373:                              ;   in Loop: Header=BB49_6 Depth=1
	s_or_b32 exec_lo, exec_lo, s12
	s_waitcnt lgkmcnt(0)
	s_barrier
	buffer_gl0_inv
.LBB49_374:                             ;   in Loop: Header=BB49_6 Depth=1
	s_andn2_saveexec_b32 s12, s92
; %bb.375:                              ;   in Loop: Header=BB49_6 Depth=1
	v_subrev_nc_u32_e32 v22, s17, v22
; %bb.376:                              ;   in Loop: Header=BB49_6 Depth=1
	s_or_b32 exec_lo, exec_lo, s12
	v_mov_b32_e32 v24, 5
	v_mov_b32_e32 v1, v22
.LBB49_377:                             ;   in Loop: Header=BB49_6 Depth=1
	s_or_b32 exec_lo, exec_lo, s29
	v_mov_b32_e32 v22, v1
	s_mov_b32 s44, exec_lo
.LBB49_378:                             ;   in Loop: Header=BB49_6 Depth=1
	s_or_b32 exec_lo, exec_lo, s91
	s_orn2_b32 s29, s44, exec_lo
.LBB49_379:                             ;   in Loop: Header=BB49_6 Depth=1
	s_or_b32 exec_lo, exec_lo, s18
	v_mov_b32_e32 v9, v22
	s_andn2_b32 s12, s27, exec_lo
	s_and_b32 s13, s90, exec_lo
	s_andn2_b32 s14, s26, exec_lo
	s_and_b32 s15, s89, exec_lo
	s_or_b32 s27, s12, s13
	s_or_b32 s26, s14, s15
	s_and_b32 s90, s29, exec_lo
.LBB49_380:                             ;   in Loop: Header=BB49_6 Depth=1
	s_or_b32 exec_lo, exec_lo, s28
	s_orn2_b32 s28, s90, exec_lo
.LBB49_381:                             ;   in Loop: Header=BB49_6 Depth=1
	s_or_b32 exec_lo, exec_lo, s19
	v_mov_b32_e32 v25, v9
	s_andn2_b32 s12, s23, exec_lo
	s_and_b32 s13, s27, exec_lo
	s_andn2_b32 s14, s20, exec_lo
	s_and_b32 s15, s26, exec_lo
	s_or_b32 s23, s12, s13
	s_or_b32 s20, s14, s15
	s_and_b32 s28, s28, exec_lo
.LBB49_382:                             ;   in Loop: Header=BB49_6 Depth=1
	s_or_b32 exec_lo, exec_lo, s25
	s_orn2_b32 s25, s28, exec_lo
.LBB49_383:                             ;   in Loop: Header=BB49_6 Depth=1
	s_or_b32 exec_lo, exec_lo, s10
	s_mov_b32 s10, s21
	s_mov_b32 s12, s11
	s_and_saveexec_b32 s13, s25
; %bb.384:                              ;   in Loop: Header=BB49_6 Depth=1
	v_cmp_ne_u32_e32 vcc_lo, 5, v24
	v_cmp_eq_u32_e64 s10, 5, v24
	s_andn2_b32 s12, s11, exec_lo
	s_andn2_b32 s14, s21, exec_lo
	s_and_b32 s15, vcc_lo, exec_lo
	s_and_b32 s10, s10, exec_lo
	s_or_b32 s12, s12, s15
	s_or_b32 s10, s14, s10
; %bb.385:                              ;   in Loop: Header=BB49_6 Depth=1
	s_or_b32 exec_lo, exec_lo, s13
	s_andn2_b32 s13, s24, exec_lo
	s_and_b32 s14, s23, exec_lo
	s_andn2_b32 s15, s16, exec_lo
	s_and_b32 s16, s20, exec_lo
	s_or_b32 s24, s13, s14
	s_andn2_b32 s11, s11, exec_lo
	s_and_b32 s12, s12, exec_lo
	s_andn2_b32 s13, s21, exec_lo
	s_and_b32 s10, s10, exec_lo
	s_or_b32 s16, s15, s16
	s_or_b32 s11, s11, s12
	;; [unrolled: 1-line block ×3, first 2 shown]
.LBB49_386:                             ;   in Loop: Header=BB49_6 Depth=1
	s_or_b32 exec_lo, exec_lo, s22
	s_mov_b32 s22, 0
	s_mov_b32 s23, 0
	s_and_saveexec_b32 s10, s21
.LBB49_387:                             ;   in Loop: Header=BB49_6 Depth=1
	v_mov_b32_e32 v24, 0
	s_or_b32 s11, s11, exec_lo
.LBB49_388:                             ;   in Loop: Header=BB49_6 Depth=1
	s_or_b32 exec_lo, exec_lo, s10
	s_andn2_b32 s10, s86, exec_lo
	s_and_b32 s13, s24, exec_lo
	s_andn2_b32 s14, s84, exec_lo
	s_and_b32 s15, s16, exec_lo
	v_mov_b32_e32 v39, v25
	s_or_b32 s86, s10, s13
	s_or_b32 s84, s14, s15
	s_andn2_b32 s10, s88, exec_lo
	s_and_b32 s13, s23, exec_lo
	s_andn2_b32 s14, s87, exec_lo
	s_and_b32 s15, s22, exec_lo
	s_mov_b32 s12, -1
	s_andn2_b32 s85, s85, exec_lo
	s_or_b32 s88, s10, s13
	s_or_b32 s87, s14, s15
	s_and_saveexec_b32 s10, s11
	s_xor_b32 s10, exec_lo, s10
	s_cbranch_execz .LBB49_5
; %bb.389:                              ;   in Loop: Header=BB49_6 Depth=1
	s_mov_b32 s11, -1
	s_mov_b32 s13, exec_lo
	v_cmpx_eq_u32_e32 0, v24
	s_cbranch_execz .LBB49_4
; %bb.390:                              ;   in Loop: Header=BB49_6 Depth=1
	s_xor_b32 s78, s78, 1
	s_add_i32 s14, s82, -2
	s_cmp_eq_u32 s82, 0
	s_mov_b32 s82, s14
	s_cselect_b32 s11, -1, 0
	s_xor_b32 s12, exec_lo, -1
	s_orn2_b32 s11, s11, exec_lo
	s_branch .LBB49_4
.LBB49_391:
	s_or_b32 exec_lo, exec_lo, s55
	s_xor_b32 s7, s83, -1
	s_xor_b32 s12, s80, -1
	;; [unrolled: 1-line block ×5, first 2 shown]
	s_mov_b32 s9, 0
	s_and_saveexec_b32 s10, s8
	s_xor_b32 s8, exec_lo, s10
	s_cbranch_execnz .LBB49_396
; %bb.392:
	s_andn2_saveexec_b32 s0, s8
	s_cbranch_execnz .LBB49_415
.LBB49_393:
	s_or_b32 exec_lo, exec_lo, s0
	s_and_saveexec_b32 s0, s9
.LBB49_394:
	; divergent unreachable
.LBB49_395:
	s_endpgm
.LBB49_396:
	s_mov_b32 s10, 0
	s_and_saveexec_b32 s9, s11
	s_xor_b32 s9, exec_lo, s9
	s_cbranch_execz .LBB49_413
; %bb.397:
	s_mov_b32 s11, 0
	s_and_saveexec_b32 s10, s12
	s_xor_b32 s10, exec_lo, s10
	s_cbranch_execz .LBB49_411
; %bb.398:
	;; [unrolled: 5-line block ×3, first 2 shown]
	s_and_saveexec_b32 s7, s6
	s_xor_b32 s6, exec_lo, s7
; %bb.400:
	v_xor_b32_e32 v19, 0x80000000, v19
	v_mov_b32_e32 v3, v18
	v_mov_b32_e32 v4, v19
; %bb.401:
	s_or_b32 exec_lo, exec_lo, s6
	s_and_saveexec_b32 s6, s3
; %bb.402:
	v_mov_b32_e32 v1, 0
	ds_write_b32 v1, v1 offset:4108
; %bb.403:
	s_or_b32 exec_lo, exec_lo, s6
	v_mov_b32_e32 v1, 0
	v_mov_b32_e32 v2, 0
	s_waitcnt lgkmcnt(0)
	s_barrier
	buffer_gl0_inv
	s_and_saveexec_b32 s3, s2
	s_cbranch_execz .LBB49_405
; %bb.404:
	global_load_dwordx2 v[1:2], v[10:11], off
.LBB49_405:
	s_or_b32 exec_lo, exec_lo, s3
	s_load_dwordx4 s[16:19], s[4:5], 0x15c
	s_mul_i32 s6, s60, s52
	s_add_i32 s12, s36, 31
	s_mul_i32 s3, s57, s53
	s_sub_i32 s6, s57, s6
	s_andn2_b32 s12, s12, 31
	s_sub_i32 s3, s56, s3
	s_add_i32 s7, s60, 1
	s_sub_i32 s13, s6, s52
	s_cmp_ge_u32 s6, s52
	v_cmp_gt_u32_e32 vcc_lo, s12, v0
	s_cselect_b32 s7, s7, s60
	s_cselect_b32 s6, s13, s6
	s_add_i32 s13, s7, 1
	s_cmp_ge_u32 s6, s52
	s_cselect_b32 s6, s13, s7
	s_mul_i32 s13, s58, s51
	s_mul_i32 s7, s6, s52
	s_sub_i32 s7, s57, s7
	s_waitcnt lgkmcnt(0)
	s_mul_i32 s3, s3, s18
	s_mul_i32 s7, s7, s17
	;; [unrolled: 1-line block ×3, first 2 shown]
	s_add_i32 s3, s7, s3
	s_mul_i32 s7, s59, s50
	s_add_i32 s6, s3, s6
	s_sub_i32 s7, s58, s7
	s_sub_i32 s3, s56, s13
	s_add_i32 s13, s59, 1
	s_sub_i32 s14, s7, s50
	s_cmp_ge_u32 s7, s50
	s_mul_i32 s3, s3, s42
	s_cselect_b32 s13, s13, s59
	s_cselect_b32 s7, s14, s7
	s_add_i32 s14, s13, 1
	s_cmp_ge_u32 s7, s50
	s_mov_b32 s18, -1
	s_cselect_b32 s14, s14, s13
	s_clause 0x1
	s_load_dword s13, s[4:5], 0x1c8
	s_load_dword s5, s[4:5], 0x2a8
	s_mul_i32 s7, s14, s50
	s_sub_i32 s7, s58, s7
	s_mul_i32 s4, s7, s41
	s_mov_b32 s7, 0
	s_add_i32 s3, s4, s3
	s_mul_i32 s4, s14, s40
	s_lshl_b64 s[14:15], s[6:7], 3
	s_add_i32 s16, s3, s4
	s_mov_b32 s17, s7
	s_add_u32 s6, s48, s14
	s_addc_u32 s14, s49, s15
	s_lshl_b64 s[16:17], s[16:17], 3
	s_mov_b32 s3, 0
	s_add_u32 s15, s34, s16
	s_addc_u32 s16, s35, s17
	s_and_saveexec_b32 s17, vcc_lo
	s_cbranch_execnz .LBB49_416
; %bb.406:
	s_or_b32 exec_lo, exec_lo, s17
	s_and_saveexec_b32 s4, s18
	s_cbranch_execnz .LBB49_431
.LBB49_407:
	s_or_b32 exec_lo, exec_lo, s4
	s_and_saveexec_b32 s0, s3
	s_xor_b32 s0, exec_lo, s0
	s_cbranch_execnz .LBB49_454
.LBB49_408:
	s_or_b32 exec_lo, exec_lo, s0
	s_and_b32 s12, s7, exec_lo
.LBB49_409:
	s_andn2_saveexec_b32 s0, s11
	s_cbranch_execnz .LBB49_456
.LBB49_410:
	s_or_b32 exec_lo, exec_lo, s0
	s_and_b32 s11, s12, exec_lo
.LBB49_411:
	s_andn2_saveexec_b32 s0, s10
	s_cbranch_execnz .LBB49_455
.LBB49_412:
	s_or_b32 exec_lo, exec_lo, s0
	s_and_b32 s10, s11, exec_lo
.LBB49_413:
	s_andn2_saveexec_b32 s0, s9
	s_cbranch_execnz .LBB49_450
.LBB49_414:
	s_or_b32 exec_lo, exec_lo, s0
	s_and_b32 s9, s10, exec_lo
	s_andn2_saveexec_b32 s0, s8
	s_cbranch_execz .LBB49_393
.LBB49_415:
	s_or_b32 s9, s9, exec_lo
	s_trap 2
	s_or_b32 exec_lo, exec_lo, s0
	s_and_saveexec_b32 s0, s9
	s_cbranch_execnz .LBB49_394
	s_branch .LBB49_395
.LBB49_416:
	v_add_nc_u32_e32 v5, s43, v0
	v_xor_b32_e32 v6, 0x80000000, v4
	v_mov_b32_e32 v8, 0
	v_mov_b32_e32 v14, v0
	s_mov_b32 s18, 0
	v_mul_lo_u32 v7, s30, v5
	v_mov_b32_e32 v5, v3
                                        ; implicit-def: $sgpr19
                                        ; implicit-def: $vgpr16
	s_branch .LBB49_418
.LBB49_417:                             ;   in Loop: Header=BB49_418 Depth=1
	s_or_b32 exec_lo, exec_lo, s21
	s_xor_b32 s3, s20, -1
	s_and_b32 s4, exec_lo, s4
	v_mov_b32_e32 v1, v12
	v_mov_b32_e32 v2, v13
	s_or_b32 s18, s4, s18
	v_mov_b32_e32 v14, v9
	s_andn2_b32 s4, s19, exec_lo
	s_and_b32 s3, s3, exec_lo
	s_or_b32 s19, s4, s3
	s_andn2_b32 exec_lo, exec_lo, s18
	s_cbranch_execz .LBB49_430
.LBB49_418:                             ; =>This Inner Loop Header: Depth=1
	v_mov_b32_e32 v12, 0
	v_add_nc_u32_e32 v9, s43, v14
	v_mov_b32_e32 v13, 0
	s_mov_b32 s4, exec_lo
	v_cmpx_gt_u32_e64 s36, v9
	s_cbranch_execz .LBB49_420
; %bb.419:                              ;   in Loop: Header=BB49_418 Depth=1
	v_lshlrev_b64 v[12:13], 3, v[7:8]
	v_add_co_u32 v12, s3, s31, v12
	v_add_co_ci_u32_e64 v13, null, s33, v13, s3
	global_load_dwordx2 v[12:13], v[12:13], off
.LBB49_420:                             ;   in Loop: Header=BB49_418 Depth=1
	s_or_b32 exec_lo, exec_lo, s4
	s_waitcnt vmcnt(0)
	v_xor_b32_e32 v18, 0x80000000, v2
	v_mov_b32_e32 v17, v1
	v_cmp_gt_u64_e64 s3, v[17:18], v[5:6]
	v_cndmask_b32_e64 v15, 0, 1, s3
	v_cmp_lt_u64_e64 s3, v[17:18], v[5:6]
	v_cndmask_b32_e64 v17, 0, 1, s3
	v_cmp_gt_u32_e64 s3, s36, v14
	v_cndmask_b32_e64 v15, v17, v15, s1
	v_and_b32_e32 v15, 1, v15
	v_cmp_eq_u32_e64 s4, 1, v15
	s_and_b32 s21, s3, s4
	v_cndmask_b32_e64 v15, 0, 1, s21
	v_cmp_ne_u32_e64 s3, 0, v15
	s_cmp_lg_u32 s3, 0
	s_cselect_b32 s4, -1, 0
	s_and_b32 s4, s0, s4
	s_and_saveexec_b32 s20, s4
	s_cbranch_execz .LBB49_424
; %bb.421:                              ;   in Loop: Header=BB49_418 Depth=1
	s_mov_b32 s24, exec_lo
	s_bcnt1_i32_b32 s22, s3
	v_mbcnt_lo_u32_b32 v15, s24, 0
	s_mov_b32 s23, exec_lo
                                        ; implicit-def: $vgpr16
	v_cmpx_eq_u32_e32 0, v15
	s_cbranch_execz .LBB49_423
; %bb.422:                              ;   in Loop: Header=BB49_418 Depth=1
	s_bcnt1_i32_b32 s4, s24
	s_mul_i32 s4, s22, s4
	s_waitcnt lgkmcnt(0)
	v_mov_b32_e32 v16, s4
	ds_add_rtn_u32 v16, v8, v16 offset:4108
.LBB49_423:                             ;   in Loop: Header=BB49_418 Depth=1
	s_or_b32 exec_lo, exec_lo, s23
	s_waitcnt lgkmcnt(0)
	v_readfirstlane_b32 s4, v16
	v_mad_u32_u24 v16, s22, v15, s4
.LBB49_424:                             ;   in Loop: Header=BB49_418 Depth=1
	s_or_b32 exec_lo, exec_lo, s20
	s_waitcnt lgkmcnt(0)
	ds_bpermute_b32 v16, v8, v16
	s_mov_b32 s4, -1
	s_mov_b32 s22, -1
	s_and_saveexec_b32 s20, s21
	s_cbranch_execz .LBB49_428
; %bb.425:                              ;   in Loop: Header=BB49_418 Depth=1
	v_and_b32_e32 v15, s3, v26
	s_mov_b32 s21, 0
	s_mov_b32 s22, exec_lo
	s_waitcnt lgkmcnt(0)
	v_bcnt_u32_b32 v15, v15, v16
	v_cmpx_gt_u32_e64 s37, v15
; %bb.426:                              ;   in Loop: Header=BB49_418 Depth=1
	v_mul_lo_u32 v17, v15, s13
	v_mul_lo_u32 v19, v15, s5
	v_mov_b32_e32 v18, v8
	v_mov_b32_e32 v20, v8
	;; [unrolled: 1-line block ×3, first 2 shown]
	s_mov_b32 s21, exec_lo
	v_lshlrev_b64 v[17:18], 3, v[17:18]
	v_lshlrev_b64 v[19:20], 3, v[19:20]
	v_add_co_u32 v17, s3, s6, v17
	v_add_co_ci_u32_e64 v18, null, s14, v18, s3
	v_add_co_u32 v19, s3, s15, v19
	v_add_co_ci_u32_e64 v20, null, s16, v20, s3
	global_store_dwordx2 v[17:18], v[1:2], off
	global_store_dwordx2 v[19:20], v[14:15], off
; %bb.427:                              ;   in Loop: Header=BB49_418 Depth=1
	s_or_b32 exec_lo, exec_lo, s22
	s_orn2_b32 s22, s21, exec_lo
.LBB49_428:                             ;   in Loop: Header=BB49_418 Depth=1
	s_or_b32 exec_lo, exec_lo, s20
	s_mov_b32 s20, -1
	s_and_saveexec_b32 s21, s22
	s_cbranch_execz .LBB49_417
; %bb.429:                              ;   in Loop: Header=BB49_418 Depth=1
	v_cmp_le_u32_e64 s3, s12, v9
	v_add_nc_u32_e32 v7, s47, v7
	s_xor_b32 s20, exec_lo, -1
	s_orn2_b32 s4, s3, exec_lo
	s_branch .LBB49_417
.LBB49_430:
	s_or_b32 exec_lo, exec_lo, s18
	s_mov_b32 s3, exec_lo
	s_orn2_b32 s18, s19, exec_lo
	s_or_b32 exec_lo, exec_lo, s17
	s_and_saveexec_b32 s4, s18
	s_cbranch_execz .LBB49_407
.LBB49_431:
	s_waitcnt vmcnt(0)
	v_mov_b32_e32 v1, 0
	v_mov_b32_e32 v2, 0
	s_waitcnt lgkmcnt(0)
	s_waitcnt_vscnt null, 0x0
	s_barrier
	buffer_gl0_inv
	s_and_saveexec_b32 s1, s2
	s_cbranch_execz .LBB49_433
; %bb.432:
	global_load_dwordx2 v[1:2], v[10:11], off
.LBB49_433:
	s_or_b32 exec_lo, exec_lo, s1
	s_mov_b32 s1, 0
	s_and_saveexec_b32 s2, vcc_lo
	s_cbranch_execz .LBB49_453
; %bb.434:
	v_add_nc_u32_e32 v5, s43, v0
	v_mov_b32_e32 v6, 0
	s_mov_b32 s7, 0
                                        ; implicit-def: $sgpr17
                                        ; implicit-def: $vgpr10
	v_mul_lo_u32 v5, s30, v5
	s_branch .LBB49_437
.LBB49_435:                             ;   in Loop: Header=BB49_437 Depth=1
	s_or_b32 exec_lo, exec_lo, s19
	s_orn2_b32 s20, s21, exec_lo
	s_orn2_b32 s18, s18, exec_lo
.LBB49_436:                             ;   in Loop: Header=BB49_437 Depth=1
	s_or_b32 exec_lo, exec_lo, s1
	s_xor_b32 s1, s20, -1
	s_and_b32 s18, exec_lo, s18
	v_mov_b32_e32 v1, v7
	v_mov_b32_e32 v0, v9
	s_or_b32 s7, s18, s7
	v_mov_b32_e32 v2, v8
	s_andn2_b32 s17, s17, exec_lo
	s_and_b32 s1, s1, exec_lo
	s_or_b32 s17, s17, s1
	s_andn2_b32 exec_lo, exec_lo, s7
	s_cbranch_execz .LBB49_451
.LBB49_437:                             ; =>This Inner Loop Header: Depth=1
	v_mov_b32_e32 v7, 0
	v_add_nc_u32_e32 v9, s43, v0
	v_mov_b32_e32 v8, 0
	s_mov_b32 s1, exec_lo
	v_cmpx_gt_u32_e64 s36, v9
	s_cbranch_execz .LBB49_439
; %bb.438:                              ;   in Loop: Header=BB49_437 Depth=1
	v_lshlrev_b64 v[7:8], 3, v[5:6]
	v_add_co_u32 v7, vcc_lo, s31, v7
	v_add_co_ci_u32_e64 v8, null, s33, v8, vcc_lo
	global_load_dwordx2 v[7:8], v[7:8], off
.LBB49_439:                             ;   in Loop: Header=BB49_437 Depth=1
	s_or_b32 exec_lo, exec_lo, s1
	s_waitcnt vmcnt(0)
	v_cmp_eq_u64_e32 vcc_lo, v[1:2], v[3:4]
	v_cmp_gt_u32_e64 s1, s36, v0
	s_and_b32 s19, s1, vcc_lo
	v_cndmask_b32_e64 v1, 0, 1, s19
	v_cmp_ne_u32_e32 vcc_lo, 0, v1
	s_cmp_lg_u32 vcc_lo, 0
	s_cselect_b32 s1, -1, 0
	s_and_b32 s1, s0, s1
	s_and_saveexec_b32 s18, s1
	s_cbranch_execz .LBB49_443
; %bb.440:                              ;   in Loop: Header=BB49_437 Depth=1
	s_mov_b32 s22, exec_lo
	s_bcnt1_i32_b32 s20, vcc_lo
	v_mbcnt_lo_u32_b32 v1, s22, 0
	s_mov_b32 s21, exec_lo
                                        ; implicit-def: $vgpr2
	v_cmpx_eq_u32_e32 0, v1
; %bb.441:                              ;   in Loop: Header=BB49_437 Depth=1
	s_bcnt1_i32_b32 s1, s22
	s_mul_i32 s1, s20, s1
	v_mov_b32_e32 v2, s1
	ds_add_rtn_u32 v2, v6, v2 offset:4108
; %bb.442:                              ;   in Loop: Header=BB49_437 Depth=1
	s_or_b32 exec_lo, exec_lo, s21
	s_waitcnt lgkmcnt(0)
	v_readfirstlane_b32 s1, v2
	v_mad_u32_u24 v10, s20, v1, s1
.LBB49_443:                             ;   in Loop: Header=BB49_437 Depth=1
	s_or_b32 exec_lo, exec_lo, s18
	ds_bpermute_b32 v10, v6, v10
	s_cmp_eq_u32 vcc_lo, 0
	s_mov_b32 s18, -1
	s_cselect_b32 s20, -1, 0
	s_waitcnt lgkmcnt(0)
	v_cmp_gt_u32_e64 s1, s37, v10
	s_or_b32 s21, s20, s1
	s_mov_b32 s20, -1
	s_and_saveexec_b32 s1, s21
	s_cbranch_execz .LBB49_436
; %bb.444:                              ;   in Loop: Header=BB49_437 Depth=1
	v_and_b32_e32 v1, vcc_lo, v26
	v_sub_nc_u32_e32 v2, s37, v10
	s_mov_b32 s21, -1
	v_bcnt_u32_b32 v1, v1, 0
	v_bcnt_u32_b32 v1, 0, v1
	v_cmp_gt_u32_e32 vcc_lo, v2, v1
	s_and_b32 s22, s19, vcc_lo
	s_and_saveexec_b32 s19, s22
	s_cbranch_execz .LBB49_448
; %bb.445:                              ;   in Loop: Header=BB49_437 Depth=1
	v_add_nc_u32_e32 v1, v10, v1
	s_mov_b32 s20, 0
	s_mov_b32 s21, exec_lo
	v_cmpx_gt_u32_e64 s37, v1
; %bb.446:                              ;   in Loop: Header=BB49_437 Depth=1
	v_mul_lo_u32 v11, v1, s13
	v_mul_lo_u32 v13, v1, s5
	v_mov_b32_e32 v12, v6
	v_mov_b32_e32 v14, v6
	;; [unrolled: 1-line block ×3, first 2 shown]
	s_mov_b32 s20, exec_lo
	v_lshlrev_b64 v[11:12], 3, v[11:12]
	v_lshlrev_b64 v[13:14], 3, v[13:14]
	v_add_co_u32 v11, vcc_lo, s6, v11
	v_add_co_ci_u32_e64 v12, null, s14, v12, vcc_lo
	v_add_co_u32 v13, vcc_lo, s15, v13
	v_add_co_ci_u32_e64 v14, null, s16, v14, vcc_lo
	global_store_dwordx2 v[11:12], v[3:4], off
	global_store_dwordx2 v[13:14], v[0:1], off
; %bb.447:                              ;   in Loop: Header=BB49_437 Depth=1
	s_or_b32 exec_lo, exec_lo, s21
	s_xor_b32 s21, exec_lo, -1
	s_orn2_b32 s20, s20, exec_lo
.LBB49_448:                             ;   in Loop: Header=BB49_437 Depth=1
	s_or_b32 exec_lo, exec_lo, s19
	s_and_saveexec_b32 s19, s20
	s_cbranch_execz .LBB49_435
; %bb.449:                              ;   in Loop: Header=BB49_437 Depth=1
	v_cmp_le_u32_e32 vcc_lo, s12, v9
	v_add_nc_u32_e32 v5, s47, v5
	s_or_b32 s21, s21, exec_lo
	s_orn2_b32 s18, vcc_lo, exec_lo
	s_branch .LBB49_435
.LBB49_450:
	s_or_b32 s10, s10, exec_lo
	s_trap 2
	s_branch .LBB49_414
.LBB49_451:
	s_or_b32 exec_lo, exec_lo, s7
	s_mov_b32 s0, 0
	s_and_saveexec_b32 s1, s17
	s_xor_b32 s1, exec_lo, s1
	s_cbranch_execnz .LBB49_457
.LBB49_452:
	s_or_b32 exec_lo, exec_lo, s1
	s_and_b32 s1, s0, exec_lo
.LBB49_453:
	s_or_b32 exec_lo, exec_lo, s2
	s_and_b32 s7, s1, exec_lo
	s_andn2_b32 s3, s3, exec_lo
	s_or_b32 exec_lo, exec_lo, s4
	s_and_saveexec_b32 s0, s3
	s_xor_b32 s0, exec_lo, s0
	s_cbranch_execz .LBB49_408
.LBB49_454:
	s_or_b32 s7, s7, exec_lo
	s_trap 2
	s_branch .LBB49_408
.LBB49_455:
	s_or_b32 s11, s11, exec_lo
	s_trap 2
	s_branch .LBB49_412
.LBB49_456:
	s_or_b32 s12, s12, exec_lo
	s_trap 2
	s_branch .LBB49_410
.LBB49_457:
	s_mov_b32 s0, exec_lo
	s_trap 2
	s_branch .LBB49_452
	.section	.rodata,"a",@progbits
	.p2align	6, 0x0
	.amdhsa_kernel _ZN2at6native6sbtopk10gatherTopKIljLi3ELb0EEEvNS_4cuda6detail10TensorInfoIKT_T0_EES8_S8_bS8_S8_NS5_IS6_S8_EES8_NS5_IlS8_EES8_PS6_
		.amdhsa_group_segment_fixed_size 4112
		.amdhsa_private_segment_fixed_size 0
		.amdhsa_kernarg_size 952
		.amdhsa_user_sgpr_count 6
		.amdhsa_user_sgpr_private_segment_buffer 1
		.amdhsa_user_sgpr_dispatch_ptr 0
		.amdhsa_user_sgpr_queue_ptr 0
		.amdhsa_user_sgpr_kernarg_segment_ptr 1
		.amdhsa_user_sgpr_dispatch_id 0
		.amdhsa_user_sgpr_flat_scratch_init 0
		.amdhsa_user_sgpr_private_segment_size 0
		.amdhsa_wavefront_size32 1
		.amdhsa_uses_dynamic_stack 0
		.amdhsa_system_sgpr_private_segment_wavefront_offset 0
		.amdhsa_system_sgpr_workgroup_id_x 1
		.amdhsa_system_sgpr_workgroup_id_y 1
		.amdhsa_system_sgpr_workgroup_id_z 1
		.amdhsa_system_sgpr_workgroup_info 0
		.amdhsa_system_vgpr_workitem_id 0
		.amdhsa_next_free_vgpr 54
		.amdhsa_next_free_sgpr 105
		.amdhsa_reserve_vcc 1
		.amdhsa_reserve_flat_scratch 0
		.amdhsa_float_round_mode_32 0
		.amdhsa_float_round_mode_16_64 0
		.amdhsa_float_denorm_mode_32 3
		.amdhsa_float_denorm_mode_16_64 3
		.amdhsa_dx10_clamp 1
		.amdhsa_ieee_mode 1
		.amdhsa_fp16_overflow 0
		.amdhsa_workgroup_processor_mode 1
		.amdhsa_memory_ordered 1
		.amdhsa_forward_progress 1
		.amdhsa_shared_vgpr_count 0
		.amdhsa_exception_fp_ieee_invalid_op 0
		.amdhsa_exception_fp_denorm_src 0
		.amdhsa_exception_fp_ieee_div_zero 0
		.amdhsa_exception_fp_ieee_overflow 0
		.amdhsa_exception_fp_ieee_underflow 0
		.amdhsa_exception_fp_ieee_inexact 0
		.amdhsa_exception_int_div_zero 0
	.end_amdhsa_kernel
	.section	.text._ZN2at6native6sbtopk10gatherTopKIljLi3ELb0EEEvNS_4cuda6detail10TensorInfoIKT_T0_EES8_S8_bS8_S8_NS5_IS6_S8_EES8_NS5_IlS8_EES8_PS6_,"axG",@progbits,_ZN2at6native6sbtopk10gatherTopKIljLi3ELb0EEEvNS_4cuda6detail10TensorInfoIKT_T0_EES8_S8_bS8_S8_NS5_IS6_S8_EES8_NS5_IlS8_EES8_PS6_,comdat
.Lfunc_end49:
	.size	_ZN2at6native6sbtopk10gatherTopKIljLi3ELb0EEEvNS_4cuda6detail10TensorInfoIKT_T0_EES8_S8_bS8_S8_NS5_IS6_S8_EES8_NS5_IlS8_EES8_PS6_, .Lfunc_end49-_ZN2at6native6sbtopk10gatherTopKIljLi3ELb0EEEvNS_4cuda6detail10TensorInfoIKT_T0_EES8_S8_bS8_S8_NS5_IS6_S8_EES8_NS5_IlS8_EES8_PS6_
                                        ; -- End function
	.set _ZN2at6native6sbtopk10gatherTopKIljLi3ELb0EEEvNS_4cuda6detail10TensorInfoIKT_T0_EES8_S8_bS8_S8_NS5_IS6_S8_EES8_NS5_IlS8_EES8_PS6_.num_vgpr, 54
	.set _ZN2at6native6sbtopk10gatherTopKIljLi3ELb0EEEvNS_4cuda6detail10TensorInfoIKT_T0_EES8_S8_bS8_S8_NS5_IS6_S8_EES8_NS5_IlS8_EES8_PS6_.num_agpr, 0
	.set _ZN2at6native6sbtopk10gatherTopKIljLi3ELb0EEEvNS_4cuda6detail10TensorInfoIKT_T0_EES8_S8_bS8_S8_NS5_IS6_S8_EES8_NS5_IlS8_EES8_PS6_.numbered_sgpr, 105
	.set _ZN2at6native6sbtopk10gatherTopKIljLi3ELb0EEEvNS_4cuda6detail10TensorInfoIKT_T0_EES8_S8_bS8_S8_NS5_IS6_S8_EES8_NS5_IlS8_EES8_PS6_.num_named_barrier, 0
	.set _ZN2at6native6sbtopk10gatherTopKIljLi3ELb0EEEvNS_4cuda6detail10TensorInfoIKT_T0_EES8_S8_bS8_S8_NS5_IS6_S8_EES8_NS5_IlS8_EES8_PS6_.private_seg_size, 0
	.set _ZN2at6native6sbtopk10gatherTopKIljLi3ELb0EEEvNS_4cuda6detail10TensorInfoIKT_T0_EES8_S8_bS8_S8_NS5_IS6_S8_EES8_NS5_IlS8_EES8_PS6_.uses_vcc, 1
	.set _ZN2at6native6sbtopk10gatherTopKIljLi3ELb0EEEvNS_4cuda6detail10TensorInfoIKT_T0_EES8_S8_bS8_S8_NS5_IS6_S8_EES8_NS5_IlS8_EES8_PS6_.uses_flat_scratch, 0
	.set _ZN2at6native6sbtopk10gatherTopKIljLi3ELb0EEEvNS_4cuda6detail10TensorInfoIKT_T0_EES8_S8_bS8_S8_NS5_IS6_S8_EES8_NS5_IlS8_EES8_PS6_.has_dyn_sized_stack, 0
	.set _ZN2at6native6sbtopk10gatherTopKIljLi3ELb0EEEvNS_4cuda6detail10TensorInfoIKT_T0_EES8_S8_bS8_S8_NS5_IS6_S8_EES8_NS5_IlS8_EES8_PS6_.has_recursion, 0
	.set _ZN2at6native6sbtopk10gatherTopKIljLi3ELb0EEEvNS_4cuda6detail10TensorInfoIKT_T0_EES8_S8_bS8_S8_NS5_IS6_S8_EES8_NS5_IlS8_EES8_PS6_.has_indirect_call, 0
	.section	.AMDGPU.csdata,"",@progbits
; Kernel info:
; codeLenInByte = 15576
; TotalNumSgprs: 107
; NumVgprs: 54
; ScratchSize: 0
; MemoryBound: 0
; FloatMode: 240
; IeeeMode: 1
; LDSByteSize: 4112 bytes/workgroup (compile time only)
; SGPRBlocks: 0
; VGPRBlocks: 6
; NumSGPRsForWavesPerEU: 107
; NumVGPRsForWavesPerEU: 54
; Occupancy: 16
; WaveLimiterHint : 1
; COMPUTE_PGM_RSRC2:SCRATCH_EN: 0
; COMPUTE_PGM_RSRC2:USER_SGPR: 6
; COMPUTE_PGM_RSRC2:TRAP_HANDLER: 0
; COMPUTE_PGM_RSRC2:TGID_X_EN: 1
; COMPUTE_PGM_RSRC2:TGID_Y_EN: 1
; COMPUTE_PGM_RSRC2:TGID_Z_EN: 1
; COMPUTE_PGM_RSRC2:TIDIG_COMP_CNT: 0
	.section	.text._ZN2at6native6mbtopk23computeBlockDigitCountsIljmLin1EEEvNS_4cuda6detail10TensorInfoIKT_T0_EEjPjjS8_iijT1_PSB_Ps,"axG",@progbits,_ZN2at6native6mbtopk23computeBlockDigitCountsIljmLin1EEEvNS_4cuda6detail10TensorInfoIKT_T0_EEjPjjS8_iijT1_PSB_Ps,comdat
	.protected	_ZN2at6native6mbtopk23computeBlockDigitCountsIljmLin1EEEvNS_4cuda6detail10TensorInfoIKT_T0_EEjPjjS8_iijT1_PSB_Ps ; -- Begin function _ZN2at6native6mbtopk23computeBlockDigitCountsIljmLin1EEEvNS_4cuda6detail10TensorInfoIKT_T0_EEjPjjS8_iijT1_PSB_Ps
	.globl	_ZN2at6native6mbtopk23computeBlockDigitCountsIljmLin1EEEvNS_4cuda6detail10TensorInfoIKT_T0_EEjPjjS8_iijT1_PSB_Ps
	.p2align	8
	.type	_ZN2at6native6mbtopk23computeBlockDigitCountsIljmLin1EEEvNS_4cuda6detail10TensorInfoIKT_T0_EEjPjjS8_iijT1_PSB_Ps,@function
_ZN2at6native6mbtopk23computeBlockDigitCountsIljmLin1EEEvNS_4cuda6detail10TensorInfoIKT_T0_EEjPjjS8_iijT1_PSB_Ps: ; @_ZN2at6native6mbtopk23computeBlockDigitCountsIljmLin1EEEvNS_4cuda6detail10TensorInfoIKT_T0_EEjPjjS8_iijT1_PSB_Ps
; %bb.0:
	s_clause 0x2
	s_load_dword s18, s[4:5], 0xf8
	s_load_dwordx4 s[0:3], s[4:5], 0xe8
	s_load_dwordx2 s[10:11], s[4:5], 0x118
	s_mov_b32 s15, 0
	s_waitcnt lgkmcnt(0)
	v_cvt_f32_u32_e32 v1, s18
	s_mul_i32 s8, s11, s8
	s_sub_i32 s11, 0, s18
	s_add_i32 s7, s8, s7
	v_rcp_iflag_f32_e32 v1, v1
	s_mul_i32 s16, s7, s10
	s_add_i32 s16, s16, s6
	v_mul_f32_e32 v1, 0x4f7ffffe, v1
	v_cvt_u32_f32_e32 v1, v1
	v_readfirstlane_b32 s9, v1
	s_mul_i32 s11, s11, s9
	s_mul_hi_u32 s7, s9, s11
	s_add_i32 s9, s9, s7
	s_mul_hi_u32 s6, s16, s9
	s_mul_i32 s7, s6, s18
	s_add_i32 s8, s6, 1
	s_sub_i32 s7, s16, s7
	s_sub_i32 s9, s7, s18
	s_cmp_ge_u32 s7, s18
	s_cselect_b32 s6, s8, s6
	s_cselect_b32 s7, s9, s7
	s_add_i32 s8, s6, 1
	s_cmp_ge_u32 s7, s18
	s_cselect_b32 s14, s8, s6
	s_cmp_ge_u32 s14, s0
	s_cbranch_scc1 .LBB50_30
; %bb.1:
	s_clause 0x1
	s_load_dwordx4 s[8:11], s[4:5], 0x100
	s_load_dword s12, s[4:5], 0xd0
	s_lshl_b64 s[6:7], s[14:15], 3
	s_mov_b32 s0, s14
	s_waitcnt lgkmcnt(0)
	s_add_u32 s10, s10, s6
	s_addc_u32 s11, s11, s7
	s_load_dwordx2 s[6:7], s[4:5], 0x110
	s_load_dwordx2 s[10:11], s[10:11], 0x0
	s_cmp_lt_i32 s12, 2
	s_cbranch_scc1 .LBB50_4
; %bb.2:
	s_add_i32 s20, s12, -1
	s_mov_b32 s21, 0
	s_add_i32 s17, s12, 1
	s_lshl_b64 s[22:23], s[20:21], 2
	s_mov_b32 s15, s21
	s_add_u32 s0, s4, s22
	s_addc_u32 s13, s5, s23
	s_add_u32 s12, s0, 8
	s_addc_u32 s13, s13, 0
	s_mov_b32 s0, s14
	s_inst_prefetch 0x1
	.p2align	6
.LBB50_3:                               ; =>This Inner Loop Header: Depth=1
	s_clause 0x1
	s_load_dword s19, s[12:13], 0x0
	s_load_dword s20, s[12:13], 0x64
	s_mov_b32 s23, s0
	s_waitcnt lgkmcnt(0)
	v_cvt_f32_u32_e32 v1, s19
	s_sub_i32 s22, 0, s19
	v_rcp_iflag_f32_e32 v1, v1
	v_mul_f32_e32 v1, 0x4f7ffffe, v1
	v_cvt_u32_f32_e32 v1, v1
	v_readfirstlane_b32 s21, v1
	s_mul_i32 s22, s22, s21
	s_mul_hi_u32 s22, s21, s22
	s_add_i32 s21, s21, s22
	s_mul_hi_u32 s0, s0, s21
	s_mul_i32 s21, s0, s19
	s_add_i32 s22, s0, 1
	s_sub_i32 s21, s23, s21
	s_sub_i32 s24, s21, s19
	s_cmp_ge_u32 s21, s19
	s_cselect_b32 s0, s22, s0
	s_cselect_b32 s21, s24, s21
	s_add_i32 s22, s0, 1
	s_cmp_ge_u32 s21, s19
	s_cselect_b32 s0, s22, s0
	s_add_i32 s17, s17, -1
	s_mul_i32 s19, s0, s19
	s_sub_i32 s19, s23, s19
	s_mul_i32 s19, s20, s19
	s_add_i32 s15, s19, s15
	s_add_u32 s12, s12, -4
	s_addc_u32 s13, s13, -1
	s_cmp_gt_u32 s17, 2
	s_cbranch_scc1 .LBB50_3
.LBB50_4:
	s_inst_prefetch 0x2
	v_cmp_gt_u32_e32 vcc_lo, 0x100, v0
	v_lshlrev_b32_e32 v5, 2, v0
	s_and_saveexec_b32 s12, vcc_lo
; %bb.5:
	v_mov_b32_e32 v1, 0
	ds_write_b32 v5, v1
; %bb.6:
	s_or_b32 exec_lo, exec_lo, s12
	s_load_dword s17, s[4:5], 0xd8
	s_mul_i32 s12, s14, s18
	s_waitcnt lgkmcnt(0)
	s_sub_i32 s12, s16, s12
	s_barrier
	s_mul_i32 s13, s3, s12
	s_add_i32 s19, s12, 1
	s_lshl_b32 s14, s13, 8
	buffer_gl0_inv
	s_sub_i32 s13, s17, s14
	s_add_u32 s12, s13, 0xff
	s_addc_u32 s13, 0, 0
	s_lshr_b64 s[12:13], s[12:13], 8
	s_cmp_lt_u32 s19, s18
	s_mov_b32 s13, 0
	s_cselect_b32 s18, s3, s12
	s_cmp_lt_i32 s18, 1
	s_cbranch_scc1 .LBB50_28
; %bb.7:
	s_clause 0x1
	s_load_dword s3, s[4:5], 0x6c
	s_load_dwordx2 s[4:5], s[4:5], 0x0
	s_waitcnt lgkmcnt(0)
	s_mul_i32 s0, s3, s0
	s_add_i32 s12, s0, s15
	s_lshl_b64 s[20:21], s[12:13], 3
	s_add_u32 s3, s4, s20
	s_addc_u32 s4, s5, s21
	s_and_b32 s2, s2, 0xff
	s_cmp_lt_u32 s18, 4
	s_cbranch_scc1 .LBB50_22
; %bb.8:
	v_add_nc_u32_e32 v1, s14, v0
	v_mov_b32_e32 v11, 1
	v_mov_b32_e32 v12, 2
	s_and_b32 s13, s18, 0x7ffffffc
	s_lshl_b32 s5, s1, 10
	v_add_nc_u32_e32 v6, 0x300, v1
	v_add_nc_u32_e32 v2, 0x200, v1
	;; [unrolled: 1-line block ×3, first 2 shown]
	v_mul_lo_u32 v10, s1, v1
	s_mov_b32 s12, 0
	v_mul_lo_u32 v7, s1, v6
	v_mul_lo_u32 v8, s1, v2
	;; [unrolled: 1-line block ×3, first 2 shown]
	v_mov_b32_e32 v2, 0
	s_mov_b32 s15, 0
	s_branch .LBB50_10
.LBB50_9:                               ;   in Loop: Header=BB50_10 Depth=1
	s_or_b32 exec_lo, exec_lo, s19
	v_add_nc_u32_e32 v6, 0x400, v6
	s_add_i32 s15, s15, 4
	s_add_i32 s12, s12, s5
	s_cmp_eq_u32 s13, s15
	s_cbranch_scc1 .LBB50_22
.LBB50_10:                              ; =>This Inner Loop Header: Depth=1
	v_add_nc_u32_e32 v1, 0xfffffd00, v6
	s_mov_b32 s19, exec_lo
	v_cmpx_gt_u32_e64 s17, v1
	s_cbranch_execz .LBB50_13
; %bb.11:                               ;   in Loop: Header=BB50_10 Depth=1
	v_add_nc_u32_e32 v1, s12, v10
	v_lshlrev_b64 v[3:4], 3, v[1:2]
	v_add_co_u32 v3, s0, s3, v3
	v_add_co_ci_u32_e64 v4, null, s4, v4, s0
	global_load_dwordx2 v[3:4], v[3:4], off
	s_waitcnt vmcnt(0)
	v_xor_b32_e32 v4, 0x80000000, v4
	v_xor_b32_e32 v13, s10, v3
	v_xor_b32_e32 v1, s11, v4
	v_and_b32_e32 v13, s8, v13
	v_and_b32_e32 v14, s9, v1
	v_cmp_eq_u64_e64 s0, 0, v[13:14]
	s_and_b32 exec_lo, exec_lo, s0
; %bb.12:                               ;   in Loop: Header=BB50_10 Depth=1
	v_lshrrev_b64 v[3:4], s2, v[3:4]
	v_lshlrev_b32_sdwa v1, v12, v3 dst_sel:DWORD dst_unused:UNUSED_PAD src0_sel:DWORD src1_sel:BYTE_0
	ds_add_u32 v1, v11
.LBB50_13:                              ;   in Loop: Header=BB50_10 Depth=1
	s_or_b32 exec_lo, exec_lo, s19
	v_add_nc_u32_e32 v1, 0xfffffe00, v6
	s_mov_b32 s19, exec_lo
	v_cmpx_gt_u32_e64 s17, v1
	s_cbranch_execz .LBB50_16
; %bb.14:                               ;   in Loop: Header=BB50_10 Depth=1
	v_add_nc_u32_e32 v1, s12, v9
	v_lshlrev_b64 v[3:4], 3, v[1:2]
	v_add_co_u32 v3, s0, s3, v3
	v_add_co_ci_u32_e64 v4, null, s4, v4, s0
	global_load_dwordx2 v[3:4], v[3:4], off
	s_waitcnt vmcnt(0)
	v_xor_b32_e32 v4, 0x80000000, v4
	v_xor_b32_e32 v13, s10, v3
	v_xor_b32_e32 v1, s11, v4
	v_and_b32_e32 v13, s8, v13
	v_and_b32_e32 v14, s9, v1
	v_cmp_eq_u64_e64 s0, 0, v[13:14]
	s_and_b32 exec_lo, exec_lo, s0
; %bb.15:                               ;   in Loop: Header=BB50_10 Depth=1
	v_lshrrev_b64 v[3:4], s2, v[3:4]
	v_lshlrev_b32_sdwa v1, v12, v3 dst_sel:DWORD dst_unused:UNUSED_PAD src0_sel:DWORD src1_sel:BYTE_0
	ds_add_u32 v1, v11
.LBB50_16:                              ;   in Loop: Header=BB50_10 Depth=1
	s_or_b32 exec_lo, exec_lo, s19
	;; [unrolled: 24-line block ×3, first 2 shown]
	s_mov_b32 s19, exec_lo
	v_cmpx_gt_u32_e64 s17, v6
	s_cbranch_execz .LBB50_9
; %bb.20:                               ;   in Loop: Header=BB50_10 Depth=1
	v_add_nc_u32_e32 v1, s12, v7
	v_lshlrev_b64 v[3:4], 3, v[1:2]
	v_add_co_u32 v3, s0, s3, v3
	v_add_co_ci_u32_e64 v4, null, s4, v4, s0
	global_load_dwordx2 v[3:4], v[3:4], off
	s_waitcnt vmcnt(0)
	v_xor_b32_e32 v4, 0x80000000, v4
	v_xor_b32_e32 v13, s10, v3
	v_xor_b32_e32 v1, s11, v4
	v_and_b32_e32 v13, s8, v13
	v_and_b32_e32 v14, s9, v1
	v_cmp_eq_u64_e64 s0, 0, v[13:14]
	s_and_b32 exec_lo, exec_lo, s0
	s_cbranch_execz .LBB50_9
; %bb.21:                               ;   in Loop: Header=BB50_10 Depth=1
	v_lshrrev_b64 v[3:4], s2, v[3:4]
	v_lshlrev_b32_sdwa v1, v12, v3 dst_sel:DWORD dst_unused:UNUSED_PAD src0_sel:DWORD src1_sel:BYTE_0
	ds_add_u32 v1, v11
	s_branch .LBB50_9
.LBB50_22:
	s_and_b32 s5, s18, 3
	s_cmp_eq_u32 s5, 0
	s_cbranch_scc1 .LBB50_28
; %bb.23:
	s_lshl_b32 s0, s13, 8
	v_mov_b32_e32 v2, 0
	v_add3_u32 v6, s0, s14, v0
	v_mov_b32_e32 v7, 1
	v_mov_b32_e32 v8, 2
	v_mul_lo_u32 v1, s1, v6
	s_lshl_b32 s1, s1, 8
	s_inst_prefetch 0x1
	s_branch .LBB50_25
	.p2align	6
.LBB50_24:                              ;   in Loop: Header=BB50_25 Depth=1
	s_or_b32 exec_lo, exec_lo, s12
	v_add_nc_u32_e32 v1, s1, v1
	v_add_nc_u32_e32 v6, 0x100, v6
	s_add_i32 s5, s5, -1
	s_cmp_lg_u32 s5, 0
	s_cbranch_scc0 .LBB50_28
.LBB50_25:                              ; =>This Inner Loop Header: Depth=1
	s_mov_b32 s12, exec_lo
	v_cmpx_gt_u32_e64 s17, v6
	s_cbranch_execz .LBB50_24
; %bb.26:                               ;   in Loop: Header=BB50_25 Depth=1
	v_lshlrev_b64 v[3:4], 3, v[1:2]
	v_add_co_u32 v3, s0, s3, v3
	v_add_co_ci_u32_e64 v4, null, s4, v4, s0
	global_load_dwordx2 v[3:4], v[3:4], off
	s_waitcnt vmcnt(0)
	v_xor_b32_e32 v4, 0x80000000, v4
	v_xor_b32_e32 v11, s10, v3
	;; [unrolled: 1-line block ×3, first 2 shown]
	v_and_b32_e32 v10, s9, v9
	v_and_b32_e32 v9, s8, v11
	v_cmp_eq_u64_e64 s0, 0, v[9:10]
	s_and_b32 exec_lo, exec_lo, s0
	s_cbranch_execz .LBB50_24
; %bb.27:                               ;   in Loop: Header=BB50_25 Depth=1
	v_lshrrev_b64 v[3:4], s2, v[3:4]
	v_lshlrev_b32_sdwa v3, v8, v3 dst_sel:DWORD dst_unused:UNUSED_PAD src0_sel:DWORD src1_sel:BYTE_0
	ds_add_u32 v3, v7
	s_branch .LBB50_24
.LBB50_28:
	s_inst_prefetch 0x2
	s_waitcnt lgkmcnt(0)
	s_barrier
	buffer_gl0_inv
	s_and_saveexec_b32 s0, vcc_lo
	s_cbranch_execz .LBB50_30
; %bb.29:
	ds_read_b32 v2, v5
	v_lshl_or_b32 v0, s16, 8, v0
	v_mov_b32_e32 v1, 0
	v_lshlrev_b64 v[0:1], 1, v[0:1]
	v_add_co_u32 v0, vcc_lo, s6, v0
	v_add_co_ci_u32_e64 v1, null, s7, v1, vcc_lo
	s_waitcnt lgkmcnt(0)
	global_store_short v[0:1], v2, off
.LBB50_30:
	s_endpgm
	.section	.rodata,"a",@progbits
	.p2align	6, 0x0
	.amdhsa_kernel _ZN2at6native6mbtopk23computeBlockDigitCountsIljmLin1EEEvNS_4cuda6detail10TensorInfoIKT_T0_EEjPjjS8_iijT1_PSB_Ps
		.amdhsa_group_segment_fixed_size 1024
		.amdhsa_private_segment_fixed_size 0
		.amdhsa_kernarg_size 536
		.amdhsa_user_sgpr_count 6
		.amdhsa_user_sgpr_private_segment_buffer 1
		.amdhsa_user_sgpr_dispatch_ptr 0
		.amdhsa_user_sgpr_queue_ptr 0
		.amdhsa_user_sgpr_kernarg_segment_ptr 1
		.amdhsa_user_sgpr_dispatch_id 0
		.amdhsa_user_sgpr_flat_scratch_init 0
		.amdhsa_user_sgpr_private_segment_size 0
		.amdhsa_wavefront_size32 1
		.amdhsa_uses_dynamic_stack 0
		.amdhsa_system_sgpr_private_segment_wavefront_offset 0
		.amdhsa_system_sgpr_workgroup_id_x 1
		.amdhsa_system_sgpr_workgroup_id_y 1
		.amdhsa_system_sgpr_workgroup_id_z 1
		.amdhsa_system_sgpr_workgroup_info 0
		.amdhsa_system_vgpr_workitem_id 0
		.amdhsa_next_free_vgpr 15
		.amdhsa_next_free_sgpr 25
		.amdhsa_reserve_vcc 1
		.amdhsa_reserve_flat_scratch 0
		.amdhsa_float_round_mode_32 0
		.amdhsa_float_round_mode_16_64 0
		.amdhsa_float_denorm_mode_32 3
		.amdhsa_float_denorm_mode_16_64 3
		.amdhsa_dx10_clamp 1
		.amdhsa_ieee_mode 1
		.amdhsa_fp16_overflow 0
		.amdhsa_workgroup_processor_mode 1
		.amdhsa_memory_ordered 1
		.amdhsa_forward_progress 1
		.amdhsa_shared_vgpr_count 0
		.amdhsa_exception_fp_ieee_invalid_op 0
		.amdhsa_exception_fp_denorm_src 0
		.amdhsa_exception_fp_ieee_div_zero 0
		.amdhsa_exception_fp_ieee_overflow 0
		.amdhsa_exception_fp_ieee_underflow 0
		.amdhsa_exception_fp_ieee_inexact 0
		.amdhsa_exception_int_div_zero 0
	.end_amdhsa_kernel
	.section	.text._ZN2at6native6mbtopk23computeBlockDigitCountsIljmLin1EEEvNS_4cuda6detail10TensorInfoIKT_T0_EEjPjjS8_iijT1_PSB_Ps,"axG",@progbits,_ZN2at6native6mbtopk23computeBlockDigitCountsIljmLin1EEEvNS_4cuda6detail10TensorInfoIKT_T0_EEjPjjS8_iijT1_PSB_Ps,comdat
.Lfunc_end50:
	.size	_ZN2at6native6mbtopk23computeBlockDigitCountsIljmLin1EEEvNS_4cuda6detail10TensorInfoIKT_T0_EEjPjjS8_iijT1_PSB_Ps, .Lfunc_end50-_ZN2at6native6mbtopk23computeBlockDigitCountsIljmLin1EEEvNS_4cuda6detail10TensorInfoIKT_T0_EEjPjjS8_iijT1_PSB_Ps
                                        ; -- End function
	.set _ZN2at6native6mbtopk23computeBlockDigitCountsIljmLin1EEEvNS_4cuda6detail10TensorInfoIKT_T0_EEjPjjS8_iijT1_PSB_Ps.num_vgpr, 15
	.set _ZN2at6native6mbtopk23computeBlockDigitCountsIljmLin1EEEvNS_4cuda6detail10TensorInfoIKT_T0_EEjPjjS8_iijT1_PSB_Ps.num_agpr, 0
	.set _ZN2at6native6mbtopk23computeBlockDigitCountsIljmLin1EEEvNS_4cuda6detail10TensorInfoIKT_T0_EEjPjjS8_iijT1_PSB_Ps.numbered_sgpr, 25
	.set _ZN2at6native6mbtopk23computeBlockDigitCountsIljmLin1EEEvNS_4cuda6detail10TensorInfoIKT_T0_EEjPjjS8_iijT1_PSB_Ps.num_named_barrier, 0
	.set _ZN2at6native6mbtopk23computeBlockDigitCountsIljmLin1EEEvNS_4cuda6detail10TensorInfoIKT_T0_EEjPjjS8_iijT1_PSB_Ps.private_seg_size, 0
	.set _ZN2at6native6mbtopk23computeBlockDigitCountsIljmLin1EEEvNS_4cuda6detail10TensorInfoIKT_T0_EEjPjjS8_iijT1_PSB_Ps.uses_vcc, 1
	.set _ZN2at6native6mbtopk23computeBlockDigitCountsIljmLin1EEEvNS_4cuda6detail10TensorInfoIKT_T0_EEjPjjS8_iijT1_PSB_Ps.uses_flat_scratch, 0
	.set _ZN2at6native6mbtopk23computeBlockDigitCountsIljmLin1EEEvNS_4cuda6detail10TensorInfoIKT_T0_EEjPjjS8_iijT1_PSB_Ps.has_dyn_sized_stack, 0
	.set _ZN2at6native6mbtopk23computeBlockDigitCountsIljmLin1EEEvNS_4cuda6detail10TensorInfoIKT_T0_EEjPjjS8_iijT1_PSB_Ps.has_recursion, 0
	.set _ZN2at6native6mbtopk23computeBlockDigitCountsIljmLin1EEEvNS_4cuda6detail10TensorInfoIKT_T0_EEjPjjS8_iijT1_PSB_Ps.has_indirect_call, 0
	.section	.AMDGPU.csdata,"",@progbits
; Kernel info:
; codeLenInByte = 1516
; TotalNumSgprs: 27
; NumVgprs: 15
; ScratchSize: 0
; MemoryBound: 0
; FloatMode: 240
; IeeeMode: 1
; LDSByteSize: 1024 bytes/workgroup (compile time only)
; SGPRBlocks: 0
; VGPRBlocks: 1
; NumSGPRsForWavesPerEU: 27
; NumVGPRsForWavesPerEU: 15
; Occupancy: 16
; WaveLimiterHint : 1
; COMPUTE_PGM_RSRC2:SCRATCH_EN: 0
; COMPUTE_PGM_RSRC2:USER_SGPR: 6
; COMPUTE_PGM_RSRC2:TRAP_HANDLER: 0
; COMPUTE_PGM_RSRC2:TGID_X_EN: 1
; COMPUTE_PGM_RSRC2:TGID_Y_EN: 1
; COMPUTE_PGM_RSRC2:TGID_Z_EN: 1
; COMPUTE_PGM_RSRC2:TIDIG_COMP_CNT: 0
	.section	.text._ZN2at6native6mbtopk10gatherTopKIljLin1EEEvNS_4cuda6detail10TensorInfoIKT_T0_EES8_S8_bjS8_NS5_IS6_S8_EES8_NS5_IlS8_EES8_jjPS6_PjSD_j,"axG",@progbits,_ZN2at6native6mbtopk10gatherTopKIljLin1EEEvNS_4cuda6detail10TensorInfoIKT_T0_EES8_S8_bjS8_NS5_IS6_S8_EES8_NS5_IlS8_EES8_jjPS6_PjSD_j,comdat
	.protected	_ZN2at6native6mbtopk10gatherTopKIljLin1EEEvNS_4cuda6detail10TensorInfoIKT_T0_EES8_S8_bjS8_NS5_IS6_S8_EES8_NS5_IlS8_EES8_jjPS6_PjSD_j ; -- Begin function _ZN2at6native6mbtopk10gatherTopKIljLin1EEEvNS_4cuda6detail10TensorInfoIKT_T0_EES8_S8_bjS8_NS5_IS6_S8_EES8_NS5_IlS8_EES8_jjPS6_PjSD_j
	.globl	_ZN2at6native6mbtopk10gatherTopKIljLin1EEEvNS_4cuda6detail10TensorInfoIKT_T0_EES8_S8_bjS8_NS5_IS6_S8_EES8_NS5_IlS8_EES8_jjPS6_PjSD_j
	.p2align	8
	.type	_ZN2at6native6mbtopk10gatherTopKIljLin1EEEvNS_4cuda6detail10TensorInfoIKT_T0_EES8_S8_bjS8_NS5_IS6_S8_EES8_NS5_IlS8_EES8_jjPS6_PjSD_j,@function
_ZN2at6native6mbtopk10gatherTopKIljLin1EEEvNS_4cuda6detail10TensorInfoIKT_T0_EES8_S8_bjS8_NS5_IS6_S8_EES8_NS5_IlS8_EES8_jjPS6_PjSD_j: ; @_ZN2at6native6mbtopk10gatherTopKIljLin1EEEvNS_4cuda6detail10TensorInfoIKT_T0_EES8_S8_bjS8_NS5_IS6_S8_EES8_NS5_IlS8_EES8_jjPS6_PjSD_j
; %bb.0:
	s_clause 0x1
	s_load_dwordx2 s[0:1], s[4:5], 0x2d8
	s_load_dword s2, s[4:5], 0x2d0
	s_waitcnt lgkmcnt(0)
	s_mul_i32 s1, s1, s8
	s_add_i32 s1, s1, s7
	s_mul_i32 s0, s1, s0
	s_add_i32 s6, s0, s6
	s_cmp_ge_u32 s6, s2
	s_cbranch_scc1 .LBB51_49
; %bb.1:
	s_clause 0x1
	s_load_dwordx4 s[8:11], s[4:5], 0x2a8
	s_load_dword s0, s[4:5], 0xd0
	s_mov_b32 s17, 0
	s_waitcnt lgkmcnt(0)
	v_cvt_f32_u32_e32 v1, s10
	s_sub_i32 s2, 0, s10
	v_rcp_iflag_f32_e32 v1, v1
	v_mul_f32_e32 v1, 0x4f7ffffe, v1
	v_cvt_u32_f32_e32 v1, v1
	v_readfirstlane_b32 s1, v1
	s_mul_i32 s2, s2, s1
	s_mul_hi_u32 s2, s1, s2
	s_add_i32 s1, s1, s2
	s_mul_hi_u32 s1, s6, s1
	s_mul_i32 s2, s1, s10
	s_add_i32 s3, s1, 1
	s_sub_i32 s2, s6, s2
	s_sub_i32 s7, s2, s10
	s_cmp_ge_u32 s2, s10
	s_cselect_b32 s1, s3, s1
	s_cselect_b32 s2, s7, s2
	s_add_i32 s3, s1, 1
	s_cmp_ge_u32 s2, s10
	s_cselect_b32 s18, s3, s1
	s_cmp_lt_i32 s0, 2
	s_mov_b32 s11, s18
	s_cbranch_scc1 .LBB51_4
; %bb.2:
	s_add_i32 s16, s0, -1
	s_add_i32 s2, s0, 1
	s_lshl_b64 s[12:13], s[16:17], 2
	s_mov_b32 s11, s18
	s_add_u32 s0, s4, s12
	s_addc_u32 s1, s5, s13
	s_add_u32 s0, s0, 8
	s_addc_u32 s1, s1, 0
	s_inst_prefetch 0x1
	.p2align	6
.LBB51_3:                               ; =>This Inner Loop Header: Depth=1
	s_clause 0x1
	s_load_dword s3, s[0:1], 0x0
	s_load_dword s7, s[0:1], 0x64
	s_mov_b32 s14, s11
	s_waitcnt lgkmcnt(0)
	v_cvt_f32_u32_e32 v1, s3
	s_sub_i32 s13, 0, s3
	v_rcp_iflag_f32_e32 v1, v1
	v_mul_f32_e32 v1, 0x4f7ffffe, v1
	v_cvt_u32_f32_e32 v1, v1
	v_readfirstlane_b32 s12, v1
	s_mul_i32 s13, s13, s12
	s_mul_hi_u32 s13, s12, s13
	s_add_i32 s12, s12, s13
	s_mul_hi_u32 s11, s11, s12
	s_mul_i32 s12, s11, s3
	s_add_i32 s13, s11, 1
	s_sub_i32 s12, s14, s12
	s_sub_i32 s15, s12, s3
	s_cmp_ge_u32 s12, s3
	s_cselect_b32 s11, s13, s11
	s_cselect_b32 s12, s15, s12
	s_add_i32 s13, s11, 1
	s_cmp_ge_u32 s12, s3
	s_cselect_b32 s11, s13, s11
	s_add_i32 s2, s2, -1
	s_mul_i32 s3, s11, s3
	s_sub_i32 s3, s14, s3
	s_mul_i32 s3, s7, s3
	s_add_i32 s17, s3, s17
	s_add_u32 s0, s0, -4
	s_addc_u32 s1, s1, -1
	s_cmp_gt_u32 s2, 2
	s_cbranch_scc1 .LBB51_3
.LBB51_4:
	s_inst_prefetch 0x2
	s_load_dword s2, s[4:5], 0x1c0
	s_add_u32 s0, s4, 0xf0
	s_addc_u32 s1, s5, 0
	s_mov_b32 s21, 0
	s_mov_b32 s16, s18
	s_waitcnt lgkmcnt(0)
	s_cmp_lt_i32 s2, 2
	s_cbranch_scc1 .LBB51_7
; %bb.5:
	s_add_i32 s20, s2, -1
	s_add_i32 s7, s2, 1
	s_lshl_b64 s[12:13], s[20:21], 2
	s_mov_b32 s16, s18
	s_add_u32 s2, s0, s12
	s_addc_u32 s3, s1, s13
	s_add_u32 s2, s2, 8
	s_addc_u32 s3, s3, 0
	s_inst_prefetch 0x1
	.p2align	6
.LBB51_6:                               ; =>This Inner Loop Header: Depth=1
	s_clause 0x1
	s_load_dword s12, s[2:3], 0x0
	s_load_dword s13, s[2:3], 0x64
	s_mov_b32 s19, s16
	s_waitcnt lgkmcnt(0)
	v_cvt_f32_u32_e32 v1, s12
	s_sub_i32 s15, 0, s12
	v_rcp_iflag_f32_e32 v1, v1
	v_mul_f32_e32 v1, 0x4f7ffffe, v1
	v_cvt_u32_f32_e32 v1, v1
	v_readfirstlane_b32 s14, v1
	s_mul_i32 s15, s15, s14
	s_mul_hi_u32 s15, s14, s15
	s_add_i32 s14, s14, s15
	s_mul_hi_u32 s14, s16, s14
	s_mul_i32 s15, s14, s12
	s_sub_i32 s15, s16, s15
	s_add_i32 s16, s14, 1
	s_sub_i32 s20, s15, s12
	s_cmp_ge_u32 s15, s12
	s_cselect_b32 s14, s16, s14
	s_cselect_b32 s15, s20, s15
	s_add_i32 s16, s14, 1
	s_cmp_ge_u32 s15, s12
	s_cselect_b32 s16, s16, s14
	s_add_i32 s7, s7, -1
	s_mul_i32 s12, s16, s12
	s_sub_i32 s12, s19, s12
	s_mul_i32 s12, s13, s12
	s_add_i32 s21, s12, s21
	s_add_u32 s2, s2, -4
	s_addc_u32 s3, s3, -1
	s_cmp_gt_u32 s7, 2
	s_cbranch_scc1 .LBB51_6
.LBB51_7:
	s_inst_prefetch 0x2
	s_clause 0x1
	s_load_dword s20, s[4:5], 0x6c
	s_load_dword s2, s[4:5], 0x2a0
	s_add_u32 s3, s4, 0x1d0
	s_addc_u32 s12, s5, 0
	s_mov_b32 s23, 0
	s_mov_b32 s22, s18
	s_waitcnt lgkmcnt(0)
	s_cmp_lt_i32 s2, 2
	s_cbranch_scc1 .LBB51_10
; %bb.8:
	s_add_i32 s22, s2, -1
	s_add_i32 s7, s2, 1
	s_lshl_b64 s[14:15], s[22:23], 2
	s_mov_b32 s22, s18
	s_add_u32 s2, s3, s14
	s_addc_u32 s3, s12, s15
	s_add_u32 s2, s2, 8
	s_addc_u32 s3, s3, 0
	s_inst_prefetch 0x1
	.p2align	6
.LBB51_9:                               ; =>This Inner Loop Header: Depth=1
	s_clause 0x1
	s_load_dword s12, s[2:3], 0x0
	s_load_dword s13, s[2:3], 0x64
	s_mov_b32 s19, s22
	s_waitcnt lgkmcnt(0)
	v_cvt_f32_u32_e32 v1, s12
	s_sub_i32 s15, 0, s12
	v_rcp_iflag_f32_e32 v1, v1
	v_mul_f32_e32 v1, 0x4f7ffffe, v1
	v_cvt_u32_f32_e32 v1, v1
	v_readfirstlane_b32 s14, v1
	s_mul_i32 s15, s15, s14
	s_mul_hi_u32 s15, s14, s15
	s_add_i32 s14, s14, s15
	s_mul_hi_u32 s14, s22, s14
	s_mul_i32 s15, s14, s12
	s_sub_i32 s15, s22, s15
	s_add_i32 s22, s14, 1
	s_sub_i32 s24, s15, s12
	s_cmp_ge_u32 s15, s12
	s_cselect_b32 s14, s22, s14
	s_cselect_b32 s15, s24, s15
	s_add_i32 s22, s14, 1
	s_cmp_ge_u32 s15, s12
	s_cselect_b32 s22, s22, s14
	s_add_i32 s7, s7, -1
	s_mul_i32 s12, s22, s12
	s_sub_i32 s12, s19, s12
	s_mul_i32 s12, s13, s12
	s_add_i32 s23, s12, s23
	s_add_u32 s2, s2, -4
	s_addc_u32 s3, s3, -1
	s_cmp_gt_u32 s7, 2
	s_cbranch_scc1 .LBB51_9
.LBB51_10:
	s_inst_prefetch 0x2
	s_clause 0x1
	s_load_dword s33, s[0:1], 0x6c
	s_load_dwordx4 s[0:3], s[4:5], 0x2b8
	s_mov_b32 s19, 0
	s_mul_i32 s12, s18, s10
	s_lshl_b64 s[14:15], s[18:19], 3
	s_sub_i32 s18, s6, s12
	s_waitcnt lgkmcnt(0)
	s_add_u32 s0, s0, s14
	s_addc_u32 s1, s1, s15
	s_clause 0x2
	s_load_dwordx2 s[28:29], s[4:5], 0x0
	s_load_dwordx2 s[26:27], s[4:5], 0xf0
	;; [unrolled: 1-line block ×4, first 2 shown]
	v_cmp_ne_u32_e64 s0, 0, v0
	v_cmp_eq_u32_e64 s1, 0, v0
	s_and_saveexec_b32 s38, s1
	s_cbranch_execz .LBB51_26
; %bb.11:
	s_load_dwordx2 s[30:31], s[4:5], 0x2c8
	s_mov_b32 s13, s19
	s_mov_b32 s39, 0
	s_lshl_b64 s[34:35], s[12:13], 2
	s_mov_b32 s40, 0
	s_add_u32 s12, s2, s34
	s_addc_u32 s13, s3, s35
	s_waitcnt lgkmcnt(0)
	s_add_u32 s14, s30, s34
	s_addc_u32 s15, s31, s35
	s_cmp_lt_u32 s10, 4
	s_cbranch_scc1 .LBB51_23
; %bb.12:
	s_mov_b32 s41, 0
.LBB51_13:                              ; =>This Inner Loop Header: Depth=1
	s_add_u32 s12, s2, s34
	s_addc_u32 s13, s3, s35
	s_add_u32 s36, s30, s34
	s_load_dwordx4 s[12:15], s[12:13], 0x0
	s_addc_u32 s37, s31, s35
	s_cmp_ge_u32 s41, s18
	s_cbranch_scc0 .LBB51_20
; %bb.14:                               ;   in Loop: Header=BB51_13 Depth=1
	s_add_i32 s42, s41, 1
	s_cmp_ge_u32 s42, s18
	s_cbranch_scc0 .LBB51_21
.LBB51_15:                              ;   in Loop: Header=BB51_13 Depth=1
	s_add_i32 s42, s42, 1
	s_cmp_ge_u32 s42, s18
	s_cbranch_scc0 .LBB51_22
.LBB51_16:                              ;   in Loop: Header=BB51_13 Depth=1
	s_add_i32 s42, s42, 1
	s_cmp_ge_u32 s42, s18
	s_cbranch_scc1 .LBB51_18
.LBB51_17:                              ;   in Loop: Header=BB51_13 Depth=1
	s_load_dword s36, s[36:37], 0xc
	s_waitcnt lgkmcnt(0)
	s_add_i32 s19, s19, s15
	s_add_i32 s39, s36, s39
.LBB51_18:                              ;   in Loop: Header=BB51_13 Depth=1
	s_waitcnt lgkmcnt(0)
	s_add_i32 s12, s12, s40
	s_add_i32 s12, s12, s13
	;; [unrolled: 1-line block ×4, first 2 shown]
	s_add_u32 s2, s2, 16
	s_addc_u32 s3, s3, 0
	s_add_u32 s30, s30, 16
	s_addc_u32 s31, s31, 0
	s_add_i32 s37, s42, 4
	s_add_u32 s14, s30, s34
	s_addc_u32 s15, s31, s35
	s_add_u32 s12, s2, s34
	s_addc_u32 s13, s3, s35
	s_add_i32 s36, s42, 1
	s_cmp_ge_u32 s37, s10
	s_cbranch_scc1 .LBB51_24
; %bb.19:                               ;   in Loop: Header=BB51_13 Depth=1
	s_mov_b32 s41, s36
	s_branch .LBB51_13
.LBB51_20:                              ;   in Loop: Header=BB51_13 Depth=1
	s_load_dword s42, s[36:37], 0x0
	s_waitcnt lgkmcnt(0)
	s_add_i32 s19, s12, s19
	s_add_i32 s39, s42, s39
	;; [unrolled: 1-line block ×3, first 2 shown]
	s_cmp_ge_u32 s42, s18
	s_cbranch_scc1 .LBB51_15
.LBB51_21:                              ;   in Loop: Header=BB51_13 Depth=1
	s_load_dword s43, s[36:37], 0x4
	s_waitcnt lgkmcnt(0)
	s_add_i32 s19, s19, s13
	s_add_i32 s39, s43, s39
	;; [unrolled: 1-line block ×3, first 2 shown]
	s_cmp_ge_u32 s42, s18
	s_cbranch_scc1 .LBB51_16
.LBB51_22:                              ;   in Loop: Header=BB51_13 Depth=1
	s_load_dword s43, s[36:37], 0x8
	s_waitcnt lgkmcnt(0)
	s_add_i32 s19, s19, s14
	s_add_i32 s39, s43, s39
	;; [unrolled: 1-line block ×3, first 2 shown]
	s_cmp_ge_u32 s42, s18
	s_cbranch_scc0 .LBB51_17
	s_branch .LBB51_18
.LBB51_23:
	s_mov_b32 s2, 0
	s_cmp_ge_u32 s2, s10
	s_cbranch_scc0 .LBB51_47
	s_branch .LBB51_25
.LBB51_24:
	s_add_i32 s2, s41, 4
	s_cmp_ge_u32 s2, s10
	s_cbranch_scc0 .LBB51_47
.LBB51_25:
	v_mov_b32_e32 v1, s39
	v_mov_b32_e32 v2, s40
	;; [unrolled: 1-line block ×4, first 2 shown]
	ds_write_b96 v4, v[1:3] offset:1056
.LBB51_26:
	s_or_b32 exec_lo, exec_lo, s38
	s_clause 0x1
	s_load_dword s2, s[4:5], 0x23c
	s_load_dwordx4 s[12:15], s[4:5], 0xd8
	s_mul_i32 s3, s9, s18
	s_waitcnt lgkmcnt(0)
	s_add_i32 s15, s18, 1
	s_lshl_b32 s30, s3, 8
	s_barrier
	buffer_gl0_inv
	s_sub_i32 s3, s12, s30
	s_add_u32 s18, s3, 0xff
	s_addc_u32 s19, 0, 0
	s_mov_b32 s3, 0
	s_lshr_b64 s[18:19], s[18:19], 8
	s_cmp_lt_u32 s15, s10
	s_cselect_b32 s9, s9, s18
	s_cmp_eq_u32 s9, 0
	s_cbranch_scc1 .LBB51_49
; %bb.27:
	v_mov_b32_e32 v5, 0
	s_mul_i32 s15, s2, s22
	s_load_dword s22, s[4:5], 0xe8
	v_lshrrev_b32_e32 v4, 3, v0
	v_add_nc_u32_e32 v6, -1, v0
	ds_read_b96 v[1:3], v5 offset:1056
	s_mul_i32 s11, s20, s11
	s_load_dword s4, s[4:5], 0x1c8
	s_add_i32 s2, s11, s17
	v_and_b32_e32 v4, 28, v4
	v_lshrrev_b32_e32 v7, 3, v6
	s_mul_i32 s10, s33, s16
	s_lshl_b64 s[16:17], s[2:3], 3
	s_add_i32 s10, s10, s21
	s_add_i32 s20, s15, s23
	s_mov_b32 s11, s3
	s_add_u32 s15, s28, s16
	s_addc_u32 s16, s29, s17
	s_lshl_b64 s[10:11], s[10:11], 3
	v_lshl_add_u32 v9, v0, 2, v4
	v_and_b32_e32 v4, 0x1ffffffc, v7
	s_mov_b32 s21, s3
	s_add_u32 s17, s26, s10
	s_addc_u32 s18, s27, s11
	s_lshl_b64 s[2:3], s[20:21], 3
	s_waitcnt lgkmcnt(0)
	v_add_nc_u32_e32 v8, v1, v2
	v_add_nc_u32_e32 v1, s30, v0
	v_and_b32_e32 v2, 0xfc, v0
	v_lshlrev_b32_e32 v7, 5, v0
	v_mbcnt_lo_u32_b32 v10, -1, 0
	s_add_u32 s19, s24, s2
	v_cmp_gt_u32_e64 s2, 32, v0
	v_lshl_add_u32 v0, v6, 2, v4
	v_mul_lo_u32 v4, s22, v1
	s_addc_u32 s20, s25, s3
	s_xor_b32 s11, s7, 0x80000000
	v_add_nc_u32_e32 v11, v2, v7
	v_and_b32_e32 v12, 15, v10
	v_bfe_i32 v13, v10, 4, 1
	v_add_nc_u32_e32 v14, -1, v10
	s_bitcmp1_b32 s14, 0
	s_mov_b32 s10, s6
	s_cselect_b32 s3, -1, 0
	s_lshl_b32 s5, s22, 8
                                        ; implicit-def: $vgpr6_vgpr7
	s_branch .LBB51_30
.LBB51_28:                              ;   in Loop: Header=BB51_30 Depth=1
	s_or_b32 exec_lo, exec_lo, s14
	v_add_nc_u32_e32 v8, v17, v8
.LBB51_29:                              ;   in Loop: Header=BB51_30 Depth=1
	v_add_nc_u32_e32 v3, v16, v3
	v_add_nc_u32_e32 v4, s5, v4
	;; [unrolled: 1-line block ×3, first 2 shown]
	s_add_i32 s9, s9, -1
	s_cmp_lg_u32 s9, 0
	s_cbranch_scc0 .LBB51_49
.LBB51_30:                              ; =>This Inner Loop Header: Depth=1
	v_mov_b32_e32 v2, 0
	v_mov_b32_e32 v15, 0
	s_mov_b32 s14, exec_lo
	v_cmpx_gt_u32_e64 s12, v1
	s_cbranch_execz .LBB51_32
; %bb.31:                               ;   in Loop: Header=BB51_30 Depth=1
	v_lshlrev_b64 v[6:7], 3, v[4:5]
	v_add_co_u32 v6, vcc_lo, s15, v6
	v_add_co_ci_u32_e64 v7, null, s16, v7, vcc_lo
	global_load_dwordx2 v[6:7], v[6:7], off
	s_waitcnt vmcnt(0)
	v_xor_b32_e32 v16, 0x80000000, v7
	v_mov_b32_e32 v15, v6
	v_cmp_lt_u64_e32 vcc_lo, s[10:11], v[15:16]
	v_cndmask_b32_e64 v2, 0, 1, vcc_lo
	v_cmp_gt_u64_e32 vcc_lo, s[10:11], v[15:16]
	v_cndmask_b32_e64 v15, 0, 1, vcc_lo
	v_cmp_eq_u64_e32 vcc_lo, s[6:7], v[6:7]
	v_cndmask_b32_e64 v2, v15, v2, s3
	v_cndmask_b32_e64 v15, 0, 1, vcc_lo
	v_and_b32_e32 v2, 1, v2
.LBB51_32:                              ;   in Loop: Header=BB51_30 Depth=1
	s_or_b32 exec_lo, exec_lo, s14
	ds_write_b32 v9, v2
	s_waitcnt lgkmcnt(0)
	s_barrier
	buffer_gl0_inv
	s_and_saveexec_b32 s14, s2
	s_cbranch_execz .LBB51_34
; %bb.33:                               ;   in Loop: Header=BB51_30 Depth=1
	ds_read2_b32 v[16:17], v11 offset1:1
	ds_read2_b32 v[18:19], v11 offset0:2 offset1:3
	ds_read2_b32 v[20:21], v11 offset0:4 offset1:5
	;; [unrolled: 1-line block ×3, first 2 shown]
	v_cmp_ne_u32_e32 vcc_lo, 0, v12
	; wave barrier
	s_waitcnt lgkmcnt(3)
	v_add_nc_u32_e32 v17, v17, v16
	s_waitcnt lgkmcnt(2)
	v_add3_u32 v17, v17, v18, v19
	s_waitcnt lgkmcnt(1)
	v_add3_u32 v17, v17, v20, v21
	;; [unrolled: 2-line block ×3, first 2 shown]
	v_mov_b32_dpp v18, v17 row_shr:1 row_mask:0xf bank_mask:0xf
	v_cndmask_b32_e32 v18, 0, v18, vcc_lo
	v_cmp_lt_u32_e32 vcc_lo, 1, v12
	v_add_nc_u32_e32 v17, v18, v17
	v_mov_b32_dpp v18, v17 row_shr:2 row_mask:0xf bank_mask:0xf
	v_cndmask_b32_e32 v18, 0, v18, vcc_lo
	v_cmp_lt_u32_e32 vcc_lo, 3, v12
	v_add_nc_u32_e32 v17, v17, v18
	;; [unrolled: 4-line block ×3, first 2 shown]
	v_mov_b32_dpp v18, v17 row_shr:8 row_mask:0xf bank_mask:0xf
	v_cndmask_b32_e32 v18, 0, v18, vcc_lo
	v_cmp_gt_i32_e32 vcc_lo, 0, v14
	v_add_nc_u32_e32 v17, v17, v18
	v_cndmask_b32_e32 v19, v14, v10, vcc_lo
	ds_swizzle_b32 v18, v17 offset:swizzle(BROADCAST,32,15)
	v_lshlrev_b32_e32 v19, 2, v19
	s_waitcnt lgkmcnt(0)
	v_and_b32_e32 v18, v13, v18
	v_add_nc_u32_e32 v17, v17, v18
	ds_bpermute_b32 v17, v19, v17
	s_waitcnt lgkmcnt(0)
	v_add_nc_u32_e32 v16, v17, v16
	v_cndmask_b32_e64 v22, v16, v2, s1
	ds_write_b32 v11, v22
	; wave barrier
	ds_read2_b32 v[16:17], v11 offset0:1 offset1:2
	ds_read2_b32 v[18:19], v11 offset0:3 offset1:4
	;; [unrolled: 1-line block ×3, first 2 shown]
	ds_read_b32 v23, v11 offset:28
	s_waitcnt lgkmcnt(3)
	v_add_nc_u32_e32 v16, v16, v22
	v_add_nc_u32_e32 v17, v17, v16
	s_waitcnt lgkmcnt(2)
	v_add_nc_u32_e32 v18, v18, v17
	v_add_nc_u32_e32 v19, v19, v18
	;; [unrolled: 3-line block ×3, first 2 shown]
	s_waitcnt lgkmcnt(0)
	v_add_nc_u32_e32 v22, v23, v21
	ds_write2_b32 v11, v16, v17 offset0:1 offset1:2
	ds_write2_b32 v11, v18, v19 offset0:3 offset1:4
	;; [unrolled: 1-line block ×3, first 2 shown]
	ds_write_b32 v11, v22 offset:28
.LBB51_34:                              ;   in Loop: Header=BB51_30 Depth=1
	s_or_b32 exec_lo, exec_lo, s14
	v_mov_b32_e32 v17, 0
	s_waitcnt lgkmcnt(0)
	s_barrier
	buffer_gl0_inv
	s_and_saveexec_b32 s14, s0
; %bb.35:                               ;   in Loop: Header=BB51_30 Depth=1
	ds_read_b32 v17, v0
; %bb.36:                               ;   in Loop: Header=BB51_30 Depth=1
	s_or_b32 exec_lo, exec_lo, s14
	ds_read_b32 v16, v5 offset:1048
	s_mov_b32 s14, exec_lo
	s_waitcnt lgkmcnt(0)
	s_barrier
	buffer_gl0_inv
	v_cmpx_ne_u32_e32 0, v2
	s_cbranch_execz .LBB51_38
; %bb.37:                               ;   in Loop: Header=BB51_30 Depth=1
	v_add_nc_u32_e32 v2, v17, v3
	v_mov_b32_e32 v18, v5
	v_mov_b32_e32 v20, v5
	v_mul_lo_u32 v17, v2, s4
	v_mul_lo_u32 v19, v2, s8
	v_mov_b32_e32 v2, v5
	v_lshlrev_b64 v[17:18], 3, v[17:18]
	v_lshlrev_b64 v[19:20], 3, v[19:20]
	v_add_co_u32 v17, vcc_lo, s17, v17
	v_add_co_ci_u32_e64 v18, null, s18, v18, vcc_lo
	v_add_co_u32 v19, vcc_lo, s19, v19
	v_add_co_ci_u32_e64 v20, null, s20, v20, vcc_lo
	global_store_dwordx2 v[17:18], v[6:7], off
	global_store_dwordx2 v[19:20], v[1:2], off
.LBB51_38:                              ;   in Loop: Header=BB51_30 Depth=1
	s_or_b32 exec_lo, exec_lo, s14
	v_cmp_le_u32_e32 vcc_lo, s13, v8
	s_cbranch_vccnz .LBB51_29
; %bb.39:                               ;   in Loop: Header=BB51_30 Depth=1
	ds_write_b32 v9, v15
	s_waitcnt lgkmcnt(0)
	s_waitcnt_vscnt null, 0x0
	s_barrier
	buffer_gl0_inv
	s_and_saveexec_b32 s14, s2
	s_cbranch_execz .LBB51_41
; %bb.40:                               ;   in Loop: Header=BB51_30 Depth=1
	ds_read2_b32 v[17:18], v11 offset1:1
	ds_read2_b32 v[19:20], v11 offset0:2 offset1:3
	ds_read2_b32 v[21:22], v11 offset0:4 offset1:5
	;; [unrolled: 1-line block ×3, first 2 shown]
	v_cmp_ne_u32_e32 vcc_lo, 0, v12
	; wave barrier
	s_waitcnt lgkmcnt(3)
	v_add_nc_u32_e32 v2, v18, v17
	s_waitcnt lgkmcnt(2)
	v_add3_u32 v2, v2, v19, v20
	s_waitcnt lgkmcnt(1)
	v_add3_u32 v2, v2, v21, v22
	;; [unrolled: 2-line block ×3, first 2 shown]
	v_mov_b32_dpp v18, v2 row_shr:1 row_mask:0xf bank_mask:0xf
	v_cndmask_b32_e32 v18, 0, v18, vcc_lo
	v_cmp_lt_u32_e32 vcc_lo, 1, v12
	v_add_nc_u32_e32 v2, v18, v2
	v_mov_b32_dpp v18, v2 row_shr:2 row_mask:0xf bank_mask:0xf
	v_cndmask_b32_e32 v18, 0, v18, vcc_lo
	v_cmp_lt_u32_e32 vcc_lo, 3, v12
	v_add_nc_u32_e32 v2, v2, v18
	;; [unrolled: 4-line block ×3, first 2 shown]
	v_mov_b32_dpp v18, v2 row_shr:8 row_mask:0xf bank_mask:0xf
	v_cndmask_b32_e32 v18, 0, v18, vcc_lo
	v_cmp_gt_i32_e32 vcc_lo, 0, v14
	v_add_nc_u32_e32 v2, v2, v18
	v_cndmask_b32_e32 v19, v14, v10, vcc_lo
	ds_swizzle_b32 v18, v2 offset:swizzle(BROADCAST,32,15)
	v_lshlrev_b32_e32 v19, 2, v19
	s_waitcnt lgkmcnt(0)
	v_and_b32_e32 v18, v13, v18
	v_add_nc_u32_e32 v2, v2, v18
	ds_bpermute_b32 v2, v19, v2
	s_waitcnt lgkmcnt(0)
	v_add_nc_u32_e32 v2, v2, v17
	v_cndmask_b32_e64 v2, v2, v15, s1
	ds_write_b32 v11, v2
	; wave barrier
	ds_read2_b32 v[17:18], v11 offset0:1 offset1:2
	ds_read2_b32 v[19:20], v11 offset0:3 offset1:4
	;; [unrolled: 1-line block ×3, first 2 shown]
	ds_read_b32 v23, v11 offset:28
	s_waitcnt lgkmcnt(3)
	v_add_nc_u32_e32 v2, v17, v2
	v_add_nc_u32_e32 v17, v18, v2
	s_waitcnt lgkmcnt(2)
	v_add_nc_u32_e32 v18, v19, v17
	v_add_nc_u32_e32 v19, v20, v18
	;; [unrolled: 3-line block ×3, first 2 shown]
	s_waitcnt lgkmcnt(0)
	v_add_nc_u32_e32 v22, v23, v21
	ds_write2_b32 v11, v2, v17 offset0:1 offset1:2
	ds_write2_b32 v11, v18, v19 offset0:3 offset1:4
	;; [unrolled: 1-line block ×3, first 2 shown]
	ds_write_b32 v11, v22 offset:28
.LBB51_41:                              ;   in Loop: Header=BB51_30 Depth=1
	s_or_b32 exec_lo, exec_lo, s14
	v_mov_b32_e32 v2, 0
	s_waitcnt lgkmcnt(0)
	s_barrier
	buffer_gl0_inv
	s_and_saveexec_b32 s14, s0
; %bb.42:                               ;   in Loop: Header=BB51_30 Depth=1
	ds_read_b32 v2, v0
; %bb.43:                               ;   in Loop: Header=BB51_30 Depth=1
	s_or_b32 exec_lo, exec_lo, s14
	ds_read_b32 v17, v5 offset:1048
	s_mov_b32 s14, exec_lo
	s_waitcnt lgkmcnt(0)
	s_barrier
	buffer_gl0_inv
	v_cmpx_ne_u32_e32 0, v15
	s_cbranch_execz .LBB51_28
; %bb.44:                               ;   in Loop: Header=BB51_30 Depth=1
	v_add_nc_u32_e32 v2, v2, v8
	v_cmp_gt_u32_e32 vcc_lo, s13, v2
	s_and_b32 exec_lo, exec_lo, vcc_lo
	s_cbranch_execz .LBB51_28
; %bb.45:                               ;   in Loop: Header=BB51_30 Depth=1
	v_mul_lo_u32 v18, v2, s4
	v_mul_lo_u32 v20, v2, s8
	v_mov_b32_e32 v19, v5
	v_mov_b32_e32 v21, v5
	;; [unrolled: 1-line block ×3, first 2 shown]
	v_lshlrev_b64 v[18:19], 3, v[18:19]
	v_lshlrev_b64 v[20:21], 3, v[20:21]
	v_add_co_u32 v18, vcc_lo, s17, v18
	v_add_co_ci_u32_e64 v19, null, s18, v19, vcc_lo
	v_add_co_u32 v20, vcc_lo, s19, v20
	v_add_co_ci_u32_e64 v21, null, s20, v21, vcc_lo
	global_store_dwordx2 v[18:19], v[6:7], off
	global_store_dwordx2 v[20:21], v[1:2], off
	s_branch .LBB51_28
	.p2align	6
.LBB51_46:                              ;   in Loop: Header=BB51_47 Depth=1
	s_add_u32 s12, s12, 4
	s_addc_u32 s13, s13, 0
	s_waitcnt lgkmcnt(0)
	s_add_i32 s40, s3, s40
	s_add_u32 s14, s14, 4
	s_addc_u32 s15, s15, 0
	s_add_i32 s2, s2, 1
	s_cmp_lt_u32 s2, s10
	s_cbranch_scc0 .LBB51_25
.LBB51_47:                              ; =>This Inner Loop Header: Depth=1
	s_load_dword s3, s[12:13], 0x0
	s_cmp_ge_u32 s2, s18
	s_cbranch_scc1 .LBB51_46
; %bb.48:                               ;   in Loop: Header=BB51_47 Depth=1
	s_load_dword s30, s[14:15], 0x0
	s_waitcnt lgkmcnt(0)
	s_add_i32 s19, s3, s19
	s_add_i32 s39, s30, s39
	s_branch .LBB51_46
.LBB51_49:
	s_endpgm
	.section	.rodata,"a",@progbits
	.p2align	6, 0x0
	.amdhsa_kernel _ZN2at6native6mbtopk10gatherTopKIljLin1EEEvNS_4cuda6detail10TensorInfoIKT_T0_EES8_S8_bjS8_NS5_IS6_S8_EES8_NS5_IlS8_EES8_jjPS6_PjSD_j
		.amdhsa_group_segment_fixed_size 1068
		.amdhsa_private_segment_fixed_size 0
		.amdhsa_kernarg_size 984
		.amdhsa_user_sgpr_count 6
		.amdhsa_user_sgpr_private_segment_buffer 1
		.amdhsa_user_sgpr_dispatch_ptr 0
		.amdhsa_user_sgpr_queue_ptr 0
		.amdhsa_user_sgpr_kernarg_segment_ptr 1
		.amdhsa_user_sgpr_dispatch_id 0
		.amdhsa_user_sgpr_flat_scratch_init 0
		.amdhsa_user_sgpr_private_segment_size 0
		.amdhsa_wavefront_size32 1
		.amdhsa_uses_dynamic_stack 0
		.amdhsa_system_sgpr_private_segment_wavefront_offset 0
		.amdhsa_system_sgpr_workgroup_id_x 1
		.amdhsa_system_sgpr_workgroup_id_y 1
		.amdhsa_system_sgpr_workgroup_id_z 1
		.amdhsa_system_sgpr_workgroup_info 0
		.amdhsa_system_vgpr_workitem_id 0
		.amdhsa_next_free_vgpr 25
		.amdhsa_next_free_sgpr 44
		.amdhsa_reserve_vcc 1
		.amdhsa_reserve_flat_scratch 0
		.amdhsa_float_round_mode_32 0
		.amdhsa_float_round_mode_16_64 0
		.amdhsa_float_denorm_mode_32 3
		.amdhsa_float_denorm_mode_16_64 3
		.amdhsa_dx10_clamp 1
		.amdhsa_ieee_mode 1
		.amdhsa_fp16_overflow 0
		.amdhsa_workgroup_processor_mode 1
		.amdhsa_memory_ordered 1
		.amdhsa_forward_progress 1
		.amdhsa_shared_vgpr_count 0
		.amdhsa_exception_fp_ieee_invalid_op 0
		.amdhsa_exception_fp_denorm_src 0
		.amdhsa_exception_fp_ieee_div_zero 0
		.amdhsa_exception_fp_ieee_overflow 0
		.amdhsa_exception_fp_ieee_underflow 0
		.amdhsa_exception_fp_ieee_inexact 0
		.amdhsa_exception_int_div_zero 0
	.end_amdhsa_kernel
	.section	.text._ZN2at6native6mbtopk10gatherTopKIljLin1EEEvNS_4cuda6detail10TensorInfoIKT_T0_EES8_S8_bjS8_NS5_IS6_S8_EES8_NS5_IlS8_EES8_jjPS6_PjSD_j,"axG",@progbits,_ZN2at6native6mbtopk10gatherTopKIljLin1EEEvNS_4cuda6detail10TensorInfoIKT_T0_EES8_S8_bjS8_NS5_IS6_S8_EES8_NS5_IlS8_EES8_jjPS6_PjSD_j,comdat
.Lfunc_end51:
	.size	_ZN2at6native6mbtopk10gatherTopKIljLin1EEEvNS_4cuda6detail10TensorInfoIKT_T0_EES8_S8_bjS8_NS5_IS6_S8_EES8_NS5_IlS8_EES8_jjPS6_PjSD_j, .Lfunc_end51-_ZN2at6native6mbtopk10gatherTopKIljLin1EEEvNS_4cuda6detail10TensorInfoIKT_T0_EES8_S8_bjS8_NS5_IS6_S8_EES8_NS5_IlS8_EES8_jjPS6_PjSD_j
                                        ; -- End function
	.set _ZN2at6native6mbtopk10gatherTopKIljLin1EEEvNS_4cuda6detail10TensorInfoIKT_T0_EES8_S8_bjS8_NS5_IS6_S8_EES8_NS5_IlS8_EES8_jjPS6_PjSD_j.num_vgpr, 25
	.set _ZN2at6native6mbtopk10gatherTopKIljLin1EEEvNS_4cuda6detail10TensorInfoIKT_T0_EES8_S8_bjS8_NS5_IS6_S8_EES8_NS5_IlS8_EES8_jjPS6_PjSD_j.num_agpr, 0
	.set _ZN2at6native6mbtopk10gatherTopKIljLin1EEEvNS_4cuda6detail10TensorInfoIKT_T0_EES8_S8_bjS8_NS5_IS6_S8_EES8_NS5_IlS8_EES8_jjPS6_PjSD_j.numbered_sgpr, 44
	.set _ZN2at6native6mbtopk10gatherTopKIljLin1EEEvNS_4cuda6detail10TensorInfoIKT_T0_EES8_S8_bjS8_NS5_IS6_S8_EES8_NS5_IlS8_EES8_jjPS6_PjSD_j.num_named_barrier, 0
	.set _ZN2at6native6mbtopk10gatherTopKIljLin1EEEvNS_4cuda6detail10TensorInfoIKT_T0_EES8_S8_bjS8_NS5_IS6_S8_EES8_NS5_IlS8_EES8_jjPS6_PjSD_j.private_seg_size, 0
	.set _ZN2at6native6mbtopk10gatherTopKIljLin1EEEvNS_4cuda6detail10TensorInfoIKT_T0_EES8_S8_bjS8_NS5_IS6_S8_EES8_NS5_IlS8_EES8_jjPS6_PjSD_j.uses_vcc, 1
	.set _ZN2at6native6mbtopk10gatherTopKIljLin1EEEvNS_4cuda6detail10TensorInfoIKT_T0_EES8_S8_bjS8_NS5_IS6_S8_EES8_NS5_IlS8_EES8_jjPS6_PjSD_j.uses_flat_scratch, 0
	.set _ZN2at6native6mbtopk10gatherTopKIljLin1EEEvNS_4cuda6detail10TensorInfoIKT_T0_EES8_S8_bjS8_NS5_IS6_S8_EES8_NS5_IlS8_EES8_jjPS6_PjSD_j.has_dyn_sized_stack, 0
	.set _ZN2at6native6mbtopk10gatherTopKIljLin1EEEvNS_4cuda6detail10TensorInfoIKT_T0_EES8_S8_bjS8_NS5_IS6_S8_EES8_NS5_IlS8_EES8_jjPS6_PjSD_j.has_recursion, 0
	.set _ZN2at6native6mbtopk10gatherTopKIljLin1EEEvNS_4cuda6detail10TensorInfoIKT_T0_EES8_S8_bjS8_NS5_IS6_S8_EES8_NS5_IlS8_EES8_jjPS6_PjSD_j.has_indirect_call, 0
	.section	.AMDGPU.csdata,"",@progbits
; Kernel info:
; codeLenInByte = 3088
; TotalNumSgprs: 46
; NumVgprs: 25
; ScratchSize: 0
; MemoryBound: 0
; FloatMode: 240
; IeeeMode: 1
; LDSByteSize: 1068 bytes/workgroup (compile time only)
; SGPRBlocks: 0
; VGPRBlocks: 3
; NumSGPRsForWavesPerEU: 46
; NumVGPRsForWavesPerEU: 25
; Occupancy: 16
; WaveLimiterHint : 1
; COMPUTE_PGM_RSRC2:SCRATCH_EN: 0
; COMPUTE_PGM_RSRC2:USER_SGPR: 6
; COMPUTE_PGM_RSRC2:TRAP_HANDLER: 0
; COMPUTE_PGM_RSRC2:TGID_X_EN: 1
; COMPUTE_PGM_RSRC2:TGID_Y_EN: 1
; COMPUTE_PGM_RSRC2:TGID_Z_EN: 1
; COMPUTE_PGM_RSRC2:TIDIG_COMP_CNT: 0
	.section	.text._ZN2at6native6sbtopk10gatherTopKIljLin1ELb0EEEvNS_4cuda6detail10TensorInfoIKT_T0_EES8_S8_bS8_S8_NS5_IS6_S8_EES8_NS5_IlS8_EES8_PS6_,"axG",@progbits,_ZN2at6native6sbtopk10gatherTopKIljLin1ELb0EEEvNS_4cuda6detail10TensorInfoIKT_T0_EES8_S8_bS8_S8_NS5_IS6_S8_EES8_NS5_IlS8_EES8_PS6_,comdat
	.protected	_ZN2at6native6sbtopk10gatherTopKIljLin1ELb0EEEvNS_4cuda6detail10TensorInfoIKT_T0_EES8_S8_bS8_S8_NS5_IS6_S8_EES8_NS5_IlS8_EES8_PS6_ ; -- Begin function _ZN2at6native6sbtopk10gatherTopKIljLin1ELb0EEEvNS_4cuda6detail10TensorInfoIKT_T0_EES8_S8_bS8_S8_NS5_IS6_S8_EES8_NS5_IlS8_EES8_PS6_
	.globl	_ZN2at6native6sbtopk10gatherTopKIljLin1ELb0EEEvNS_4cuda6detail10TensorInfoIKT_T0_EES8_S8_bS8_S8_NS5_IS6_S8_EES8_NS5_IlS8_EES8_PS6_
	.p2align	8
	.type	_ZN2at6native6sbtopk10gatherTopKIljLin1ELb0EEEvNS_4cuda6detail10TensorInfoIKT_T0_EES8_S8_bS8_S8_NS5_IS6_S8_EES8_NS5_IlS8_EES8_PS6_,@function
_ZN2at6native6sbtopk10gatherTopKIljLin1ELb0EEEvNS_4cuda6detail10TensorInfoIKT_T0_EES8_S8_bS8_S8_NS5_IS6_S8_EES8_NS5_IlS8_EES8_PS6_: ; @_ZN2at6native6sbtopk10gatherTopKIljLin1ELb0EEEvNS_4cuda6detail10TensorInfoIKT_T0_EES8_S8_bS8_S8_NS5_IS6_S8_EES8_NS5_IlS8_EES8_PS6_
; %bb.0:
	s_clause 0x1
	s_load_dwordx2 s[2:3], s[4:5], 0x2b8
	s_load_dwordx4 s[36:39], s[4:5], 0xd8
	s_add_u32 s10, s4, 0x2b8
	s_addc_u32 s11, s5, 0
	s_waitcnt lgkmcnt(0)
	s_mul_i32 s0, s3, s8
	s_add_i32 s0, s0, s7
	s_mul_i32 s0, s0, s2
	s_add_i32 s48, s0, s6
	s_cmp_ge_u32 s48, s39
	s_cbranch_scc1 .LBB52_404
; %bb.1:
	s_clause 0x1
	s_load_dword s3, s[4:5], 0xd0
	s_load_dword s30, s[4:5], 0xe8
	s_mov_b32 s1, 0
	s_mov_b32 s0, s48
	s_waitcnt lgkmcnt(0)
	s_cmp_lt_i32 s3, 2
	s_cbranch_scc1 .LBB52_4
; %bb.2:
	s_add_i32 s0, s3, -1
	s_add_i32 s3, s3, 1
	s_lshl_b64 s[8:9], s[0:1], 2
	s_add_u32 s0, s4, s8
	s_addc_u32 s7, s5, s9
	s_add_u32 s8, s0, 8
	s_addc_u32 s9, s7, 0
	s_mov_b32 s0, s48
	s_inst_prefetch 0x1
	.p2align	6
.LBB52_3:                               ; =>This Inner Loop Header: Depth=1
	s_clause 0x1
	s_load_dword s7, s[8:9], 0x0
	s_load_dword s12, s[8:9], 0x64
	s_mov_b32 s15, s0
	s_waitcnt lgkmcnt(0)
	v_cvt_f32_u32_e32 v1, s7
	s_sub_i32 s14, 0, s7
	v_rcp_iflag_f32_e32 v1, v1
	v_mul_f32_e32 v1, 0x4f7ffffe, v1
	v_cvt_u32_f32_e32 v1, v1
	v_readfirstlane_b32 s13, v1
	s_mul_i32 s14, s14, s13
	s_mul_hi_u32 s14, s13, s14
	s_add_i32 s13, s13, s14
	s_mul_hi_u32 s0, s0, s13
	s_mul_i32 s13, s0, s7
	s_add_i32 s14, s0, 1
	s_sub_i32 s13, s15, s13
	s_sub_i32 s16, s13, s7
	s_cmp_ge_u32 s13, s7
	s_cselect_b32 s0, s14, s0
	s_cselect_b32 s13, s16, s13
	s_add_i32 s14, s0, 1
	s_cmp_ge_u32 s13, s7
	s_cselect_b32 s0, s14, s0
	s_add_i32 s3, s3, -1
	s_mul_i32 s7, s0, s7
	s_sub_i32 s7, s15, s7
	s_mul_i32 s7, s12, s7
	s_add_i32 s1, s7, s1
	s_add_u32 s8, s8, -4
	s_addc_u32 s9, s9, -1
	s_cmp_gt_u32 s3, 2
	s_cbranch_scc1 .LBB52_3
.LBB52_4:
	s_inst_prefetch 0x2
	s_load_dword s3, s[4:5], 0x1c0
	s_add_u32 s8, s4, 0xf0
	s_addc_u32 s9, s5, 0
	s_mov_b32 s35, 0
	s_mov_b32 s49, s48
	s_waitcnt lgkmcnt(0)
	s_cmp_lt_i32 s3, 2
	s_cbranch_scc1 .LBB52_7
; %bb.5:
	s_add_i32 s34, s3, -1
	s_add_i32 s3, s3, 1
	s_lshl_b64 s[12:13], s[34:35], 2
	s_mov_b32 s49, s48
	s_add_u32 s7, s8, s12
	s_addc_u32 s13, s9, s13
	s_add_u32 s12, s7, 8
	s_addc_u32 s13, s13, 0
	s_inst_prefetch 0x1
	.p2align	6
.LBB52_6:                               ; =>This Inner Loop Header: Depth=1
	s_clause 0x1
	s_load_dword s7, s[12:13], 0x0
	s_load_dword s14, s[12:13], 0x64
	s_mov_b32 s17, s49
	s_waitcnt lgkmcnt(0)
	v_cvt_f32_u32_e32 v1, s7
	s_sub_i32 s16, 0, s7
	v_rcp_iflag_f32_e32 v1, v1
	v_mul_f32_e32 v1, 0x4f7ffffe, v1
	v_cvt_u32_f32_e32 v1, v1
	v_readfirstlane_b32 s15, v1
	s_mul_i32 s16, s16, s15
	s_mul_hi_u32 s16, s15, s16
	s_add_i32 s15, s15, s16
	s_mul_hi_u32 s15, s49, s15
	s_mul_i32 s16, s15, s7
	s_add_i32 s18, s15, 1
	s_sub_i32 s16, s49, s16
	s_sub_i32 s19, s16, s7
	s_cmp_ge_u32 s16, s7
	s_cselect_b32 s15, s18, s15
	s_cselect_b32 s16, s19, s16
	s_add_i32 s18, s15, 1
	s_cmp_ge_u32 s16, s7
	s_cselect_b32 s49, s18, s15
	s_add_i32 s3, s3, -1
	s_mul_i32 s7, s49, s7
	s_sub_i32 s7, s17, s7
	s_mul_i32 s7, s14, s7
	s_add_i32 s35, s7, s35
	s_add_u32 s12, s12, -4
	s_addc_u32 s13, s13, -1
	s_cmp_gt_u32 s3, 2
	s_cbranch_scc1 .LBB52_6
.LBB52_7:
	s_inst_prefetch 0x2
	s_clause 0x1
	s_load_dword s7, s[4:5], 0x6c
	s_load_dword s3, s[4:5], 0x2a0
	s_add_u32 s12, s4, 0x1d0
	s_addc_u32 s13, s5, 0
	s_mov_b32 s41, 0
	s_waitcnt lgkmcnt(0)
	s_cmp_lt_i32 s3, 2
	s_cbranch_scc1 .LBB52_10
; %bb.8:
	s_add_i32 s40, s3, -1
	s_add_i32 s3, s3, 1
	s_lshl_b64 s[14:15], s[40:41], 2
	s_add_u32 s12, s12, s14
	s_addc_u32 s13, s13, s15
	s_add_u32 s12, s12, 8
	s_addc_u32 s13, s13, 0
	s_inst_prefetch 0x1
	.p2align	6
.LBB52_9:                               ; =>This Inner Loop Header: Depth=1
	s_clause 0x1
	s_load_dword s14, s[12:13], 0x0
	s_load_dword s15, s[12:13], 0x64
	s_mov_b32 s18, s48
	s_waitcnt lgkmcnt(0)
	v_cvt_f32_u32_e32 v1, s14
	s_sub_i32 s17, 0, s14
	v_rcp_iflag_f32_e32 v1, v1
	v_mul_f32_e32 v1, 0x4f7ffffe, v1
	v_cvt_u32_f32_e32 v1, v1
	v_readfirstlane_b32 s16, v1
	s_mul_i32 s17, s17, s16
	s_mul_hi_u32 s17, s16, s17
	s_add_i32 s16, s16, s17
	s_mul_hi_u32 s16, s48, s16
	s_mul_i32 s17, s16, s14
	s_add_i32 s19, s16, 1
	s_sub_i32 s17, s48, s17
	s_sub_i32 s20, s17, s14
	s_cmp_ge_u32 s17, s14
	s_cselect_b32 s16, s19, s16
	s_cselect_b32 s17, s20, s17
	s_add_i32 s19, s16, 1
	s_cmp_ge_u32 s17, s14
	s_cselect_b32 s48, s19, s16
	s_add_i32 s3, s3, -1
	s_mul_i32 s14, s48, s14
	s_sub_i32 s14, s18, s14
	s_mul_i32 s14, s15, s14
	s_add_i32 s41, s14, s41
	s_add_u32 s12, s12, -4
	s_addc_u32 s13, s13, -1
	s_cmp_gt_u32 s3, 2
	s_cbranch_scc1 .LBB52_9
.LBB52_10:
	s_inst_prefetch 0x2
	s_clause 0x3
	s_load_dword s50, s[8:9], 0x6c
	s_load_dwordx2 s[8:9], s[4:5], 0x0
	s_load_dwordx2 s[44:45], s[4:5], 0xf0
	;; [unrolled: 1-line block ×3, first 2 shown]
	v_cmp_eq_u32_e64 s3, 0, v0
	s_mov_b32 s47, 0
	s_and_saveexec_b32 s12, s3
	s_cbranch_execz .LBB52_12
; %bb.11:
	v_mov_b32_e32 v1, 0
	v_mov_b32_e32 v2, s36
	;; [unrolled: 1-line block ×3, first 2 shown]
	ds_write_b96 v1, v[1:3] offset:4096
.LBB52_12:
	s_or_b32 exec_lo, exec_lo, s12
	s_waitcnt lgkmcnt(0)
	s_barrier
	buffer_gl0_inv
	s_load_dword s14, s[10:11], 0xc
	s_mul_i32 s0, s7, s0
	v_mbcnt_lo_u32_b32 v27, -1, 0
	s_add_i32 s46, s0, s1
	v_cmp_gt_u32_e32 vcc_lo, 32, v0
	s_lshl_b64 s[12:13], s[46:47], 3
	v_mov_b32_e32 v14, 0
	s_add_u32 s31, s8, s12
	s_addc_u32 s33, s9, s13
	s_bitcmp1_b32 s38, 0
	v_cmp_gt_i32_e64 s0, 4, v27
	s_cselect_b32 s1, -1, 0
	v_mul_lo_u32 v12, s30, v0
	s_xor_b32 s52, s1, -1
	v_mov_b32_e32 v13, v14
	s_and_b32 s51, vcc_lo, s0
	s_load_dword s46, s[4:5], 0x23c
	v_lshlrev_b32_e32 v28, 2, v0
	v_lshlrev_b32_e32 v29, 3, v0
	v_mov_b32_e32 v20, 0
	s_waitcnt lgkmcnt(0)
	s_and_b32 s34, s14, 0xffff
	s_bfe_u32 s0, s14, 0xb0005
	s_lshl_b32 s53, s34, 2
	s_bfe_u32 s7, s34, 0x80008
	v_cvt_f32_u32_e32 v1, s53
	s_lshl_b32 s54, s7, 3
	s_cmpk_gt_u32 s36, 0x180
	v_cvt_f32_u32_e32 v2, s34
	s_cselect_b32 s55, -1, 0
	v_rcp_iflag_f32_e32 v1, v1
	s_cmp_gt_u32 s34, 31
	v_mad_u64_u32 v[17:18], null, s30, v28, s[30:31]
	s_cselect_b32 s56, -1, 0
	s_add_i32 s57, s34, -1
	v_mov_b32_e32 v18, 0
	s_add_i32 s9, s57, s36
	s_cmp_lt_u32 s6, s2
	v_cmp_gt_u32_e64 s2, s36, v0
	v_mul_f32_e32 v1, 0x4f7ffffe, v1
	s_cselect_b32 s6, 12, 18
	v_add_nc_u32_e32 v31, 0xc00, v29
	s_add_u32 s38, s10, s6
	s_addc_u32 s39, s11, 0
	s_add_i32 s0, s0, -1
	v_cvt_u32_f32_e32 v1, v1
	s_and_b32 s0, s0, 0xffff
	s_bfe_u32 s58, s34, 0x30005
	s_cmp_gt_u32 s0, 6
	v_lshlrev_b32_e32 v35, 2, v12
	v_readfirstlane_b32 s0, v1
	s_cselect_b32 s59, -1, 0
	s_cmp_lg_u32 s58, 0
	v_rcp_iflag_f32_e32 v1, v2
	s_cselect_b32 s60, -1, 0
	s_sub_i32 s6, 0, s53
	v_lshlrev_b32_e32 v37, 5, v0
	s_mul_i32 s7, s6, s0
	v_cmp_gt_u32_e64 s6, 2, v0
	s_mul_hi_u32 s7, s0, s7
	v_lshl_or_b32 v38, v27, 2, 0xc00
	s_add_i32 s61, s0, s7
	v_cmp_eq_u32_e64 s0, 0, v27
	s_mul_hi_u32 s7, s36, s61
	v_mul_f32_e32 v3, 0x4f7ffffe, v1
	s_mul_i32 s7, s7, s53
	v_lshlrev_b64 v[1:2], 3, v[12:13]
	s_sub_i32 s7, s36, s7
	v_mov_b32_e32 v39, s37
	s_sub_i32 s8, s7, s53
	s_cmp_ge_u32 s7, s53
	v_cvt_u32_f32_e32 v3, v3
	s_cselect_b32 s7, s8, s7
	v_add_co_u32 v10, vcc_lo, s31, v1
	s_sub_i32 s8, s7, s53
	s_cmp_ge_u32 s7, s53
	v_add_co_ci_u32_e64 v11, null, s33, v2, vcc_lo
	s_cselect_b32 s11, s8, s7
	v_lshlrev_b64 v[1:2], v27, -1
	s_sub_i32 s62, s36, s11
	v_readfirstlane_b32 s10, v3
	v_add_nc_u32_e32 v30, s62, v0
	s_sub_i32 s7, 0, s34
	s_movk_i32 s8, 0x1f0
	v_not_b32_e32 v26, v1
	s_mul_i32 s7, s7, s10
	v_mul_lo_u32 v13, v30, s30
	v_lshrrev_b32_e32 v1, 1, v0
	s_mul_hi_u32 s7, s10, s7
	v_or_b32_e32 v3, 3, v28
	s_add_i32 s63, s10, s7
	v_mov_b32_e32 v19, 0
	v_and_or_b32 v32, v1, s8, 0xc00
	s_mul_hi_u32 s7, s9, s63
	v_lshlrev_b64 v[1:2], 3, v[13:14]
	s_mul_i32 s7, s7, s34
	v_mul_lo_u32 v34, s30, v3
	s_sub_i32 s7, s9, s7
	v_mov_b32_e32 v3, 0
	s_sub_i32 s10, s7, s34
	v_add_co_u32 v15, vcc_lo, s31, v1
	v_add3_u32 v1, s34, s36, v0
	s_cmp_ge_u32 s7, s34
	v_add_co_ci_u32_e64 v16, null, s33, v2, vcc_lo
	s_cselect_b32 s8, s10, s7
	v_or_b32_e32 v2, 2, v28
	v_subrev_nc_u32_e32 v1, s11, v1
	s_sub_i32 s10, s8, s34
	s_cmp_ge_u32 s8, s34
	v_cmp_gt_u32_e64 s7, s62, v28
	s_cselect_b32 s10, s10, s8
	v_mul_lo_u32 v33, s30, v2
	v_mul_lo_u32 v36, s30, v1
	s_sub_i32 s64, s9, s10
	v_cmp_gt_u32_e64 s8, s36, v30
	v_cmp_gt_u32_e64 s9, s64, v0
	v_mov_b32_e32 v4, 0
	v_mov_b32_e32 v21, 0
	;; [unrolled: 1-line block ×3, first 2 shown]
	s_mul_i32 s40, s30, s34
	s_lshl_b32 s66, s34, 5
	s_lshl_b32 s65, s40, 2
	;; [unrolled: 1-line block ×3, first 2 shown]
	s_mov_b32 s73, 62
	s_mov_b32 s69, 0
                                        ; implicit-def: $sgpr68
                                        ; implicit-def: $sgpr72
                                        ; implicit-def: $sgpr71
                                        ; implicit-def: $sgpr74
                                        ; implicit-def: $sgpr70
                                        ; implicit-def: $sgpr78
                                        ; implicit-def: $sgpr79
                                        ; implicit-def: $sgpr75
                                        ; implicit-def: $sgpr77
                                        ; implicit-def: $sgpr76
	s_branch .LBB52_15
.LBB52_13:                              ;   in Loop: Header=BB52_15 Depth=1
	s_or_b32 exec_lo, exec_lo, s13
	v_mov_b32_e32 v39, v25
	s_andn2_b32 s13, s76, exec_lo
	s_and_b32 s12, s12, exec_lo
	s_andn2_b32 s77, s77, exec_lo
	s_or_b32 s76, s13, s12
	s_andn2_b32 s75, s75, exec_lo
	s_andn2_b32 s79, s79, exec_lo
	;; [unrolled: 1-line block ×3, first 2 shown]
	s_orn2_b32 s12, s11, exec_lo
.LBB52_14:                              ;   in Loop: Header=BB52_15 Depth=1
	s_or_b32 exec_lo, exec_lo, s10
	s_and_b32 s10, exec_lo, s12
	s_or_b32 s47, s10, s47
	s_andn2_b32 s10, s70, exec_lo
	s_and_b32 s11, s76, exec_lo
	s_andn2_b32 s12, s74, exec_lo
	s_or_b32 s70, s10, s11
	s_and_b32 s10, s77, exec_lo
	s_andn2_b32 s11, s71, exec_lo
	s_and_b32 s13, s75, exec_lo
	s_or_b32 s74, s12, s10
	s_or_b32 s71, s11, s13
	s_andn2_b32 s10, s72, exec_lo
	s_and_b32 s11, s79, exec_lo
	s_andn2_b32 s12, s68, exec_lo
	s_and_b32 s13, s78, exec_lo
	s_or_b32 s72, s10, s11
	s_or_b32 s68, s12, s13
	s_andn2_b32 exec_lo, exec_lo, s47
	s_cbranch_execz .LBB52_400
.LBB52_15:                              ; =>This Loop Header: Depth=1
                                        ;     Child Loop BB52_21 Depth 2
                                        ;     Child Loop BB52_34 Depth 2
	;; [unrolled: 1-line block ×24, first 2 shown]
	ds_read_b64 v[1:2], v14 offset:4096
	s_waitcnt lgkmcnt(0)
	v_readfirstlane_b32 s80, v1
	s_cmp_lg_u32 s80, 0
	s_cbranch_scc1 .LBB52_42
; %bb.16:                               ;   in Loop: Header=BB52_15 Depth=1
	s_and_b32 vcc_lo, exec_lo, s55
	s_cbranch_vccz .LBB52_29
; %bb.17:                               ;   in Loop: Header=BB52_15 Depth=1
	v_cmp_gt_u32_e32 vcc_lo, 0x181, v2
	s_mov_b32 s12, 0
	s_mov_b32 s10, 0
	s_cbranch_vccz .LBB52_30
; %bb.18:                               ;   in Loop: Header=BB52_15 Depth=1
	s_and_saveexec_b32 s13, s2
	s_cbranch_execz .LBB52_89
; %bb.19:                               ;   in Loop: Header=BB52_15 Depth=1
	global_load_ushort v8, v14, s[38:39]
	global_load_dwordx2 v[1:2], v[10:11], off
	v_mov_b32_e32 v22, v0
	s_mov_b32 s14, 0
	s_waitcnt vmcnt(1)
	v_add_nc_u32_e32 v6, v0, v8
	v_mul_lo_u32 v9, s30, v8
	v_mul_lo_u32 v13, s30, v6
	s_branch .LBB52_21
.LBB52_20:                              ;   in Loop: Header=BB52_21 Depth=2
	s_or_b32 exec_lo, exec_lo, s11
	v_mov_b32_e32 v1, v6
	v_add_nc_u32_e32 v13, v13, v9
	v_mov_b32_e32 v2, v7
	s_andn2_b32 exec_lo, exec_lo, s14
	s_cbranch_execz .LBB52_89
.LBB52_21:                              ;   Parent Loop BB52_15 Depth=1
                                        ; =>  This Inner Loop Header: Depth=2
	v_mov_b32_e32 v6, 0
	v_add_nc_u32_e32 v22, v22, v8
	v_mov_b32_e32 v7, 0
	s_mov_b32 s11, exec_lo
	v_cmp_le_u32_e32 vcc_lo, s36, v22
	v_cmpx_gt_u32_e64 s36, v22
	s_cbranch_execz .LBB52_23
; %bb.22:                               ;   in Loop: Header=BB52_21 Depth=2
	v_lshlrev_b64 v[6:7], 3, v[13:14]
	v_add_co_u32 v6, s10, s31, v6
	v_add_co_ci_u32_e64 v7, null, s33, v7, s10
	global_load_dwordx2 v[6:7], v[6:7], off
.LBB52_23:                              ;   in Loop: Header=BB52_21 Depth=2
	s_or_b32 exec_lo, exec_lo, s11
	s_waitcnt vmcnt(0) lgkmcnt(0)
	v_xor_b32_e32 v23, 0x80000000, v2
	v_and_b32_e32 v24, v23, v21
	v_and_b32_e32 v23, v1, v20
	v_cmp_eq_u64_e64 s10, v[23:24], v[18:19]
	v_mov_b32_e32 v23, 0
	s_cmp_lg_u32 s10, 0
	s_cselect_b32 s11, -1, 0
	s_and_b32 s11, s0, s11
	s_and_saveexec_b32 s15, s11
	s_cbranch_execz .LBB52_27
; %bb.24:                               ;   in Loop: Header=BB52_21 Depth=2
	s_mov_b32 s18, exec_lo
	s_bcnt1_i32_b32 s16, s10
	v_mbcnt_lo_u32_b32 v23, s18, 0
	s_mov_b32 s17, exec_lo
                                        ; implicit-def: $vgpr24
	v_cmpx_eq_u32_e32 0, v23
; %bb.25:                               ;   in Loop: Header=BB52_21 Depth=2
	s_bcnt1_i32_b32 s11, s18
	s_mul_i32 s11, s16, s11
	v_mov_b32_e32 v24, s11
	ds_add_rtn_u32 v24, v14, v24 offset:4104
; %bb.26:                               ;   in Loop: Header=BB52_21 Depth=2
	s_or_b32 exec_lo, exec_lo, s17
	s_waitcnt lgkmcnt(0)
	v_readfirstlane_b32 s11, v24
	v_mad_u32_u24 v23, s16, v23, s11
.LBB52_27:                              ;   in Loop: Header=BB52_21 Depth=2
	s_or_b32 exec_lo, exec_lo, s15
	ds_bpermute_b32 v23, v14, v23
	s_and_b32 s11, exec_lo, vcc_lo
	s_or_b32 s14, s11, s14
	s_and_saveexec_b32 s11, s10
	s_cbranch_execz .LBB52_20
; %bb.28:                               ;   in Loop: Header=BB52_21 Depth=2
	v_and_b32_e32 v24, s10, v26
	v_bcnt_u32_b32 v24, v24, 0
	v_lshlrev_b32_e32 v24, 3, v24
	s_waitcnt lgkmcnt(0)
	v_lshl_add_u32 v23, v23, 3, v24
	ds_write_b64 v23, v[1:2]
	s_branch .LBB52_20
.LBB52_29:                              ;   in Loop: Header=BB52_15 Depth=1
	s_mov_b32 s12, -1
	s_mov_b32 s10, 0
.LBB52_30:                              ;   in Loop: Header=BB52_15 Depth=1
	s_and_b32 vcc_lo, exec_lo, s12
	s_cbranch_vccz .LBB52_40
.LBB52_31:                              ;   in Loop: Header=BB52_15 Depth=1
	s_and_saveexec_b32 s10, s2
	s_cbranch_execz .LBB52_37
; %bb.32:                               ;   in Loop: Header=BB52_15 Depth=1
	global_load_ushort v8, v14, s[38:39]
	global_load_dwordx2 v[1:2], v[10:11], off
	v_mov_b32_e32 v9, v0
	s_mov_b32 s11, exec_lo
	s_waitcnt vmcnt(1)
	v_add_nc_u32_e32 v6, v0, v8
	v_cmpx_gt_u32_e64 s36, v6
	s_cbranch_execz .LBB52_36
; %bb.33:                               ;   in Loop: Header=BB52_15 Depth=1
	v_mul_lo_u32 v13, s30, v6
	v_mul_lo_u32 v22, s30, v8
	v_lshlrev_b32_e32 v23, 3, v8
	v_mov_b32_e32 v24, v29
	v_mov_b32_e32 v9, v0
	s_mov_b32 s12, 0
	.p2align	6
.LBB52_34:                              ;   Parent Loop BB52_15 Depth=1
                                        ; =>  This Inner Loop Header: Depth=2
	v_lshlrev_b64 v[6:7], 3, v[13:14]
	v_add_nc_u32_e32 v9, v9, v8
	s_waitcnt vmcnt(0)
	ds_write_b64 v24, v[1:2]
	v_add_nc_u32_e32 v24, v24, v23
	v_add_nc_u32_e32 v13, v13, v22
	;; [unrolled: 1-line block ×3, first 2 shown]
	v_add_co_u32 v6, vcc_lo, s31, v6
	v_add_co_ci_u32_e64 v7, null, s33, v7, vcc_lo
	v_cmp_le_u32_e32 vcc_lo, s36, v25
	global_load_dwordx2 v[6:7], v[6:7], off
	s_or_b32 s12, vcc_lo, s12
	s_waitcnt vmcnt(0)
	v_mov_b32_e32 v1, v6
	v_mov_b32_e32 v2, v7
	s_andn2_b32 exec_lo, exec_lo, s12
	s_cbranch_execnz .LBB52_34
; %bb.35:                               ;   in Loop: Header=BB52_15 Depth=1
	s_or_b32 exec_lo, exec_lo, s12
	v_mov_b32_e32 v1, v6
	v_mov_b32_e32 v2, v7
.LBB52_36:                              ;   in Loop: Header=BB52_15 Depth=1
	s_or_b32 exec_lo, exec_lo, s11
	v_lshlrev_b32_e32 v6, 3, v9
	s_waitcnt vmcnt(0)
	ds_write_b64 v6, v[1:2]
.LBB52_37:                              ;   in Loop: Header=BB52_15 Depth=1
	s_or_b32 exec_lo, exec_lo, s10
	s_waitcnt lgkmcnt(0)
	s_barrier
	buffer_gl0_inv
	s_and_saveexec_b32 s10, s3
; %bb.38:                               ;   in Loop: Header=BB52_15 Depth=1
	v_mov_b32_e32 v1, s36
	ds_write_b32 v14, v1 offset:4096
; %bb.39:                               ;   in Loop: Header=BB52_15 Depth=1
	s_or_b32 exec_lo, exec_lo, s10
	s_mov_b32 s10, -1
	s_waitcnt lgkmcnt(0)
	s_barrier
.LBB52_40:                              ;   in Loop: Header=BB52_15 Depth=1
	s_and_b32 vcc_lo, exec_lo, s10
	s_mov_b32 s80, 0
	s_cbranch_vccz .LBB52_42
; %bb.41:                               ;   in Loop: Header=BB52_15 Depth=1
	buffer_gl0_inv
	ds_read_b32 v1, v14 offset:4096
	s_waitcnt lgkmcnt(0)
	v_readfirstlane_b32 s80, v1
.LBB52_42:                              ;   in Loop: Header=BB52_15 Depth=1
	s_cmp_lt_i32 s80, 1
	s_mov_b32 s10, -1
                                        ; implicit-def: $vgpr6
	s_cbranch_scc1 .LBB52_52
; %bb.43:                               ;   in Loop: Header=BB52_15 Depth=1
	s_and_b32 vcc_lo, exec_lo, s10
	s_cbranch_vccnz .LBB52_63
.LBB52_44:                              ;   in Loop: Header=BB52_15 Depth=1
	s_lshl_b32 s10, s69, 7
	s_and_saveexec_b32 s11, s0
.LBB52_45:                              ;   in Loop: Header=BB52_15 Depth=1
	v_lshl_add_u32 v1, s10, 2, v32
	ds_write_b128 v1, v[6:9]
.LBB52_46:                              ;   in Loop: Header=BB52_15 Depth=1
	s_or_b32 exec_lo, exec_lo, s11
	s_waitcnt lgkmcnt(0)
	s_barrier
	buffer_gl0_inv
	s_and_saveexec_b32 s11, s51
	s_cbranch_execz .LBB52_76
; %bb.47:                               ;   in Loop: Header=BB52_15 Depth=1
	v_mov_b32_e32 v1, 0
	s_andn2_b32 vcc_lo, exec_lo, s56
	s_cbranch_vccnz .LBB52_75
; %bb.48:                               ;   in Loop: Header=BB52_15 Depth=1
	s_andn2_b32 vcc_lo, exec_lo, s59
	s_cbranch_vccnz .LBB52_72
; %bb.49:                               ;   in Loop: Header=BB52_15 Depth=1
	v_lshl_add_u32 v2, s69, 9, v38
	v_mov_b32_e32 v1, 0
	s_mov_b32 s12, 0
	.p2align	6
.LBB52_50:                              ;   Parent Loop BB52_15 Depth=1
                                        ; =>  This Inner Loop Header: Depth=2
	ds_read2_b32 v[6:7], v2 offset1:4
	ds_read2_b32 v[8:9], v2 offset0:8 offset1:12
	ds_read2_b32 v[22:23], v2 offset0:16 offset1:20
	;; [unrolled: 1-line block ×3, first 2 shown]
	v_add_nc_u32_e32 v2, 0x80, v2
	s_add_i32 s12, s12, 8
	s_cmp_eq_u32 s54, s12
	s_waitcnt lgkmcnt(3)
	v_add3_u32 v1, v6, v1, v7
	s_waitcnt lgkmcnt(2)
	v_add3_u32 v1, v8, v1, v9
	;; [unrolled: 2-line block ×4, first 2 shown]
	s_cbranch_scc0 .LBB52_50
; %bb.51:                               ;   in Loop: Header=BB52_15 Depth=1
	s_mov_b32 s12, s54
	s_andn2_b32 vcc_lo, exec_lo, s60
	s_cbranch_vccz .LBB52_73
	s_branch .LBB52_75
.LBB52_52:                              ;   in Loop: Header=BB52_15 Depth=1
	v_mov_b32_e32 v6, 0
	v_mov_b32_e32 v7, 0
	;; [unrolled: 1-line block ×4, first 2 shown]
	s_and_saveexec_b32 s24, s7
	s_cbranch_execz .LBB52_56
; %bb.53:                               ;   in Loop: Header=BB52_15 Depth=1
	v_mov_b32_e32 v1, v28
	s_mov_b32 s25, 0
	s_mov_b32 s26, 0
	;; [unrolled: 1-line block ×6, first 2 shown]
.LBB52_54:                              ;   Parent Loop BB52_15 Depth=1
                                        ; =>  This Inner Loop Header: Depth=2
	v_add_nc_u32_e32 v13, s26, v35
	v_mov_b32_e32 v41, v14
	v_mov_b32_e32 v43, v14
	;; [unrolled: 1-line block ×3, first 2 shown]
	v_add_nc_u32_e32 v1, s53, v1
	v_lshlrev_b64 v[6:7], 3, v[13:14]
	v_add_nc_u32_e32 v13, s26, v17
	v_lshlrev_b64 v[8:9], 3, v[13:14]
	v_add_nc_u32_e32 v13, s26, v33
	v_add_co_u32 v6, vcc_lo, s31, v6
	v_add_co_ci_u32_e64 v7, null, s33, v7, vcc_lo
	v_lshlrev_b64 v[22:23], 3, v[13:14]
	v_add_co_u32 v8, vcc_lo, s31, v8
	global_load_dwordx2 v[6:7], v[6:7], off
	v_add_nc_u32_e32 v13, s26, v34
	v_add_co_ci_u32_e64 v9, null, s33, v9, vcc_lo
	v_add_co_u32 v22, vcc_lo, s31, v22
	v_add_co_ci_u32_e64 v23, null, s33, v23, vcc_lo
	v_lshlrev_b64 v[24:25], 3, v[13:14]
	s_clause 0x1
	global_load_dwordx2 v[8:9], v[8:9], off
	global_load_dwordx2 v[22:23], v[22:23], off
	s_add_i32 s26, s26, s65
	v_add_co_u32 v24, vcc_lo, s31, v24
	v_add_co_ci_u32_e64 v25, null, s33, v25, vcc_lo
	v_cmp_le_u32_e32 vcc_lo, s62, v1
	global_load_dwordx2 v[24:25], v[24:25], off
	s_waitcnt vmcnt(3)
	v_xor_b32_e32 v7, 0x80000000, v7
	v_and_b32_e32 v46, v6, v20
	v_and_b32_e32 v47, v7, v21
	v_lshrrev_b64 v[6:7], s73, v[6:7]
	s_waitcnt vmcnt(2)
	v_xor_b32_e32 v9, 0x80000000, v9
	s_waitcnt vmcnt(1)
	v_xor_b32_e32 v23, 0x80000000, v23
	v_cmp_eq_u64_e64 s10, v[46:47], v[18:19]
	v_and_b32_e32 v13, 3, v6
	v_and_b32_e32 v48, v8, v20
	v_lshrrev_b64 v[46:47], s73, v[8:9]
	v_and_b32_e32 v7, v22, v20
	v_and_b32_e32 v8, v23, v21
	v_cmp_eq_u64_e64 s12, 0, v[13:14]
	v_lshrrev_b64 v[22:23], s73, v[22:23]
	v_and_b32_e32 v49, v9, v21
	v_and_b32_e32 v40, 3, v46
	v_cmp_eq_u64_e64 s13, 1, v[13:14]
	s_waitcnt vmcnt(0)
	v_xor_b32_e32 v25, 0x80000000, v25
	v_cmp_eq_u64_e64 s14, 2, v[13:14]
	v_cmp_eq_u64_e64 s15, 3, v[13:14]
	s_and_b32 s12, s10, s12
	v_cmp_eq_u64_e64 s11, v[48:49], v[18:19]
	v_and_b32_e32 v42, 3, v22
	v_cmp_eq_u64_e64 s17, 0, v[40:41]
	v_cmp_eq_u64_e64 s18, 1, v[40:41]
	v_cmp_eq_u64_e64 s19, 2, v[40:41]
	v_cmp_eq_u64_e64 s16, v[7:8], v[18:19]
	v_lshrrev_b64 v[8:9], s73, v[24:25]
	v_cndmask_b32_e64 v2, 0, 1, s12
	s_and_b32 s12, s10, s13
	v_cmp_eq_u64_e64 s20, 3, v[40:41]
	v_and_b32_e32 v6, v24, v20
	v_and_b32_e32 v7, v25, v21
	v_cndmask_b32_e64 v9, 0, 1, s12
	s_and_b32 s12, s10, s14
	s_and_b32 s10, s10, s15
	v_cndmask_b32_e64 v13, 0, 1, s12
	v_cmp_eq_u64_e64 s12, 0, v[42:43]
	v_cmp_eq_u64_e64 s13, 1, v[42:43]
	v_cndmask_b32_e64 v22, 0, 1, s10
	s_and_b32 s17, s11, s17
	s_and_b32 s18, s11, s18
	;; [unrolled: 1-line block ×3, first 2 shown]
	v_and_b32_e32 v44, 3, v8
	v_cmp_eq_u64_e64 s14, 2, v[42:43]
	v_cmp_eq_u64_e64 s15, 3, v[42:43]
	;; [unrolled: 1-line block ×3, first 2 shown]
	v_cmp_ne_u32_e64 s21, 0, v2
	v_cndmask_b32_e64 v2, 0, 1, s17
	v_cndmask_b32_e64 v6, 0, 1, s18
	;; [unrolled: 1-line block ×3, first 2 shown]
	s_and_b32 s11, s11, s20
	v_cmp_ne_u32_e64 s19, 0, v22
	v_cndmask_b32_e64 v8, 0, 1, s11
	s_and_b32 s12, s16, s12
	s_and_b32 s13, s16, s13
	v_cmp_eq_u64_e64 s11, 0, v[44:45]
	v_cmp_eq_u64_e64 s20, 1, v[44:45]
	;; [unrolled: 1-line block ×4, first 2 shown]
	s_bcnt1_i32_b32 s82, s21
	v_cmp_ne_u32_e64 s21, 0, v2
	v_cndmask_b32_e64 v2, 0, 1, s12
	v_cmp_ne_u32_e64 s12, 0, v6
	v_cndmask_b32_e64 v6, 0, 1, s13
	v_cmp_ne_u32_e64 s13, 0, v7
	s_and_b32 s14, s16, s14
	s_and_b32 s15, s16, s15
	v_cndmask_b32_e64 v7, 0, 1, s14
	v_cmp_ne_u32_e64 s14, 0, v8
	v_cndmask_b32_e64 v8, 0, 1, s15
	v_cmp_ne_u32_e64 s18, 0, v13
	s_bcnt1_i32_b32 s19, s19
	s_and_b32 s11, s10, s11
	s_add_i32 s19, s19, s27
	s_bcnt1_i32_b32 s27, s12
	s_and_b32 s12, s10, s20
	s_bcnt1_i32_b32 s20, s13
	s_and_b32 s13, s10, s22
	s_and_b32 s10, s10, s23
	v_cmp_ne_u32_e64 s17, 0, v9
	v_cmp_ne_u32_e64 s15, 0, v2
	v_cndmask_b32_e64 v2, 0, 1, s11
	v_cmp_ne_u32_e64 s11, 0, v6
	v_cndmask_b32_e64 v6, 0, 1, s12
	;; [unrolled: 2-line block ×4, first 2 shown]
	s_bcnt1_i32_b32 s18, s18
	s_add_i32 s16, s82, s81
	s_add_i32 s18, s18, s28
	s_bcnt1_i32_b32 s21, s21
	s_bcnt1_i32_b32 s14, s14
	;; [unrolled: 1-line block ×3, first 2 shown]
	s_add_i32 s16, s16, s21
	s_add_i32 s18, s18, s20
	;; [unrolled: 1-line block ×3, first 2 shown]
	v_cmp_ne_u32_e64 s10, 0, v2
	s_bcnt1_i32_b32 s19, s11
	v_cmp_ne_u32_e64 s11, 0, v6
	s_bcnt1_i32_b32 s20, s12
	v_cmp_ne_u32_e64 s12, 0, v7
	s_bcnt1_i32_b32 s21, s13
	v_cmp_ne_u32_e64 s13, 0, v8
	s_add_i32 s17, s17, s29
	s_bcnt1_i32_b32 s15, s15
	s_add_i32 s17, s17, s27
	s_add_i32 s15, s16, s15
	;; [unrolled: 1-line block ×5, first 2 shown]
	s_bcnt1_i32_b32 s10, s10
	s_bcnt1_i32_b32 s11, s11
	;; [unrolled: 1-line block ×4, first 2 shown]
	s_add_i32 s81, s15, s10
	s_add_i32 s29, s16, s11
	;; [unrolled: 1-line block ×4, first 2 shown]
	v_mov_b32_e32 v6, s81
	v_mov_b32_e32 v7, s29
	;; [unrolled: 1-line block ×4, first 2 shown]
	s_or_b32 s25, vcc_lo, s25
	s_andn2_b32 exec_lo, exec_lo, s25
	s_cbranch_execnz .LBB52_54
; %bb.55:                               ;   in Loop: Header=BB52_15 Depth=1
	s_or_b32 exec_lo, exec_lo, s25
.LBB52_56:                              ;   in Loop: Header=BB52_15 Depth=1
	s_or_b32 exec_lo, exec_lo, s24
	s_and_saveexec_b32 s14, s8
	s_cbranch_execz .LBB52_62
; %bb.57:                               ;   in Loop: Header=BB52_15 Depth=1
	global_load_dwordx2 v[24:25], v[15:16], off
	v_mov_b32_e32 v1, v36
	v_mov_b32_e32 v40, v30
	s_mov_b32 s15, 0
	s_branch .LBB52_59
.LBB52_58:                              ;   in Loop: Header=BB52_59 Depth=2
	s_or_b32 exec_lo, exec_lo, s11
	s_waitcnt vmcnt(0)
	v_xor_b32_e32 v25, 0x80000000, v25
	s_and_b32 s12, exec_lo, vcc_lo
	v_add_nc_u32_e32 v1, s40, v1
	s_or_b32 s15, s12, s15
	v_lshrrev_b64 v[41:42], s73, v[24:25]
	v_and_b32_e32 v24, v24, v20
	v_and_b32_e32 v25, v25, v21
	;; [unrolled: 1-line block ×3, first 2 shown]
	v_cmp_eq_u64_e64 s10, v[24:25], v[18:19]
	v_cmp_eq_u64_e64 s11, 0, v[13:14]
	v_cmp_eq_u64_e32 vcc_lo, 1, v[13:14]
	v_cmp_eq_u64_e64 s12, 2, v[13:14]
	v_cmp_eq_u64_e64 s13, 3, v[13:14]
	s_and_b32 s11, s10, s11
	v_cndmask_b32_e64 v2, 0, 1, s11
	s_and_b32 s11, s10, vcc_lo
	v_cndmask_b32_e64 v13, 0, 1, s11
	s_and_b32 s11, s10, s12
	s_and_b32 s10, s10, s13
	v_cndmask_b32_e64 v24, 0, 1, s11
	v_cndmask_b32_e64 v25, 0, 1, s10
	v_cmp_ne_u32_e32 vcc_lo, 0, v2
	v_cmp_ne_u32_e64 s10, 0, v13
	v_cmp_ne_u32_e64 s11, 0, v24
	;; [unrolled: 1-line block ×3, first 2 shown]
	s_bcnt1_i32_b32 s13, vcc_lo
	s_bcnt1_i32_b32 s10, s10
	v_mov_b32_e32 v25, v23
	s_bcnt1_i32_b32 s11, s11
	s_bcnt1_i32_b32 s12, s12
	v_add_nc_u32_e32 v6, s13, v6
	v_add_nc_u32_e32 v7, s10, v7
	;; [unrolled: 1-line block ×4, first 2 shown]
	v_mov_b32_e32 v24, v22
	s_andn2_b32 exec_lo, exec_lo, s15
	s_cbranch_execz .LBB52_61
.LBB52_59:                              ;   Parent Loop BB52_15 Depth=1
                                        ; =>  This Inner Loop Header: Depth=2
	v_mov_b32_e32 v22, 0
	v_add_nc_u32_e32 v40, s34, v40
	v_mov_b32_e32 v23, 0
	s_mov_b32 s11, exec_lo
	v_cmp_le_u32_e32 vcc_lo, s36, v40
	v_cmpx_gt_u32_e64 s36, v40
	s_cbranch_execz .LBB52_58
; %bb.60:                               ;   in Loop: Header=BB52_59 Depth=2
	v_mov_b32_e32 v2, v14
	v_lshlrev_b64 v[22:23], 3, v[1:2]
	v_add_co_u32 v22, s10, s31, v22
	v_add_co_ci_u32_e64 v23, null, s33, v23, s10
	global_load_dwordx2 v[22:23], v[22:23], off
	s_branch .LBB52_58
.LBB52_61:                              ;   in Loop: Header=BB52_15 Depth=1
	s_or_b32 exec_lo, exec_lo, s15
.LBB52_62:                              ;   in Loop: Header=BB52_15 Depth=1
	s_or_b32 exec_lo, exec_lo, s14
	s_branch .LBB52_44
.LBB52_63:                              ;   in Loop: Header=BB52_15 Depth=1
	s_mul_hi_u32 s10, s80, s61
	v_mov_b32_e32 v6, 0
	s_mul_i32 s10, s10, s53
	v_mov_b32_e32 v7, 0
	s_sub_i32 s10, s80, s10
	v_mov_b32_e32 v8, 0
	s_sub_i32 s11, s10, s53
	s_cmp_ge_u32 s10, s53
	v_mov_b32_e32 v9, 0
	s_cselect_b32 s10, s11, s10
	s_mov_b32 s82, exec_lo
	s_sub_i32 s11, s10, s53
	s_cmp_ge_u32 s10, s53
	s_cselect_b32 s10, s11, s10
	s_sub_i32 s81, s80, s10
	v_cmpx_gt_u32_e64 s81, v28
	s_cbranch_execz .LBB52_67
; %bb.64:                               ;   in Loop: Header=BB52_15 Depth=1
	v_mov_b32_e32 v1, v37
	v_mov_b32_e32 v2, v28
	s_mov_b32 s83, 0
	s_mov_b32 s84, 0
	;; [unrolled: 1-line block ×5, first 2 shown]
.LBB52_65:                              ;   Parent Loop BB52_15 Depth=1
                                        ; =>  This Inner Loop Header: Depth=2
	ds_read_b128 v[6:9], v1
	ds_read_b128 v[22:25], v1 offset:16
	v_mov_b32_e32 v41, v14
	v_mov_b32_e32 v43, v14
	;; [unrolled: 1-line block ×3, first 2 shown]
	v_add_nc_u32_e32 v2, s53, v2
	v_add_nc_u32_e32 v1, s66, v1
	v_cmp_le_u32_e32 vcc_lo, s81, v2
	s_waitcnt lgkmcnt(1)
	v_xor_b32_e32 v7, 0x80000000, v7
	v_xor_b32_e32 v9, 0x80000000, v9
	s_waitcnt lgkmcnt(0)
	v_xor_b32_e32 v23, 0x80000000, v23
	v_and_b32_e32 v46, v6, v20
	v_xor_b32_e32 v25, 0x80000000, v25
	v_and_b32_e32 v47, v7, v21
	v_lshrrev_b64 v[6:7], s73, v[6:7]
	v_and_b32_e32 v48, v8, v20
	v_lshrrev_b64 v[7:8], s73, v[8:9]
	v_and_b32_e32 v49, v9, v21
	v_lshrrev_b64 v[8:9], s73, v[22:23]
	v_and_b32_e32 v50, v22, v20
	v_and_b32_e32 v51, v23, v21
	v_lshrrev_b64 v[22:23], s73, v[24:25]
	v_and_b32_e32 v13, 3, v6
	v_and_b32_e32 v40, 3, v7
	;; [unrolled: 1-line block ×3, first 2 shown]
	v_cmp_eq_u64_e64 s10, v[46:47], v[18:19]
	v_and_b32_e32 v52, v24, v20
	v_cmp_eq_u64_e64 s14, 0, v[13:14]
	v_and_b32_e32 v53, v25, v21
	v_and_b32_e32 v44, 3, v22
	v_cmp_eq_u64_e64 s11, v[48:49], v[18:19]
	v_cmp_eq_u64_e64 s15, 0, v[40:41]
	;; [unrolled: 1-line block ×6, first 2 shown]
	s_and_b32 s14, s10, s14
	v_cmp_eq_u64_e64 s18, 1, v[13:14]
	v_cndmask_b32_e64 v6, 0, 1, s14
	s_and_b32 s14, s11, s15
	v_cmp_eq_u64_e64 s19, 1, v[40:41]
	v_cndmask_b32_e64 v7, 0, 1, s14
	;; [unrolled: 3-line block ×4, first 2 shown]
	s_and_b32 s14, s10, s18
	v_cmp_eq_u64_e64 s22, 2, v[13:14]
	v_cmp_eq_u64_e64 s26, 3, v[13:14]
	v_cndmask_b32_e64 v13, 0, 1, s14
	s_and_b32 s14, s11, s19
	v_cmp_eq_u64_e64 s23, 2, v[40:41]
	v_cmp_eq_u64_e64 s27, 3, v[40:41]
	v_cndmask_b32_e64 v22, 0, 1, s14
	;; [unrolled: 4-line block ×4, first 2 shown]
	s_and_b32 s14, s10, s22
	s_and_b32 s10, s10, s26
	v_cndmask_b32_e64 v25, 0, 1, s14
	s_and_b32 s14, s11, s23
	v_cndmask_b32_e64 v43, 0, 1, s10
	;; [unrolled: 2-line block ×7, first 2 shown]
	v_cndmask_b32_e64 v46, 0, 1, s10
	v_cmp_ne_u32_e64 s10, 0, v6
	v_cmp_ne_u32_e64 s14, 0, v13
	;; [unrolled: 1-line block ×12, first 2 shown]
	s_bcnt1_i32_b32 s10, s10
	s_bcnt1_i32_b32 s14, s14
	;; [unrolled: 1-line block ×4, first 2 shown]
	v_cmp_ne_u32_e64 s13, 0, v9
	v_cmp_ne_u32_e64 s17, 0, v24
	;; [unrolled: 1-line block ×4, first 2 shown]
	s_bcnt1_i32_b32 s11, s11
	s_bcnt1_i32_b32 s15, s15
	s_bcnt1_i32_b32 s19, s19
	s_bcnt1_i32_b32 s23, s23
	s_add_i32 s10, s10, s87
	s_add_i32 s14, s14, s86
	s_add_i32 s18, s18, s85
	s_add_i32 s22, s22, s84
	s_bcnt1_i32_b32 s12, s12
	s_bcnt1_i32_b32 s16, s16
	s_bcnt1_i32_b32 s20, s20
	s_bcnt1_i32_b32 s24, s24
	s_add_i32 s10, s10, s11
	s_add_i32 s11, s14, s15
	s_add_i32 s14, s18, s19
	s_add_i32 s15, s22, s23
	;; [unrolled: 8-line block ×3, first 2 shown]
	s_add_i32 s87, s10, s13
	s_add_i32 s86, s11, s17
	;; [unrolled: 1-line block ×4, first 2 shown]
	v_mov_b32_e32 v6, s87
	v_mov_b32_e32 v7, s86
	v_mov_b32_e32 v8, s85
	v_mov_b32_e32 v9, s84
	s_or_b32 s83, vcc_lo, s83
	s_andn2_b32 exec_lo, exec_lo, s83
	s_cbranch_execnz .LBB52_65
; %bb.66:                               ;   in Loop: Header=BB52_15 Depth=1
	s_or_b32 exec_lo, exec_lo, s83
.LBB52_67:                              ;   in Loop: Header=BB52_15 Depth=1
	s_or_b32 exec_lo, exec_lo, s82
	v_add_nc_u32_e32 v1, s81, v0
	s_mov_b32 s15, exec_lo
	v_cmpx_gt_u32_e64 s80, v1
	s_cbranch_execz .LBB52_71
; %bb.68:                               ;   in Loop: Header=BB52_15 Depth=1
	v_lshlrev_b32_e32 v2, 3, v1
	s_mov_b32 s16, 0
.LBB52_69:                              ;   Parent Loop BB52_15 Depth=1
                                        ; =>  This Inner Loop Header: Depth=2
	ds_read_b64 v[22:23], v2
	v_add_nc_u32_e32 v1, s34, v1
	v_add_nc_u32_e32 v2, s67, v2
	v_cmp_le_u32_e32 vcc_lo, s80, v1
	s_waitcnt lgkmcnt(0)
	v_xor_b32_e32 v23, 0x80000000, v23
	v_and_b32_e32 v24, v22, v20
	v_and_b32_e32 v25, v23, v21
	v_lshrrev_b64 v[22:23], s73, v[22:23]
	v_cmp_eq_u64_e64 s10, v[24:25], v[18:19]
	v_and_b32_e32 v13, 3, v22
	v_cmp_eq_u64_e64 s11, 0, v[13:14]
	v_cmp_eq_u64_e64 s12, 1, v[13:14]
	;; [unrolled: 1-line block ×4, first 2 shown]
	s_and_b32 s11, s10, s11
	v_cndmask_b32_e64 v13, 0, 1, s11
	s_and_b32 s11, s10, s12
	v_cndmask_b32_e64 v22, 0, 1, s11
	s_and_b32 s11, s10, s13
	s_and_b32 s10, s10, s14
	v_cndmask_b32_e64 v23, 0, 1, s11
	v_cndmask_b32_e64 v24, 0, 1, s10
	v_cmp_ne_u32_e64 s10, 0, v13
	v_cmp_ne_u32_e64 s11, 0, v22
	;; [unrolled: 1-line block ×4, first 2 shown]
	s_bcnt1_i32_b32 s10, s10
	s_bcnt1_i32_b32 s11, s11
	v_add_nc_u32_e32 v6, s10, v6
	s_bcnt1_i32_b32 s12, s12
	s_bcnt1_i32_b32 s13, s13
	v_add_nc_u32_e32 v7, s11, v7
	v_add_nc_u32_e32 v8, s12, v8
	;; [unrolled: 1-line block ×3, first 2 shown]
	s_or_b32 s16, vcc_lo, s16
	s_andn2_b32 exec_lo, exec_lo, s16
	s_cbranch_execnz .LBB52_69
; %bb.70:                               ;   in Loop: Header=BB52_15 Depth=1
	s_or_b32 exec_lo, exec_lo, s16
.LBB52_71:                              ;   in Loop: Header=BB52_15 Depth=1
	s_or_b32 exec_lo, exec_lo, s15
	s_lshl_b32 s10, s69, 7
	s_and_saveexec_b32 s11, s0
	s_cbranch_execnz .LBB52_45
	s_branch .LBB52_46
.LBB52_72:                              ;   in Loop: Header=BB52_15 Depth=1
	v_mov_b32_e32 v1, 0
	s_mov_b32 s12, 0
	s_andn2_b32 vcc_lo, exec_lo, s60
	s_cbranch_vccnz .LBB52_75
.LBB52_73:                              ;   in Loop: Header=BB52_15 Depth=1
	s_lshl_b32 s13, s69, 9
	s_lshl_b32 s12, s12, 4
	v_add3_u32 v2, s13, s12, v38
	s_mov_b32 s12, s58
.LBB52_74:                              ;   Parent Loop BB52_15 Depth=1
                                        ; =>  This Inner Loop Header: Depth=2
	ds_read_b32 v6, v2
	v_add_nc_u32_e32 v2, 16, v2
	s_add_i32 s12, s12, -1
	s_cmp_lg_u32 s12, 0
	s_waitcnt lgkmcnt(0)
	v_add_nc_u32_e32 v1, v6, v1
	s_cbranch_scc1 .LBB52_74
.LBB52_75:                              ;   in Loop: Header=BB52_15 Depth=1
	v_add_lshl_u32 v2, s10, v27, 2
	ds_write_b32 v2, v1 offset:3072
.LBB52_76:                              ;   in Loop: Header=BB52_15 Depth=1
	s_or_b32 exec_lo, exec_lo, s11
	s_lshl_b32 s10, s10, 2
	s_waitcnt lgkmcnt(0)
	v_mov_b32_e32 v1, s10
	s_barrier
	buffer_gl0_inv
	v_cmp_eq_u32_e64 s10, 1, v39
	s_lshl_b64 s[12:13], 3, s73
	ds_read_b128 v[6:9], v1 offset:3072
	s_mov_b32 s24, -1
	s_not_b64 s[14:15], s[12:13]
	s_mov_b32 s16, 0
	s_andn2_b32 vcc_lo, exec_lo, s52
	s_mov_b32 s21, 0
	s_mov_b32 s11, 0
                                        ; implicit-def: $sgpr22
                                        ; implicit-def: $sgpr23
                                        ; implicit-def: $vgpr25
                                        ; implicit-def: $vgpr24
                                        ; implicit-def: $vgpr22_vgpr23
                                        ; implicit-def: $vgpr1_vgpr2
	s_waitcnt lgkmcnt(0)
	v_readfirstlane_b32 s17, v6
	v_readfirstlane_b32 s18, v7
	;; [unrolled: 1-line block ×4, first 2 shown]
                                        ; implicit-def: $vgpr8_vgpr9
	s_cbranch_vccnz .LBB52_237
; %bb.77:                               ;   in Loop: Header=BB52_15 Depth=1
	s_cmp_eq_u32 s17, 1
	v_mov_b32_e32 v23, v19
	v_mov_b32_e32 v1, v20
	;; [unrolled: 1-line block ×6, first 2 shown]
	s_cselect_b32 s11, -1, 0
	s_mov_b32 s27, -1
	s_and_b32 s26, s11, s10
                                        ; implicit-def: $sgpr23
                                        ; implicit-def: $sgpr22
	s_and_saveexec_b32 s11, s26
	s_cbranch_execz .LBB52_106
; %bb.78:                               ;   in Loop: Header=BB52_15 Depth=1
	ds_read_b32 v1, v14 offset:4096
	s_waitcnt lgkmcnt(0)
	s_barrier
	buffer_gl0_inv
	v_readfirstlane_b32 s24, v1
	s_and_saveexec_b32 s21, s6
; %bb.79:                               ;   in Loop: Header=BB52_15 Depth=1
	v_mov_b32_e32 v13, v14
	ds_write_b64 v31, v[13:14]
; %bb.80:                               ;   in Loop: Header=BB52_15 Depth=1
	s_or_b32 exec_lo, exec_lo, s21
	v_and_b32_e32 v23, s15, v19
	v_and_b32_e32 v22, s14, v18
	v_or_b32_e32 v2, s13, v21
	v_or_b32_e32 v1, s12, v20
	s_mov_b32 s22, -1
	s_mov_b32 s23, 0
	s_cmp_eq_u32 s24, 0
	s_mov_b32 s21, 0
	s_mov_b32 s25, -1
	s_waitcnt lgkmcnt(0)
	s_barrier
	buffer_gl0_inv
                                        ; implicit-def: $vgpr8_vgpr9
	s_cbranch_scc1 .LBB52_94
; %bb.81:                               ;   in Loop: Header=BB52_15 Depth=1
	s_add_i32 s21, s24, s57
                                        ; implicit-def: $vgpr8_vgpr9
	s_mul_hi_u32 s25, s21, s63
	s_mul_i32 s25, s25, s34
	s_sub_i32 s25, s21, s25
	s_sub_i32 s27, s25, s34
	s_cmp_ge_u32 s25, s34
	s_cselect_b32 s25, s27, s25
	s_sub_i32 s27, s25, s34
	s_cmp_ge_u32 s25, s34
	s_cselect_b32 s25, s27, s25
	s_mov_b32 s27, exec_lo
	s_sub_i32 s28, s21, s25
	s_mov_b32 s25, 0
	s_mov_b32 s21, 0
	v_cmpx_gt_u32_e64 s28, v0
	s_cbranch_execz .LBB52_93
; %bb.82:                               ;   in Loop: Header=BB52_15 Depth=1
	v_mov_b32_e32 v13, v29
	v_mov_b32_e32 v24, v0
                                        ; implicit-def: $sgpr29
	s_inst_prefetch 0x1
	s_branch .LBB52_85
	.p2align	6
.LBB52_83:                              ;   in Loop: Header=BB52_85 Depth=2
	s_or_b32 exec_lo, exec_lo, s80
	s_waitcnt lgkmcnt(0)
	s_barrier
	buffer_gl0_inv
	ds_read_b128 v[6:9], v14 offset:3072
	s_mov_b32 s80, -1
	s_mov_b32 s81, -1
	s_waitcnt lgkmcnt(0)
	s_barrier
	buffer_gl0_inv
	v_cmp_ne_u64_e32 vcc_lo, 0, v[6:7]
	s_cbranch_vccz .LBB52_88
.LBB52_84:                              ;   in Loop: Header=BB52_85 Depth=2
	s_and_b32 s80, exec_lo, s80
	s_or_b32 s21, s80, s21
	s_andn2_b32 s29, s29, exec_lo
	s_and_b32 s80, s81, exec_lo
	s_or_b32 s29, s29, s80
	s_andn2_b32 exec_lo, exec_lo, s21
	s_cbranch_execz .LBB52_92
.LBB52_85:                              ;   Parent Loop BB52_15 Depth=1
                                        ; =>  This Inner Loop Header: Depth=2
	s_mov_b32 s80, exec_lo
	v_cmpx_gt_u32_e64 s24, v24
	s_cbranch_execz .LBB52_83
; %bb.86:                               ;   in Loop: Header=BB52_85 Depth=2
	ds_read_b64 v[7:8], v13
	s_waitcnt lgkmcnt(0)
	v_xor_b32_e32 v6, 0x80000000, v8
	v_and_b32_e32 v40, v7, v1
	v_and_b32_e32 v41, v6, v2
	v_cmp_eq_u64_e32 vcc_lo, v[40:41], v[22:23]
	s_and_b32 exec_lo, exec_lo, vcc_lo
	s_cbranch_execz .LBB52_83
; %bb.87:                               ;   in Loop: Header=BB52_85 Depth=2
	v_mov_b32_e32 v6, v14
	ds_write_b128 v14, v[5:8] offset:3072
	s_branch .LBB52_83
	.p2align	6
.LBB52_88:                              ;   in Loop: Header=BB52_85 Depth=2
	v_add_nc_u32_e32 v24, s34, v24
	v_add_nc_u32_e32 v13, s67, v13
	s_mov_b32 s81, 0
	v_cmp_le_u32_e32 vcc_lo, s28, v24
	s_orn2_b32 s80, vcc_lo, exec_lo
	s_branch .LBB52_84
.LBB52_89:                              ;   in Loop: Header=BB52_15 Depth=1
	s_or_b32 exec_lo, exec_lo, s13
	s_waitcnt lgkmcnt(0)
	s_barrier
	buffer_gl0_inv
	s_and_saveexec_b32 s10, s3
	s_cbranch_execz .LBB52_91
; %bb.90:                               ;   in Loop: Header=BB52_15 Depth=1
	ds_read_b32 v1, v14 offset:4104
	s_waitcnt lgkmcnt(0)
	ds_write_b32 v14, v1 offset:4096
.LBB52_91:                              ;   in Loop: Header=BB52_15 Depth=1
	s_or_b32 exec_lo, exec_lo, s10
	s_waitcnt lgkmcnt(0)
	s_mov_b32 s10, -1
	s_barrier
	s_and_b32 vcc_lo, exec_lo, s12
	s_cbranch_vccnz .LBB52_31
	s_branch .LBB52_40
.LBB52_92:                              ;   in Loop: Header=BB52_15 Depth=1
	s_inst_prefetch 0x2
	s_or_b32 exec_lo, exec_lo, s21
	s_and_b32 s21, s29, exec_lo
.LBB52_93:                              ;   in Loop: Header=BB52_15 Depth=1
	s_or_b32 exec_lo, exec_lo, s27
.LBB52_94:                              ;   in Loop: Header=BB52_15 Depth=1
	s_and_b32 vcc_lo, exec_lo, s25
	s_cbranch_vccz .LBB52_105
; %bb.95:                               ;   in Loop: Header=BB52_15 Depth=1
                                        ; implicit-def: $vgpr8_vgpr9
	s_and_saveexec_b32 s22, s9
	s_cbranch_execz .LBB52_104
; %bb.96:                               ;   in Loop: Header=BB52_15 Depth=1
	v_mov_b32_e32 v13, v12
	v_mov_b32_e32 v24, v0
	s_mov_b32 s24, 0
                                        ; implicit-def: $sgpr23
	s_inst_prefetch 0x1
	s_branch .LBB52_99
	.p2align	6
.LBB52_97:                              ;   in Loop: Header=BB52_99 Depth=2
	s_or_b32 exec_lo, exec_lo, s25
	s_waitcnt lgkmcnt(0)
	s_barrier
	buffer_gl0_inv
	ds_read_b128 v[6:9], v14 offset:3072
	s_mov_b32 s25, -1
	s_mov_b32 s27, -1
	s_waitcnt lgkmcnt(0)
	s_barrier
	buffer_gl0_inv
	v_cmp_ne_u64_e32 vcc_lo, 0, v[6:7]
	s_cbranch_vccz .LBB52_102
.LBB52_98:                              ;   in Loop: Header=BB52_99 Depth=2
	s_and_b32 s25, exec_lo, s25
	s_or_b32 s24, s25, s24
	s_andn2_b32 s23, s23, exec_lo
	s_and_b32 s25, s27, exec_lo
	s_or_b32 s23, s23, s25
	s_andn2_b32 exec_lo, exec_lo, s24
	s_cbranch_execz .LBB52_103
.LBB52_99:                              ;   Parent Loop BB52_15 Depth=1
                                        ; =>  This Inner Loop Header: Depth=2
	s_mov_b32 s25, exec_lo
	v_cmpx_gt_u32_e64 s36, v24
	s_cbranch_execz .LBB52_97
; %bb.100:                              ;   in Loop: Header=BB52_99 Depth=2
	v_lshlrev_b64 v[6:7], 3, v[13:14]
	v_add_co_u32 v6, vcc_lo, s31, v6
	v_add_co_ci_u32_e64 v7, null, s33, v7, vcc_lo
	global_load_dwordx2 v[7:8], v[6:7], off
	s_waitcnt vmcnt(0)
	v_xor_b32_e32 v6, 0x80000000, v8
	v_and_b32_e32 v40, v7, v1
	v_and_b32_e32 v41, v6, v2
	v_cmp_eq_u64_e32 vcc_lo, v[40:41], v[22:23]
	s_and_b32 exec_lo, exec_lo, vcc_lo
	s_cbranch_execz .LBB52_97
; %bb.101:                              ;   in Loop: Header=BB52_99 Depth=2
	v_mov_b32_e32 v6, v14
	ds_write_b128 v14, v[5:8] offset:3072
	s_branch .LBB52_97
.LBB52_102:                             ;   in Loop: Header=BB52_99 Depth=2
	v_add_nc_u32_e32 v24, s34, v24
	v_add_nc_u32_e32 v13, s40, v13
	s_mov_b32 s27, 0
	v_cmp_le_u32_e32 vcc_lo, s64, v24
	s_orn2_b32 s25, vcc_lo, exec_lo
	s_branch .LBB52_98
.LBB52_103:                             ;   in Loop: Header=BB52_15 Depth=1
	s_inst_prefetch 0x2
	s_or_b32 exec_lo, exec_lo, s24
	s_andn2_b32 s21, s21, exec_lo
	s_and_b32 s23, s23, exec_lo
	s_or_b32 s21, s21, s23
.LBB52_104:                             ;   in Loop: Header=BB52_15 Depth=1
	s_or_b32 exec_lo, exec_lo, s22
	s_mov_b32 s22, 0
	s_mov_b32 s23, -1
.LBB52_105:                             ;   in Loop: Header=BB52_15 Depth=1
	s_orn2_b32 s27, s21, exec_lo
.LBB52_106:                             ;   in Loop: Header=BB52_15 Depth=1
	s_or_b32 exec_lo, exec_lo, s11
	s_mov_b32 s24, 0
	s_mov_b32 s21, 0
	s_mov_b32 s11, 0
                                        ; implicit-def: $vgpr25
                                        ; implicit-def: $vgpr24
	s_and_saveexec_b32 s25, s27
	s_cbranch_execz .LBB52_236
; %bb.107:                              ;   in Loop: Header=BB52_15 Depth=1
	v_mov_b32_e32 v25, 1
	v_mov_b32_e32 v24, 1
	s_xor_b32 s21, s26, -1
	s_mov_b32 s28, 0
	s_and_saveexec_b32 s11, s21
	s_cbranch_execz .LBB52_116
; %bb.108:                              ;   in Loop: Header=BB52_15 Depth=1
	s_mov_b32 s21, exec_lo
	v_cmpx_ge_u32_e64 s17, v39
	s_xor_b32 s21, exec_lo, s21
	s_cbranch_execz .LBB52_113
; %bb.109:                              ;   in Loop: Header=BB52_15 Depth=1
	ds_read_b32 v6, v14 offset:4096
	v_and_b32_e32 v23, s15, v23
	v_and_b32_e32 v22, s14, v22
	v_or_b32_e32 v2, s13, v2
	v_or_b32_e32 v1, s12, v1
	s_waitcnt lgkmcnt(0)
	v_cmp_ne_u32_e32 vcc_lo, 0, v6
	s_cbranch_vccnz .LBB52_113
; %bb.110:                              ;   in Loop: Header=BB52_15 Depth=1
	s_and_saveexec_b32 s26, s3
; %bb.111:                              ;   in Loop: Header=BB52_15 Depth=1
	v_mov_b32_e32 v6, s17
	ds_write_b32 v14, v6 offset:4100
; %bb.112:                              ;   in Loop: Header=BB52_15 Depth=1
	s_or_b32 exec_lo, exec_lo, s26
	s_waitcnt lgkmcnt(0)
	s_barrier
	buffer_gl0_inv
.LBB52_113:                             ;   in Loop: Header=BB52_15 Depth=1
	s_or_saveexec_b32 s21, s21
	v_mov_b32_e32 v24, 8
	v_mov_b32_e32 v25, v39
	s_mov_b32 s26, 0
	s_xor_b32 exec_lo, exec_lo, s21
; %bb.114:                              ;   in Loop: Header=BB52_15 Depth=1
	v_subrev_nc_u32_e32 v25, s17, v39
	v_mov_b32_e32 v24, 0
	s_mov_b32 s26, exec_lo
; %bb.115:                              ;   in Loop: Header=BB52_15 Depth=1
	s_or_b32 exec_lo, exec_lo, s21
	s_and_b32 s28, s26, exec_lo
.LBB52_116:                             ;   in Loop: Header=BB52_15 Depth=1
	s_or_b32 exec_lo, exec_lo, s11
	s_mov_b32 s27, -1
                                        ; implicit-def: $sgpr21
                                        ; implicit-def: $sgpr26
	s_and_saveexec_b32 s11, s28
	s_xor_b32 s11, exec_lo, s11
	s_cbranch_execz .LBB52_233
; %bb.117:                              ;   in Loop: Header=BB52_15 Depth=1
	v_cmp_eq_u32_e32 vcc_lo, 1, v25
	s_cmp_eq_u32 s18, 1
	s_mov_b32 s29, -1
	s_cselect_b32 s21, -1, 0
                                        ; implicit-def: $sgpr26
	s_and_b32 s28, s21, vcc_lo
                                        ; implicit-def: $sgpr21
	s_and_saveexec_b32 s27, s28
	s_cbranch_execz .LBB52_143
; %bb.118:                              ;   in Loop: Header=BB52_15 Depth=1
	ds_read_b32 v6, v14 offset:4096
	s_waitcnt lgkmcnt(0)
	s_barrier
	buffer_gl0_inv
	v_readfirstlane_b32 s80, v6
	s_and_saveexec_b32 s21, s6
; %bb.119:                              ;   in Loop: Header=BB52_15 Depth=1
	v_mov_b32_e32 v13, v14
	ds_write_b64 v31, v[13:14]
; %bb.120:                              ;   in Loop: Header=BB52_15 Depth=1
	s_or_b32 exec_lo, exec_lo, s21
	v_and_b32_e32 v6, s15, v23
	v_and_b32_e32 v7, s14, v22
	s_lshl_b64 s[82:83], 1, s73
	v_or_b32_e32 v2, s13, v2
	v_or_b32_e32 v1, s12, v1
	v_or_b32_e32 v23, s83, v6
	v_or_b32_e32 v22, s82, v7
	s_mov_b32 s21, -1
	s_mov_b32 s26, 0
	s_cmp_eq_u32 s80, 0
	s_mov_b32 s29, 0
	s_mov_b32 s81, -1
	s_waitcnt lgkmcnt(0)
	s_barrier
	buffer_gl0_inv
                                        ; implicit-def: $vgpr8_vgpr9
	s_cbranch_scc1 .LBB52_131
; %bb.121:                              ;   in Loop: Header=BB52_15 Depth=1
	s_add_i32 s29, s80, s57
                                        ; implicit-def: $vgpr8_vgpr9
	s_mul_hi_u32 s81, s29, s63
	s_mul_i32 s81, s81, s34
	s_sub_i32 s81, s29, s81
	s_sub_i32 s82, s81, s34
	s_cmp_ge_u32 s81, s34
	s_cselect_b32 s81, s82, s81
	s_sub_i32 s82, s81, s34
	s_cmp_ge_u32 s81, s34
	s_cselect_b32 s81, s82, s81
	s_mov_b32 s82, exec_lo
	s_sub_i32 s83, s29, s81
	s_mov_b32 s81, 0
	s_mov_b32 s29, 0
	v_cmpx_gt_u32_e64 s83, v0
	s_cbranch_execz .LBB52_130
; %bb.122:                              ;   in Loop: Header=BB52_15 Depth=1
	v_mov_b32_e32 v13, v29
	v_mov_b32_e32 v40, v0
                                        ; implicit-def: $sgpr84
	s_inst_prefetch 0x1
	s_branch .LBB52_125
	.p2align	6
.LBB52_123:                             ;   in Loop: Header=BB52_125 Depth=2
	s_or_b32 exec_lo, exec_lo, s85
	s_waitcnt lgkmcnt(0)
	s_barrier
	buffer_gl0_inv
	ds_read_b128 v[6:9], v14 offset:3072
	s_mov_b32 s85, -1
	s_mov_b32 s86, -1
	s_waitcnt lgkmcnt(0)
	s_barrier
	buffer_gl0_inv
	v_cmp_ne_u64_e32 vcc_lo, 0, v[6:7]
	s_cbranch_vccz .LBB52_128
.LBB52_124:                             ;   in Loop: Header=BB52_125 Depth=2
	s_and_b32 s85, exec_lo, s85
	s_or_b32 s29, s85, s29
	s_andn2_b32 s84, s84, exec_lo
	s_and_b32 s85, s86, exec_lo
	s_or_b32 s84, s84, s85
	s_andn2_b32 exec_lo, exec_lo, s29
	s_cbranch_execz .LBB52_129
.LBB52_125:                             ;   Parent Loop BB52_15 Depth=1
                                        ; =>  This Inner Loop Header: Depth=2
	s_mov_b32 s85, exec_lo
	v_cmpx_gt_u32_e64 s80, v40
	s_cbranch_execz .LBB52_123
; %bb.126:                              ;   in Loop: Header=BB52_125 Depth=2
	ds_read_b64 v[7:8], v13
	s_waitcnt lgkmcnt(0)
	v_xor_b32_e32 v6, 0x80000000, v8
	v_and_b32_e32 v41, v7, v1
	v_and_b32_e32 v42, v6, v2
	v_cmp_eq_u64_e32 vcc_lo, v[41:42], v[22:23]
	s_and_b32 exec_lo, exec_lo, vcc_lo
	s_cbranch_execz .LBB52_123
; %bb.127:                              ;   in Loop: Header=BB52_125 Depth=2
	v_mov_b32_e32 v6, v14
	ds_write_b128 v14, v[5:8] offset:3072
	s_branch .LBB52_123
	.p2align	6
.LBB52_128:                             ;   in Loop: Header=BB52_125 Depth=2
	v_add_nc_u32_e32 v40, s34, v40
	v_add_nc_u32_e32 v13, s67, v13
	s_mov_b32 s86, 0
	v_cmp_le_u32_e32 vcc_lo, s83, v40
	s_orn2_b32 s85, vcc_lo, exec_lo
	s_branch .LBB52_124
.LBB52_129:                             ;   in Loop: Header=BB52_15 Depth=1
	s_inst_prefetch 0x2
	s_or_b32 exec_lo, exec_lo, s29
	s_and_b32 s29, s84, exec_lo
.LBB52_130:                             ;   in Loop: Header=BB52_15 Depth=1
	s_or_b32 exec_lo, exec_lo, s82
.LBB52_131:                             ;   in Loop: Header=BB52_15 Depth=1
	s_and_b32 vcc_lo, exec_lo, s81
	s_cbranch_vccz .LBB52_142
; %bb.132:                              ;   in Loop: Header=BB52_15 Depth=1
                                        ; implicit-def: $vgpr8_vgpr9
	s_and_saveexec_b32 s21, s9
	s_cbranch_execz .LBB52_141
; %bb.133:                              ;   in Loop: Header=BB52_15 Depth=1
	v_mov_b32_e32 v13, v12
	v_mov_b32_e32 v40, v0
	s_mov_b32 s26, 0
                                        ; implicit-def: $sgpr80
	s_inst_prefetch 0x1
	s_branch .LBB52_136
	.p2align	6
.LBB52_134:                             ;   in Loop: Header=BB52_136 Depth=2
	s_or_b32 exec_lo, exec_lo, s81
	s_waitcnt lgkmcnt(0)
	s_barrier
	buffer_gl0_inv
	ds_read_b128 v[6:9], v14 offset:3072
	s_mov_b32 s81, -1
	s_mov_b32 s82, -1
	s_waitcnt lgkmcnt(0)
	s_barrier
	buffer_gl0_inv
	v_cmp_eq_u64_e32 vcc_lo, 0, v[6:7]
	s_cbranch_vccnz .LBB52_139
.LBB52_135:                             ;   in Loop: Header=BB52_136 Depth=2
	s_and_b32 s81, exec_lo, s81
	s_or_b32 s26, s81, s26
	s_andn2_b32 s80, s80, exec_lo
	s_and_b32 s81, s82, exec_lo
	s_or_b32 s80, s80, s81
	s_andn2_b32 exec_lo, exec_lo, s26
	s_cbranch_execz .LBB52_140
.LBB52_136:                             ;   Parent Loop BB52_15 Depth=1
                                        ; =>  This Inner Loop Header: Depth=2
	s_mov_b32 s81, exec_lo
	v_cmpx_gt_u32_e64 s36, v40
	s_cbranch_execz .LBB52_134
; %bb.137:                              ;   in Loop: Header=BB52_136 Depth=2
	v_lshlrev_b64 v[6:7], 3, v[13:14]
	v_add_co_u32 v6, vcc_lo, s31, v6
	v_add_co_ci_u32_e64 v7, null, s33, v7, vcc_lo
	global_load_dwordx2 v[7:8], v[6:7], off
	s_waitcnt vmcnt(0)
	v_xor_b32_e32 v6, 0x80000000, v8
	v_and_b32_e32 v41, v7, v1
	v_and_b32_e32 v42, v6, v2
	v_cmp_eq_u64_e32 vcc_lo, v[41:42], v[22:23]
	s_and_b32 exec_lo, exec_lo, vcc_lo
	s_cbranch_execz .LBB52_134
; %bb.138:                              ;   in Loop: Header=BB52_136 Depth=2
	v_mov_b32_e32 v6, v14
	ds_write_b128 v14, v[5:8] offset:3072
	s_branch .LBB52_134
.LBB52_139:                             ;   in Loop: Header=BB52_136 Depth=2
	v_add_nc_u32_e32 v40, s34, v40
	v_add_nc_u32_e32 v13, s40, v13
	s_mov_b32 s82, 0
	v_cmp_le_u32_e32 vcc_lo, s64, v40
	s_orn2_b32 s81, vcc_lo, exec_lo
	s_branch .LBB52_135
.LBB52_140:                             ;   in Loop: Header=BB52_15 Depth=1
	s_inst_prefetch 0x2
	s_or_b32 exec_lo, exec_lo, s26
	s_andn2_b32 s26, s29, exec_lo
	s_and_b32 s29, s80, exec_lo
	s_or_b32 s29, s26, s29
.LBB52_141:                             ;   in Loop: Header=BB52_15 Depth=1
	s_or_b32 exec_lo, exec_lo, s21
	s_mov_b32 s21, 0
	s_mov_b32 s26, -1
.LBB52_142:                             ;   in Loop: Header=BB52_15 Depth=1
	s_orn2_b32 s29, s29, exec_lo
.LBB52_143:                             ;   in Loop: Header=BB52_15 Depth=1
	s_or_b32 exec_lo, exec_lo, s27
	s_mov_b32 s80, 0
	s_and_saveexec_b32 s27, s29
	s_cbranch_execz .LBB52_232
; %bb.144:                              ;   in Loop: Header=BB52_15 Depth=1
	v_mov_b32_e32 v40, 1
	v_mov_b32_e32 v24, 1
	s_xor_b32 s29, s28, -1
	s_mov_b32 s82, 0
	s_and_saveexec_b32 s28, s29
	s_cbranch_execz .LBB52_153
; %bb.145:                              ;   in Loop: Header=BB52_15 Depth=1
	s_mov_b32 s29, exec_lo
	v_cmpx_ge_u32_e64 s18, v25
	s_xor_b32 s29, exec_lo, s29
	s_cbranch_execz .LBB52_150
; %bb.146:                              ;   in Loop: Header=BB52_15 Depth=1
	ds_read_b32 v6, v14 offset:4096
	v_and_b32_e32 v7, s15, v23
	v_and_b32_e32 v13, s14, v22
	s_lshl_b64 s[80:81], 1, s73
	v_or_b32_e32 v2, s13, v2
	v_or_b32_e32 v1, s12, v1
	v_or_b32_e32 v23, s81, v7
	v_or_b32_e32 v22, s80, v13
	s_waitcnt lgkmcnt(0)
	v_cmp_ne_u32_e32 vcc_lo, 0, v6
	s_cbranch_vccnz .LBB52_150
; %bb.147:                              ;   in Loop: Header=BB52_15 Depth=1
	s_and_saveexec_b32 s80, s3
; %bb.148:                              ;   in Loop: Header=BB52_15 Depth=1
	v_mov_b32_e32 v6, s18
	ds_write_b32 v14, v6 offset:4100
; %bb.149:                              ;   in Loop: Header=BB52_15 Depth=1
	s_or_b32 exec_lo, exec_lo, s80
	s_waitcnt lgkmcnt(0)
	s_barrier
	buffer_gl0_inv
.LBB52_150:                             ;   in Loop: Header=BB52_15 Depth=1
	s_or_saveexec_b32 s29, s29
	v_mov_b32_e32 v24, 8
	s_mov_b32 s80, 0
	s_xor_b32 exec_lo, exec_lo, s29
; %bb.151:                              ;   in Loop: Header=BB52_15 Depth=1
	v_subrev_nc_u32_e32 v25, s18, v25
	v_mov_b32_e32 v24, 0
	s_mov_b32 s80, exec_lo
; %bb.152:                              ;   in Loop: Header=BB52_15 Depth=1
	s_or_b32 exec_lo, exec_lo, s29
	v_mov_b32_e32 v40, v25
	s_and_b32 s82, s80, exec_lo
.LBB52_153:                             ;   in Loop: Header=BB52_15 Depth=1
	s_or_b32 exec_lo, exec_lo, s28
	s_mov_b32 s81, -1
                                        ; implicit-def: $sgpr29
                                        ; implicit-def: $sgpr80
	s_and_saveexec_b32 s28, s82
	s_cbranch_execz .LBB52_231
; %bb.154:                              ;   in Loop: Header=BB52_15 Depth=1
	v_cmp_eq_u32_e32 vcc_lo, 1, v40
	s_cmp_eq_u32 s19, 1
	s_mov_b32 s83, -1
	s_cselect_b32 s29, -1, 0
                                        ; implicit-def: $sgpr80
	s_and_b32 s82, s29, vcc_lo
                                        ; implicit-def: $sgpr29
	s_and_saveexec_b32 s81, s82
	s_cbranch_execz .LBB52_180
; %bb.155:                              ;   in Loop: Header=BB52_15 Depth=1
	ds_read_b32 v6, v14 offset:4096
	s_waitcnt lgkmcnt(0)
	s_barrier
	buffer_gl0_inv
	v_readfirstlane_b32 s84, v6
	s_and_saveexec_b32 s29, s6
; %bb.156:                              ;   in Loop: Header=BB52_15 Depth=1
	v_mov_b32_e32 v13, v14
	ds_write_b64 v31, v[13:14]
; %bb.157:                              ;   in Loop: Header=BB52_15 Depth=1
	s_or_b32 exec_lo, exec_lo, s29
	v_and_b32_e32 v6, s15, v23
	v_and_b32_e32 v7, s14, v22
	s_lshl_b64 s[86:87], 2, s73
	v_or_b32_e32 v2, s13, v2
	v_or_b32_e32 v1, s12, v1
	;; [unrolled: 1-line block ×4, first 2 shown]
	s_mov_b32 s29, -1
	s_mov_b32 s80, 0
	s_cmp_eq_u32 s84, 0
	s_mov_b32 s83, 0
	s_mov_b32 s85, -1
	s_waitcnt lgkmcnt(0)
	s_barrier
	buffer_gl0_inv
                                        ; implicit-def: $vgpr8_vgpr9
	s_cbranch_scc1 .LBB52_168
; %bb.158:                              ;   in Loop: Header=BB52_15 Depth=1
	s_add_i32 s83, s84, s57
                                        ; implicit-def: $vgpr8_vgpr9
	s_mul_hi_u32 s85, s83, s63
	s_mul_i32 s85, s85, s34
	s_sub_i32 s85, s83, s85
	s_sub_i32 s86, s85, s34
	s_cmp_ge_u32 s85, s34
	s_cselect_b32 s85, s86, s85
	s_sub_i32 s86, s85, s34
	s_cmp_ge_u32 s85, s34
	s_cselect_b32 s85, s86, s85
	s_mov_b32 s86, exec_lo
	s_sub_i32 s87, s83, s85
	s_mov_b32 s85, 0
	s_mov_b32 s83, 0
	v_cmpx_gt_u32_e64 s87, v0
	s_cbranch_execz .LBB52_167
; %bb.159:                              ;   in Loop: Header=BB52_15 Depth=1
	v_mov_b32_e32 v13, v29
	v_mov_b32_e32 v25, v0
                                        ; implicit-def: $sgpr88
	s_inst_prefetch 0x1
	s_branch .LBB52_162
	.p2align	6
.LBB52_160:                             ;   in Loop: Header=BB52_162 Depth=2
	s_or_b32 exec_lo, exec_lo, s89
	s_waitcnt lgkmcnt(0)
	s_barrier
	buffer_gl0_inv
	ds_read_b128 v[6:9], v14 offset:3072
	s_mov_b32 s89, -1
	s_mov_b32 s90, -1
	s_waitcnt lgkmcnt(0)
	s_barrier
	buffer_gl0_inv
	v_cmp_ne_u64_e32 vcc_lo, 0, v[6:7]
	s_cbranch_vccz .LBB52_165
.LBB52_161:                             ;   in Loop: Header=BB52_162 Depth=2
	s_and_b32 s89, exec_lo, s89
	s_or_b32 s83, s89, s83
	s_andn2_b32 s88, s88, exec_lo
	s_and_b32 s89, s90, exec_lo
	s_or_b32 s88, s88, s89
	s_andn2_b32 exec_lo, exec_lo, s83
	s_cbranch_execz .LBB52_166
.LBB52_162:                             ;   Parent Loop BB52_15 Depth=1
                                        ; =>  This Inner Loop Header: Depth=2
	s_mov_b32 s89, exec_lo
	v_cmpx_gt_u32_e64 s84, v25
	s_cbranch_execz .LBB52_160
; %bb.163:                              ;   in Loop: Header=BB52_162 Depth=2
	ds_read_b64 v[7:8], v13
	s_waitcnt lgkmcnt(0)
	v_xor_b32_e32 v6, 0x80000000, v8
	v_and_b32_e32 v41, v7, v1
	v_and_b32_e32 v42, v6, v2
	v_cmp_eq_u64_e32 vcc_lo, v[41:42], v[22:23]
	s_and_b32 exec_lo, exec_lo, vcc_lo
	s_cbranch_execz .LBB52_160
; %bb.164:                              ;   in Loop: Header=BB52_162 Depth=2
	v_mov_b32_e32 v6, v14
	ds_write_b128 v14, v[5:8] offset:3072
	s_branch .LBB52_160
	.p2align	6
.LBB52_165:                             ;   in Loop: Header=BB52_162 Depth=2
	v_add_nc_u32_e32 v25, s34, v25
	v_add_nc_u32_e32 v13, s67, v13
	s_mov_b32 s90, 0
	v_cmp_le_u32_e32 vcc_lo, s87, v25
	s_orn2_b32 s89, vcc_lo, exec_lo
	s_branch .LBB52_161
.LBB52_166:                             ;   in Loop: Header=BB52_15 Depth=1
	s_inst_prefetch 0x2
	s_or_b32 exec_lo, exec_lo, s83
	s_and_b32 s83, s88, exec_lo
.LBB52_167:                             ;   in Loop: Header=BB52_15 Depth=1
	s_or_b32 exec_lo, exec_lo, s86
.LBB52_168:                             ;   in Loop: Header=BB52_15 Depth=1
	s_and_b32 vcc_lo, exec_lo, s85
	s_cbranch_vccz .LBB52_179
; %bb.169:                              ;   in Loop: Header=BB52_15 Depth=1
                                        ; implicit-def: $vgpr8_vgpr9
	s_and_saveexec_b32 s29, s9
	s_cbranch_execz .LBB52_178
; %bb.170:                              ;   in Loop: Header=BB52_15 Depth=1
	v_mov_b32_e32 v13, v12
	v_mov_b32_e32 v25, v0
	s_mov_b32 s80, 0
                                        ; implicit-def: $sgpr84
	s_inst_prefetch 0x1
	s_branch .LBB52_173
	.p2align	6
.LBB52_171:                             ;   in Loop: Header=BB52_173 Depth=2
	s_or_b32 exec_lo, exec_lo, s85
	s_waitcnt lgkmcnt(0)
	s_barrier
	buffer_gl0_inv
	ds_read_b128 v[6:9], v14 offset:3072
	s_mov_b32 s85, -1
	s_mov_b32 s86, -1
	s_waitcnt lgkmcnt(0)
	s_barrier
	buffer_gl0_inv
	v_cmp_eq_u64_e32 vcc_lo, 0, v[6:7]
	s_cbranch_vccnz .LBB52_176
.LBB52_172:                             ;   in Loop: Header=BB52_173 Depth=2
	s_and_b32 s85, exec_lo, s85
	s_or_b32 s80, s85, s80
	s_andn2_b32 s84, s84, exec_lo
	s_and_b32 s85, s86, exec_lo
	s_or_b32 s84, s84, s85
	s_andn2_b32 exec_lo, exec_lo, s80
	s_cbranch_execz .LBB52_177
.LBB52_173:                             ;   Parent Loop BB52_15 Depth=1
                                        ; =>  This Inner Loop Header: Depth=2
	s_mov_b32 s85, exec_lo
	v_cmpx_gt_u32_e64 s36, v25
	s_cbranch_execz .LBB52_171
; %bb.174:                              ;   in Loop: Header=BB52_173 Depth=2
	v_lshlrev_b64 v[6:7], 3, v[13:14]
	v_add_co_u32 v6, vcc_lo, s31, v6
	v_add_co_ci_u32_e64 v7, null, s33, v7, vcc_lo
	global_load_dwordx2 v[7:8], v[6:7], off
	s_waitcnt vmcnt(0)
	v_xor_b32_e32 v6, 0x80000000, v8
	v_and_b32_e32 v41, v7, v1
	v_and_b32_e32 v42, v6, v2
	v_cmp_eq_u64_e32 vcc_lo, v[41:42], v[22:23]
	s_and_b32 exec_lo, exec_lo, vcc_lo
	s_cbranch_execz .LBB52_171
; %bb.175:                              ;   in Loop: Header=BB52_173 Depth=2
	v_mov_b32_e32 v6, v14
	ds_write_b128 v14, v[5:8] offset:3072
	s_branch .LBB52_171
.LBB52_176:                             ;   in Loop: Header=BB52_173 Depth=2
	v_add_nc_u32_e32 v25, s34, v25
	v_add_nc_u32_e32 v13, s40, v13
	s_mov_b32 s86, 0
	v_cmp_le_u32_e32 vcc_lo, s64, v25
	s_orn2_b32 s85, vcc_lo, exec_lo
	s_branch .LBB52_172
.LBB52_177:                             ;   in Loop: Header=BB52_15 Depth=1
	s_inst_prefetch 0x2
	s_or_b32 exec_lo, exec_lo, s80
	s_andn2_b32 s80, s83, exec_lo
	s_and_b32 s83, s84, exec_lo
	s_or_b32 s83, s80, s83
.LBB52_178:                             ;   in Loop: Header=BB52_15 Depth=1
	s_or_b32 exec_lo, exec_lo, s29
	s_mov_b32 s29, 0
	s_mov_b32 s80, -1
.LBB52_179:                             ;   in Loop: Header=BB52_15 Depth=1
	s_orn2_b32 s83, s83, exec_lo
.LBB52_180:                             ;   in Loop: Header=BB52_15 Depth=1
	s_or_b32 exec_lo, exec_lo, s81
	s_mov_b32 s84, 0
	s_and_saveexec_b32 s81, s83
	s_cbranch_execz .LBB52_230
; %bb.181:                              ;   in Loop: Header=BB52_15 Depth=1
	v_mov_b32_e32 v25, 1
	v_mov_b32_e32 v24, 1
	s_xor_b32 s83, s82, -1
	s_mov_b32 s86, 0
	s_and_saveexec_b32 s82, s83
	s_cbranch_execz .LBB52_190
; %bb.182:                              ;   in Loop: Header=BB52_15 Depth=1
	s_mov_b32 s83, exec_lo
	v_cmpx_ge_u32_e64 s19, v40
	s_xor_b32 s83, exec_lo, s83
	s_cbranch_execz .LBB52_187
; %bb.183:                              ;   in Loop: Header=BB52_15 Depth=1
	ds_read_b32 v6, v14 offset:4096
	v_and_b32_e32 v7, s15, v23
	v_and_b32_e32 v13, s14, v22
	s_lshl_b64 s[84:85], 2, s73
	v_or_b32_e32 v2, s13, v2
	v_or_b32_e32 v1, s12, v1
	;; [unrolled: 1-line block ×4, first 2 shown]
	s_waitcnt lgkmcnt(0)
	v_cmp_ne_u32_e32 vcc_lo, 0, v6
	s_cbranch_vccnz .LBB52_187
; %bb.184:                              ;   in Loop: Header=BB52_15 Depth=1
	s_and_saveexec_b32 s84, s3
; %bb.185:                              ;   in Loop: Header=BB52_15 Depth=1
	v_mov_b32_e32 v6, s19
	ds_write_b32 v14, v6 offset:4100
; %bb.186:                              ;   in Loop: Header=BB52_15 Depth=1
	s_or_b32 exec_lo, exec_lo, s84
	s_waitcnt lgkmcnt(0)
	s_barrier
	buffer_gl0_inv
.LBB52_187:                             ;   in Loop: Header=BB52_15 Depth=1
	s_or_saveexec_b32 s83, s83
	v_mov_b32_e32 v24, 8
	s_mov_b32 s84, 0
	s_xor_b32 exec_lo, exec_lo, s83
; %bb.188:                              ;   in Loop: Header=BB52_15 Depth=1
	v_subrev_nc_u32_e32 v40, s19, v40
	v_mov_b32_e32 v24, 0
	s_mov_b32 s84, exec_lo
; %bb.189:                              ;   in Loop: Header=BB52_15 Depth=1
	s_or_b32 exec_lo, exec_lo, s83
	v_mov_b32_e32 v25, v40
	s_and_b32 s86, s84, exec_lo
.LBB52_190:                             ;   in Loop: Header=BB52_15 Depth=1
	s_or_b32 exec_lo, exec_lo, s82
	s_mov_b32 s83, -1
                                        ; implicit-def: $sgpr85
                                        ; implicit-def: $sgpr84
	s_and_saveexec_b32 s82, s86
	s_cbranch_execz .LBB52_229
; %bb.191:                              ;   in Loop: Header=BB52_15 Depth=1
	v_cmp_eq_u32_e32 vcc_lo, 1, v25
	s_cmp_eq_u32 s20, 1
	s_mov_b32 s87, -1
	s_cselect_b32 s83, -1, 0
                                        ; implicit-def: $sgpr85
                                        ; implicit-def: $sgpr84
	s_and_b32 s83, s83, vcc_lo
	s_and_saveexec_b32 s86, s83
	s_cbranch_execz .LBB52_217
; %bb.192:                              ;   in Loop: Header=BB52_15 Depth=1
	ds_read_b32 v6, v14 offset:4096
	s_waitcnt lgkmcnt(0)
	s_barrier
	buffer_gl0_inv
	v_readfirstlane_b32 s88, v6
	s_and_saveexec_b32 s84, s6
; %bb.193:                              ;   in Loop: Header=BB52_15 Depth=1
	v_mov_b32_e32 v13, v14
	ds_write_b64 v31, v[13:14]
; %bb.194:                              ;   in Loop: Header=BB52_15 Depth=1
	s_or_b32 exec_lo, exec_lo, s84
	v_or_b32_e32 v23, s13, v23
	v_or_b32_e32 v22, s12, v22
	;; [unrolled: 1-line block ×4, first 2 shown]
	s_mov_b32 s84, -1
	s_mov_b32 s85, 0
	s_cmp_eq_u32 s88, 0
	s_mov_b32 s87, 0
	s_mov_b32 s89, -1
	s_waitcnt lgkmcnt(0)
	s_barrier
	buffer_gl0_inv
                                        ; implicit-def: $vgpr8_vgpr9
	s_cbranch_scc1 .LBB52_205
; %bb.195:                              ;   in Loop: Header=BB52_15 Depth=1
	s_add_i32 s87, s88, s57
                                        ; implicit-def: $vgpr8_vgpr9
	s_mul_hi_u32 s89, s87, s63
	s_mul_i32 s89, s89, s34
	s_sub_i32 s89, s87, s89
	s_sub_i32 s90, s89, s34
	s_cmp_ge_u32 s89, s34
	s_cselect_b32 s89, s90, s89
	s_sub_i32 s90, s89, s34
	s_cmp_ge_u32 s89, s34
	s_cselect_b32 s89, s90, s89
	s_mov_b32 s90, exec_lo
	s_sub_i32 s91, s87, s89
	s_mov_b32 s89, 0
	s_mov_b32 s87, 0
	v_cmpx_gt_u32_e64 s91, v0
	s_cbranch_execz .LBB52_204
; %bb.196:                              ;   in Loop: Header=BB52_15 Depth=1
	v_mov_b32_e32 v13, v29
	v_mov_b32_e32 v40, v0
                                        ; implicit-def: $sgpr92
	s_inst_prefetch 0x1
	s_branch .LBB52_199
	.p2align	6
.LBB52_197:                             ;   in Loop: Header=BB52_199 Depth=2
	s_or_b32 exec_lo, exec_lo, s93
	s_waitcnt lgkmcnt(0)
	s_barrier
	buffer_gl0_inv
	ds_read_b128 v[6:9], v14 offset:3072
	s_mov_b32 s93, -1
	s_mov_b32 s94, -1
	s_waitcnt lgkmcnt(0)
	s_barrier
	buffer_gl0_inv
	v_cmp_ne_u64_e32 vcc_lo, 0, v[6:7]
	s_cbranch_vccz .LBB52_202
.LBB52_198:                             ;   in Loop: Header=BB52_199 Depth=2
	s_and_b32 s93, exec_lo, s93
	s_or_b32 s87, s93, s87
	s_andn2_b32 s92, s92, exec_lo
	s_and_b32 s93, s94, exec_lo
	s_or_b32 s92, s92, s93
	s_andn2_b32 exec_lo, exec_lo, s87
	s_cbranch_execz .LBB52_203
.LBB52_199:                             ;   Parent Loop BB52_15 Depth=1
                                        ; =>  This Inner Loop Header: Depth=2
	s_mov_b32 s93, exec_lo
	v_cmpx_gt_u32_e64 s88, v40
	s_cbranch_execz .LBB52_197
; %bb.200:                              ;   in Loop: Header=BB52_199 Depth=2
	ds_read_b64 v[7:8], v13
	s_waitcnt lgkmcnt(0)
	v_xor_b32_e32 v6, 0x80000000, v8
	v_and_b32_e32 v41, v7, v1
	v_and_b32_e32 v42, v6, v2
	v_cmp_eq_u64_e32 vcc_lo, v[41:42], v[22:23]
	s_and_b32 exec_lo, exec_lo, vcc_lo
	s_cbranch_execz .LBB52_197
; %bb.201:                              ;   in Loop: Header=BB52_199 Depth=2
	v_mov_b32_e32 v6, v14
	ds_write_b128 v14, v[5:8] offset:3072
	s_branch .LBB52_197
	.p2align	6
.LBB52_202:                             ;   in Loop: Header=BB52_199 Depth=2
	v_add_nc_u32_e32 v40, s34, v40
	v_add_nc_u32_e32 v13, s67, v13
	s_mov_b32 s94, 0
	v_cmp_le_u32_e32 vcc_lo, s91, v40
	s_orn2_b32 s93, vcc_lo, exec_lo
	s_branch .LBB52_198
.LBB52_203:                             ;   in Loop: Header=BB52_15 Depth=1
	s_inst_prefetch 0x2
	s_or_b32 exec_lo, exec_lo, s87
	s_and_b32 s87, s92, exec_lo
.LBB52_204:                             ;   in Loop: Header=BB52_15 Depth=1
	s_or_b32 exec_lo, exec_lo, s90
.LBB52_205:                             ;   in Loop: Header=BB52_15 Depth=1
	s_and_b32 vcc_lo, exec_lo, s89
	s_cbranch_vccz .LBB52_216
; %bb.206:                              ;   in Loop: Header=BB52_15 Depth=1
                                        ; implicit-def: $vgpr8_vgpr9
	s_and_saveexec_b32 s84, s9
	s_cbranch_execz .LBB52_215
; %bb.207:                              ;   in Loop: Header=BB52_15 Depth=1
	v_mov_b32_e32 v13, v12
	v_mov_b32_e32 v40, v0
	s_mov_b32 s85, 0
                                        ; implicit-def: $sgpr88
	s_inst_prefetch 0x1
	s_branch .LBB52_210
	.p2align	6
.LBB52_208:                             ;   in Loop: Header=BB52_210 Depth=2
	s_or_b32 exec_lo, exec_lo, s89
	s_waitcnt lgkmcnt(0)
	s_barrier
	buffer_gl0_inv
	ds_read_b128 v[6:9], v14 offset:3072
	s_mov_b32 s89, -1
	s_mov_b32 s90, -1
	s_waitcnt lgkmcnt(0)
	s_barrier
	buffer_gl0_inv
	v_cmp_eq_u64_e32 vcc_lo, 0, v[6:7]
	s_cbranch_vccnz .LBB52_213
.LBB52_209:                             ;   in Loop: Header=BB52_210 Depth=2
	s_and_b32 s89, exec_lo, s89
	s_or_b32 s85, s89, s85
	s_andn2_b32 s88, s88, exec_lo
	s_and_b32 s89, s90, exec_lo
	s_or_b32 s88, s88, s89
	s_andn2_b32 exec_lo, exec_lo, s85
	s_cbranch_execz .LBB52_214
.LBB52_210:                             ;   Parent Loop BB52_15 Depth=1
                                        ; =>  This Inner Loop Header: Depth=2
	s_mov_b32 s89, exec_lo
	v_cmpx_gt_u32_e64 s36, v40
	s_cbranch_execz .LBB52_208
; %bb.211:                              ;   in Loop: Header=BB52_210 Depth=2
	v_lshlrev_b64 v[6:7], 3, v[13:14]
	v_add_co_u32 v6, vcc_lo, s31, v6
	v_add_co_ci_u32_e64 v7, null, s33, v7, vcc_lo
	global_load_dwordx2 v[7:8], v[6:7], off
	s_waitcnt vmcnt(0)
	v_xor_b32_e32 v6, 0x80000000, v8
	v_and_b32_e32 v41, v7, v1
	v_and_b32_e32 v42, v6, v2
	v_cmp_eq_u64_e32 vcc_lo, v[41:42], v[22:23]
	s_and_b32 exec_lo, exec_lo, vcc_lo
	s_cbranch_execz .LBB52_208
; %bb.212:                              ;   in Loop: Header=BB52_210 Depth=2
	v_mov_b32_e32 v6, v14
	ds_write_b128 v14, v[5:8] offset:3072
	s_branch .LBB52_208
.LBB52_213:                             ;   in Loop: Header=BB52_210 Depth=2
	v_add_nc_u32_e32 v40, s34, v40
	v_add_nc_u32_e32 v13, s40, v13
	s_mov_b32 s90, 0
	v_cmp_le_u32_e32 vcc_lo, s64, v40
	s_orn2_b32 s89, vcc_lo, exec_lo
	s_branch .LBB52_209
.LBB52_214:                             ;   in Loop: Header=BB52_15 Depth=1
	s_inst_prefetch 0x2
	s_or_b32 exec_lo, exec_lo, s85
	s_andn2_b32 s85, s87, exec_lo
	s_and_b32 s87, s88, exec_lo
	s_or_b32 s87, s85, s87
.LBB52_215:                             ;   in Loop: Header=BB52_15 Depth=1
	s_or_b32 exec_lo, exec_lo, s84
	s_mov_b32 s84, 0
	s_mov_b32 s85, -1
.LBB52_216:                             ;   in Loop: Header=BB52_15 Depth=1
	s_orn2_b32 s87, s87, exec_lo
.LBB52_217:                             ;   in Loop: Header=BB52_15 Depth=1
	s_or_b32 exec_lo, exec_lo, s86
	s_mov_b32 s88, 0
	s_and_saveexec_b32 s86, s87
	s_cbranch_execz .LBB52_228
; %bb.218:                              ;   in Loop: Header=BB52_15 Depth=1
	v_mov_b32_e32 v24, 1
	v_mov_b32_e32 v6, 1
	s_xor_b32 s87, s83, -1
	s_and_saveexec_b32 s83, s87
	s_cbranch_execz .LBB52_227
; %bb.219:                              ;   in Loop: Header=BB52_15 Depth=1
	s_mov_b32 s87, exec_lo
	v_cmpx_ge_u32_e64 s20, v25
	s_xor_b32 s87, exec_lo, s87
	s_cbranch_execz .LBB52_224
; %bb.220:                              ;   in Loop: Header=BB52_15 Depth=1
	ds_read_b32 v6, v14 offset:4096
	v_or_b32_e32 v23, s13, v23
	v_or_b32_e32 v22, s12, v22
	;; [unrolled: 1-line block ×4, first 2 shown]
	s_waitcnt lgkmcnt(0)
	v_cmp_ne_u32_e32 vcc_lo, 0, v6
	s_cbranch_vccnz .LBB52_224
; %bb.221:                              ;   in Loop: Header=BB52_15 Depth=1
	s_and_saveexec_b32 s88, s3
; %bb.222:                              ;   in Loop: Header=BB52_15 Depth=1
	v_mov_b32_e32 v6, s20
	ds_write_b32 v14, v6 offset:4100
; %bb.223:                              ;   in Loop: Header=BB52_15 Depth=1
	s_or_b32 exec_lo, exec_lo, s88
	s_waitcnt lgkmcnt(0)
	s_barrier
	buffer_gl0_inv
.LBB52_224:                             ;   in Loop: Header=BB52_15 Depth=1
	s_andn2_saveexec_b32 s87, s87
; %bb.225:                              ;   in Loop: Header=BB52_15 Depth=1
	v_subrev_nc_u32_e32 v25, s20, v25
; %bb.226:                              ;   in Loop: Header=BB52_15 Depth=1
	s_or_b32 exec_lo, exec_lo, s87
	v_mov_b32_e32 v24, 8
	v_mov_b32_e32 v6, v25
.LBB52_227:                             ;   in Loop: Header=BB52_15 Depth=1
	s_or_b32 exec_lo, exec_lo, s83
	v_mov_b32_e32 v25, v6
	s_mov_b32 s88, exec_lo
.LBB52_228:                             ;   in Loop: Header=BB52_15 Depth=1
	s_or_b32 exec_lo, exec_lo, s86
	s_orn2_b32 s83, s88, exec_lo
.LBB52_229:                             ;   in Loop: Header=BB52_15 Depth=1
	s_or_b32 exec_lo, exec_lo, s82
	v_mov_b32_e32 v40, v25
	s_andn2_b32 s80, s80, exec_lo
	s_and_b32 s82, s85, exec_lo
	s_andn2_b32 s29, s29, exec_lo
	s_and_b32 s84, s84, exec_lo
	s_or_b32 s80, s80, s82
	s_or_b32 s29, s29, s84
	s_and_b32 s84, s83, exec_lo
.LBB52_230:                             ;   in Loop: Header=BB52_15 Depth=1
	s_or_b32 exec_lo, exec_lo, s81
	s_orn2_b32 s81, s84, exec_lo
.LBB52_231:                             ;   in Loop: Header=BB52_15 Depth=1
	s_or_b32 exec_lo, exec_lo, s28
	v_mov_b32_e32 v25, v40
	s_andn2_b32 s26, s26, exec_lo
	s_and_b32 s28, s80, exec_lo
	s_andn2_b32 s21, s21, exec_lo
	s_and_b32 s29, s29, exec_lo
	s_or_b32 s26, s26, s28
	s_or_b32 s21, s21, s29
	s_and_b32 s80, s81, exec_lo
.LBB52_232:                             ;   in Loop: Header=BB52_15 Depth=1
	s_or_b32 exec_lo, exec_lo, s27
	s_orn2_b32 s27, s80, exec_lo
.LBB52_233:                             ;   in Loop: Header=BB52_15 Depth=1
	s_or_b32 exec_lo, exec_lo, s11
	s_mov_b32 s28, 0
	s_mov_b32 s29, 0
	s_and_saveexec_b32 s11, s27
	s_xor_b32 s27, exec_lo, s11
; %bb.234:                              ;   in Loop: Header=BB52_15 Depth=1
	v_cmp_ne_u32_e32 vcc_lo, 8, v24
	v_cmp_eq_u32_e64 s11, 8, v24
	s_and_b32 s29, vcc_lo, exec_lo
	s_and_b32 s28, s11, exec_lo
; %bb.235:                              ;   in Loop: Header=BB52_15 Depth=1
	s_or_b32 exec_lo, exec_lo, s27
	s_andn2_b32 s11, s23, exec_lo
	s_and_b32 s23, s26, exec_lo
	s_andn2_b32 s22, s22, exec_lo
	s_and_b32 s21, s21, exec_lo
	s_or_b32 s23, s11, s23
	s_or_b32 s22, s22, s21
	s_and_b32 s11, s29, exec_lo
	s_and_b32 s21, s28, exec_lo
.LBB52_236:                             ;   in Loop: Header=BB52_15 Depth=1
	s_or_b32 exec_lo, exec_lo, s25
.LBB52_237:                             ;   in Loop: Header=BB52_15 Depth=1
	s_and_b32 vcc_lo, exec_lo, s24
	s_cbranch_vccz .LBB52_250
; %bb.238:                              ;   in Loop: Header=BB52_15 Depth=1
	s_cmp_eq_u32 s20, 1
	s_mov_b32 s23, -1
	s_cselect_b32 s16, -1, 0
                                        ; implicit-def: $sgpr24
	s_and_b32 s10, s16, s10
                                        ; implicit-def: $sgpr16
	s_and_saveexec_b32 s22, s10
	s_cbranch_execz .LBB52_265
; %bb.239:                              ;   in Loop: Header=BB52_15 Depth=1
	ds_read_b32 v1, v14 offset:4096
	s_waitcnt lgkmcnt(0)
	s_barrier
	buffer_gl0_inv
	v_readfirstlane_b32 s25, v1
	s_and_saveexec_b32 s16, s6
; %bb.240:                              ;   in Loop: Header=BB52_15 Depth=1
	v_mov_b32_e32 v13, v14
	ds_write_b64 v31, v[13:14]
; %bb.241:                              ;   in Loop: Header=BB52_15 Depth=1
	s_or_b32 exec_lo, exec_lo, s16
	v_or_b32_e32 v19, s13, v19
	v_or_b32_e32 v18, s12, v18
	;; [unrolled: 1-line block ×4, first 2 shown]
	s_mov_b32 s16, -1
	s_mov_b32 s24, 0
	s_cmp_eq_u32 s25, 0
	s_mov_b32 s23, 0
	s_mov_b32 s26, -1
	s_waitcnt lgkmcnt(0)
	s_barrier
	buffer_gl0_inv
                                        ; implicit-def: $vgpr3_vgpr4
	s_cbranch_scc1 .LBB52_253
; %bb.242:                              ;   in Loop: Header=BB52_15 Depth=1
	s_add_i32 s23, s25, s57
                                        ; implicit-def: $vgpr3_vgpr4
	s_mul_hi_u32 s26, s23, s63
	s_mul_i32 s26, s26, s34
	s_sub_i32 s26, s23, s26
	s_sub_i32 s27, s26, s34
	s_cmp_ge_u32 s26, s34
	s_cselect_b32 s26, s27, s26
	s_sub_i32 s27, s26, s34
	s_cmp_ge_u32 s26, s34
	s_cselect_b32 s26, s27, s26
	s_mov_b32 s27, exec_lo
	s_sub_i32 s28, s23, s26
	s_mov_b32 s26, 0
	s_mov_b32 s23, 0
	v_cmpx_gt_u32_e64 s28, v0
	s_cbranch_execz .LBB52_252
; %bb.243:                              ;   in Loop: Header=BB52_15 Depth=1
	v_mov_b32_e32 v9, v29
	v_mov_b32_e32 v13, v0
                                        ; implicit-def: $sgpr29
	s_inst_prefetch 0x1
	s_branch .LBB52_246
	.p2align	6
.LBB52_244:                             ;   in Loop: Header=BB52_246 Depth=2
	s_or_b32 exec_lo, exec_lo, s80
	s_waitcnt lgkmcnt(0)
	s_barrier
	buffer_gl0_inv
	ds_read_b128 v[1:4], v14 offset:3072
	s_mov_b32 s80, -1
	s_mov_b32 s81, -1
	s_waitcnt lgkmcnt(0)
	s_barrier
	buffer_gl0_inv
	v_cmp_ne_u64_e32 vcc_lo, 0, v[1:2]
	s_cbranch_vccz .LBB52_249
.LBB52_245:                             ;   in Loop: Header=BB52_246 Depth=2
	s_and_b32 s80, exec_lo, s80
	s_or_b32 s23, s80, s23
	s_andn2_b32 s29, s29, exec_lo
	s_and_b32 s80, s81, exec_lo
	s_or_b32 s29, s29, s80
	s_andn2_b32 exec_lo, exec_lo, s23
	s_cbranch_execz .LBB52_251
.LBB52_246:                             ;   Parent Loop BB52_15 Depth=1
                                        ; =>  This Inner Loop Header: Depth=2
	s_mov_b32 s80, exec_lo
	v_cmpx_gt_u32_e64 s25, v13
	s_cbranch_execz .LBB52_244
; %bb.247:                              ;   in Loop: Header=BB52_246 Depth=2
	ds_read_b64 v[7:8], v9
	s_waitcnt lgkmcnt(0)
	v_xor_b32_e32 v1, 0x80000000, v8
	v_and_b32_e32 v2, v1, v21
	v_and_b32_e32 v1, v7, v20
	v_cmp_eq_u64_e32 vcc_lo, v[1:2], v[18:19]
	s_and_b32 exec_lo, exec_lo, vcc_lo
	s_cbranch_execz .LBB52_244
; %bb.248:                              ;   in Loop: Header=BB52_246 Depth=2
	v_mov_b32_e32 v6, v14
	ds_write_b128 v14, v[5:8] offset:3072
	s_branch .LBB52_244
	.p2align	6
.LBB52_249:                             ;   in Loop: Header=BB52_246 Depth=2
	v_add_nc_u32_e32 v13, s34, v13
	v_add_nc_u32_e32 v9, s67, v9
	s_mov_b32 s81, 0
	v_cmp_le_u32_e32 vcc_lo, s28, v13
	s_orn2_b32 s80, vcc_lo, exec_lo
	s_branch .LBB52_245
.LBB52_250:                             ;   in Loop: Header=BB52_15 Depth=1
	v_mov_b32_e32 v18, v22
	v_mov_b32_e32 v21, v2
	;; [unrolled: 1-line block ×6, first 2 shown]
	s_mov_b32 s24, 0
	s_and_saveexec_b32 s10, s21
	s_cbranch_execnz .LBB52_396
	s_branch .LBB52_397
.LBB52_251:                             ;   in Loop: Header=BB52_15 Depth=1
	s_inst_prefetch 0x2
	s_or_b32 exec_lo, exec_lo, s23
	s_and_b32 s23, s29, exec_lo
.LBB52_252:                             ;   in Loop: Header=BB52_15 Depth=1
	s_or_b32 exec_lo, exec_lo, s27
.LBB52_253:                             ;   in Loop: Header=BB52_15 Depth=1
	s_and_b32 vcc_lo, exec_lo, s26
	s_cbranch_vccz .LBB52_264
; %bb.254:                              ;   in Loop: Header=BB52_15 Depth=1
                                        ; implicit-def: $vgpr3_vgpr4
	s_and_saveexec_b32 s16, s9
	s_cbranch_execz .LBB52_263
; %bb.255:                              ;   in Loop: Header=BB52_15 Depth=1
	v_mov_b32_e32 v13, v12
	v_mov_b32_e32 v9, v0
	s_mov_b32 s25, 0
                                        ; implicit-def: $sgpr24
	s_inst_prefetch 0x1
	s_branch .LBB52_258
	.p2align	6
.LBB52_256:                             ;   in Loop: Header=BB52_258 Depth=2
	s_or_b32 exec_lo, exec_lo, s26
	s_waitcnt lgkmcnt(0)
	s_barrier
	buffer_gl0_inv
	ds_read_b128 v[1:4], v14 offset:3072
	s_mov_b32 s26, -1
	s_mov_b32 s27, -1
	s_waitcnt lgkmcnt(0)
	s_barrier
	buffer_gl0_inv
	v_cmp_ne_u64_e32 vcc_lo, 0, v[1:2]
	s_cbranch_vccz .LBB52_261
.LBB52_257:                             ;   in Loop: Header=BB52_258 Depth=2
	s_and_b32 s26, exec_lo, s26
	s_or_b32 s25, s26, s25
	s_andn2_b32 s24, s24, exec_lo
	s_and_b32 s26, s27, exec_lo
	s_or_b32 s24, s24, s26
	s_andn2_b32 exec_lo, exec_lo, s25
	s_cbranch_execz .LBB52_262
.LBB52_258:                             ;   Parent Loop BB52_15 Depth=1
                                        ; =>  This Inner Loop Header: Depth=2
	s_mov_b32 s26, exec_lo
	v_cmpx_gt_u32_e64 s36, v9
	s_cbranch_execz .LBB52_256
; %bb.259:                              ;   in Loop: Header=BB52_258 Depth=2
	v_lshlrev_b64 v[1:2], 3, v[13:14]
	v_add_co_u32 v1, vcc_lo, s31, v1
	v_add_co_ci_u32_e64 v2, null, s33, v2, vcc_lo
	global_load_dwordx2 v[7:8], v[1:2], off
	s_waitcnt vmcnt(0)
	v_xor_b32_e32 v1, 0x80000000, v8
	v_and_b32_e32 v2, v1, v21
	v_and_b32_e32 v1, v7, v20
	v_cmp_eq_u64_e32 vcc_lo, v[1:2], v[18:19]
	s_and_b32 exec_lo, exec_lo, vcc_lo
	s_cbranch_execz .LBB52_256
; %bb.260:                              ;   in Loop: Header=BB52_258 Depth=2
	v_mov_b32_e32 v6, v14
	ds_write_b128 v14, v[5:8] offset:3072
	s_branch .LBB52_256
.LBB52_261:                             ;   in Loop: Header=BB52_258 Depth=2
	v_add_nc_u32_e32 v9, s34, v9
	v_add_nc_u32_e32 v13, s40, v13
	s_mov_b32 s27, 0
	v_cmp_le_u32_e32 vcc_lo, s64, v9
	s_orn2_b32 s26, vcc_lo, exec_lo
	s_branch .LBB52_257
.LBB52_262:                             ;   in Loop: Header=BB52_15 Depth=1
	s_inst_prefetch 0x2
	s_or_b32 exec_lo, exec_lo, s25
	s_andn2_b32 s23, s23, exec_lo
	s_and_b32 s24, s24, exec_lo
	s_or_b32 s23, s23, s24
.LBB52_263:                             ;   in Loop: Header=BB52_15 Depth=1
	s_or_b32 exec_lo, exec_lo, s16
	s_mov_b32 s16, 0
	s_mov_b32 s24, -1
.LBB52_264:                             ;   in Loop: Header=BB52_15 Depth=1
	s_orn2_b32 s23, s23, exec_lo
.LBB52_265:                             ;   in Loop: Header=BB52_15 Depth=1
	s_or_b32 exec_lo, exec_lo, s22
                                        ; implicit-def: $vgpr25
                                        ; implicit-def: $vgpr24
	s_and_saveexec_b32 s22, s23
	s_cbranch_execz .LBB52_395
; %bb.266:                              ;   in Loop: Header=BB52_15 Depth=1
	v_mov_b32_e32 v25, 1
	v_mov_b32_e32 v24, 1
	s_xor_b32 s23, s10, -1
	s_mov_b32 s26, 0
	s_and_saveexec_b32 s10, s23
	s_cbranch_execz .LBB52_275
; %bb.267:                              ;   in Loop: Header=BB52_15 Depth=1
	s_mov_b32 s23, exec_lo
	v_cmpx_ge_u32_e64 s20, v39
	s_xor_b32 s23, exec_lo, s23
	s_cbranch_execz .LBB52_272
; %bb.268:                              ;   in Loop: Header=BB52_15 Depth=1
	ds_read_b32 v1, v14 offset:4096
	v_or_b32_e32 v19, s13, v19
	v_or_b32_e32 v18, s12, v18
	;; [unrolled: 1-line block ×4, first 2 shown]
	s_waitcnt lgkmcnt(0)
	v_cmp_ne_u32_e32 vcc_lo, 0, v1
	s_cbranch_vccnz .LBB52_272
; %bb.269:                              ;   in Loop: Header=BB52_15 Depth=1
	s_and_saveexec_b32 s25, s3
; %bb.270:                              ;   in Loop: Header=BB52_15 Depth=1
	v_mov_b32_e32 v1, s20
	ds_write_b32 v14, v1 offset:4100
; %bb.271:                              ;   in Loop: Header=BB52_15 Depth=1
	s_or_b32 exec_lo, exec_lo, s25
	s_waitcnt lgkmcnt(0)
	s_barrier
	buffer_gl0_inv
.LBB52_272:                             ;   in Loop: Header=BB52_15 Depth=1
	s_or_saveexec_b32 s23, s23
	v_mov_b32_e32 v24, 5
	s_mov_b32 s25, 0
	s_xor_b32 exec_lo, exec_lo, s23
; %bb.273:                              ;   in Loop: Header=BB52_15 Depth=1
	v_subrev_nc_u32_e32 v39, s20, v39
	v_mov_b32_e32 v24, 0
	s_mov_b32 s25, exec_lo
; %bb.274:                              ;   in Loop: Header=BB52_15 Depth=1
	s_or_b32 exec_lo, exec_lo, s23
	v_mov_b32_e32 v25, v39
	s_and_b32 s26, s25, exec_lo
.LBB52_275:                             ;   in Loop: Header=BB52_15 Depth=1
	s_or_b32 exec_lo, exec_lo, s10
	s_mov_b32 s25, -1
                                        ; implicit-def: $sgpr20
                                        ; implicit-def: $sgpr23
	s_and_saveexec_b32 s10, s26
	s_xor_b32 s10, exec_lo, s10
	s_cbranch_execz .LBB52_392
; %bb.276:                              ;   in Loop: Header=BB52_15 Depth=1
	v_cmp_eq_u32_e32 vcc_lo, 1, v25
	s_cmp_eq_u32 s19, 1
	s_mov_b32 s27, -1
	s_cselect_b32 s20, -1, 0
                                        ; implicit-def: $sgpr23
	s_and_b32 s26, s20, vcc_lo
                                        ; implicit-def: $sgpr20
	s_and_saveexec_b32 s25, s26
	s_cbranch_execz .LBB52_302
; %bb.277:                              ;   in Loop: Header=BB52_15 Depth=1
	ds_read_b32 v1, v14 offset:4096
	s_waitcnt lgkmcnt(0)
	s_barrier
	buffer_gl0_inv
	v_readfirstlane_b32 s28, v1
	s_and_saveexec_b32 s20, s6
; %bb.278:                              ;   in Loop: Header=BB52_15 Depth=1
	v_mov_b32_e32 v13, v14
	ds_write_b64 v31, v[13:14]
; %bb.279:                              ;   in Loop: Header=BB52_15 Depth=1
	s_or_b32 exec_lo, exec_lo, s20
	v_and_b32_e32 v1, s15, v19
	v_and_b32_e32 v2, s14, v18
	s_lshl_b64 s[80:81], 2, s73
	v_or_b32_e32 v21, s13, v21
	v_or_b32_e32 v20, s12, v20
	;; [unrolled: 1-line block ×4, first 2 shown]
	s_mov_b32 s20, -1
	s_mov_b32 s23, 0
	s_cmp_eq_u32 s28, 0
	s_mov_b32 s27, 0
	s_mov_b32 s29, -1
	s_waitcnt lgkmcnt(0)
	s_barrier
	buffer_gl0_inv
                                        ; implicit-def: $vgpr3_vgpr4
	s_cbranch_scc1 .LBB52_290
; %bb.280:                              ;   in Loop: Header=BB52_15 Depth=1
	s_add_i32 s27, s28, s57
                                        ; implicit-def: $vgpr3_vgpr4
	s_mul_hi_u32 s29, s27, s63
	s_mul_i32 s29, s29, s34
	s_sub_i32 s29, s27, s29
	s_sub_i32 s80, s29, s34
	s_cmp_ge_u32 s29, s34
	s_cselect_b32 s29, s80, s29
	s_sub_i32 s80, s29, s34
	s_cmp_ge_u32 s29, s34
	s_cselect_b32 s29, s80, s29
	s_mov_b32 s80, exec_lo
	s_sub_i32 s81, s27, s29
	s_mov_b32 s29, 0
	s_mov_b32 s27, 0
	v_cmpx_gt_u32_e64 s81, v0
	s_cbranch_execz .LBB52_289
; %bb.281:                              ;   in Loop: Header=BB52_15 Depth=1
	v_mov_b32_e32 v9, v29
	v_mov_b32_e32 v13, v0
                                        ; implicit-def: $sgpr82
	s_inst_prefetch 0x1
	s_branch .LBB52_284
	.p2align	6
.LBB52_282:                             ;   in Loop: Header=BB52_284 Depth=2
	s_or_b32 exec_lo, exec_lo, s83
	s_waitcnt lgkmcnt(0)
	s_barrier
	buffer_gl0_inv
	ds_read_b128 v[1:4], v14 offset:3072
	s_mov_b32 s83, -1
	s_mov_b32 s84, -1
	s_waitcnt lgkmcnt(0)
	s_barrier
	buffer_gl0_inv
	v_cmp_ne_u64_e32 vcc_lo, 0, v[1:2]
	s_cbranch_vccz .LBB52_287
.LBB52_283:                             ;   in Loop: Header=BB52_284 Depth=2
	s_and_b32 s83, exec_lo, s83
	s_or_b32 s27, s83, s27
	s_andn2_b32 s82, s82, exec_lo
	s_and_b32 s83, s84, exec_lo
	s_or_b32 s82, s82, s83
	s_andn2_b32 exec_lo, exec_lo, s27
	s_cbranch_execz .LBB52_288
.LBB52_284:                             ;   Parent Loop BB52_15 Depth=1
                                        ; =>  This Inner Loop Header: Depth=2
	s_mov_b32 s83, exec_lo
	v_cmpx_gt_u32_e64 s28, v13
	s_cbranch_execz .LBB52_282
; %bb.285:                              ;   in Loop: Header=BB52_284 Depth=2
	ds_read_b64 v[7:8], v9
	s_waitcnt lgkmcnt(0)
	v_xor_b32_e32 v1, 0x80000000, v8
	v_and_b32_e32 v2, v1, v21
	v_and_b32_e32 v1, v7, v20
	v_cmp_eq_u64_e32 vcc_lo, v[1:2], v[18:19]
	s_and_b32 exec_lo, exec_lo, vcc_lo
	s_cbranch_execz .LBB52_282
; %bb.286:                              ;   in Loop: Header=BB52_284 Depth=2
	v_mov_b32_e32 v6, v14
	ds_write_b128 v14, v[5:8] offset:3072
	s_branch .LBB52_282
	.p2align	6
.LBB52_287:                             ;   in Loop: Header=BB52_284 Depth=2
	v_add_nc_u32_e32 v13, s34, v13
	v_add_nc_u32_e32 v9, s67, v9
	s_mov_b32 s84, 0
	v_cmp_le_u32_e32 vcc_lo, s81, v13
	s_orn2_b32 s83, vcc_lo, exec_lo
	s_branch .LBB52_283
.LBB52_288:                             ;   in Loop: Header=BB52_15 Depth=1
	s_inst_prefetch 0x2
	s_or_b32 exec_lo, exec_lo, s27
	s_and_b32 s27, s82, exec_lo
.LBB52_289:                             ;   in Loop: Header=BB52_15 Depth=1
	s_or_b32 exec_lo, exec_lo, s80
.LBB52_290:                             ;   in Loop: Header=BB52_15 Depth=1
	s_and_b32 vcc_lo, exec_lo, s29
	s_cbranch_vccz .LBB52_301
; %bb.291:                              ;   in Loop: Header=BB52_15 Depth=1
                                        ; implicit-def: $vgpr3_vgpr4
	s_and_saveexec_b32 s20, s9
	s_cbranch_execz .LBB52_300
; %bb.292:                              ;   in Loop: Header=BB52_15 Depth=1
	v_mov_b32_e32 v13, v12
	v_mov_b32_e32 v9, v0
	s_mov_b32 s23, 0
                                        ; implicit-def: $sgpr28
	s_inst_prefetch 0x1
	s_branch .LBB52_295
	.p2align	6
.LBB52_293:                             ;   in Loop: Header=BB52_295 Depth=2
	s_or_b32 exec_lo, exec_lo, s29
	s_waitcnt lgkmcnt(0)
	s_barrier
	buffer_gl0_inv
	ds_read_b128 v[1:4], v14 offset:3072
	s_mov_b32 s29, -1
	s_mov_b32 s80, -1
	s_waitcnt lgkmcnt(0)
	s_barrier
	buffer_gl0_inv
	v_cmp_eq_u64_e32 vcc_lo, 0, v[1:2]
	s_cbranch_vccnz .LBB52_298
.LBB52_294:                             ;   in Loop: Header=BB52_295 Depth=2
	s_and_b32 s29, exec_lo, s29
	s_or_b32 s23, s29, s23
	s_andn2_b32 s28, s28, exec_lo
	s_and_b32 s29, s80, exec_lo
	s_or_b32 s28, s28, s29
	s_andn2_b32 exec_lo, exec_lo, s23
	s_cbranch_execz .LBB52_299
.LBB52_295:                             ;   Parent Loop BB52_15 Depth=1
                                        ; =>  This Inner Loop Header: Depth=2
	s_mov_b32 s29, exec_lo
	v_cmpx_gt_u32_e64 s36, v9
	s_cbranch_execz .LBB52_293
; %bb.296:                              ;   in Loop: Header=BB52_295 Depth=2
	v_lshlrev_b64 v[1:2], 3, v[13:14]
	v_add_co_u32 v1, vcc_lo, s31, v1
	v_add_co_ci_u32_e64 v2, null, s33, v2, vcc_lo
	global_load_dwordx2 v[7:8], v[1:2], off
	s_waitcnt vmcnt(0)
	v_xor_b32_e32 v1, 0x80000000, v8
	v_and_b32_e32 v2, v1, v21
	v_and_b32_e32 v1, v7, v20
	v_cmp_eq_u64_e32 vcc_lo, v[1:2], v[18:19]
	s_and_b32 exec_lo, exec_lo, vcc_lo
	s_cbranch_execz .LBB52_293
; %bb.297:                              ;   in Loop: Header=BB52_295 Depth=2
	v_mov_b32_e32 v6, v14
	ds_write_b128 v14, v[5:8] offset:3072
	s_branch .LBB52_293
.LBB52_298:                             ;   in Loop: Header=BB52_295 Depth=2
	v_add_nc_u32_e32 v9, s34, v9
	v_add_nc_u32_e32 v13, s40, v13
	s_mov_b32 s80, 0
	v_cmp_le_u32_e32 vcc_lo, s64, v9
	s_orn2_b32 s29, vcc_lo, exec_lo
	s_branch .LBB52_294
.LBB52_299:                             ;   in Loop: Header=BB52_15 Depth=1
	s_inst_prefetch 0x2
	s_or_b32 exec_lo, exec_lo, s23
	s_andn2_b32 s23, s27, exec_lo
	s_and_b32 s27, s28, exec_lo
	s_or_b32 s27, s23, s27
.LBB52_300:                             ;   in Loop: Header=BB52_15 Depth=1
	s_or_b32 exec_lo, exec_lo, s20
	s_mov_b32 s20, 0
	s_mov_b32 s23, -1
.LBB52_301:                             ;   in Loop: Header=BB52_15 Depth=1
	s_orn2_b32 s27, s27, exec_lo
.LBB52_302:                             ;   in Loop: Header=BB52_15 Depth=1
	s_or_b32 exec_lo, exec_lo, s25
	s_mov_b32 s28, 0
	s_and_saveexec_b32 s25, s27
	s_cbranch_execz .LBB52_391
; %bb.303:                              ;   in Loop: Header=BB52_15 Depth=1
	v_mov_b32_e32 v9, 1
	v_mov_b32_e32 v24, 1
	s_xor_b32 s27, s26, -1
	s_mov_b32 s29, 0
	s_and_saveexec_b32 s26, s27
	s_cbranch_execz .LBB52_312
; %bb.304:                              ;   in Loop: Header=BB52_15 Depth=1
	s_mov_b32 s27, exec_lo
	v_cmpx_ge_u32_e64 s19, v25
	s_xor_b32 s27, exec_lo, s27
	s_cbranch_execz .LBB52_309
; %bb.305:                              ;   in Loop: Header=BB52_15 Depth=1
	ds_read_b32 v1, v14 offset:4096
	v_and_b32_e32 v2, s15, v19
	v_and_b32_e32 v6, s14, v18
	s_lshl_b64 s[28:29], 2, s73
	v_or_b32_e32 v21, s13, v21
	v_or_b32_e32 v20, s12, v20
	;; [unrolled: 1-line block ×4, first 2 shown]
	s_waitcnt lgkmcnt(0)
	v_cmp_ne_u32_e32 vcc_lo, 0, v1
	s_cbranch_vccnz .LBB52_309
; %bb.306:                              ;   in Loop: Header=BB52_15 Depth=1
	s_and_saveexec_b32 s28, s3
; %bb.307:                              ;   in Loop: Header=BB52_15 Depth=1
	v_mov_b32_e32 v1, s19
	ds_write_b32 v14, v1 offset:4100
; %bb.308:                              ;   in Loop: Header=BB52_15 Depth=1
	s_or_b32 exec_lo, exec_lo, s28
	s_waitcnt lgkmcnt(0)
	s_barrier
	buffer_gl0_inv
.LBB52_309:                             ;   in Loop: Header=BB52_15 Depth=1
	s_or_saveexec_b32 s27, s27
	v_mov_b32_e32 v24, 5
	s_mov_b32 s28, 0
	s_xor_b32 exec_lo, exec_lo, s27
; %bb.310:                              ;   in Loop: Header=BB52_15 Depth=1
	v_subrev_nc_u32_e32 v25, s19, v25
	v_mov_b32_e32 v24, 0
	s_mov_b32 s28, exec_lo
; %bb.311:                              ;   in Loop: Header=BB52_15 Depth=1
	s_or_b32 exec_lo, exec_lo, s27
	v_mov_b32_e32 v9, v25
	s_and_b32 s29, s28, exec_lo
.LBB52_312:                             ;   in Loop: Header=BB52_15 Depth=1
	s_or_b32 exec_lo, exec_lo, s26
	s_mov_b32 s28, -1
                                        ; implicit-def: $sgpr26
                                        ; implicit-def: $sgpr27
	s_and_saveexec_b32 s19, s29
	s_cbranch_execz .LBB52_390
; %bb.313:                              ;   in Loop: Header=BB52_15 Depth=1
	v_cmp_eq_u32_e32 vcc_lo, 1, v9
	s_cmp_eq_u32 s18, 1
	s_mov_b32 s80, -1
	s_cselect_b32 s26, -1, 0
                                        ; implicit-def: $sgpr27
	s_and_b32 s29, s26, vcc_lo
                                        ; implicit-def: $sgpr26
	s_and_saveexec_b32 s28, s29
	s_cbranch_execz .LBB52_339
; %bb.314:                              ;   in Loop: Header=BB52_15 Depth=1
	ds_read_b32 v1, v14 offset:4096
	s_waitcnt lgkmcnt(0)
	s_barrier
	buffer_gl0_inv
	v_readfirstlane_b32 s81, v1
	s_and_saveexec_b32 s26, s6
; %bb.315:                              ;   in Loop: Header=BB52_15 Depth=1
	v_mov_b32_e32 v13, v14
	ds_write_b64 v31, v[13:14]
; %bb.316:                              ;   in Loop: Header=BB52_15 Depth=1
	s_or_b32 exec_lo, exec_lo, s26
	v_and_b32_e32 v1, s15, v19
	v_and_b32_e32 v2, s14, v18
	s_lshl_b64 s[26:27], 1, s73
	v_or_b32_e32 v21, s13, v21
	v_or_b32_e32 v20, s12, v20
	;; [unrolled: 1-line block ×4, first 2 shown]
	s_mov_b32 s26, -1
	s_mov_b32 s27, 0
	s_cmp_eq_u32 s81, 0
	s_mov_b32 s80, 0
	s_mov_b32 s82, -1
	s_waitcnt lgkmcnt(0)
	s_barrier
	buffer_gl0_inv
                                        ; implicit-def: $vgpr3_vgpr4
	s_cbranch_scc1 .LBB52_327
; %bb.317:                              ;   in Loop: Header=BB52_15 Depth=1
	s_add_i32 s80, s81, s57
                                        ; implicit-def: $vgpr3_vgpr4
	s_mul_hi_u32 s82, s80, s63
	s_mul_i32 s82, s82, s34
	s_sub_i32 s82, s80, s82
	s_sub_i32 s83, s82, s34
	s_cmp_ge_u32 s82, s34
	s_cselect_b32 s82, s83, s82
	s_sub_i32 s83, s82, s34
	s_cmp_ge_u32 s82, s34
	s_cselect_b32 s82, s83, s82
	s_mov_b32 s83, exec_lo
	s_sub_i32 s84, s80, s82
	s_mov_b32 s82, 0
	s_mov_b32 s80, 0
	v_cmpx_gt_u32_e64 s84, v0
	s_cbranch_execz .LBB52_326
; %bb.318:                              ;   in Loop: Header=BB52_15 Depth=1
	v_mov_b32_e32 v13, v29
	v_mov_b32_e32 v22, v0
                                        ; implicit-def: $sgpr85
	s_inst_prefetch 0x1
	s_branch .LBB52_321
	.p2align	6
.LBB52_319:                             ;   in Loop: Header=BB52_321 Depth=2
	s_or_b32 exec_lo, exec_lo, s86
	s_waitcnt lgkmcnt(0)
	s_barrier
	buffer_gl0_inv
	ds_read_b128 v[1:4], v14 offset:3072
	s_mov_b32 s86, -1
	s_mov_b32 s87, -1
	s_waitcnt lgkmcnt(0)
	s_barrier
	buffer_gl0_inv
	v_cmp_ne_u64_e32 vcc_lo, 0, v[1:2]
	s_cbranch_vccz .LBB52_324
.LBB52_320:                             ;   in Loop: Header=BB52_321 Depth=2
	s_and_b32 s86, exec_lo, s86
	s_or_b32 s80, s86, s80
	s_andn2_b32 s85, s85, exec_lo
	s_and_b32 s86, s87, exec_lo
	s_or_b32 s85, s85, s86
	s_andn2_b32 exec_lo, exec_lo, s80
	s_cbranch_execz .LBB52_325
.LBB52_321:                             ;   Parent Loop BB52_15 Depth=1
                                        ; =>  This Inner Loop Header: Depth=2
	s_mov_b32 s86, exec_lo
	v_cmpx_gt_u32_e64 s81, v22
	s_cbranch_execz .LBB52_319
; %bb.322:                              ;   in Loop: Header=BB52_321 Depth=2
	ds_read_b64 v[7:8], v13
	s_waitcnt lgkmcnt(0)
	v_xor_b32_e32 v1, 0x80000000, v8
	v_and_b32_e32 v2, v1, v21
	v_and_b32_e32 v1, v7, v20
	v_cmp_eq_u64_e32 vcc_lo, v[1:2], v[18:19]
	s_and_b32 exec_lo, exec_lo, vcc_lo
	s_cbranch_execz .LBB52_319
; %bb.323:                              ;   in Loop: Header=BB52_321 Depth=2
	v_mov_b32_e32 v6, v14
	ds_write_b128 v14, v[5:8] offset:3072
	s_branch .LBB52_319
	.p2align	6
.LBB52_324:                             ;   in Loop: Header=BB52_321 Depth=2
	v_add_nc_u32_e32 v22, s34, v22
	v_add_nc_u32_e32 v13, s67, v13
	s_mov_b32 s87, 0
	v_cmp_le_u32_e32 vcc_lo, s84, v22
	s_orn2_b32 s86, vcc_lo, exec_lo
	s_branch .LBB52_320
.LBB52_325:                             ;   in Loop: Header=BB52_15 Depth=1
	s_inst_prefetch 0x2
	s_or_b32 exec_lo, exec_lo, s80
	s_and_b32 s80, s85, exec_lo
.LBB52_326:                             ;   in Loop: Header=BB52_15 Depth=1
	s_or_b32 exec_lo, exec_lo, s83
.LBB52_327:                             ;   in Loop: Header=BB52_15 Depth=1
	s_and_b32 vcc_lo, exec_lo, s82
	s_cbranch_vccz .LBB52_338
; %bb.328:                              ;   in Loop: Header=BB52_15 Depth=1
                                        ; implicit-def: $vgpr3_vgpr4
	s_and_saveexec_b32 s26, s9
	s_cbranch_execz .LBB52_337
; %bb.329:                              ;   in Loop: Header=BB52_15 Depth=1
	v_mov_b32_e32 v13, v12
	v_mov_b32_e32 v22, v0
	s_mov_b32 s27, 0
                                        ; implicit-def: $sgpr81
	s_inst_prefetch 0x1
	s_branch .LBB52_332
	.p2align	6
.LBB52_330:                             ;   in Loop: Header=BB52_332 Depth=2
	s_or_b32 exec_lo, exec_lo, s82
	s_waitcnt lgkmcnt(0)
	s_barrier
	buffer_gl0_inv
	ds_read_b128 v[1:4], v14 offset:3072
	s_mov_b32 s82, -1
	s_mov_b32 s83, -1
	s_waitcnt lgkmcnt(0)
	s_barrier
	buffer_gl0_inv
	v_cmp_eq_u64_e32 vcc_lo, 0, v[1:2]
	s_cbranch_vccnz .LBB52_335
.LBB52_331:                             ;   in Loop: Header=BB52_332 Depth=2
	s_and_b32 s82, exec_lo, s82
	s_or_b32 s27, s82, s27
	s_andn2_b32 s81, s81, exec_lo
	s_and_b32 s82, s83, exec_lo
	s_or_b32 s81, s81, s82
	s_andn2_b32 exec_lo, exec_lo, s27
	s_cbranch_execz .LBB52_336
.LBB52_332:                             ;   Parent Loop BB52_15 Depth=1
                                        ; =>  This Inner Loop Header: Depth=2
	s_mov_b32 s82, exec_lo
	v_cmpx_gt_u32_e64 s36, v22
	s_cbranch_execz .LBB52_330
; %bb.333:                              ;   in Loop: Header=BB52_332 Depth=2
	v_lshlrev_b64 v[1:2], 3, v[13:14]
	v_add_co_u32 v1, vcc_lo, s31, v1
	v_add_co_ci_u32_e64 v2, null, s33, v2, vcc_lo
	global_load_dwordx2 v[7:8], v[1:2], off
	s_waitcnt vmcnt(0)
	v_xor_b32_e32 v1, 0x80000000, v8
	v_and_b32_e32 v2, v1, v21
	v_and_b32_e32 v1, v7, v20
	v_cmp_eq_u64_e32 vcc_lo, v[1:2], v[18:19]
	s_and_b32 exec_lo, exec_lo, vcc_lo
	s_cbranch_execz .LBB52_330
; %bb.334:                              ;   in Loop: Header=BB52_332 Depth=2
	v_mov_b32_e32 v6, v14
	ds_write_b128 v14, v[5:8] offset:3072
	s_branch .LBB52_330
.LBB52_335:                             ;   in Loop: Header=BB52_332 Depth=2
	v_add_nc_u32_e32 v22, s34, v22
	v_add_nc_u32_e32 v13, s40, v13
	s_mov_b32 s83, 0
	v_cmp_le_u32_e32 vcc_lo, s64, v22
	s_orn2_b32 s82, vcc_lo, exec_lo
	s_branch .LBB52_331
.LBB52_336:                             ;   in Loop: Header=BB52_15 Depth=1
	s_inst_prefetch 0x2
	s_or_b32 exec_lo, exec_lo, s27
	s_andn2_b32 s27, s80, exec_lo
	s_and_b32 s80, s81, exec_lo
	s_or_b32 s80, s27, s80
.LBB52_337:                             ;   in Loop: Header=BB52_15 Depth=1
	s_or_b32 exec_lo, exec_lo, s26
	s_mov_b32 s26, 0
	s_mov_b32 s27, -1
.LBB52_338:                             ;   in Loop: Header=BB52_15 Depth=1
	s_orn2_b32 s80, s80, exec_lo
.LBB52_339:                             ;   in Loop: Header=BB52_15 Depth=1
	s_or_b32 exec_lo, exec_lo, s28
	s_mov_b32 s81, 0
	s_and_saveexec_b32 s28, s80
	s_cbranch_execz .LBB52_389
; %bb.340:                              ;   in Loop: Header=BB52_15 Depth=1
	v_mov_b32_e32 v22, 1
	v_mov_b32_e32 v24, 1
	s_xor_b32 s80, s29, -1
	s_mov_b32 s82, 0
	s_and_saveexec_b32 s29, s80
	s_cbranch_execz .LBB52_349
; %bb.341:                              ;   in Loop: Header=BB52_15 Depth=1
	s_mov_b32 s80, exec_lo
	v_cmpx_ge_u32_e64 s18, v9
	s_xor_b32 s80, exec_lo, s80
	s_cbranch_execz .LBB52_346
; %bb.342:                              ;   in Loop: Header=BB52_15 Depth=1
	ds_read_b32 v1, v14 offset:4096
	v_and_b32_e32 v2, s15, v19
	v_and_b32_e32 v6, s14, v18
	s_lshl_b64 s[82:83], 1, s73
	v_or_b32_e32 v21, s13, v21
	v_or_b32_e32 v20, s12, v20
	;; [unrolled: 1-line block ×4, first 2 shown]
	s_waitcnt lgkmcnt(0)
	v_cmp_ne_u32_e32 vcc_lo, 0, v1
	s_cbranch_vccnz .LBB52_346
; %bb.343:                              ;   in Loop: Header=BB52_15 Depth=1
	s_and_saveexec_b32 s81, s3
; %bb.344:                              ;   in Loop: Header=BB52_15 Depth=1
	v_mov_b32_e32 v1, s18
	ds_write_b32 v14, v1 offset:4100
; %bb.345:                              ;   in Loop: Header=BB52_15 Depth=1
	s_or_b32 exec_lo, exec_lo, s81
	s_waitcnt lgkmcnt(0)
	s_barrier
	buffer_gl0_inv
.LBB52_346:                             ;   in Loop: Header=BB52_15 Depth=1
	s_or_saveexec_b32 s80, s80
	v_mov_b32_e32 v24, 5
	s_mov_b32 s81, 0
	s_xor_b32 exec_lo, exec_lo, s80
; %bb.347:                              ;   in Loop: Header=BB52_15 Depth=1
	v_subrev_nc_u32_e32 v9, s18, v9
	v_mov_b32_e32 v24, 0
	s_mov_b32 s81, exec_lo
; %bb.348:                              ;   in Loop: Header=BB52_15 Depth=1
	s_or_b32 exec_lo, exec_lo, s80
	v_mov_b32_e32 v22, v9
	s_and_b32 s82, s81, exec_lo
.LBB52_349:                             ;   in Loop: Header=BB52_15 Depth=1
	s_or_b32 exec_lo, exec_lo, s29
	s_mov_b32 s29, -1
                                        ; implicit-def: $sgpr81
                                        ; implicit-def: $sgpr80
	s_and_saveexec_b32 s18, s82
	s_cbranch_execz .LBB52_388
; %bb.350:                              ;   in Loop: Header=BB52_15 Depth=1
	v_cmp_eq_u32_e32 vcc_lo, 1, v22
	s_cmp_eq_u32 s17, 1
	s_mov_b32 s83, -1
	s_cselect_b32 s29, -1, 0
                                        ; implicit-def: $sgpr81
                                        ; implicit-def: $sgpr80
	s_and_b32 s29, s29, vcc_lo
	s_and_saveexec_b32 s82, s29
	s_cbranch_execz .LBB52_376
; %bb.351:                              ;   in Loop: Header=BB52_15 Depth=1
	ds_read_b32 v1, v14 offset:4096
	s_waitcnt lgkmcnt(0)
	s_barrier
	buffer_gl0_inv
	v_readfirstlane_b32 s84, v1
	s_and_saveexec_b32 s80, s6
; %bb.352:                              ;   in Loop: Header=BB52_15 Depth=1
	v_mov_b32_e32 v13, v14
	ds_write_b64 v31, v[13:14]
; %bb.353:                              ;   in Loop: Header=BB52_15 Depth=1
	s_or_b32 exec_lo, exec_lo, s80
	v_and_b32_e32 v19, s15, v19
	v_and_b32_e32 v18, s14, v18
	v_or_b32_e32 v21, s13, v21
	v_or_b32_e32 v20, s12, v20
	s_mov_b32 s80, -1
	s_mov_b32 s81, 0
	s_cmp_eq_u32 s84, 0
	s_mov_b32 s83, 0
	s_mov_b32 s85, -1
	s_waitcnt lgkmcnt(0)
	s_barrier
	buffer_gl0_inv
                                        ; implicit-def: $vgpr3_vgpr4
	s_cbranch_scc1 .LBB52_364
; %bb.354:                              ;   in Loop: Header=BB52_15 Depth=1
	s_add_i32 s83, s84, s57
                                        ; implicit-def: $vgpr3_vgpr4
	s_mul_hi_u32 s85, s83, s63
	s_mul_i32 s85, s85, s34
	s_sub_i32 s85, s83, s85
	s_sub_i32 s86, s85, s34
	s_cmp_ge_u32 s85, s34
	s_cselect_b32 s85, s86, s85
	s_sub_i32 s86, s85, s34
	s_cmp_ge_u32 s85, s34
	s_cselect_b32 s85, s86, s85
	s_mov_b32 s86, exec_lo
	s_sub_i32 s87, s83, s85
	s_mov_b32 s85, 0
	s_mov_b32 s83, 0
	v_cmpx_gt_u32_e64 s87, v0
	s_cbranch_execz .LBB52_363
; %bb.355:                              ;   in Loop: Header=BB52_15 Depth=1
	v_mov_b32_e32 v9, v29
	v_mov_b32_e32 v13, v0
                                        ; implicit-def: $sgpr88
	s_inst_prefetch 0x1
	s_branch .LBB52_358
	.p2align	6
.LBB52_356:                             ;   in Loop: Header=BB52_358 Depth=2
	s_or_b32 exec_lo, exec_lo, s89
	s_waitcnt lgkmcnt(0)
	s_barrier
	buffer_gl0_inv
	ds_read_b128 v[1:4], v14 offset:3072
	s_mov_b32 s89, -1
	s_mov_b32 s90, -1
	s_waitcnt lgkmcnt(0)
	s_barrier
	buffer_gl0_inv
	v_cmp_ne_u64_e32 vcc_lo, 0, v[1:2]
	s_cbranch_vccz .LBB52_361
.LBB52_357:                             ;   in Loop: Header=BB52_358 Depth=2
	s_and_b32 s89, exec_lo, s89
	s_or_b32 s83, s89, s83
	s_andn2_b32 s88, s88, exec_lo
	s_and_b32 s89, s90, exec_lo
	s_or_b32 s88, s88, s89
	s_andn2_b32 exec_lo, exec_lo, s83
	s_cbranch_execz .LBB52_362
.LBB52_358:                             ;   Parent Loop BB52_15 Depth=1
                                        ; =>  This Inner Loop Header: Depth=2
	s_mov_b32 s89, exec_lo
	v_cmpx_gt_u32_e64 s84, v13
	s_cbranch_execz .LBB52_356
; %bb.359:                              ;   in Loop: Header=BB52_358 Depth=2
	ds_read_b64 v[7:8], v9
	s_waitcnt lgkmcnt(0)
	v_xor_b32_e32 v1, 0x80000000, v8
	v_and_b32_e32 v2, v1, v21
	v_and_b32_e32 v1, v7, v20
	v_cmp_eq_u64_e32 vcc_lo, v[1:2], v[18:19]
	s_and_b32 exec_lo, exec_lo, vcc_lo
	s_cbranch_execz .LBB52_356
; %bb.360:                              ;   in Loop: Header=BB52_358 Depth=2
	v_mov_b32_e32 v6, v14
	ds_write_b128 v14, v[5:8] offset:3072
	s_branch .LBB52_356
	.p2align	6
.LBB52_361:                             ;   in Loop: Header=BB52_358 Depth=2
	v_add_nc_u32_e32 v13, s34, v13
	v_add_nc_u32_e32 v9, s67, v9
	s_mov_b32 s90, 0
	v_cmp_le_u32_e32 vcc_lo, s87, v13
	s_orn2_b32 s89, vcc_lo, exec_lo
	s_branch .LBB52_357
.LBB52_362:                             ;   in Loop: Header=BB52_15 Depth=1
	s_inst_prefetch 0x2
	s_or_b32 exec_lo, exec_lo, s83
	s_and_b32 s83, s88, exec_lo
.LBB52_363:                             ;   in Loop: Header=BB52_15 Depth=1
	s_or_b32 exec_lo, exec_lo, s86
.LBB52_364:                             ;   in Loop: Header=BB52_15 Depth=1
	s_and_b32 vcc_lo, exec_lo, s85
	s_cbranch_vccz .LBB52_375
; %bb.365:                              ;   in Loop: Header=BB52_15 Depth=1
                                        ; implicit-def: $vgpr3_vgpr4
	s_and_saveexec_b32 s80, s9
	s_cbranch_execz .LBB52_374
; %bb.366:                              ;   in Loop: Header=BB52_15 Depth=1
	v_mov_b32_e32 v13, v12
	v_mov_b32_e32 v9, v0
	s_mov_b32 s81, 0
                                        ; implicit-def: $sgpr84
	s_inst_prefetch 0x1
	s_branch .LBB52_369
	.p2align	6
.LBB52_367:                             ;   in Loop: Header=BB52_369 Depth=2
	s_or_b32 exec_lo, exec_lo, s85
	s_waitcnt lgkmcnt(0)
	s_barrier
	buffer_gl0_inv
	ds_read_b128 v[1:4], v14 offset:3072
	s_mov_b32 s85, -1
	s_mov_b32 s86, -1
	s_waitcnt lgkmcnt(0)
	s_barrier
	buffer_gl0_inv
	v_cmp_eq_u64_e32 vcc_lo, 0, v[1:2]
	s_cbranch_vccnz .LBB52_372
.LBB52_368:                             ;   in Loop: Header=BB52_369 Depth=2
	s_and_b32 s85, exec_lo, s85
	s_or_b32 s81, s85, s81
	s_andn2_b32 s84, s84, exec_lo
	s_and_b32 s85, s86, exec_lo
	s_or_b32 s84, s84, s85
	s_andn2_b32 exec_lo, exec_lo, s81
	s_cbranch_execz .LBB52_373
.LBB52_369:                             ;   Parent Loop BB52_15 Depth=1
                                        ; =>  This Inner Loop Header: Depth=2
	s_mov_b32 s85, exec_lo
	v_cmpx_gt_u32_e64 s36, v9
	s_cbranch_execz .LBB52_367
; %bb.370:                              ;   in Loop: Header=BB52_369 Depth=2
	v_lshlrev_b64 v[1:2], 3, v[13:14]
	v_add_co_u32 v1, vcc_lo, s31, v1
	v_add_co_ci_u32_e64 v2, null, s33, v2, vcc_lo
	global_load_dwordx2 v[7:8], v[1:2], off
	s_waitcnt vmcnt(0)
	v_xor_b32_e32 v1, 0x80000000, v8
	v_and_b32_e32 v2, v1, v21
	v_and_b32_e32 v1, v7, v20
	v_cmp_eq_u64_e32 vcc_lo, v[1:2], v[18:19]
	s_and_b32 exec_lo, exec_lo, vcc_lo
	s_cbranch_execz .LBB52_367
; %bb.371:                              ;   in Loop: Header=BB52_369 Depth=2
	v_mov_b32_e32 v6, v14
	ds_write_b128 v14, v[5:8] offset:3072
	s_branch .LBB52_367
.LBB52_372:                             ;   in Loop: Header=BB52_369 Depth=2
	v_add_nc_u32_e32 v9, s34, v9
	v_add_nc_u32_e32 v13, s40, v13
	s_mov_b32 s86, 0
	v_cmp_le_u32_e32 vcc_lo, s64, v9
	s_orn2_b32 s85, vcc_lo, exec_lo
	s_branch .LBB52_368
.LBB52_373:                             ;   in Loop: Header=BB52_15 Depth=1
	s_inst_prefetch 0x2
	s_or_b32 exec_lo, exec_lo, s81
	s_andn2_b32 s81, s83, exec_lo
	s_and_b32 s83, s84, exec_lo
	s_or_b32 s83, s81, s83
.LBB52_374:                             ;   in Loop: Header=BB52_15 Depth=1
	s_or_b32 exec_lo, exec_lo, s80
	s_mov_b32 s80, 0
	s_mov_b32 s81, -1
.LBB52_375:                             ;   in Loop: Header=BB52_15 Depth=1
	s_orn2_b32 s83, s83, exec_lo
.LBB52_376:                             ;   in Loop: Header=BB52_15 Depth=1
	s_or_b32 exec_lo, exec_lo, s82
	s_mov_b32 s84, 0
	s_and_saveexec_b32 s82, s83
	s_cbranch_execz .LBB52_387
; %bb.377:                              ;   in Loop: Header=BB52_15 Depth=1
	v_mov_b32_e32 v24, 1
	v_mov_b32_e32 v1, 1
	s_xor_b32 s83, s29, -1
	s_and_saveexec_b32 s29, s83
	s_cbranch_execz .LBB52_386
; %bb.378:                              ;   in Loop: Header=BB52_15 Depth=1
	s_mov_b32 s83, exec_lo
	v_cmpx_ge_u32_e64 s17, v22
	s_xor_b32 s83, exec_lo, s83
	s_cbranch_execz .LBB52_383
; %bb.379:                              ;   in Loop: Header=BB52_15 Depth=1
	ds_read_b32 v1, v14 offset:4096
	v_and_b32_e32 v19, s15, v19
	v_and_b32_e32 v18, s14, v18
	v_or_b32_e32 v21, s13, v21
	v_or_b32_e32 v20, s12, v20
	s_waitcnt lgkmcnt(0)
	v_cmp_ne_u32_e32 vcc_lo, 0, v1
	s_cbranch_vccnz .LBB52_383
; %bb.380:                              ;   in Loop: Header=BB52_15 Depth=1
	s_and_saveexec_b32 s12, s3
; %bb.381:                              ;   in Loop: Header=BB52_15 Depth=1
	v_mov_b32_e32 v1, s17
	ds_write_b32 v14, v1 offset:4100
; %bb.382:                              ;   in Loop: Header=BB52_15 Depth=1
	s_or_b32 exec_lo, exec_lo, s12
	s_waitcnt lgkmcnt(0)
	s_barrier
	buffer_gl0_inv
.LBB52_383:                             ;   in Loop: Header=BB52_15 Depth=1
	s_andn2_saveexec_b32 s12, s83
; %bb.384:                              ;   in Loop: Header=BB52_15 Depth=1
	v_subrev_nc_u32_e32 v22, s17, v22
; %bb.385:                              ;   in Loop: Header=BB52_15 Depth=1
	s_or_b32 exec_lo, exec_lo, s12
	v_mov_b32_e32 v24, 5
	v_mov_b32_e32 v1, v22
.LBB52_386:                             ;   in Loop: Header=BB52_15 Depth=1
	s_or_b32 exec_lo, exec_lo, s29
	v_mov_b32_e32 v22, v1
	s_mov_b32 s84, exec_lo
.LBB52_387:                             ;   in Loop: Header=BB52_15 Depth=1
	s_or_b32 exec_lo, exec_lo, s82
	s_orn2_b32 s29, s84, exec_lo
.LBB52_388:                             ;   in Loop: Header=BB52_15 Depth=1
	s_or_b32 exec_lo, exec_lo, s18
	v_mov_b32_e32 v9, v22
	s_andn2_b32 s12, s27, exec_lo
	s_and_b32 s13, s81, exec_lo
	s_andn2_b32 s14, s26, exec_lo
	s_and_b32 s15, s80, exec_lo
	s_or_b32 s27, s12, s13
	s_or_b32 s26, s14, s15
	s_and_b32 s81, s29, exec_lo
.LBB52_389:                             ;   in Loop: Header=BB52_15 Depth=1
	s_or_b32 exec_lo, exec_lo, s28
	s_orn2_b32 s28, s81, exec_lo
.LBB52_390:                             ;   in Loop: Header=BB52_15 Depth=1
	s_or_b32 exec_lo, exec_lo, s19
	v_mov_b32_e32 v25, v9
	s_andn2_b32 s12, s23, exec_lo
	s_and_b32 s13, s27, exec_lo
	s_andn2_b32 s14, s20, exec_lo
	s_and_b32 s15, s26, exec_lo
	s_or_b32 s23, s12, s13
	s_or_b32 s20, s14, s15
	s_and_b32 s28, s28, exec_lo
.LBB52_391:                             ;   in Loop: Header=BB52_15 Depth=1
	s_or_b32 exec_lo, exec_lo, s25
	s_orn2_b32 s25, s28, exec_lo
.LBB52_392:                             ;   in Loop: Header=BB52_15 Depth=1
	s_or_b32 exec_lo, exec_lo, s10
	s_mov_b32 s10, s21
	s_mov_b32 s12, s11
	s_and_saveexec_b32 s13, s25
; %bb.393:                              ;   in Loop: Header=BB52_15 Depth=1
	v_cmp_ne_u32_e32 vcc_lo, 5, v24
	v_cmp_eq_u32_e64 s10, 5, v24
	s_andn2_b32 s12, s11, exec_lo
	s_andn2_b32 s14, s21, exec_lo
	s_and_b32 s15, vcc_lo, exec_lo
	s_and_b32 s10, s10, exec_lo
	s_or_b32 s12, s12, s15
	s_or_b32 s10, s14, s10
; %bb.394:                              ;   in Loop: Header=BB52_15 Depth=1
	s_or_b32 exec_lo, exec_lo, s13
	s_andn2_b32 s13, s24, exec_lo
	s_and_b32 s14, s23, exec_lo
	s_andn2_b32 s15, s16, exec_lo
	s_and_b32 s16, s20, exec_lo
	s_or_b32 s24, s13, s14
	s_andn2_b32 s11, s11, exec_lo
	s_and_b32 s12, s12, exec_lo
	s_andn2_b32 s13, s21, exec_lo
	s_and_b32 s10, s10, exec_lo
	s_or_b32 s16, s15, s16
	s_or_b32 s11, s11, s12
	;; [unrolled: 1-line block ×3, first 2 shown]
.LBB52_395:                             ;   in Loop: Header=BB52_15 Depth=1
	s_or_b32 exec_lo, exec_lo, s22
	s_mov_b32 s22, 0
	s_mov_b32 s23, 0
	s_and_saveexec_b32 s10, s21
.LBB52_396:                             ;   in Loop: Header=BB52_15 Depth=1
	v_mov_b32_e32 v24, 0
	s_or_b32 s11, s11, exec_lo
.LBB52_397:                             ;   in Loop: Header=BB52_15 Depth=1
	s_or_b32 exec_lo, exec_lo, s10
	s_andn2_b32 s10, s77, exec_lo
	s_and_b32 s13, s24, exec_lo
	s_andn2_b32 s14, s75, exec_lo
	s_and_b32 s15, s16, exec_lo
	v_mov_b32_e32 v39, v25
	s_or_b32 s77, s10, s13
	s_or_b32 s75, s14, s15
	s_andn2_b32 s10, s79, exec_lo
	s_and_b32 s13, s23, exec_lo
	s_andn2_b32 s14, s78, exec_lo
	s_and_b32 s15, s22, exec_lo
	s_mov_b32 s12, -1
	s_andn2_b32 s76, s76, exec_lo
	s_or_b32 s79, s10, s13
	s_or_b32 s78, s14, s15
	s_and_saveexec_b32 s10, s11
	s_xor_b32 s10, exec_lo, s10
	s_cbranch_execz .LBB52_14
; %bb.398:                              ;   in Loop: Header=BB52_15 Depth=1
	s_mov_b32 s11, -1
	s_mov_b32 s13, exec_lo
	v_cmpx_eq_u32_e32 0, v24
	s_cbranch_execz .LBB52_13
; %bb.399:                              ;   in Loop: Header=BB52_15 Depth=1
	s_xor_b32 s69, s69, 1
	s_add_i32 s14, s73, -2
	s_cmp_eq_u32 s73, 0
	s_mov_b32 s73, s14
	s_cselect_b32 s11, -1, 0
	s_xor_b32 s12, exec_lo, -1
	s_orn2_b32 s11, s11, exec_lo
	s_branch .LBB52_13
.LBB52_400:
	s_or_b32 exec_lo, exec_lo, s47
	s_xor_b32 s9, s74, -1
	s_xor_b32 s12, s71, -1
	;; [unrolled: 1-line block ×5, first 2 shown]
	s_mov_b32 s7, 0
	s_and_saveexec_b32 s8, s6
	s_xor_b32 s6, exec_lo, s8
	s_cbranch_execnz .LBB52_405
; %bb.401:
	s_andn2_saveexec_b32 s0, s6
	s_cbranch_execnz .LBB52_424
.LBB52_402:
	s_or_b32 exec_lo, exec_lo, s0
	s_and_saveexec_b32 s0, s7
.LBB52_403:
	; divergent unreachable
.LBB52_404:
	s_endpgm
.LBB52_405:
	s_mov_b32 s8, 0
	s_and_saveexec_b32 s7, s11
	s_xor_b32 s7, exec_lo, s7
	s_cbranch_execz .LBB52_422
; %bb.406:
	s_mov_b32 s11, 0
	s_and_saveexec_b32 s8, s12
	s_xor_b32 s8, exec_lo, s8
	s_cbranch_execz .LBB52_420
; %bb.407:
	s_and_saveexec_b32 s12, s9
	s_xor_b32 s9, exec_lo, s12
	s_cbranch_execz .LBB52_418
; %bb.408:
	s_and_saveexec_b32 s11, s10
	s_xor_b32 s10, exec_lo, s11
; %bb.409:
	v_xor_b32_e32 v19, 0x80000000, v19
	v_mov_b32_e32 v3, v18
	v_mov_b32_e32 v4, v19
; %bb.410:
	s_or_b32 exec_lo, exec_lo, s10
	s_and_saveexec_b32 s10, s3
; %bb.411:
	v_mov_b32_e32 v1, 0
	ds_write_b32 v1, v1 offset:4108
; %bb.412:
	s_or_b32 exec_lo, exec_lo, s10
	v_mov_b32_e32 v1, 0
	v_mov_b32_e32 v2, 0
	s_waitcnt lgkmcnt(0)
	s_barrier
	buffer_gl0_inv
	s_and_saveexec_b32 s3, s2
	s_cbranch_execz .LBB52_414
; %bb.413:
	global_load_dwordx2 v[1:2], v[10:11], off
.LBB52_414:
	s_or_b32 exec_lo, exec_lo, s3
	s_clause 0x1
	s_load_dword s10, s[4:5], 0x1c8
	s_load_dword s11, s[4:5], 0x2a8
	s_mul_i32 s3, s50, s49
	s_mov_b32 s5, 0
	s_add_i32 s4, s3, s35
	s_add_i32 s12, s36, 31
	s_mul_i32 s3, s46, s48
	s_lshl_b64 s[14:15], s[4:5], 3
	s_andn2_b32 s12, s12, 31
	s_add_i32 s16, s3, s41
	s_mov_b32 s17, s5
	s_add_u32 s13, s44, s14
	s_addc_u32 s14, s45, s15
	s_lshl_b64 s[16:17], s[16:17], 3
	v_cmp_gt_u32_e32 vcc_lo, s12, v0
	s_add_u32 s15, s42, s16
	s_addc_u32 s16, s43, s17
	s_mov_b32 s18, -1
	s_mov_b32 s3, 0
	s_and_saveexec_b32 s17, vcc_lo
	s_cbranch_execnz .LBB52_425
; %bb.415:
	s_or_b32 exec_lo, exec_lo, s17
	s_and_saveexec_b32 s4, s18
	s_cbranch_execnz .LBB52_440
.LBB52_416:
	s_or_b32 exec_lo, exec_lo, s4
	s_and_saveexec_b32 s0, s3
	s_xor_b32 s0, exec_lo, s0
	s_cbranch_execnz .LBB52_463
.LBB52_417:
	s_or_b32 exec_lo, exec_lo, s0
	s_waitcnt lgkmcnt(0)
	s_and_b32 s11, s5, exec_lo
.LBB52_418:
	s_andn2_saveexec_b32 s0, s9
	s_cbranch_execnz .LBB52_465
.LBB52_419:
	s_or_b32 exec_lo, exec_lo, s0
	s_and_b32 s11, s11, exec_lo
.LBB52_420:
	s_andn2_saveexec_b32 s0, s8
	s_cbranch_execnz .LBB52_464
.LBB52_421:
	s_or_b32 exec_lo, exec_lo, s0
	s_and_b32 s8, s11, exec_lo
.LBB52_422:
	s_andn2_saveexec_b32 s0, s7
	s_cbranch_execnz .LBB52_459
.LBB52_423:
	s_or_b32 exec_lo, exec_lo, s0
	s_and_b32 s7, s8, exec_lo
	s_andn2_saveexec_b32 s0, s6
	s_cbranch_execz .LBB52_402
.LBB52_424:
	s_or_b32 s7, s7, exec_lo
	s_trap 2
	s_or_b32 exec_lo, exec_lo, s0
	s_and_saveexec_b32 s0, s7
	s_cbranch_execnz .LBB52_403
	s_branch .LBB52_404
.LBB52_425:
	v_add_nc_u32_e32 v5, s34, v0
	v_xor_b32_e32 v6, 0x80000000, v4
	v_mov_b32_e32 v8, 0
	v_mov_b32_e32 v14, v0
	s_mov_b32 s18, 0
	v_mul_lo_u32 v7, s30, v5
	v_mov_b32_e32 v5, v3
                                        ; implicit-def: $sgpr19
                                        ; implicit-def: $vgpr16
	s_branch .LBB52_427
.LBB52_426:                             ;   in Loop: Header=BB52_427 Depth=1
	s_or_b32 exec_lo, exec_lo, s21
	s_xor_b32 s3, s20, -1
	s_and_b32 s4, exec_lo, s4
	v_mov_b32_e32 v1, v12
	v_mov_b32_e32 v2, v13
	s_or_b32 s18, s4, s18
	v_mov_b32_e32 v14, v9
	s_andn2_b32 s4, s19, exec_lo
	s_and_b32 s3, s3, exec_lo
	s_or_b32 s19, s4, s3
	s_andn2_b32 exec_lo, exec_lo, s18
	s_cbranch_execz .LBB52_439
.LBB52_427:                             ; =>This Inner Loop Header: Depth=1
	v_mov_b32_e32 v12, 0
	v_add_nc_u32_e32 v9, s34, v14
	v_mov_b32_e32 v13, 0
	s_mov_b32 s4, exec_lo
	v_cmpx_gt_u32_e64 s36, v9
	s_cbranch_execz .LBB52_429
; %bb.428:                              ;   in Loop: Header=BB52_427 Depth=1
	v_lshlrev_b64 v[12:13], 3, v[7:8]
	v_add_co_u32 v12, s3, s31, v12
	v_add_co_ci_u32_e64 v13, null, s33, v13, s3
	global_load_dwordx2 v[12:13], v[12:13], off
.LBB52_429:                             ;   in Loop: Header=BB52_427 Depth=1
	s_or_b32 exec_lo, exec_lo, s4
	s_waitcnt vmcnt(0)
	v_xor_b32_e32 v18, 0x80000000, v2
	v_mov_b32_e32 v17, v1
	v_cmp_gt_u64_e64 s3, v[17:18], v[5:6]
	v_cndmask_b32_e64 v15, 0, 1, s3
	v_cmp_lt_u64_e64 s3, v[17:18], v[5:6]
	v_cndmask_b32_e64 v17, 0, 1, s3
	v_cmp_gt_u32_e64 s3, s36, v14
	v_cndmask_b32_e64 v15, v17, v15, s1
	v_and_b32_e32 v15, 1, v15
	v_cmp_eq_u32_e64 s4, 1, v15
	s_and_b32 s21, s3, s4
	v_cndmask_b32_e64 v15, 0, 1, s21
	v_cmp_ne_u32_e64 s3, 0, v15
	s_cmp_lg_u32 s3, 0
	s_cselect_b32 s4, -1, 0
	s_and_b32 s4, s0, s4
	s_and_saveexec_b32 s20, s4
	s_cbranch_execz .LBB52_433
; %bb.430:                              ;   in Loop: Header=BB52_427 Depth=1
	s_mov_b32 s24, exec_lo
	s_bcnt1_i32_b32 s22, s3
	v_mbcnt_lo_u32_b32 v15, s24, 0
	s_mov_b32 s23, exec_lo
                                        ; implicit-def: $vgpr16
	v_cmpx_eq_u32_e32 0, v15
	s_cbranch_execz .LBB52_432
; %bb.431:                              ;   in Loop: Header=BB52_427 Depth=1
	s_bcnt1_i32_b32 s4, s24
	s_mul_i32 s4, s22, s4
	s_waitcnt lgkmcnt(0)
	v_mov_b32_e32 v16, s4
	ds_add_rtn_u32 v16, v8, v16 offset:4108
.LBB52_432:                             ;   in Loop: Header=BB52_427 Depth=1
	s_or_b32 exec_lo, exec_lo, s23
	s_waitcnt lgkmcnt(0)
	v_readfirstlane_b32 s4, v16
	v_mad_u32_u24 v16, s22, v15, s4
.LBB52_433:                             ;   in Loop: Header=BB52_427 Depth=1
	s_or_b32 exec_lo, exec_lo, s20
	s_waitcnt lgkmcnt(0)
	ds_bpermute_b32 v16, v8, v16
	s_mov_b32 s4, -1
	s_mov_b32 s22, -1
	s_and_saveexec_b32 s20, s21
	s_cbranch_execz .LBB52_437
; %bb.434:                              ;   in Loop: Header=BB52_427 Depth=1
	v_and_b32_e32 v15, s3, v26
	s_mov_b32 s21, 0
	s_mov_b32 s22, exec_lo
	s_waitcnt lgkmcnt(0)
	v_bcnt_u32_b32 v15, v15, v16
	v_cmpx_gt_u32_e64 s37, v15
; %bb.435:                              ;   in Loop: Header=BB52_427 Depth=1
	v_mul_lo_u32 v17, v15, s10
	v_mul_lo_u32 v19, v15, s11
	v_mov_b32_e32 v18, v8
	v_mov_b32_e32 v20, v8
	;; [unrolled: 1-line block ×3, first 2 shown]
	s_mov_b32 s21, exec_lo
	v_lshlrev_b64 v[17:18], 3, v[17:18]
	v_lshlrev_b64 v[19:20], 3, v[19:20]
	v_add_co_u32 v17, s3, s13, v17
	v_add_co_ci_u32_e64 v18, null, s14, v18, s3
	v_add_co_u32 v19, s3, s15, v19
	v_add_co_ci_u32_e64 v20, null, s16, v20, s3
	global_store_dwordx2 v[17:18], v[1:2], off
	global_store_dwordx2 v[19:20], v[14:15], off
; %bb.436:                              ;   in Loop: Header=BB52_427 Depth=1
	s_or_b32 exec_lo, exec_lo, s22
	s_orn2_b32 s22, s21, exec_lo
.LBB52_437:                             ;   in Loop: Header=BB52_427 Depth=1
	s_or_b32 exec_lo, exec_lo, s20
	s_mov_b32 s20, -1
	s_and_saveexec_b32 s21, s22
	s_cbranch_execz .LBB52_426
; %bb.438:                              ;   in Loop: Header=BB52_427 Depth=1
	v_cmp_le_u32_e64 s3, s12, v9
	v_add_nc_u32_e32 v7, s40, v7
	s_xor_b32 s20, exec_lo, -1
	s_orn2_b32 s4, s3, exec_lo
	s_branch .LBB52_426
.LBB52_439:
	s_or_b32 exec_lo, exec_lo, s18
	s_mov_b32 s3, exec_lo
	s_orn2_b32 s18, s19, exec_lo
	s_or_b32 exec_lo, exec_lo, s17
	s_and_saveexec_b32 s4, s18
	s_cbranch_execz .LBB52_416
.LBB52_440:
	s_waitcnt vmcnt(0)
	v_mov_b32_e32 v1, 0
	v_mov_b32_e32 v2, 0
	s_waitcnt lgkmcnt(0)
	s_waitcnt_vscnt null, 0x0
	s_barrier
	buffer_gl0_inv
	s_and_saveexec_b32 s1, s2
	s_cbranch_execz .LBB52_442
; %bb.441:
	global_load_dwordx2 v[1:2], v[10:11], off
.LBB52_442:
	s_or_b32 exec_lo, exec_lo, s1
	s_mov_b32 s1, 0
	s_and_saveexec_b32 s2, vcc_lo
	s_cbranch_execz .LBB52_462
; %bb.443:
	v_add_nc_u32_e32 v5, s34, v0
	v_mov_b32_e32 v6, 0
	s_mov_b32 s5, 0
                                        ; implicit-def: $sgpr17
                                        ; implicit-def: $vgpr10
	v_mul_lo_u32 v5, s30, v5
	s_branch .LBB52_446
.LBB52_444:                             ;   in Loop: Header=BB52_446 Depth=1
	s_or_b32 exec_lo, exec_lo, s19
	s_orn2_b32 s20, s21, exec_lo
	s_orn2_b32 s18, s18, exec_lo
.LBB52_445:                             ;   in Loop: Header=BB52_446 Depth=1
	s_or_b32 exec_lo, exec_lo, s1
	s_xor_b32 s1, s20, -1
	s_and_b32 s18, exec_lo, s18
	v_mov_b32_e32 v1, v7
	v_mov_b32_e32 v0, v9
	s_or_b32 s5, s18, s5
	v_mov_b32_e32 v2, v8
	s_andn2_b32 s17, s17, exec_lo
	s_and_b32 s1, s1, exec_lo
	s_or_b32 s17, s17, s1
	s_andn2_b32 exec_lo, exec_lo, s5
	s_cbranch_execz .LBB52_460
.LBB52_446:                             ; =>This Inner Loop Header: Depth=1
	v_mov_b32_e32 v7, 0
	v_add_nc_u32_e32 v9, s34, v0
	v_mov_b32_e32 v8, 0
	s_mov_b32 s1, exec_lo
	v_cmpx_gt_u32_e64 s36, v9
	s_cbranch_execz .LBB52_448
; %bb.447:                              ;   in Loop: Header=BB52_446 Depth=1
	v_lshlrev_b64 v[7:8], 3, v[5:6]
	v_add_co_u32 v7, vcc_lo, s31, v7
	v_add_co_ci_u32_e64 v8, null, s33, v8, vcc_lo
	global_load_dwordx2 v[7:8], v[7:8], off
.LBB52_448:                             ;   in Loop: Header=BB52_446 Depth=1
	s_or_b32 exec_lo, exec_lo, s1
	s_waitcnt vmcnt(0)
	v_cmp_eq_u64_e32 vcc_lo, v[1:2], v[3:4]
	v_cmp_gt_u32_e64 s1, s36, v0
	s_and_b32 s19, s1, vcc_lo
	v_cndmask_b32_e64 v1, 0, 1, s19
	v_cmp_ne_u32_e32 vcc_lo, 0, v1
	s_cmp_lg_u32 vcc_lo, 0
	s_cselect_b32 s1, -1, 0
	s_and_b32 s1, s0, s1
	s_and_saveexec_b32 s18, s1
	s_cbranch_execz .LBB52_452
; %bb.449:                              ;   in Loop: Header=BB52_446 Depth=1
	s_mov_b32 s22, exec_lo
	s_bcnt1_i32_b32 s20, vcc_lo
	v_mbcnt_lo_u32_b32 v1, s22, 0
	s_mov_b32 s21, exec_lo
                                        ; implicit-def: $vgpr2
	v_cmpx_eq_u32_e32 0, v1
; %bb.450:                              ;   in Loop: Header=BB52_446 Depth=1
	s_bcnt1_i32_b32 s1, s22
	s_mul_i32 s1, s20, s1
	v_mov_b32_e32 v2, s1
	ds_add_rtn_u32 v2, v6, v2 offset:4108
; %bb.451:                              ;   in Loop: Header=BB52_446 Depth=1
	s_or_b32 exec_lo, exec_lo, s21
	s_waitcnt lgkmcnt(0)
	v_readfirstlane_b32 s1, v2
	v_mad_u32_u24 v10, s20, v1, s1
.LBB52_452:                             ;   in Loop: Header=BB52_446 Depth=1
	s_or_b32 exec_lo, exec_lo, s18
	ds_bpermute_b32 v10, v6, v10
	s_cmp_eq_u32 vcc_lo, 0
	s_mov_b32 s18, -1
	s_cselect_b32 s20, -1, 0
	s_waitcnt lgkmcnt(0)
	v_cmp_gt_u32_e64 s1, s37, v10
	s_or_b32 s21, s20, s1
	s_mov_b32 s20, -1
	s_and_saveexec_b32 s1, s21
	s_cbranch_execz .LBB52_445
; %bb.453:                              ;   in Loop: Header=BB52_446 Depth=1
	v_and_b32_e32 v1, vcc_lo, v26
	v_sub_nc_u32_e32 v2, s37, v10
	s_mov_b32 s21, -1
	v_bcnt_u32_b32 v1, v1, 0
	v_bcnt_u32_b32 v1, 0, v1
	v_cmp_gt_u32_e32 vcc_lo, v2, v1
	s_and_b32 s22, s19, vcc_lo
	s_and_saveexec_b32 s19, s22
	s_cbranch_execz .LBB52_457
; %bb.454:                              ;   in Loop: Header=BB52_446 Depth=1
	v_add_nc_u32_e32 v1, v10, v1
	s_mov_b32 s20, 0
	s_mov_b32 s21, exec_lo
	v_cmpx_gt_u32_e64 s37, v1
; %bb.455:                              ;   in Loop: Header=BB52_446 Depth=1
	v_mul_lo_u32 v11, v1, s10
	v_mul_lo_u32 v13, v1, s11
	v_mov_b32_e32 v12, v6
	v_mov_b32_e32 v14, v6
	;; [unrolled: 1-line block ×3, first 2 shown]
	s_mov_b32 s20, exec_lo
	v_lshlrev_b64 v[11:12], 3, v[11:12]
	v_lshlrev_b64 v[13:14], 3, v[13:14]
	v_add_co_u32 v11, vcc_lo, s13, v11
	v_add_co_ci_u32_e64 v12, null, s14, v12, vcc_lo
	v_add_co_u32 v13, vcc_lo, s15, v13
	v_add_co_ci_u32_e64 v14, null, s16, v14, vcc_lo
	global_store_dwordx2 v[11:12], v[3:4], off
	global_store_dwordx2 v[13:14], v[0:1], off
; %bb.456:                              ;   in Loop: Header=BB52_446 Depth=1
	s_or_b32 exec_lo, exec_lo, s21
	s_xor_b32 s21, exec_lo, -1
	s_orn2_b32 s20, s20, exec_lo
.LBB52_457:                             ;   in Loop: Header=BB52_446 Depth=1
	s_or_b32 exec_lo, exec_lo, s19
	s_and_saveexec_b32 s19, s20
	s_cbranch_execz .LBB52_444
; %bb.458:                              ;   in Loop: Header=BB52_446 Depth=1
	v_cmp_le_u32_e32 vcc_lo, s12, v9
	v_add_nc_u32_e32 v5, s40, v5
	s_or_b32 s21, s21, exec_lo
	s_orn2_b32 s18, vcc_lo, exec_lo
	s_branch .LBB52_444
.LBB52_459:
	s_or_b32 s8, s8, exec_lo
	s_trap 2
	s_branch .LBB52_423
.LBB52_460:
	s_or_b32 exec_lo, exec_lo, s5
	s_mov_b32 s0, 0
	s_and_saveexec_b32 s1, s17
	s_xor_b32 s1, exec_lo, s1
	s_cbranch_execnz .LBB52_466
.LBB52_461:
	s_or_b32 exec_lo, exec_lo, s1
	s_and_b32 s1, s0, exec_lo
.LBB52_462:
	s_or_b32 exec_lo, exec_lo, s2
	s_and_b32 s5, s1, exec_lo
	s_andn2_b32 s3, s3, exec_lo
	s_or_b32 exec_lo, exec_lo, s4
	s_and_saveexec_b32 s0, s3
	s_xor_b32 s0, exec_lo, s0
	s_cbranch_execz .LBB52_417
.LBB52_463:
	s_or_b32 s5, s5, exec_lo
	s_trap 2
	s_branch .LBB52_417
.LBB52_464:
	s_or_b32 s11, s11, exec_lo
	s_trap 2
	s_branch .LBB52_421
.LBB52_465:
	s_or_b32 s11, s11, exec_lo
	s_trap 2
	s_branch .LBB52_419
.LBB52_466:
	s_mov_b32 s0, exec_lo
	s_trap 2
	s_branch .LBB52_461
	.section	.rodata,"a",@progbits
	.p2align	6, 0x0
	.amdhsa_kernel _ZN2at6native6sbtopk10gatherTopKIljLin1ELb0EEEvNS_4cuda6detail10TensorInfoIKT_T0_EES8_S8_bS8_S8_NS5_IS6_S8_EES8_NS5_IlS8_EES8_PS6_
		.amdhsa_group_segment_fixed_size 4112
		.amdhsa_private_segment_fixed_size 0
		.amdhsa_kernarg_size 952
		.amdhsa_user_sgpr_count 6
		.amdhsa_user_sgpr_private_segment_buffer 1
		.amdhsa_user_sgpr_dispatch_ptr 0
		.amdhsa_user_sgpr_queue_ptr 0
		.amdhsa_user_sgpr_kernarg_segment_ptr 1
		.amdhsa_user_sgpr_dispatch_id 0
		.amdhsa_user_sgpr_flat_scratch_init 0
		.amdhsa_user_sgpr_private_segment_size 0
		.amdhsa_wavefront_size32 1
		.amdhsa_uses_dynamic_stack 0
		.amdhsa_system_sgpr_private_segment_wavefront_offset 0
		.amdhsa_system_sgpr_workgroup_id_x 1
		.amdhsa_system_sgpr_workgroup_id_y 1
		.amdhsa_system_sgpr_workgroup_id_z 1
		.amdhsa_system_sgpr_workgroup_info 0
		.amdhsa_system_vgpr_workitem_id 0
		.amdhsa_next_free_vgpr 54
		.amdhsa_next_free_sgpr 95
		.amdhsa_reserve_vcc 1
		.amdhsa_reserve_flat_scratch 0
		.amdhsa_float_round_mode_32 0
		.amdhsa_float_round_mode_16_64 0
		.amdhsa_float_denorm_mode_32 3
		.amdhsa_float_denorm_mode_16_64 3
		.amdhsa_dx10_clamp 1
		.amdhsa_ieee_mode 1
		.amdhsa_fp16_overflow 0
		.amdhsa_workgroup_processor_mode 1
		.amdhsa_memory_ordered 1
		.amdhsa_forward_progress 1
		.amdhsa_shared_vgpr_count 0
		.amdhsa_exception_fp_ieee_invalid_op 0
		.amdhsa_exception_fp_denorm_src 0
		.amdhsa_exception_fp_ieee_div_zero 0
		.amdhsa_exception_fp_ieee_overflow 0
		.amdhsa_exception_fp_ieee_underflow 0
		.amdhsa_exception_fp_ieee_inexact 0
		.amdhsa_exception_int_div_zero 0
	.end_amdhsa_kernel
	.section	.text._ZN2at6native6sbtopk10gatherTopKIljLin1ELb0EEEvNS_4cuda6detail10TensorInfoIKT_T0_EES8_S8_bS8_S8_NS5_IS6_S8_EES8_NS5_IlS8_EES8_PS6_,"axG",@progbits,_ZN2at6native6sbtopk10gatherTopKIljLin1ELb0EEEvNS_4cuda6detail10TensorInfoIKT_T0_EES8_S8_bS8_S8_NS5_IS6_S8_EES8_NS5_IlS8_EES8_PS6_,comdat
.Lfunc_end52:
	.size	_ZN2at6native6sbtopk10gatherTopKIljLin1ELb0EEEvNS_4cuda6detail10TensorInfoIKT_T0_EES8_S8_bS8_S8_NS5_IS6_S8_EES8_NS5_IlS8_EES8_PS6_, .Lfunc_end52-_ZN2at6native6sbtopk10gatherTopKIljLin1ELb0EEEvNS_4cuda6detail10TensorInfoIKT_T0_EES8_S8_bS8_S8_NS5_IS6_S8_EES8_NS5_IlS8_EES8_PS6_
                                        ; -- End function
	.set _ZN2at6native6sbtopk10gatherTopKIljLin1ELb0EEEvNS_4cuda6detail10TensorInfoIKT_T0_EES8_S8_bS8_S8_NS5_IS6_S8_EES8_NS5_IlS8_EES8_PS6_.num_vgpr, 54
	.set _ZN2at6native6sbtopk10gatherTopKIljLin1ELb0EEEvNS_4cuda6detail10TensorInfoIKT_T0_EES8_S8_bS8_S8_NS5_IS6_S8_EES8_NS5_IlS8_EES8_PS6_.num_agpr, 0
	.set _ZN2at6native6sbtopk10gatherTopKIljLin1ELb0EEEvNS_4cuda6detail10TensorInfoIKT_T0_EES8_S8_bS8_S8_NS5_IS6_S8_EES8_NS5_IlS8_EES8_PS6_.numbered_sgpr, 95
	.set _ZN2at6native6sbtopk10gatherTopKIljLin1ELb0EEEvNS_4cuda6detail10TensorInfoIKT_T0_EES8_S8_bS8_S8_NS5_IS6_S8_EES8_NS5_IlS8_EES8_PS6_.num_named_barrier, 0
	.set _ZN2at6native6sbtopk10gatherTopKIljLin1ELb0EEEvNS_4cuda6detail10TensorInfoIKT_T0_EES8_S8_bS8_S8_NS5_IS6_S8_EES8_NS5_IlS8_EES8_PS6_.private_seg_size, 0
	.set _ZN2at6native6sbtopk10gatherTopKIljLin1ELb0EEEvNS_4cuda6detail10TensorInfoIKT_T0_EES8_S8_bS8_S8_NS5_IS6_S8_EES8_NS5_IlS8_EES8_PS6_.uses_vcc, 1
	.set _ZN2at6native6sbtopk10gatherTopKIljLin1ELb0EEEvNS_4cuda6detail10TensorInfoIKT_T0_EES8_S8_bS8_S8_NS5_IS6_S8_EES8_NS5_IlS8_EES8_PS6_.uses_flat_scratch, 0
	.set _ZN2at6native6sbtopk10gatherTopKIljLin1ELb0EEEvNS_4cuda6detail10TensorInfoIKT_T0_EES8_S8_bS8_S8_NS5_IS6_S8_EES8_NS5_IlS8_EES8_PS6_.has_dyn_sized_stack, 0
	.set _ZN2at6native6sbtopk10gatherTopKIljLin1ELb0EEEvNS_4cuda6detail10TensorInfoIKT_T0_EES8_S8_bS8_S8_NS5_IS6_S8_EES8_NS5_IlS8_EES8_PS6_.has_recursion, 0
	.set _ZN2at6native6sbtopk10gatherTopKIljLin1ELb0EEEvNS_4cuda6detail10TensorInfoIKT_T0_EES8_S8_bS8_S8_NS5_IS6_S8_EES8_NS5_IlS8_EES8_PS6_.has_indirect_call, 0
	.section	.AMDGPU.csdata,"",@progbits
; Kernel info:
; codeLenInByte = 15748
; TotalNumSgprs: 97
; NumVgprs: 54
; ScratchSize: 0
; MemoryBound: 0
; FloatMode: 240
; IeeeMode: 1
; LDSByteSize: 4112 bytes/workgroup (compile time only)
; SGPRBlocks: 0
; VGPRBlocks: 6
; NumSGPRsForWavesPerEU: 97
; NumVGPRsForWavesPerEU: 54
; Occupancy: 16
; WaveLimiterHint : 1
; COMPUTE_PGM_RSRC2:SCRATCH_EN: 0
; COMPUTE_PGM_RSRC2:USER_SGPR: 6
; COMPUTE_PGM_RSRC2:TRAP_HANDLER: 0
; COMPUTE_PGM_RSRC2:TGID_X_EN: 1
; COMPUTE_PGM_RSRC2:TGID_Y_EN: 1
; COMPUTE_PGM_RSRC2:TGID_Z_EN: 1
; COMPUTE_PGM_RSRC2:TIDIG_COMP_CNT: 0
	.section	.text._ZN2at6native6mbtopk23computeBlockDigitCountsIsjjLi1EEEvNS_4cuda6detail10TensorInfoIKT_T0_EEjPjjS8_iijT1_PSB_Ps,"axG",@progbits,_ZN2at6native6mbtopk23computeBlockDigitCountsIsjjLi1EEEvNS_4cuda6detail10TensorInfoIKT_T0_EEjPjjS8_iijT1_PSB_Ps,comdat
	.protected	_ZN2at6native6mbtopk23computeBlockDigitCountsIsjjLi1EEEvNS_4cuda6detail10TensorInfoIKT_T0_EEjPjjS8_iijT1_PSB_Ps ; -- Begin function _ZN2at6native6mbtopk23computeBlockDigitCountsIsjjLi1EEEvNS_4cuda6detail10TensorInfoIKT_T0_EEjPjjS8_iijT1_PSB_Ps
	.globl	_ZN2at6native6mbtopk23computeBlockDigitCountsIsjjLi1EEEvNS_4cuda6detail10TensorInfoIKT_T0_EEjPjjS8_iijT1_PSB_Ps
	.p2align	8
	.type	_ZN2at6native6mbtopk23computeBlockDigitCountsIsjjLi1EEEvNS_4cuda6detail10TensorInfoIKT_T0_EEjPjjS8_iijT1_PSB_Ps,@function
_ZN2at6native6mbtopk23computeBlockDigitCountsIsjjLi1EEEvNS_4cuda6detail10TensorInfoIKT_T0_EEjPjjS8_iijT1_PSB_Ps: ; @_ZN2at6native6mbtopk23computeBlockDigitCountsIsjjLi1EEEvNS_4cuda6detail10TensorInfoIKT_T0_EEjPjjS8_iijT1_PSB_Ps
; %bb.0:
	s_clause 0x2
	s_load_dwordx2 s[10:11], s[4:5], 0xf8
	s_load_dwordx4 s[12:15], s[4:5], 0xe8
	s_load_dwordx2 s[0:1], s[4:5], 0x110
	s_waitcnt lgkmcnt(0)
	v_cvt_f32_u32_e32 v1, s10
	s_sub_i32 s3, 0, s10
	s_mul_i32 s1, s1, s8
	s_add_i32 s1, s1, s7
	v_rcp_iflag_f32_e32 v1, v1
	s_mul_i32 s16, s1, s0
	s_mov_b32 s7, 0
	s_add_i32 s16, s16, s6
	v_mul_f32_e32 v1, 0x4f7ffffe, v1
	v_cvt_u32_f32_e32 v1, v1
	v_readfirstlane_b32 s2, v1
	s_mul_i32 s3, s3, s2
	s_mul_hi_u32 s0, s2, s3
	s_add_i32 s2, s2, s0
	s_mul_hi_u32 s0, s16, s2
	s_mul_i32 s1, s0, s10
	s_add_i32 s2, s0, 1
	s_sub_i32 s1, s16, s1
	s_sub_i32 s3, s1, s10
	s_cmp_ge_u32 s1, s10
	s_cselect_b32 s0, s2, s0
	s_cselect_b32 s1, s3, s1
	s_add_i32 s2, s0, 1
	s_cmp_ge_u32 s1, s10
	s_cselect_b32 s6, s2, s0
	s_cmp_ge_u32 s6, s12
	s_cbranch_scc1 .LBB53_27
; %bb.1:
	s_load_dwordx4 s[0:3], s[4:5], 0x100
	s_lshl_b64 s[8:9], s[6:7], 2
	v_cmp_gt_u32_e32 vcc_lo, 0x100, v0
	v_lshlrev_b32_e32 v3, 2, v0
	s_waitcnt lgkmcnt(0)
	s_add_u32 s8, s0, s8
	s_addc_u32 s9, s1, s9
	s_and_saveexec_b32 s0, vcc_lo
; %bb.2:
	v_mov_b32_e32 v1, 0
	ds_write_b32 v3, v1
; %bb.3:
	s_or_b32 exec_lo, exec_lo, s0
	s_load_dword s7, s[4:5], 0xd8
	s_mul_i32 s0, s6, s10
	s_waitcnt lgkmcnt(0)
	s_sub_i32 s0, s16, s0
	s_barrier
	s_mul_i32 s1, s15, s0
	s_add_i32 s17, s0, 1
	s_lshl_b32 s12, s1, 8
	buffer_gl0_inv
	s_sub_i32 s1, s7, s12
	s_add_u32 s0, s1, 0xff
	s_addc_u32 s1, 0, 0
	s_lshr_b64 s[0:1], s[0:1], 8
	s_cmp_lt_u32 s17, s10
	s_mov_b32 s1, 0
	s_cselect_b32 s10, s15, s0
	s_cmp_lt_i32 s10, 1
	s_cbranch_scc1 .LBB53_25
; %bb.4:
	s_clause 0x1
	s_load_dword s0, s[4:5], 0x6c
	s_load_dwordx2 s[18:19], s[4:5], 0x0
	s_load_dword s4, s[8:9], 0x0
	s_waitcnt lgkmcnt(0)
	s_mul_i32 s0, s0, s6
	s_lshl_b64 s[8:9], s[0:1], 1
	s_add_u32 s5, s18, s8
	s_addc_u32 s6, s19, s9
	s_and_b32 s8, s14, 0xff
	s_cmp_lt_u32 s10, 4
	s_cbranch_scc1 .LBB53_19
; %bb.5:
	v_add_nc_u32_e32 v1, s12, v0
	v_mov_b32_e32 v9, 1
	s_and_b32 s1, s10, 0x7ffffffc
	s_lshl_b32 s9, s13, 10
	s_mov_b32 s14, 0
	v_add_nc_u32_e32 v4, 0x300, v1
	v_add_nc_u32_e32 v2, 0x200, v1
	;; [unrolled: 1-line block ×3, first 2 shown]
	v_mul_lo_u32 v8, s13, v1
	s_mov_b32 s15, 0
	v_mul_lo_u32 v5, s13, v4
	v_mul_lo_u32 v6, s13, v2
	;; [unrolled: 1-line block ×3, first 2 shown]
	v_mov_b32_e32 v2, 0
	s_branch .LBB53_7
.LBB53_6:                               ;   in Loop: Header=BB53_7 Depth=1
	s_or_b32 exec_lo, exec_lo, s17
	v_add_nc_u32_e32 v4, 0x400, v4
	s_add_i32 s15, s15, 4
	s_add_i32 s14, s14, s9
	s_cmp_eq_u32 s1, s15
	s_cbranch_scc1 .LBB53_19
.LBB53_7:                               ; =>This Inner Loop Header: Depth=1
	v_add_nc_u32_e32 v1, 0xfffffd00, v4
	s_mov_b32 s17, exec_lo
	v_cmpx_gt_u32_e64 s7, v1
	s_cbranch_execz .LBB53_10
; %bb.8:                                ;   in Loop: Header=BB53_7 Depth=1
	v_add_nc_u32_e32 v1, s14, v8
	v_lshlrev_b64 v[10:11], 1, v[1:2]
	v_add_co_u32 v10, s0, s5, v10
	v_add_co_ci_u32_e64 v11, null, s6, v11, s0
	global_load_sshort v1, v[10:11], off
	s_waitcnt vmcnt(0)
	v_add_nc_u32_e32 v1, 0x8000, v1
	v_xor_b32_e32 v10, s4, v1
	v_and_b32_e32 v10, s11, v10
	v_cmp_eq_u32_e64 s0, 0, v10
	s_and_b32 exec_lo, exec_lo, s0
; %bb.9:                                ;   in Loop: Header=BB53_7 Depth=1
	v_bfe_u32 v1, v1, s8, 8
	v_lshlrev_b32_e32 v1, 2, v1
	ds_add_u32 v1, v9
.LBB53_10:                              ;   in Loop: Header=BB53_7 Depth=1
	s_or_b32 exec_lo, exec_lo, s17
	v_add_nc_u32_e32 v1, 0xfffffe00, v4
	s_mov_b32 s17, exec_lo
	v_cmpx_gt_u32_e64 s7, v1
	s_cbranch_execz .LBB53_13
; %bb.11:                               ;   in Loop: Header=BB53_7 Depth=1
	v_add_nc_u32_e32 v1, s14, v7
	v_lshlrev_b64 v[10:11], 1, v[1:2]
	v_add_co_u32 v10, s0, s5, v10
	v_add_co_ci_u32_e64 v11, null, s6, v11, s0
	global_load_sshort v1, v[10:11], off
	s_waitcnt vmcnt(0)
	v_add_nc_u32_e32 v1, 0x8000, v1
	v_xor_b32_e32 v10, s4, v1
	v_and_b32_e32 v10, s11, v10
	v_cmp_eq_u32_e64 s0, 0, v10
	s_and_b32 exec_lo, exec_lo, s0
; %bb.12:                               ;   in Loop: Header=BB53_7 Depth=1
	v_bfe_u32 v1, v1, s8, 8
	v_lshlrev_b32_e32 v1, 2, v1
	ds_add_u32 v1, v9
.LBB53_13:                              ;   in Loop: Header=BB53_7 Depth=1
	s_or_b32 exec_lo, exec_lo, s17
	v_add_nc_u32_e32 v1, 0xffffff00, v4
	s_mov_b32 s17, exec_lo
	v_cmpx_gt_u32_e64 s7, v1
	s_cbranch_execz .LBB53_16
; %bb.14:                               ;   in Loop: Header=BB53_7 Depth=1
	v_add_nc_u32_e32 v1, s14, v6
	v_lshlrev_b64 v[10:11], 1, v[1:2]
	v_add_co_u32 v10, s0, s5, v10
	v_add_co_ci_u32_e64 v11, null, s6, v11, s0
	global_load_sshort v1, v[10:11], off
	s_waitcnt vmcnt(0)
	v_add_nc_u32_e32 v1, 0x8000, v1
	v_xor_b32_e32 v10, s4, v1
	v_and_b32_e32 v10, s11, v10
	v_cmp_eq_u32_e64 s0, 0, v10
	s_and_b32 exec_lo, exec_lo, s0
; %bb.15:                               ;   in Loop: Header=BB53_7 Depth=1
	v_bfe_u32 v1, v1, s8, 8
	v_lshlrev_b32_e32 v1, 2, v1
	ds_add_u32 v1, v9
.LBB53_16:                              ;   in Loop: Header=BB53_7 Depth=1
	s_or_b32 exec_lo, exec_lo, s17
	s_mov_b32 s17, exec_lo
	v_cmpx_gt_u32_e64 s7, v4
	s_cbranch_execz .LBB53_6
; %bb.17:                               ;   in Loop: Header=BB53_7 Depth=1
	v_add_nc_u32_e32 v1, s14, v5
	v_lshlrev_b64 v[10:11], 1, v[1:2]
	v_add_co_u32 v10, s0, s5, v10
	v_add_co_ci_u32_e64 v11, null, s6, v11, s0
	global_load_sshort v1, v[10:11], off
	s_waitcnt vmcnt(0)
	v_add_nc_u32_e32 v1, 0x8000, v1
	v_xor_b32_e32 v10, s4, v1
	v_and_b32_e32 v10, s11, v10
	v_cmp_eq_u32_e64 s0, 0, v10
	s_and_b32 exec_lo, exec_lo, s0
	s_cbranch_execz .LBB53_6
; %bb.18:                               ;   in Loop: Header=BB53_7 Depth=1
	v_bfe_u32 v1, v1, s8, 8
	v_lshlrev_b32_e32 v1, 2, v1
	ds_add_u32 v1, v9
	s_branch .LBB53_6
.LBB53_19:
	s_and_b32 s9, s10, 3
	s_cmp_eq_u32 s9, 0
	s_cbranch_scc1 .LBB53_25
; %bb.20:
	s_lshl_b32 s0, s1, 8
	v_mov_b32_e32 v2, 0
	v_add3_u32 v4, s0, s12, v0
	v_mov_b32_e32 v5, 1
	s_lshl_b32 s1, s13, 8
	v_mul_lo_u32 v1, s13, v4
	s_inst_prefetch 0x1
	s_branch .LBB53_22
	.p2align	6
.LBB53_21:                              ;   in Loop: Header=BB53_22 Depth=1
	s_or_b32 exec_lo, exec_lo, s10
	v_add_nc_u32_e32 v1, s1, v1
	v_add_nc_u32_e32 v4, 0x100, v4
	s_add_i32 s9, s9, -1
	s_cmp_lg_u32 s9, 0
	s_cbranch_scc0 .LBB53_25
.LBB53_22:                              ; =>This Inner Loop Header: Depth=1
	s_mov_b32 s10, exec_lo
	v_cmpx_gt_u32_e64 s7, v4
	s_cbranch_execz .LBB53_21
; %bb.23:                               ;   in Loop: Header=BB53_22 Depth=1
	v_lshlrev_b64 v[6:7], 1, v[1:2]
	v_add_co_u32 v6, s0, s5, v6
	v_add_co_ci_u32_e64 v7, null, s6, v7, s0
	global_load_sshort v6, v[6:7], off
	s_waitcnt vmcnt(0)
	v_add_nc_u32_e32 v6, 0x8000, v6
	v_xor_b32_e32 v7, s4, v6
	v_and_b32_e32 v7, s11, v7
	v_cmp_eq_u32_e64 s0, 0, v7
	s_and_b32 exec_lo, exec_lo, s0
	s_cbranch_execz .LBB53_21
; %bb.24:                               ;   in Loop: Header=BB53_22 Depth=1
	v_bfe_u32 v6, v6, s8, 8
	v_lshlrev_b32_e32 v6, 2, v6
	ds_add_u32 v6, v5
	s_branch .LBB53_21
.LBB53_25:
	s_inst_prefetch 0x2
	s_waitcnt lgkmcnt(0)
	s_barrier
	buffer_gl0_inv
	s_and_saveexec_b32 s0, vcc_lo
	s_cbranch_execz .LBB53_27
; %bb.26:
	ds_read_b32 v2, v3
	v_lshl_or_b32 v0, s16, 8, v0
	v_mov_b32_e32 v1, 0
	v_lshlrev_b64 v[0:1], 1, v[0:1]
	v_add_co_u32 v0, vcc_lo, s2, v0
	v_add_co_ci_u32_e64 v1, null, s3, v1, vcc_lo
	s_waitcnt lgkmcnt(0)
	global_store_short v[0:1], v2, off
.LBB53_27:
	s_endpgm
	.section	.rodata,"a",@progbits
	.p2align	6, 0x0
	.amdhsa_kernel _ZN2at6native6mbtopk23computeBlockDigitCountsIsjjLi1EEEvNS_4cuda6detail10TensorInfoIKT_T0_EEjPjjS8_iijT1_PSB_Ps
		.amdhsa_group_segment_fixed_size 1024
		.amdhsa_private_segment_fixed_size 0
		.amdhsa_kernarg_size 528
		.amdhsa_user_sgpr_count 6
		.amdhsa_user_sgpr_private_segment_buffer 1
		.amdhsa_user_sgpr_dispatch_ptr 0
		.amdhsa_user_sgpr_queue_ptr 0
		.amdhsa_user_sgpr_kernarg_segment_ptr 1
		.amdhsa_user_sgpr_dispatch_id 0
		.amdhsa_user_sgpr_flat_scratch_init 0
		.amdhsa_user_sgpr_private_segment_size 0
		.amdhsa_wavefront_size32 1
		.amdhsa_uses_dynamic_stack 0
		.amdhsa_system_sgpr_private_segment_wavefront_offset 0
		.amdhsa_system_sgpr_workgroup_id_x 1
		.amdhsa_system_sgpr_workgroup_id_y 1
		.amdhsa_system_sgpr_workgroup_id_z 1
		.amdhsa_system_sgpr_workgroup_info 0
		.amdhsa_system_vgpr_workitem_id 0
		.amdhsa_next_free_vgpr 12
		.amdhsa_next_free_sgpr 20
		.amdhsa_reserve_vcc 1
		.amdhsa_reserve_flat_scratch 0
		.amdhsa_float_round_mode_32 0
		.amdhsa_float_round_mode_16_64 0
		.amdhsa_float_denorm_mode_32 3
		.amdhsa_float_denorm_mode_16_64 3
		.amdhsa_dx10_clamp 1
		.amdhsa_ieee_mode 1
		.amdhsa_fp16_overflow 0
		.amdhsa_workgroup_processor_mode 1
		.amdhsa_memory_ordered 1
		.amdhsa_forward_progress 1
		.amdhsa_shared_vgpr_count 0
		.amdhsa_exception_fp_ieee_invalid_op 0
		.amdhsa_exception_fp_denorm_src 0
		.amdhsa_exception_fp_ieee_div_zero 0
		.amdhsa_exception_fp_ieee_overflow 0
		.amdhsa_exception_fp_ieee_underflow 0
		.amdhsa_exception_fp_ieee_inexact 0
		.amdhsa_exception_int_div_zero 0
	.end_amdhsa_kernel
	.section	.text._ZN2at6native6mbtopk23computeBlockDigitCountsIsjjLi1EEEvNS_4cuda6detail10TensorInfoIKT_T0_EEjPjjS8_iijT1_PSB_Ps,"axG",@progbits,_ZN2at6native6mbtopk23computeBlockDigitCountsIsjjLi1EEEvNS_4cuda6detail10TensorInfoIKT_T0_EEjPjjS8_iijT1_PSB_Ps,comdat
.Lfunc_end53:
	.size	_ZN2at6native6mbtopk23computeBlockDigitCountsIsjjLi1EEEvNS_4cuda6detail10TensorInfoIKT_T0_EEjPjjS8_iijT1_PSB_Ps, .Lfunc_end53-_ZN2at6native6mbtopk23computeBlockDigitCountsIsjjLi1EEEvNS_4cuda6detail10TensorInfoIKT_T0_EEjPjjS8_iijT1_PSB_Ps
                                        ; -- End function
	.set _ZN2at6native6mbtopk23computeBlockDigitCountsIsjjLi1EEEvNS_4cuda6detail10TensorInfoIKT_T0_EEjPjjS8_iijT1_PSB_Ps.num_vgpr, 12
	.set _ZN2at6native6mbtopk23computeBlockDigitCountsIsjjLi1EEEvNS_4cuda6detail10TensorInfoIKT_T0_EEjPjjS8_iijT1_PSB_Ps.num_agpr, 0
	.set _ZN2at6native6mbtopk23computeBlockDigitCountsIsjjLi1EEEvNS_4cuda6detail10TensorInfoIKT_T0_EEjPjjS8_iijT1_PSB_Ps.numbered_sgpr, 20
	.set _ZN2at6native6mbtopk23computeBlockDigitCountsIsjjLi1EEEvNS_4cuda6detail10TensorInfoIKT_T0_EEjPjjS8_iijT1_PSB_Ps.num_named_barrier, 0
	.set _ZN2at6native6mbtopk23computeBlockDigitCountsIsjjLi1EEEvNS_4cuda6detail10TensorInfoIKT_T0_EEjPjjS8_iijT1_PSB_Ps.private_seg_size, 0
	.set _ZN2at6native6mbtopk23computeBlockDigitCountsIsjjLi1EEEvNS_4cuda6detail10TensorInfoIKT_T0_EEjPjjS8_iijT1_PSB_Ps.uses_vcc, 1
	.set _ZN2at6native6mbtopk23computeBlockDigitCountsIsjjLi1EEEvNS_4cuda6detail10TensorInfoIKT_T0_EEjPjjS8_iijT1_PSB_Ps.uses_flat_scratch, 0
	.set _ZN2at6native6mbtopk23computeBlockDigitCountsIsjjLi1EEEvNS_4cuda6detail10TensorInfoIKT_T0_EEjPjjS8_iijT1_PSB_Ps.has_dyn_sized_stack, 0
	.set _ZN2at6native6mbtopk23computeBlockDigitCountsIsjjLi1EEEvNS_4cuda6detail10TensorInfoIKT_T0_EEjPjjS8_iijT1_PSB_Ps.has_recursion, 0
	.set _ZN2at6native6mbtopk23computeBlockDigitCountsIsjjLi1EEEvNS_4cuda6detail10TensorInfoIKT_T0_EEjPjjS8_iijT1_PSB_Ps.has_indirect_call, 0
	.section	.AMDGPU.csdata,"",@progbits
; Kernel info:
; codeLenInByte = 1248
; TotalNumSgprs: 22
; NumVgprs: 12
; ScratchSize: 0
; MemoryBound: 0
; FloatMode: 240
; IeeeMode: 1
; LDSByteSize: 1024 bytes/workgroup (compile time only)
; SGPRBlocks: 0
; VGPRBlocks: 1
; NumSGPRsForWavesPerEU: 22
; NumVGPRsForWavesPerEU: 12
; Occupancy: 16
; WaveLimiterHint : 1
; COMPUTE_PGM_RSRC2:SCRATCH_EN: 0
; COMPUTE_PGM_RSRC2:USER_SGPR: 6
; COMPUTE_PGM_RSRC2:TRAP_HANDLER: 0
; COMPUTE_PGM_RSRC2:TGID_X_EN: 1
; COMPUTE_PGM_RSRC2:TGID_Y_EN: 1
; COMPUTE_PGM_RSRC2:TGID_Z_EN: 1
; COMPUTE_PGM_RSRC2:TIDIG_COMP_CNT: 0
	.section	.text._ZN2at6native6mbtopk29computeBlockwiseWithinKCountsIjsEEvPT_PsPjjibS6_PT0_S6_S4_S6_j,"axG",@progbits,_ZN2at6native6mbtopk29computeBlockwiseWithinKCountsIjsEEvPT_PsPjjibS6_PT0_S6_S4_S6_j,comdat
	.protected	_ZN2at6native6mbtopk29computeBlockwiseWithinKCountsIjsEEvPT_PsPjjibS6_PT0_S6_S4_S6_j ; -- Begin function _ZN2at6native6mbtopk29computeBlockwiseWithinKCountsIjsEEvPT_PsPjjibS6_PT0_S6_S4_S6_j
	.globl	_ZN2at6native6mbtopk29computeBlockwiseWithinKCountsIjsEEvPT_PsPjjibS6_PT0_S6_S4_S6_j
	.p2align	8
	.type	_ZN2at6native6mbtopk29computeBlockwiseWithinKCountsIjsEEvPT_PsPjjibS6_PT0_S6_S4_S6_j,@function
_ZN2at6native6mbtopk29computeBlockwiseWithinKCountsIjsEEvPT_PsPjjibS6_PT0_S6_S4_S6_j: ; @_ZN2at6native6mbtopk29computeBlockwiseWithinKCountsIjsEEvPT_PsPjjibS6_PT0_S6_S4_S6_j
; %bb.0:
	s_clause 0x2
	s_load_dwordx4 s[16:19], s[4:5], 0x18
	s_load_dwordx2 s[0:1], s[4:5], 0x58
	s_load_dword s3, s[4:5], 0x50
	s_waitcnt lgkmcnt(0)
	v_cvt_f32_u32_e32 v1, s16
	s_mul_i32 s1, s1, s8
	s_add_i32 s1, s1, s7
	v_rcp_iflag_f32_e32 v1, v1
	s_mul_i32 s0, s1, s0
	s_add_i32 s2, s0, s6
	s_cmp_ge_u32 s2, s3
	v_mul_f32_e32 v1, 0x4f7ffffe, v1
	v_cvt_u32_f32_e32 v1, v1
	v_readfirstlane_b32 s0, v1
	s_cbranch_scc1 .LBB54_40
; %bb.1:
	s_sub_i32 s1, 0, s16
	v_cmp_gt_u32_e32 vcc_lo, 0x100, v0
	s_mul_i32 s1, s1, s0
	s_load_dwordx4 s[20:23], s[4:5], 0x0
	s_mul_hi_u32 s1, s0, s1
	s_add_i32 s3, s0, s1
	s_load_dwordx2 s[0:1], s[4:5], 0x10
	s_mul_hi_u32 s6, s2, s3
	s_mul_i32 s3, s6, s16
	s_add_i32 s8, s6, 1
	s_sub_i32 s7, s2, s3
	s_mov_b32 s3, 0
	s_sub_i32 s9, s7, s16
	s_cmp_ge_u32 s7, s16
	s_mov_b32 s25, s3
	s_cselect_b32 s6, s8, s6
	s_cselect_b32 s7, s9, s7
	s_add_i32 s8, s6, 1
	s_cmp_ge_u32 s7, s16
	s_cselect_b32 s24, s8, s6
	s_lshl_b64 s[6:7], s[24:25], 2
	s_waitcnt lgkmcnt(0)
	s_add_u32 s8, s0, s6
	s_addc_u32 s9, s1, s7
	s_and_saveexec_b32 s1, vcc_lo
	s_cbranch_execz .LBB54_8
; %bb.2:
	s_mul_i32 s0, s24, s16
	s_mov_b32 s11, s3
	s_lshl_b32 s10, s0, 8
	v_lshlrev_b32_e32 v1, 1, v0
	s_lshl_b64 s[10:11], s[10:11], 1
	v_mov_b32_e32 v3, 0
	s_add_u32 s0, s22, s10
	s_addc_u32 s10, s23, s11
	v_add_co_u32 v1, s0, s0, v1
	v_add_co_ci_u32_e64 v2, null, s10, 0, s0
	s_cmp_lt_u32 s16, 4
	s_cbranch_scc1 .LBB54_41
; %bb.3:
	v_mov_b32_e32 v3, 0
	s_mov_b32 s10, 0
	.p2align	6
.LBB54_4:                               ; =>This Inner Loop Header: Depth=1
	s_clause 0x3
	global_load_sshort v4, v[1:2], off
	global_load_sshort v5, v[1:2], off offset:512
	global_load_sshort v6, v[1:2], off offset:1024
	;; [unrolled: 1-line block ×3, first 2 shown]
	v_add_co_u32 v1, s0, 0x800, v1
	v_add_co_ci_u32_e64 v2, null, 0, v2, s0
	s_add_i32 s0, s10, 7
	s_add_i32 s10, s10, 4
	s_cmp_ge_u32 s0, s16
	s_waitcnt vmcnt(2)
	v_add3_u32 v3, v3, v4, v5
	s_waitcnt vmcnt(0)
	v_add3_u32 v3, v3, v6, v7
	s_cbranch_scc0 .LBB54_4
; %bb.5:
	s_cmp_ge_u32 s10, s16
	s_cbranch_scc1 .LBB54_7
.LBB54_6:                               ; =>This Inner Loop Header: Depth=1
	global_load_sshort v4, v[1:2], off
	v_add_co_u32 v1, s0, 0x200, v1
	v_add_co_ci_u32_e64 v2, null, 0, v2, s0
	s_add_i32 s10, s10, 1
	s_cmp_lt_u32 s10, s16
	s_waitcnt vmcnt(0)
	v_add_nc_u32_e32 v3, v3, v4
	s_cbranch_scc1 .LBB54_6
.LBB54_7:
	v_lshlrev_b32_e32 v1, 2, v0
	ds_write_b32 v1, v3 offset:1056
.LBB54_8:
	s_or_b32 exec_lo, exec_lo, s1
	s_load_dword s19, s[8:9], 0x0
	v_mov_b32_e32 v5, 0
	v_lshlrev_b32_e32 v1, 2, v0
	s_waitcnt lgkmcnt(0)
	s_barrier
	buffer_gl0_inv
	s_and_saveexec_b32 s0, vcc_lo
; %bb.9:
	ds_read_b32 v5, v1 offset:1056
; %bb.10:
	s_or_b32 exec_lo, exec_lo, s0
	v_lshrrev_b32_e32 v3, 5, v0
	v_cmp_gt_u32_e64 s0, 32, v0
	v_mbcnt_lo_u32_b32 v2, -1, 0
	v_lshl_add_u32 v4, v3, 2, v1
	s_waitcnt lgkmcnt(0)
	ds_write_b32 v4, v5
	s_waitcnt lgkmcnt(0)
	s_barrier
	buffer_gl0_inv
	s_and_saveexec_b32 s8, s0
	s_cbranch_execz .LBB54_12
; %bb.11:
	v_and_b32_e32 v6, 0xfc, v0
	v_lshl_add_u32 v14, v0, 5, v6
	ds_read2_b32 v[6:7], v14 offset1:1
	ds_read2_b32 v[8:9], v14 offset0:2 offset1:3
	ds_read2_b32 v[10:11], v14 offset0:4 offset1:5
	;; [unrolled: 1-line block ×3, first 2 shown]
	; wave barrier
	s_waitcnt lgkmcnt(3)
	v_add_nc_u32_e32 v7, v7, v6
	s_waitcnt lgkmcnt(2)
	v_add3_u32 v7, v7, v8, v9
	v_and_b32_e32 v8, 15, v2
	s_waitcnt lgkmcnt(1)
	v_add3_u32 v7, v7, v10, v11
	v_cmp_ne_u32_e64 s1, 0, v8
	v_bfe_i32 v10, v2, 4, 1
	s_waitcnt lgkmcnt(0)
	v_add3_u32 v7, v7, v12, v13
	v_mov_b32_dpp v9, v7 row_shr:1 row_mask:0xf bank_mask:0xf
	v_cndmask_b32_e64 v9, 0, v9, s1
	v_cmp_lt_u32_e64 s1, 1, v8
	v_add_nc_u32_e32 v7, v9, v7
	v_mov_b32_dpp v9, v7 row_shr:2 row_mask:0xf bank_mask:0xf
	v_cndmask_b32_e64 v9, 0, v9, s1
	v_cmp_lt_u32_e64 s1, 3, v8
	v_add_nc_u32_e32 v7, v7, v9
	;; [unrolled: 4-line block ×3, first 2 shown]
	v_mov_b32_dpp v9, v7 row_shr:8 row_mask:0xf bank_mask:0xf
	v_cndmask_b32_e64 v8, 0, v9, s1
	v_add_nc_u32_e32 v9, -1, v2
	v_add_nc_u32_e32 v7, v7, v8
	v_cmp_gt_i32_e64 s1, 0, v9
	ds_swizzle_b32 v8, v7 offset:swizzle(BROADCAST,32,15)
	v_cndmask_b32_e64 v9, v9, v2, s1
	v_cmp_eq_u32_e64 s1, 0, v0
	v_lshlrev_b32_e32 v9, 2, v9
	s_waitcnt lgkmcnt(0)
	v_and_b32_e32 v8, v10, v8
	v_add_nc_u32_e32 v7, v7, v8
	ds_bpermute_b32 v7, v9, v7
	s_waitcnt lgkmcnt(0)
	v_add_nc_u32_e32 v6, v7, v6
	v_cndmask_b32_e64 v11, v6, v5, s1
	ds_write_b32 v14, v11
	; wave barrier
	ds_read2_b32 v[5:6], v14 offset0:1 offset1:2
	ds_read2_b32 v[7:8], v14 offset0:3 offset1:4
	ds_read2_b32 v[9:10], v14 offset0:5 offset1:6
	ds_read_b32 v12, v14 offset:28
	s_waitcnt lgkmcnt(3)
	v_add_nc_u32_e32 v5, v5, v11
	v_add_nc_u32_e32 v6, v6, v5
	s_waitcnt lgkmcnt(2)
	v_add_nc_u32_e32 v7, v7, v6
	v_add_nc_u32_e32 v8, v8, v7
	;; [unrolled: 3-line block ×3, first 2 shown]
	s_waitcnt lgkmcnt(0)
	v_add_nc_u32_e32 v11, v12, v10
	ds_write2_b32 v14, v5, v6 offset0:1 offset1:2
	ds_write2_b32 v14, v7, v8 offset0:3 offset1:4
	;; [unrolled: 1-line block ×3, first 2 shown]
	ds_write_b32 v14, v11 offset:28
.LBB54_12:
	s_or_b32 exec_lo, exec_lo, s8
	s_waitcnt lgkmcnt(0)
	s_barrier
	buffer_gl0_inv
	ds_read_b32 v5, v4
	s_waitcnt lgkmcnt(0)
	s_barrier
	buffer_gl0_inv
	s_and_saveexec_b32 s1, vcc_lo
; %bb.13:
	ds_write_b32 v1, v5 offset:1056
; %bb.14:
	s_or_b32 exec_lo, exec_lo, s1
	s_clause 0x1
	s_load_dwordx8 s[8:15], s[4:5], 0x28
	s_load_dwordx2 s[4:5], s[4:5], 0x48
	s_waitcnt lgkmcnt(0)
	s_barrier
	buffer_gl0_inv
	s_and_saveexec_b32 s26, vcc_lo
	s_cbranch_execz .LBB54_23
; %bb.15:
	v_mov_b32_e32 v4, 0
	s_mov_b32 s1, exec_lo
	v_cmpx_ne_u32_e32 0, v0
; %bb.16:
	ds_read_b32 v4, v1 offset:1052
; %bb.17:
	s_or_b32 exec_lo, exec_lo, s1
	s_waitcnt lgkmcnt(0)
	v_cmp_gt_u32_e32 vcc_lo, s19, v4
	v_cmp_le_u32_e64 s1, s19, v5
	s_and_b32 s1, vcc_lo, s1
	s_and_b32 exec_lo, exec_lo, s1
	s_cbranch_execz .LBB54_23
; %bb.18:
	v_mov_b32_e32 v5, 0
	s_add_u32 s20, s20, s6
	s_addc_u32 s21, s21, s7
	s_lshl_b32 s1, 0xff, s17
	v_not_b32_e32 v7, s1
	global_load_dword v6, v5, s[20:21]
	s_mul_i32 s1, s24, s16
	s_cmp_lg_u32 s2, s1
	s_waitcnt vmcnt(0)
	v_and_b32_e32 v6, v6, v7
	v_lshl_or_b32 v6, v0, s17, v6
	ds_write_b32 v5, v6 offset:2112
	s_cbranch_scc1 .LBB54_23
; %bb.19:
	s_add_u32 s14, s14, s6
	s_addc_u32 s15, s15, s7
	s_cmp_lt_i32 s17, 1
	s_mov_b32 s1, -1
	global_store_dword v5, v6, s[14:15]
	s_cbranch_scc0 .LBB54_21
; %bb.20:
	v_xor_b32_e32 v5, 0xffff8000, v6
	s_lshl_b64 s[14:15], s[24:25], 1
	v_mov_b32_e32 v6, 0
	s_add_u32 s10, s10, s14
	s_addc_u32 s11, s11, s15
	s_mov_b32 s1, 0
	global_store_short v6, v5, s[10:11]
.LBB54_21:
	s_andn2_b32 vcc_lo, exec_lo, s1
	s_cbranch_vccnz .LBB54_23
; %bb.22:
	v_sub_nc_u32_e32 v4, s19, v4
	v_mov_b32_e32 v5, 0
	s_add_u32 s6, s12, s6
	s_addc_u32 s7, s13, s7
	global_store_dword v5, v4, s[6:7]
.LBB54_23:
	s_or_b32 exec_lo, exec_lo, s26
	v_mov_b32_e32 v4, 0
	s_waitcnt lgkmcnt(0)
	s_waitcnt_vscnt null, 0x0
	s_barrier
	buffer_gl0_inv
	s_bitcmp0_b32 s18, 0
	ds_read_b32 v4, v4 offset:2112
	s_mov_b32 s1, 0
	s_waitcnt lgkmcnt(0)
	v_lshrrev_b32_e32 v4, s17, v4
	s_cbranch_scc0 .LBB54_25
; %bb.24:
	v_and_b32_e32 v5, 0xe0, v0
	v_cmp_lt_u32_sdwa s6, v0, v4 src0_sel:DWORD src1_sel:BYTE_0
	v_cmp_lt_u32_sdwa s7, v5, v4 src0_sel:DWORD src1_sel:BYTE_0
	s_andn2_b32 vcc_lo, exec_lo, s1
	s_cbranch_vccz .LBB54_26
	s_branch .LBB54_27
.LBB54_25:
                                        ; implicit-def: $sgpr6
                                        ; implicit-def: $sgpr7
.LBB54_26:
	v_or_b32_e32 v5, 31, v0
	v_cmp_gt_u32_sdwa s1, v0, v4 src0_sel:DWORD src1_sel:BYTE_0
	s_andn2_b32 s6, s6, exec_lo
	s_andn2_b32 s7, s7, exec_lo
	v_cmp_gt_u32_sdwa s10, v5, v4 src0_sel:DWORD src1_sel:BYTE_0
	s_and_b32 s1, s1, exec_lo
	s_or_b32 s6, s6, s1
	s_and_b32 s10, s10, exec_lo
	s_or_b32 s7, s7, s10
.LBB54_27:
	v_mov_b32_e32 v4, 0
	s_and_saveexec_b32 s1, s7
	s_cbranch_execz .LBB54_31
; %bb.28:
	v_mov_b32_e32 v4, 0
	s_and_saveexec_b32 s7, s6
	s_cbranch_execz .LBB54_30
; %bb.29:
	s_lshl_b32 s10, s2, 8
	s_mov_b32 s11, 0
	v_lshlrev_b32_e32 v4, 1, v0
	s_lshl_b64 s[10:11], s[10:11], 1
	s_add_u32 s10, s22, s10
	s_addc_u32 s11, s23, s11
	global_load_sshort v4, v4, s[10:11]
.LBB54_30:
	s_or_b32 exec_lo, exec_lo, s7
	v_lshl_or_b32 v5, v2, 2, 64
	v_cmp_gt_u32_e32 vcc_lo, 24, v2
	s_waitcnt vmcnt(0)
	ds_bpermute_b32 v5, v5, v4
	v_cndmask_b32_e64 v6, 0, 8, vcc_lo
	v_cmp_gt_u32_e32 vcc_lo, 28, v2
	v_add_lshl_u32 v6, v6, v2, 2
	s_waitcnt lgkmcnt(0)
	v_add_nc_u32_e32 v4, v5, v4
	ds_bpermute_b32 v5, v6, v4
	v_cndmask_b32_e64 v6, 0, 4, vcc_lo
	v_cmp_gt_u32_e32 vcc_lo, 30, v2
	v_add_lshl_u32 v6, v6, v2, 2
	s_waitcnt lgkmcnt(0)
	v_add_nc_u32_e32 v4, v5, v4
	ds_bpermute_b32 v5, v6, v4
	v_cndmask_b32_e64 v6, 0, 2, vcc_lo
	v_cmp_ne_u32_e32 vcc_lo, 31, v2
	v_add_lshl_u32 v6, v6, v2, 2
	s_waitcnt lgkmcnt(0)
	v_add_nc_u32_e32 v4, v5, v4
	ds_bpermute_b32 v5, v6, v4
	v_add_co_ci_u32_e64 v6, null, 0, v2, vcc_lo
	s_waitcnt lgkmcnt(0)
	v_add_nc_u32_e32 v4, v5, v4
	v_lshlrev_b32_e32 v5, 2, v6
	ds_bpermute_b32 v5, v5, v4
	s_waitcnt lgkmcnt(0)
	v_add_nc_u32_e32 v4, v5, v4
.LBB54_31:
	s_or_b32 exec_lo, exec_lo, s1
	v_and_b32_e32 v5, 31, v0
	s_mov_b32 s1, exec_lo
	v_cmpx_eq_u32_e32 0, v5
; %bb.32:
	v_lshlrev_b32_e32 v3, 2, v3
	ds_write_b32 v3, v4 offset:2080
; %bb.33:
	s_or_b32 exec_lo, exec_lo, s1
	s_waitcnt lgkmcnt(0)
	s_barrier
	buffer_gl0_inv
	s_and_saveexec_b32 s1, s0
	s_cbranch_execz .LBB54_40
; %bb.34:
	v_mov_b32_e32 v3, 0
	s_mov_b32 s0, exec_lo
	v_cmpx_gt_u32_e32 8, v0
; %bb.35:
	ds_read_b32 v3, v1 offset:2080
; %bb.36:
	s_or_b32 exec_lo, exec_lo, s0
	v_cmp_gt_u32_e32 vcc_lo, 28, v2
	s_mov_b32 s0, exec_lo
	v_cndmask_b32_e64 v1, 0, 4, vcc_lo
	v_cmp_gt_u32_e32 vcc_lo, 30, v2
	v_add_lshl_u32 v1, v1, v2, 2
	v_cndmask_b32_e64 v4, 0, 2, vcc_lo
	v_cmp_ne_u32_e32 vcc_lo, 31, v2
	s_waitcnt lgkmcnt(0)
	ds_bpermute_b32 v1, v1, v3
	v_add_lshl_u32 v4, v4, v2, 2
	v_add_co_ci_u32_e64 v2, null, 0, v2, vcc_lo
	v_lshlrev_b32_e32 v2, 2, v2
	s_waitcnt lgkmcnt(0)
	v_add_nc_u32_e32 v1, v1, v3
	ds_bpermute_b32 v3, v4, v1
	s_waitcnt lgkmcnt(0)
	v_add_nc_u32_e32 v1, v3, v1
	ds_bpermute_b32 v2, v2, v1
	v_cmpx_eq_u32_e32 0, v0
	s_cbranch_execz .LBB54_38
; %bb.37:
	s_lshl_b64 s[6:7], s[2:3], 2
	v_mov_b32_e32 v3, 0
	s_add_u32 s6, s8, s6
	s_addc_u32 s7, s9, s7
	global_load_dword v4, v3, s[6:7]
	s_waitcnt vmcnt(0) lgkmcnt(0)
	v_add3_u32 v1, v2, v1, v4
	global_store_dword v3, v1, s[6:7]
.LBB54_38:
	s_or_b32 exec_lo, exec_lo, s0
	v_or_b32_e32 v0, s17, v0
	v_cmp_eq_u32_e32 vcc_lo, 0, v0
	s_and_b32 exec_lo, exec_lo, vcc_lo
	s_cbranch_execz .LBB54_40
; %bb.39:
	v_mov_b32_e32 v0, 0
	s_waitcnt lgkmcnt(0)
	v_mov_b32_e32 v2, 1
	s_lshl_b32 s0, s2, 8
	s_mov_b32 s1, 0
	s_lshl_b64 s[0:1], s[0:1], 1
	ds_read_b32 v1, v0 offset:2112
	s_add_u32 s0, s22, s0
	s_addc_u32 s1, s23, s1
	s_waitcnt lgkmcnt(0)
	v_lshlrev_b32_sdwa v1, v2, v1 dst_sel:DWORD dst_unused:UNUSED_PAD src0_sel:DWORD src1_sel:BYTE_0
	global_load_sshort v1, v1, s[0:1]
	s_lshl_b64 s[0:1], s[2:3], 2
	s_add_u32 s0, s4, s0
	s_addc_u32 s1, s5, s1
	s_waitcnt vmcnt(0)
	global_store_dword v0, v1, s[0:1]
.LBB54_40:
	s_endpgm
.LBB54_41:
	s_mov_b32 s10, s3
	s_cmp_ge_u32 s10, s16
	s_cbranch_scc0 .LBB54_6
	s_branch .LBB54_7
	.section	.rodata,"a",@progbits
	.p2align	6, 0x0
	.amdhsa_kernel _ZN2at6native6mbtopk29computeBlockwiseWithinKCountsIjsEEvPT_PsPjjibS6_PT0_S6_S4_S6_j
		.amdhsa_group_segment_fixed_size 2116
		.amdhsa_private_segment_fixed_size 0
		.amdhsa_kernarg_size 344
		.amdhsa_user_sgpr_count 6
		.amdhsa_user_sgpr_private_segment_buffer 1
		.amdhsa_user_sgpr_dispatch_ptr 0
		.amdhsa_user_sgpr_queue_ptr 0
		.amdhsa_user_sgpr_kernarg_segment_ptr 1
		.amdhsa_user_sgpr_dispatch_id 0
		.amdhsa_user_sgpr_flat_scratch_init 0
		.amdhsa_user_sgpr_private_segment_size 0
		.amdhsa_wavefront_size32 1
		.amdhsa_uses_dynamic_stack 0
		.amdhsa_system_sgpr_private_segment_wavefront_offset 0
		.amdhsa_system_sgpr_workgroup_id_x 1
		.amdhsa_system_sgpr_workgroup_id_y 1
		.amdhsa_system_sgpr_workgroup_id_z 1
		.amdhsa_system_sgpr_workgroup_info 0
		.amdhsa_system_vgpr_workitem_id 0
		.amdhsa_next_free_vgpr 15
		.amdhsa_next_free_sgpr 27
		.amdhsa_reserve_vcc 1
		.amdhsa_reserve_flat_scratch 0
		.amdhsa_float_round_mode_32 0
		.amdhsa_float_round_mode_16_64 0
		.amdhsa_float_denorm_mode_32 3
		.amdhsa_float_denorm_mode_16_64 3
		.amdhsa_dx10_clamp 1
		.amdhsa_ieee_mode 1
		.amdhsa_fp16_overflow 0
		.amdhsa_workgroup_processor_mode 1
		.amdhsa_memory_ordered 1
		.amdhsa_forward_progress 1
		.amdhsa_shared_vgpr_count 0
		.amdhsa_exception_fp_ieee_invalid_op 0
		.amdhsa_exception_fp_denorm_src 0
		.amdhsa_exception_fp_ieee_div_zero 0
		.amdhsa_exception_fp_ieee_overflow 0
		.amdhsa_exception_fp_ieee_underflow 0
		.amdhsa_exception_fp_ieee_inexact 0
		.amdhsa_exception_int_div_zero 0
	.end_amdhsa_kernel
	.section	.text._ZN2at6native6mbtopk29computeBlockwiseWithinKCountsIjsEEvPT_PsPjjibS6_PT0_S6_S4_S6_j,"axG",@progbits,_ZN2at6native6mbtopk29computeBlockwiseWithinKCountsIjsEEvPT_PsPjjibS6_PT0_S6_S4_S6_j,comdat
.Lfunc_end54:
	.size	_ZN2at6native6mbtopk29computeBlockwiseWithinKCountsIjsEEvPT_PsPjjibS6_PT0_S6_S4_S6_j, .Lfunc_end54-_ZN2at6native6mbtopk29computeBlockwiseWithinKCountsIjsEEvPT_PsPjjibS6_PT0_S6_S4_S6_j
                                        ; -- End function
	.set _ZN2at6native6mbtopk29computeBlockwiseWithinKCountsIjsEEvPT_PsPjjibS6_PT0_S6_S4_S6_j.num_vgpr, 15
	.set _ZN2at6native6mbtopk29computeBlockwiseWithinKCountsIjsEEvPT_PsPjjibS6_PT0_S6_S4_S6_j.num_agpr, 0
	.set _ZN2at6native6mbtopk29computeBlockwiseWithinKCountsIjsEEvPT_PsPjjibS6_PT0_S6_S4_S6_j.numbered_sgpr, 27
	.set _ZN2at6native6mbtopk29computeBlockwiseWithinKCountsIjsEEvPT_PsPjjibS6_PT0_S6_S4_S6_j.num_named_barrier, 0
	.set _ZN2at6native6mbtopk29computeBlockwiseWithinKCountsIjsEEvPT_PsPjjibS6_PT0_S6_S4_S6_j.private_seg_size, 0
	.set _ZN2at6native6mbtopk29computeBlockwiseWithinKCountsIjsEEvPT_PsPjjibS6_PT0_S6_S4_S6_j.uses_vcc, 1
	.set _ZN2at6native6mbtopk29computeBlockwiseWithinKCountsIjsEEvPT_PsPjjibS6_PT0_S6_S4_S6_j.uses_flat_scratch, 0
	.set _ZN2at6native6mbtopk29computeBlockwiseWithinKCountsIjsEEvPT_PsPjjibS6_PT0_S6_S4_S6_j.has_dyn_sized_stack, 0
	.set _ZN2at6native6mbtopk29computeBlockwiseWithinKCountsIjsEEvPT_PsPjjibS6_PT0_S6_S4_S6_j.has_recursion, 0
	.set _ZN2at6native6mbtopk29computeBlockwiseWithinKCountsIjsEEvPT_PsPjjibS6_PT0_S6_S4_S6_j.has_indirect_call, 0
	.section	.AMDGPU.csdata,"",@progbits
; Kernel info:
; codeLenInByte = 2052
; TotalNumSgprs: 29
; NumVgprs: 15
; ScratchSize: 0
; MemoryBound: 0
; FloatMode: 240
; IeeeMode: 1
; LDSByteSize: 2116 bytes/workgroup (compile time only)
; SGPRBlocks: 0
; VGPRBlocks: 1
; NumSGPRsForWavesPerEU: 29
; NumVGPRsForWavesPerEU: 15
; Occupancy: 16
; WaveLimiterHint : 1
; COMPUTE_PGM_RSRC2:SCRATCH_EN: 0
; COMPUTE_PGM_RSRC2:USER_SGPR: 6
; COMPUTE_PGM_RSRC2:TRAP_HANDLER: 0
; COMPUTE_PGM_RSRC2:TGID_X_EN: 1
; COMPUTE_PGM_RSRC2:TGID_Y_EN: 1
; COMPUTE_PGM_RSRC2:TGID_Z_EN: 1
; COMPUTE_PGM_RSRC2:TIDIG_COMP_CNT: 0
	.section	.text._ZN2at6native6mbtopk10gatherTopKIsjLi1EEEvNS_4cuda6detail10TensorInfoIKT_T0_EES8_S8_bjS8_NS5_IS6_S8_EES8_NS5_IlS8_EES8_jjPS6_PjSD_j,"axG",@progbits,_ZN2at6native6mbtopk10gatherTopKIsjLi1EEEvNS_4cuda6detail10TensorInfoIKT_T0_EES8_S8_bjS8_NS5_IS6_S8_EES8_NS5_IlS8_EES8_jjPS6_PjSD_j,comdat
	.protected	_ZN2at6native6mbtopk10gatherTopKIsjLi1EEEvNS_4cuda6detail10TensorInfoIKT_T0_EES8_S8_bjS8_NS5_IS6_S8_EES8_NS5_IlS8_EES8_jjPS6_PjSD_j ; -- Begin function _ZN2at6native6mbtopk10gatherTopKIsjLi1EEEvNS_4cuda6detail10TensorInfoIKT_T0_EES8_S8_bjS8_NS5_IS6_S8_EES8_NS5_IlS8_EES8_jjPS6_PjSD_j
	.globl	_ZN2at6native6mbtopk10gatherTopKIsjLi1EEEvNS_4cuda6detail10TensorInfoIKT_T0_EES8_S8_bjS8_NS5_IS6_S8_EES8_NS5_IlS8_EES8_jjPS6_PjSD_j
	.p2align	8
	.type	_ZN2at6native6mbtopk10gatherTopKIsjLi1EEEvNS_4cuda6detail10TensorInfoIKT_T0_EES8_S8_bjS8_NS5_IS6_S8_EES8_NS5_IlS8_EES8_jjPS6_PjSD_j,@function
_ZN2at6native6mbtopk10gatherTopKIsjLi1EEEvNS_4cuda6detail10TensorInfoIKT_T0_EES8_S8_bjS8_NS5_IS6_S8_EES8_NS5_IlS8_EES8_jjPS6_PjSD_j: ; @_ZN2at6native6mbtopk10gatherTopKIsjLi1EEEvNS_4cuda6detail10TensorInfoIKT_T0_EES8_S8_bjS8_NS5_IS6_S8_EES8_NS5_IlS8_EES8_jjPS6_PjSD_j
; %bb.0:
	s_clause 0x1
	s_load_dwordx2 s[0:1], s[4:5], 0x2d8
	s_load_dword s2, s[4:5], 0x2d0
	s_waitcnt lgkmcnt(0)
	s_mul_i32 s1, s1, s8
	s_add_i32 s1, s1, s7
	s_mul_i32 s0, s1, s0
	s_add_i32 s0, s0, s6
	s_cmp_ge_u32 s0, s2
	s_cbranch_scc1 .LBB55_40
; %bb.1:
	s_load_dwordx8 s[8:15], s[4:5], 0x2a8
	s_mov_b32 s23, 0
	s_waitcnt lgkmcnt(0)
	v_cvt_f32_u32_e32 v1, s10
	s_sub_i32 s2, 0, s10
	v_rcp_iflag_f32_e32 v1, v1
	v_mul_f32_e32 v1, 0x4f7ffffe, v1
	v_cvt_u32_f32_e32 v1, v1
	v_readfirstlane_b32 s1, v1
	v_mov_b32_e32 v1, 0
	s_mul_i32 s2, s2, s1
	s_mul_hi_u32 s2, s1, s2
	s_add_i32 s1, s1, s2
	s_mul_hi_u32 s1, s0, s1
	s_mul_i32 s2, s1, s10
	s_add_i32 s3, s1, 1
	s_sub_i32 s2, s0, s2
	s_sub_i32 s6, s2, s10
	s_cmp_ge_u32 s2, s10
	s_cselect_b32 s1, s3, s1
	s_cselect_b32 s2, s6, s2
	s_add_i32 s3, s1, 1
	s_cmp_ge_u32 s2, s10
	s_cselect_b32 s22, s3, s1
	s_mul_i32 s16, s22, s10
	s_lshl_b64 s[2:3], s[22:23], 1
	s_sub_i32 s11, s0, s16
	s_add_u32 s0, s12, s2
	s_addc_u32 s1, s13, s3
	global_load_ushort v6, v1, s[0:1]
	s_clause 0x2
	s_load_dwordx2 s[2:3], s[4:5], 0x1d0
	s_load_dwordx2 s[6:7], s[4:5], 0xf0
	;; [unrolled: 1-line block ×3, first 2 shown]
	v_cmp_ne_u32_e64 s0, 0, v0
	v_cmp_eq_u32_e64 s1, 0, v0
	s_and_saveexec_b32 s28, s1
	s_cbranch_execz .LBB55_17
; %bb.2:
	s_load_dwordx2 s[12:13], s[4:5], 0x2c8
	s_mov_b32 s17, s23
	s_lshl_b64 s[24:25], s[16:17], 2
	s_add_u32 s16, s14, s24
	s_addc_u32 s17, s15, s25
	s_waitcnt lgkmcnt(0)
	s_add_u32 s18, s12, s24
	s_addc_u32 s19, s13, s25
	s_cmp_lt_u32 s10, 4
	s_cbranch_scc1 .LBB55_14
; %bb.3:
	s_mov_b32 s29, s23
	s_mov_b32 s30, s23
	;; [unrolled: 1-line block ×3, first 2 shown]
.LBB55_4:                               ; =>This Inner Loop Header: Depth=1
	s_add_u32 s16, s14, s24
	s_addc_u32 s17, s15, s25
	s_add_u32 s26, s12, s24
	s_load_dwordx4 s[16:19], s[16:17], 0x0
	s_addc_u32 s27, s13, s25
	s_cmp_ge_u32 s31, s11
	s_cbranch_scc0 .LBB55_11
; %bb.5:                                ;   in Loop: Header=BB55_4 Depth=1
	s_add_i32 s33, s31, 1
	s_cmp_ge_u32 s33, s11
	s_cbranch_scc0 .LBB55_12
.LBB55_6:                               ;   in Loop: Header=BB55_4 Depth=1
	s_add_i32 s33, s33, 1
	s_cmp_ge_u32 s33, s11
	s_cbranch_scc0 .LBB55_13
.LBB55_7:                               ;   in Loop: Header=BB55_4 Depth=1
	s_add_i32 s33, s33, 1
	s_cmp_ge_u32 s33, s11
	s_cbranch_scc1 .LBB55_9
.LBB55_8:                               ;   in Loop: Header=BB55_4 Depth=1
	s_load_dword s26, s[26:27], 0xc
	s_waitcnt lgkmcnt(0)
	s_add_i32 s23, s23, s19
	s_add_i32 s29, s26, s29
.LBB55_9:                               ;   in Loop: Header=BB55_4 Depth=1
	s_waitcnt lgkmcnt(0)
	s_add_i32 s16, s16, s30
	s_add_i32 s16, s16, s17
	;; [unrolled: 1-line block ×4, first 2 shown]
	s_add_u32 s14, s14, 16
	s_addc_u32 s15, s15, 0
	s_add_u32 s12, s12, 16
	s_addc_u32 s13, s13, 0
	s_add_i32 s27, s33, 4
	s_add_u32 s18, s12, s24
	s_addc_u32 s19, s13, s25
	s_add_u32 s16, s14, s24
	s_addc_u32 s17, s15, s25
	s_add_i32 s26, s33, 1
	s_cmp_ge_u32 s27, s10
	s_cbranch_scc1 .LBB55_15
; %bb.10:                               ;   in Loop: Header=BB55_4 Depth=1
	s_mov_b32 s31, s26
	s_branch .LBB55_4
.LBB55_11:                              ;   in Loop: Header=BB55_4 Depth=1
	s_load_dword s33, s[26:27], 0x0
	s_waitcnt lgkmcnt(0)
	s_add_i32 s23, s16, s23
	s_add_i32 s29, s33, s29
	;; [unrolled: 1-line block ×3, first 2 shown]
	s_cmp_ge_u32 s33, s11
	s_cbranch_scc1 .LBB55_6
.LBB55_12:                              ;   in Loop: Header=BB55_4 Depth=1
	s_load_dword s34, s[26:27], 0x4
	s_waitcnt lgkmcnt(0)
	s_add_i32 s23, s23, s17
	s_add_i32 s29, s34, s29
	;; [unrolled: 1-line block ×3, first 2 shown]
	s_cmp_ge_u32 s33, s11
	s_cbranch_scc1 .LBB55_7
.LBB55_13:                              ;   in Loop: Header=BB55_4 Depth=1
	s_load_dword s34, s[26:27], 0x8
	s_waitcnt lgkmcnt(0)
	s_add_i32 s23, s23, s18
	s_add_i32 s29, s34, s29
	;; [unrolled: 1-line block ×3, first 2 shown]
	s_cmp_ge_u32 s33, s11
	s_cbranch_scc0 .LBB55_8
	s_branch .LBB55_9
.LBB55_14:
	s_mov_b32 s29, 0
	s_mov_b32 s30, 0
	;; [unrolled: 1-line block ×3, first 2 shown]
	s_cmp_ge_u32 s12, s10
	s_cbranch_scc0 .LBB55_38
	s_branch .LBB55_16
.LBB55_15:
	s_add_i32 s12, s31, 4
	s_cmp_ge_u32 s12, s10
	s_cbranch_scc0 .LBB55_38
.LBB55_16:
	v_mov_b32_e32 v1, s29
	v_mov_b32_e32 v2, s30
	;; [unrolled: 1-line block ×4, first 2 shown]
	ds_write_b96 v4, v[1:3] offset:1056
.LBB55_17:
	s_or_b32 exec_lo, exec_lo, s28
	s_clause 0x3
	s_load_dword s17, s[4:5], 0x23c
	s_load_dword s18, s[4:5], 0x15c
	;; [unrolled: 1-line block ×3, first 2 shown]
	s_load_dwordx4 s[12:15], s[4:5], 0xd8
	s_waitcnt lgkmcnt(0)
	s_mul_i32 s15, s9, s11
	s_add_i32 s11, s11, 1
	s_lshl_b32 s16, s15, 8
	s_waitcnt vmcnt(0)
	s_barrier
	buffer_gl0_inv
	s_sub_i32 s15, s12, s16
	s_add_u32 s24, s15, 0xff
	s_addc_u32 s25, 0, 0
	s_lshr_b64 s[24:25], s[24:25], 8
	s_cmp_lt_u32 s11, s10
	s_mov_b32 s11, 0
	s_cselect_b32 s9, s9, s24
	s_cmp_eq_u32 s9, 0
	s_cbranch_scc1 .LBB55_40
; %bb.18:
	v_mov_b32_e32 v5, 0
	s_mul_i32 s10, s22, s19
	s_mul_i32 s18, s22, s18
	;; [unrolled: 1-line block ×3, first 2 shown]
	v_lshrrev_b32_e32 v4, 3, v0
	ds_read_b96 v[1:3], v5 offset:1056
	s_clause 0x1
	s_load_dword s17, s[4:5], 0xe8
	s_load_dword s4, s[4:5], 0x1c8
	v_add_nc_u32_e32 v12, -1, v0
	s_mov_b32 s19, s11
	v_and_b32_e32 v4, 28, v4
	s_mov_b32 s23, s11
	s_lshl_b64 s[10:11], s[10:11], 1
	v_lshrrev_b32_e32 v11, 3, v12
	s_add_u32 s5, s20, s10
	s_addc_u32 s10, s21, s11
	s_lshl_b64 s[18:19], s[18:19], 1
	v_lshl_add_u32 v10, v0, 2, v4
	v_and_b32_e32 v4, 0x1ffffffc, v11
	s_add_u32 s6, s6, s18
	v_mov_b32_e32 v7, 0x8000
	s_addc_u32 s7, s7, s19
	s_lshl_b64 s[18:19], s[22:23], 3
	v_lshlrev_b32_e32 v13, 5, v0
	v_mbcnt_lo_u32_b32 v11, -1, 0
	s_add_u32 s11, s2, s18
	s_waitcnt lgkmcnt(0)
	v_add_nc_u32_e32 v9, v1, v2
	v_add_nc_u32_e32 v1, s16, v0
	v_and_b32_e32 v2, 0xfc, v0
	v_cmp_gt_u32_e64 s2, 32, v0
	v_lshl_add_u32 v0, v12, 2, v4
	v_add_nc_u32_sdwa v8, sext(v6), v7 dst_sel:DWORD dst_unused:UNUSED_PAD src0_sel:WORD_0 src1_sel:DWORD
	v_mul_lo_u32 v4, s17, v1
	s_addc_u32 s15, s3, s19
	v_add_nc_u32_e32 v12, v2, v13
	v_and_b32_e32 v13, 15, v11
	v_bfe_i32 v14, v11, 4, 1
	v_add_nc_u32_e32 v15, -1, v11
	s_bitcmp1_b32 s14, 0
                                        ; implicit-def: $vgpr16
	s_cselect_b32 s3, -1, 0
	s_lshl_b32 s14, s17, 8
	s_branch .LBB55_21
.LBB55_19:                              ;   in Loop: Header=BB55_21 Depth=1
	s_or_b32 exec_lo, exec_lo, s16
	v_add_nc_u32_e32 v9, v19, v9
.LBB55_20:                              ;   in Loop: Header=BB55_21 Depth=1
	v_add_nc_u32_e32 v3, v18, v3
	v_add_nc_u32_e32 v4, s14, v4
	;; [unrolled: 1-line block ×3, first 2 shown]
	s_add_i32 s9, s9, -1
	s_cmp_lg_u32 s9, 0
	s_cbranch_scc0 .LBB55_40
.LBB55_21:                              ; =>This Inner Loop Header: Depth=1
	v_mov_b32_e32 v2, 0
	v_mov_b32_e32 v17, 0
	s_mov_b32 s16, exec_lo
	v_cmpx_gt_u32_e64 s12, v1
	s_cbranch_execz .LBB55_23
; %bb.22:                               ;   in Loop: Header=BB55_21 Depth=1
	v_lshlrev_b64 v[16:17], 1, v[4:5]
	v_add_co_u32 v16, vcc_lo, s5, v16
	v_add_co_ci_u32_e64 v17, null, s10, v17, vcc_lo
	global_load_ushort v16, v[16:17], off
	s_waitcnt vmcnt(0)
	v_add_nc_u32_sdwa v2, sext(v16), v7 dst_sel:DWORD dst_unused:UNUSED_PAD src0_sel:WORD_0 src1_sel:DWORD
	v_cmp_gt_u32_e32 vcc_lo, v2, v8
	v_cndmask_b32_e64 v17, 0, 1, vcc_lo
	v_cmp_lt_u32_e32 vcc_lo, v2, v8
	v_cndmask_b32_e64 v2, 0, 1, vcc_lo
	v_cmp_eq_u16_e32 vcc_lo, v16, v6
	v_cndmask_b32_e64 v2, v2, v17, s3
	v_cndmask_b32_e64 v17, 0, 1, vcc_lo
	v_and_b32_e32 v2, 1, v2
.LBB55_23:                              ;   in Loop: Header=BB55_21 Depth=1
	s_or_b32 exec_lo, exec_lo, s16
	ds_write_b32 v10, v2
	s_waitcnt lgkmcnt(0)
	s_barrier
	buffer_gl0_inv
	s_and_saveexec_b32 s16, s2
	s_cbranch_execz .LBB55_25
; %bb.24:                               ;   in Loop: Header=BB55_21 Depth=1
	ds_read2_b32 v[18:19], v12 offset1:1
	ds_read2_b32 v[20:21], v12 offset0:2 offset1:3
	ds_read2_b32 v[22:23], v12 offset0:4 offset1:5
	;; [unrolled: 1-line block ×3, first 2 shown]
	v_cmp_ne_u32_e32 vcc_lo, 0, v13
	; wave barrier
	s_waitcnt lgkmcnt(3)
	v_add_nc_u32_e32 v19, v19, v18
	s_waitcnt lgkmcnt(2)
	v_add3_u32 v19, v19, v20, v21
	s_waitcnt lgkmcnt(1)
	v_add3_u32 v19, v19, v22, v23
	;; [unrolled: 2-line block ×3, first 2 shown]
	v_mov_b32_dpp v20, v19 row_shr:1 row_mask:0xf bank_mask:0xf
	v_cndmask_b32_e32 v20, 0, v20, vcc_lo
	v_cmp_lt_u32_e32 vcc_lo, 1, v13
	v_add_nc_u32_e32 v19, v20, v19
	v_mov_b32_dpp v20, v19 row_shr:2 row_mask:0xf bank_mask:0xf
	v_cndmask_b32_e32 v20, 0, v20, vcc_lo
	v_cmp_lt_u32_e32 vcc_lo, 3, v13
	v_add_nc_u32_e32 v19, v19, v20
	;; [unrolled: 4-line block ×3, first 2 shown]
	v_mov_b32_dpp v20, v19 row_shr:8 row_mask:0xf bank_mask:0xf
	v_cndmask_b32_e32 v20, 0, v20, vcc_lo
	v_cmp_gt_i32_e32 vcc_lo, 0, v15
	v_add_nc_u32_e32 v19, v19, v20
	v_cndmask_b32_e32 v21, v15, v11, vcc_lo
	ds_swizzle_b32 v20, v19 offset:swizzle(BROADCAST,32,15)
	v_lshlrev_b32_e32 v21, 2, v21
	s_waitcnt lgkmcnt(0)
	v_and_b32_e32 v20, v14, v20
	v_add_nc_u32_e32 v19, v19, v20
	ds_bpermute_b32 v19, v21, v19
	s_waitcnt lgkmcnt(0)
	v_add_nc_u32_e32 v18, v19, v18
	v_cndmask_b32_e64 v24, v18, v2, s1
	ds_write_b32 v12, v24
	; wave barrier
	ds_read2_b32 v[18:19], v12 offset0:1 offset1:2
	ds_read2_b32 v[20:21], v12 offset0:3 offset1:4
	;; [unrolled: 1-line block ×3, first 2 shown]
	ds_read_b32 v25, v12 offset:28
	s_waitcnt lgkmcnt(3)
	v_add_nc_u32_e32 v18, v18, v24
	v_add_nc_u32_e32 v19, v19, v18
	s_waitcnt lgkmcnt(2)
	v_add_nc_u32_e32 v20, v20, v19
	v_add_nc_u32_e32 v21, v21, v20
	;; [unrolled: 3-line block ×3, first 2 shown]
	s_waitcnt lgkmcnt(0)
	v_add_nc_u32_e32 v24, v25, v23
	ds_write2_b32 v12, v18, v19 offset0:1 offset1:2
	ds_write2_b32 v12, v20, v21 offset0:3 offset1:4
	ds_write2_b32 v12, v22, v23 offset0:5 offset1:6
	ds_write_b32 v12, v24 offset:28
.LBB55_25:                              ;   in Loop: Header=BB55_21 Depth=1
	s_or_b32 exec_lo, exec_lo, s16
	v_mov_b32_e32 v19, 0
	s_waitcnt lgkmcnt(0)
	s_barrier
	buffer_gl0_inv
	s_and_saveexec_b32 s16, s0
; %bb.26:                               ;   in Loop: Header=BB55_21 Depth=1
	ds_read_b32 v19, v0
; %bb.27:                               ;   in Loop: Header=BB55_21 Depth=1
	s_or_b32 exec_lo, exec_lo, s16
	ds_read_b32 v18, v5 offset:1048
	s_mov_b32 s16, exec_lo
	s_waitcnt lgkmcnt(0)
	s_barrier
	buffer_gl0_inv
	v_cmpx_ne_u32_e32 0, v2
	s_cbranch_execz .LBB55_29
; %bb.28:                               ;   in Loop: Header=BB55_21 Depth=1
	v_add_nc_u32_e32 v2, v19, v3
	v_mov_b32_e32 v20, v5
	v_mov_b32_e32 v22, v5
	v_mul_lo_u32 v19, v2, s4
	v_mul_lo_u32 v21, v2, s8
	v_mov_b32_e32 v2, v5
	v_lshlrev_b64 v[19:20], 1, v[19:20]
	v_lshlrev_b64 v[21:22], 3, v[21:22]
	v_add_co_u32 v19, vcc_lo, s6, v19
	v_add_co_ci_u32_e64 v20, null, s7, v20, vcc_lo
	v_add_co_u32 v21, vcc_lo, s11, v21
	v_add_co_ci_u32_e64 v22, null, s15, v22, vcc_lo
	global_store_short v[19:20], v16, off
	global_store_dwordx2 v[21:22], v[1:2], off
.LBB55_29:                              ;   in Loop: Header=BB55_21 Depth=1
	s_or_b32 exec_lo, exec_lo, s16
	v_cmp_le_u32_e32 vcc_lo, s13, v9
	s_cbranch_vccnz .LBB55_20
; %bb.30:                               ;   in Loop: Header=BB55_21 Depth=1
	ds_write_b32 v10, v17
	s_waitcnt lgkmcnt(0)
	s_waitcnt_vscnt null, 0x0
	s_barrier
	buffer_gl0_inv
	s_and_saveexec_b32 s16, s2
	s_cbranch_execz .LBB55_32
; %bb.31:                               ;   in Loop: Header=BB55_21 Depth=1
	ds_read2_b32 v[19:20], v12 offset1:1
	ds_read2_b32 v[21:22], v12 offset0:2 offset1:3
	ds_read2_b32 v[23:24], v12 offset0:4 offset1:5
	;; [unrolled: 1-line block ×3, first 2 shown]
	v_cmp_ne_u32_e32 vcc_lo, 0, v13
	; wave barrier
	s_waitcnt lgkmcnt(3)
	v_add_nc_u32_e32 v2, v20, v19
	s_waitcnt lgkmcnt(2)
	v_add3_u32 v2, v2, v21, v22
	s_waitcnt lgkmcnt(1)
	v_add3_u32 v2, v2, v23, v24
	;; [unrolled: 2-line block ×3, first 2 shown]
	v_mov_b32_dpp v20, v2 row_shr:1 row_mask:0xf bank_mask:0xf
	v_cndmask_b32_e32 v20, 0, v20, vcc_lo
	v_cmp_lt_u32_e32 vcc_lo, 1, v13
	v_add_nc_u32_e32 v2, v20, v2
	v_mov_b32_dpp v20, v2 row_shr:2 row_mask:0xf bank_mask:0xf
	v_cndmask_b32_e32 v20, 0, v20, vcc_lo
	v_cmp_lt_u32_e32 vcc_lo, 3, v13
	v_add_nc_u32_e32 v2, v2, v20
	;; [unrolled: 4-line block ×3, first 2 shown]
	v_mov_b32_dpp v20, v2 row_shr:8 row_mask:0xf bank_mask:0xf
	v_cndmask_b32_e32 v20, 0, v20, vcc_lo
	v_cmp_gt_i32_e32 vcc_lo, 0, v15
	v_add_nc_u32_e32 v2, v2, v20
	v_cndmask_b32_e32 v21, v15, v11, vcc_lo
	ds_swizzle_b32 v20, v2 offset:swizzle(BROADCAST,32,15)
	v_lshlrev_b32_e32 v21, 2, v21
	s_waitcnt lgkmcnt(0)
	v_and_b32_e32 v20, v14, v20
	v_add_nc_u32_e32 v2, v2, v20
	ds_bpermute_b32 v2, v21, v2
	s_waitcnt lgkmcnt(0)
	v_add_nc_u32_e32 v2, v2, v19
	v_cndmask_b32_e64 v2, v2, v17, s1
	ds_write_b32 v12, v2
	; wave barrier
	ds_read2_b32 v[19:20], v12 offset0:1 offset1:2
	ds_read2_b32 v[21:22], v12 offset0:3 offset1:4
	;; [unrolled: 1-line block ×3, first 2 shown]
	ds_read_b32 v25, v12 offset:28
	s_waitcnt lgkmcnt(3)
	v_add_nc_u32_e32 v2, v19, v2
	v_add_nc_u32_e32 v19, v20, v2
	s_waitcnt lgkmcnt(2)
	v_add_nc_u32_e32 v20, v21, v19
	v_add_nc_u32_e32 v21, v22, v20
	;; [unrolled: 3-line block ×3, first 2 shown]
	s_waitcnt lgkmcnt(0)
	v_add_nc_u32_e32 v24, v25, v23
	ds_write2_b32 v12, v2, v19 offset0:1 offset1:2
	ds_write2_b32 v12, v20, v21 offset0:3 offset1:4
	;; [unrolled: 1-line block ×3, first 2 shown]
	ds_write_b32 v12, v24 offset:28
.LBB55_32:                              ;   in Loop: Header=BB55_21 Depth=1
	s_or_b32 exec_lo, exec_lo, s16
	v_mov_b32_e32 v2, 0
	s_waitcnt lgkmcnt(0)
	s_barrier
	buffer_gl0_inv
	s_and_saveexec_b32 s16, s0
; %bb.33:                               ;   in Loop: Header=BB55_21 Depth=1
	ds_read_b32 v2, v0
; %bb.34:                               ;   in Loop: Header=BB55_21 Depth=1
	s_or_b32 exec_lo, exec_lo, s16
	ds_read_b32 v19, v5 offset:1048
	s_mov_b32 s16, exec_lo
	s_waitcnt lgkmcnt(0)
	s_barrier
	buffer_gl0_inv
	v_cmpx_ne_u32_e32 0, v17
	s_cbranch_execz .LBB55_19
; %bb.35:                               ;   in Loop: Header=BB55_21 Depth=1
	v_add_nc_u32_e32 v2, v2, v9
	v_cmp_gt_u32_e32 vcc_lo, s13, v2
	s_and_b32 exec_lo, exec_lo, vcc_lo
	s_cbranch_execz .LBB55_19
; %bb.36:                               ;   in Loop: Header=BB55_21 Depth=1
	v_mul_lo_u32 v20, v2, s4
	v_mul_lo_u32 v22, v2, s8
	v_mov_b32_e32 v21, v5
	v_mov_b32_e32 v23, v5
	v_mov_b32_e32 v2, v5
	v_lshlrev_b64 v[20:21], 1, v[20:21]
	v_lshlrev_b64 v[22:23], 3, v[22:23]
	v_add_co_u32 v20, vcc_lo, s6, v20
	v_add_co_ci_u32_e64 v21, null, s7, v21, vcc_lo
	v_add_co_u32 v22, vcc_lo, s11, v22
	v_add_co_ci_u32_e64 v23, null, s15, v23, vcc_lo
	global_store_short v[20:21], v16, off
	global_store_dwordx2 v[22:23], v[1:2], off
	s_branch .LBB55_19
	.p2align	6
.LBB55_37:                              ;   in Loop: Header=BB55_38 Depth=1
	s_add_u32 s16, s16, 4
	s_addc_u32 s17, s17, 0
	s_waitcnt lgkmcnt(0)
	s_add_i32 s30, s13, s30
	s_add_u32 s18, s18, 4
	s_addc_u32 s19, s19, 0
	s_add_i32 s12, s12, 1
	s_cmp_lt_u32 s12, s10
	s_cbranch_scc0 .LBB55_16
.LBB55_38:                              ; =>This Inner Loop Header: Depth=1
	s_load_dword s13, s[16:17], 0x0
	s_cmp_ge_u32 s12, s11
	s_cbranch_scc1 .LBB55_37
; %bb.39:                               ;   in Loop: Header=BB55_38 Depth=1
	s_load_dword s14, s[18:19], 0x0
	s_waitcnt lgkmcnt(0)
	s_add_i32 s23, s13, s23
	s_add_i32 s29, s14, s29
	s_branch .LBB55_37
.LBB55_40:
	s_endpgm
	.section	.rodata,"a",@progbits
	.p2align	6, 0x0
	.amdhsa_kernel _ZN2at6native6mbtopk10gatherTopKIsjLi1EEEvNS_4cuda6detail10TensorInfoIKT_T0_EES8_S8_bjS8_NS5_IS6_S8_EES8_NS5_IlS8_EES8_jjPS6_PjSD_j
		.amdhsa_group_segment_fixed_size 1068
		.amdhsa_private_segment_fixed_size 0
		.amdhsa_kernarg_size 984
		.amdhsa_user_sgpr_count 6
		.amdhsa_user_sgpr_private_segment_buffer 1
		.amdhsa_user_sgpr_dispatch_ptr 0
		.amdhsa_user_sgpr_queue_ptr 0
		.amdhsa_user_sgpr_kernarg_segment_ptr 1
		.amdhsa_user_sgpr_dispatch_id 0
		.amdhsa_user_sgpr_flat_scratch_init 0
		.amdhsa_user_sgpr_private_segment_size 0
		.amdhsa_wavefront_size32 1
		.amdhsa_uses_dynamic_stack 0
		.amdhsa_system_sgpr_private_segment_wavefront_offset 0
		.amdhsa_system_sgpr_workgroup_id_x 1
		.amdhsa_system_sgpr_workgroup_id_y 1
		.amdhsa_system_sgpr_workgroup_id_z 1
		.amdhsa_system_sgpr_workgroup_info 0
		.amdhsa_system_vgpr_workitem_id 0
		.amdhsa_next_free_vgpr 27
		.amdhsa_next_free_sgpr 35
		.amdhsa_reserve_vcc 1
		.amdhsa_reserve_flat_scratch 0
		.amdhsa_float_round_mode_32 0
		.amdhsa_float_round_mode_16_64 0
		.amdhsa_float_denorm_mode_32 3
		.amdhsa_float_denorm_mode_16_64 3
		.amdhsa_dx10_clamp 1
		.amdhsa_ieee_mode 1
		.amdhsa_fp16_overflow 0
		.amdhsa_workgroup_processor_mode 1
		.amdhsa_memory_ordered 1
		.amdhsa_forward_progress 1
		.amdhsa_shared_vgpr_count 0
		.amdhsa_exception_fp_ieee_invalid_op 0
		.amdhsa_exception_fp_denorm_src 0
		.amdhsa_exception_fp_ieee_div_zero 0
		.amdhsa_exception_fp_ieee_overflow 0
		.amdhsa_exception_fp_ieee_underflow 0
		.amdhsa_exception_fp_ieee_inexact 0
		.amdhsa_exception_int_div_zero 0
	.end_amdhsa_kernel
	.section	.text._ZN2at6native6mbtopk10gatherTopKIsjLi1EEEvNS_4cuda6detail10TensorInfoIKT_T0_EES8_S8_bjS8_NS5_IS6_S8_EES8_NS5_IlS8_EES8_jjPS6_PjSD_j,"axG",@progbits,_ZN2at6native6mbtopk10gatherTopKIsjLi1EEEvNS_4cuda6detail10TensorInfoIKT_T0_EES8_S8_bjS8_NS5_IS6_S8_EES8_NS5_IlS8_EES8_jjPS6_PjSD_j,comdat
.Lfunc_end55:
	.size	_ZN2at6native6mbtopk10gatherTopKIsjLi1EEEvNS_4cuda6detail10TensorInfoIKT_T0_EES8_S8_bjS8_NS5_IS6_S8_EES8_NS5_IlS8_EES8_jjPS6_PjSD_j, .Lfunc_end55-_ZN2at6native6mbtopk10gatherTopKIsjLi1EEEvNS_4cuda6detail10TensorInfoIKT_T0_EES8_S8_bjS8_NS5_IS6_S8_EES8_NS5_IlS8_EES8_jjPS6_PjSD_j
                                        ; -- End function
	.set _ZN2at6native6mbtopk10gatherTopKIsjLi1EEEvNS_4cuda6detail10TensorInfoIKT_T0_EES8_S8_bjS8_NS5_IS6_S8_EES8_NS5_IlS8_EES8_jjPS6_PjSD_j.num_vgpr, 27
	.set _ZN2at6native6mbtopk10gatherTopKIsjLi1EEEvNS_4cuda6detail10TensorInfoIKT_T0_EES8_S8_bjS8_NS5_IS6_S8_EES8_NS5_IlS8_EES8_jjPS6_PjSD_j.num_agpr, 0
	.set _ZN2at6native6mbtopk10gatherTopKIsjLi1EEEvNS_4cuda6detail10TensorInfoIKT_T0_EES8_S8_bjS8_NS5_IS6_S8_EES8_NS5_IlS8_EES8_jjPS6_PjSD_j.numbered_sgpr, 35
	.set _ZN2at6native6mbtopk10gatherTopKIsjLi1EEEvNS_4cuda6detail10TensorInfoIKT_T0_EES8_S8_bjS8_NS5_IS6_S8_EES8_NS5_IlS8_EES8_jjPS6_PjSD_j.num_named_barrier, 0
	.set _ZN2at6native6mbtopk10gatherTopKIsjLi1EEEvNS_4cuda6detail10TensorInfoIKT_T0_EES8_S8_bjS8_NS5_IS6_S8_EES8_NS5_IlS8_EES8_jjPS6_PjSD_j.private_seg_size, 0
	.set _ZN2at6native6mbtopk10gatherTopKIsjLi1EEEvNS_4cuda6detail10TensorInfoIKT_T0_EES8_S8_bjS8_NS5_IS6_S8_EES8_NS5_IlS8_EES8_jjPS6_PjSD_j.uses_vcc, 1
	.set _ZN2at6native6mbtopk10gatherTopKIsjLi1EEEvNS_4cuda6detail10TensorInfoIKT_T0_EES8_S8_bjS8_NS5_IS6_S8_EES8_NS5_IlS8_EES8_jjPS6_PjSD_j.uses_flat_scratch, 0
	.set _ZN2at6native6mbtopk10gatherTopKIsjLi1EEEvNS_4cuda6detail10TensorInfoIKT_T0_EES8_S8_bjS8_NS5_IS6_S8_EES8_NS5_IlS8_EES8_jjPS6_PjSD_j.has_dyn_sized_stack, 0
	.set _ZN2at6native6mbtopk10gatherTopKIsjLi1EEEvNS_4cuda6detail10TensorInfoIKT_T0_EES8_S8_bjS8_NS5_IS6_S8_EES8_NS5_IlS8_EES8_jjPS6_PjSD_j.has_recursion, 0
	.set _ZN2at6native6mbtopk10gatherTopKIsjLi1EEEvNS_4cuda6detail10TensorInfoIKT_T0_EES8_S8_bjS8_NS5_IS6_S8_EES8_NS5_IlS8_EES8_jjPS6_PjSD_j.has_indirect_call, 0
	.section	.AMDGPU.csdata,"",@progbits
; Kernel info:
; codeLenInByte = 2320
; TotalNumSgprs: 37
; NumVgprs: 27
; ScratchSize: 0
; MemoryBound: 0
; FloatMode: 240
; IeeeMode: 1
; LDSByteSize: 1068 bytes/workgroup (compile time only)
; SGPRBlocks: 0
; VGPRBlocks: 3
; NumSGPRsForWavesPerEU: 37
; NumVGPRsForWavesPerEU: 27
; Occupancy: 16
; WaveLimiterHint : 1
; COMPUTE_PGM_RSRC2:SCRATCH_EN: 0
; COMPUTE_PGM_RSRC2:USER_SGPR: 6
; COMPUTE_PGM_RSRC2:TRAP_HANDLER: 0
; COMPUTE_PGM_RSRC2:TGID_X_EN: 1
; COMPUTE_PGM_RSRC2:TGID_Y_EN: 1
; COMPUTE_PGM_RSRC2:TGID_Z_EN: 1
; COMPUTE_PGM_RSRC2:TIDIG_COMP_CNT: 0
	.section	.text._ZN2at6native6sbtopk10gatherTopKIsjLi1ELb0EEEvNS_4cuda6detail10TensorInfoIKT_T0_EES8_S8_bS8_S8_NS5_IS6_S8_EES8_NS5_IlS8_EES8_PS6_,"axG",@progbits,_ZN2at6native6sbtopk10gatherTopKIsjLi1ELb0EEEvNS_4cuda6detail10TensorInfoIKT_T0_EES8_S8_bS8_S8_NS5_IS6_S8_EES8_NS5_IlS8_EES8_PS6_,comdat
	.protected	_ZN2at6native6sbtopk10gatherTopKIsjLi1ELb0EEEvNS_4cuda6detail10TensorInfoIKT_T0_EES8_S8_bS8_S8_NS5_IS6_S8_EES8_NS5_IlS8_EES8_PS6_ ; -- Begin function _ZN2at6native6sbtopk10gatherTopKIsjLi1ELb0EEEvNS_4cuda6detail10TensorInfoIKT_T0_EES8_S8_bS8_S8_NS5_IS6_S8_EES8_NS5_IlS8_EES8_PS6_
	.globl	_ZN2at6native6sbtopk10gatherTopKIsjLi1ELb0EEEvNS_4cuda6detail10TensorInfoIKT_T0_EES8_S8_bS8_S8_NS5_IS6_S8_EES8_NS5_IlS8_EES8_PS6_
	.p2align	8
	.type	_ZN2at6native6sbtopk10gatherTopKIsjLi1ELb0EEEvNS_4cuda6detail10TensorInfoIKT_T0_EES8_S8_bS8_S8_NS5_IS6_S8_EES8_NS5_IlS8_EES8_PS6_,@function
_ZN2at6native6sbtopk10gatherTopKIsjLi1ELb0EEEvNS_4cuda6detail10TensorInfoIKT_T0_EES8_S8_bS8_S8_NS5_IS6_S8_EES8_NS5_IlS8_EES8_PS6_: ; @_ZN2at6native6sbtopk10gatherTopKIsjLi1ELb0EEEvNS_4cuda6detail10TensorInfoIKT_T0_EES8_S8_bS8_S8_NS5_IS6_S8_EES8_NS5_IlS8_EES8_PS6_
; %bb.0:
	s_clause 0x1
	s_load_dwordx2 s[12:13], s[4:5], 0x2b8
	s_load_dwordx4 s[36:39], s[4:5], 0xd8
	s_add_u32 s10, s4, 0x2b8
	s_addc_u32 s11, s5, 0
	s_waitcnt lgkmcnt(0)
	s_mul_i32 s0, s13, s8
	s_add_i32 s0, s0, s7
	s_mul_i32 s50, s0, s12
	s_add_i32 s50, s50, s6
	s_cmp_ge_u32 s50, s39
	s_cbranch_scc1 .LBB56_410
; %bb.1:
	s_clause 0x4
	s_load_dwordx2 s[42:43], s[4:5], 0x1d0
	s_load_dword s40, s[4:5], 0xe8
	s_load_dwordx2 s[44:45], s[4:5], 0xf0
	s_load_dword s2, s[4:5], 0x6c
	s_load_dwordx2 s[0:1], s[4:5], 0x0
	v_cmp_eq_u32_e64 s3, 0, v0
	s_mov_b32 s35, 0
	s_and_saveexec_b32 s7, s3
	s_cbranch_execz .LBB56_3
; %bb.2:
	v_mov_b32_e32 v1, 0
	v_mov_b32_e32 v2, s36
	;; [unrolled: 1-line block ×3, first 2 shown]
	ds_write_b96 v1, v[1:3] offset:4096
.LBB56_3:
	s_or_b32 exec_lo, exec_lo, s7
	s_waitcnt lgkmcnt(0)
	s_barrier
	buffer_gl0_inv
	s_load_dword s7, s[10:11], 0xc
	s_clause 0x1
	s_load_dword s51, s[4:5], 0x23c
	s_load_dword s52, s[4:5], 0x15c
	v_mov_b32_e32 v9, 0
	s_mul_i32 s34, s2, s50
	v_mul_lo_u32 v7, s40, v0
	s_lshl_b64 s[8:9], s[34:35], 1
	v_mbcnt_lo_u32_b32 v19, -1, 0
	v_mov_b32_e32 v8, v9
	s_add_u32 s46, s0, s8
	s_addc_u32 s47, s1, s9
	s_bitcmp1_b32 s38, 0
	v_cmp_gt_u32_e32 vcc_lo, 32, v0
	s_cselect_b32 s2, -1, 0
	v_lshlrev_b64 v[1:2], 1, v[7:8]
	v_cmp_gt_i32_e64 s0, 4, v19
	s_xor_b32 s53, s2, -1
	s_movk_i32 s8, 0x1f0
	v_lshlrev_b32_e32 v18, 2, v0
	v_lshlrev_b32_e32 v20, 1, v0
	s_waitcnt lgkmcnt(0)
	s_and_b32 s48, s7, 0xffff
	s_and_b32 s56, vcc_lo, s0
	s_lshl_b32 s54, s48, 2
	v_add_co_u32 v5, vcc_lo, s46, v1
	v_cvt_f32_u32_e32 v3, s54
	v_add_co_ci_u32_e64 v6, null, s47, v2, vcc_lo
	v_lshlrev_b64 v[1:2], v19, -1
	s_bfe_u32 s1, s48, 0x80008
	v_rcp_iflag_f32_e32 v2, v3
	s_bfe_u32 s7, s7, 0xb0005
	s_lshl_b32 s55, s1, 3
	s_cmpk_gt_u32 s36, 0x600
	v_add_nc_u32_e32 v3, 2, v0
	s_cselect_b32 s57, -1, 0
	s_cmp_gt_u32 s48, 31
	v_cvt_f32_u32_e32 v8, s48
	s_cselect_b32 s58, -1, 0
	s_add_i32 s59, s48, -1
	v_mul_f32_e32 v2, 0x4f7ffffe, v2
	s_add_i32 s13, s59, s36
	s_cmp_lt_u32 s6, s12
	v_max_u32_e32 v3, s36, v3
	s_cselect_b32 s6, 12, 18
	v_cvt_u32_f32_e32 v2, v2
	s_add_u32 s38, s10, s6
	s_addc_u32 s39, s11, 0
	s_add_i32 s7, s7, -1
	s_bfe_u32 s60, s48, 0x30005
	s_and_b32 s6, s7, 0xffff
	v_xad_u32 v3, v0, -1, v3
	s_cmp_gt_u32 s6, 6
	v_readfirstlane_b32 s6, v2
	s_cselect_b32 s61, -1, 0
	s_cmp_lg_u32 s60, 0
	v_not_b32_e32 v17, v1
	s_cselect_b32 s62, -1, 0
	s_sub_i32 s7, 0, s54
	v_lshrrev_b32_e32 v1, 1, v0
	s_mul_i32 s7, s7, s6
	v_add_nc_u32_e32 v4, -2, v3
	s_mul_hi_u32 s7, s6, s7
	v_rcp_iflag_f32_e32 v8, v8
	s_add_i32 s63, s6, s7
	v_and_or_b32 v22, v1, s8, 0xc00
	s_mul_hi_u32 s6, s36, s63
	v_lshrrev_b32_e32 v2, 1, v4
	s_mul_i32 s6, s6, s54
	v_and_b32_e32 v23, -2, v3
	s_sub_i32 s6, s36, s6
	v_cmp_lt_u32_e64 s7, 31, v3
	s_sub_i32 s8, s6, s54
	s_cmp_ge_u32 s6, s54
	v_add_nc_u32_e32 v1, 1, v2
	s_cselect_b32 s6, s8, s6
	v_mul_f32_e32 v2, 0x4f7ffffe, v8
	s_sub_i32 s8, s6, s54
	s_cmp_ge_u32 s6, s54
	v_and_b32_e32 v12, 7, v1
	s_cselect_b32 s6, s8, s6
	v_cvt_u32_f32_e32 v2, v2
	s_sub_i32 s64, s36, s6
	s_sub_i32 s8, 0, s48
	v_add_nc_u32_e32 v25, s64, v0
	v_and_b32_e32 v26, -8, v1
	v_readfirstlane_b32 s9, v2
	v_cmp_ne_u32_e64 s10, v3, v23
	v_or_b32_e32 v3, 3, v18
	v_mul_lo_u32 v8, v25, s40
	s_mov_b32 s41, s40
	s_mul_i32 s8, s8, s9
	v_lshlrev_b32_e32 v27, 2, v12
	s_mul_hi_u32 s8, s9, s8
	v_mul_lo_u32 v30, s40, v3
	s_add_i32 s65, s9, s8
	v_cmp_eq_u32_e64 s0, 0, v19
	v_lshlrev_b64 v[1:2], 1, v[8:9]
	s_mul_hi_u32 s9, s13, s65
	v_cmp_gt_u32_e64 s1, s36, v0
	s_mul_i32 s9, s9, s48
	v_cmp_gt_u32_e64 s15, 2, v0
	s_sub_i32 s11, s13, s9
	v_add_co_u32 v10, vcc_lo, s46, v1
	v_add3_u32 v1, s48, s36, v0
	s_sub_i32 s12, s11, s48
	s_cmp_ge_u32 s11, s48
	v_add_co_ci_u32_e64 v11, null, s47, v2, vcc_lo
	s_cselect_b32 s12, s12, s11
	v_or_b32_e32 v2, 2, v18
	v_subrev_nc_u32_e32 v1, s6, v1
	s_sub_i32 s14, s12, s48
	s_cmp_ge_u32 s12, s48
	v_cmp_ne_u32_e64 s9, 0, v12
	s_cselect_b32 s14, s14, s12
	v_mad_u64_u32 v[12:13], null, s40, v18, s[40:41]
	v_mul_lo_u32 v29, s40, v2
	v_mul_lo_u32 v32, s40, v1
	s_sub_i32 s66, s13, s14
	v_add_nc_u32_e32 v21, 0xc00, v20
	v_add_nc_u32_e32 v24, v0, v23
	v_cmp_lt_u32_e64 s8, 13, v4
	v_cmp_gt_u32_e64 s11, s64, v18
	v_cmp_gt_u32_e64 s12, s36, v25
	;; [unrolled: 1-line block ×3, first 2 shown]
	v_lshlrev_b32_e32 v31, 2, v7
	v_lshlrev_b32_e32 v33, 3, v0
	v_lshl_or_b32 v34, v19, 2, 0xc00
	v_mov_b32_e32 v38, s37
	v_mov_b32_e32 v35, 0x8000
	;; [unrolled: 1-line block ×5, first 2 shown]
	s_mul_i32 s49, s40, s48
	s_lshl_b32 s68, s48, 3
	s_lshl_b32 s67, s49, 2
	;; [unrolled: 1-line block ×3, first 2 shown]
	s_mov_b32 s75, 14
	s_mov_b32 s71, 0
                                        ; implicit-def: $sgpr70
                                        ; implicit-def: $sgpr74
                                        ; implicit-def: $sgpr73
                                        ; implicit-def: $sgpr76
                                        ; implicit-def: $sgpr72
                                        ; implicit-def: $sgpr80
                                        ; implicit-def: $sgpr81
                                        ; implicit-def: $sgpr77
                                        ; implicit-def: $sgpr79
                                        ; implicit-def: $sgpr78
	s_branch .LBB56_6
.LBB56_4:                               ;   in Loop: Header=BB56_6 Depth=1
	s_or_b32 exec_lo, exec_lo, s17
	v_mov_b32_e32 v38, v4
	s_andn2_b32 s17, s78, exec_lo
	s_and_b32 s16, s16, exec_lo
	s_andn2_b32 s79, s79, exec_lo
	s_or_b32 s78, s17, s16
	s_andn2_b32 s77, s77, exec_lo
	s_andn2_b32 s81, s81, exec_lo
	;; [unrolled: 1-line block ×3, first 2 shown]
	s_orn2_b32 s17, s14, exec_lo
.LBB56_5:                               ;   in Loop: Header=BB56_6 Depth=1
	s_or_b32 exec_lo, exec_lo, s6
	s_and_b32 s6, exec_lo, s17
	s_or_b32 s35, s6, s35
	s_andn2_b32 s6, s72, exec_lo
	s_and_b32 s14, s78, exec_lo
	s_andn2_b32 s16, s76, exec_lo
	s_or_b32 s72, s6, s14
	s_and_b32 s6, s79, exec_lo
	s_andn2_b32 s14, s73, exec_lo
	s_and_b32 s17, s77, exec_lo
	s_or_b32 s76, s16, s6
	s_or_b32 s73, s14, s17
	s_andn2_b32 s6, s74, exec_lo
	s_and_b32 s14, s81, exec_lo
	s_andn2_b32 s16, s70, exec_lo
	s_and_b32 s17, s80, exec_lo
	s_or_b32 s74, s6, s14
	s_or_b32 s70, s16, s17
	s_andn2_b32 exec_lo, exec_lo, s35
	s_cbranch_execz .LBB56_406
.LBB56_6:                               ; =>This Loop Header: Depth=1
                                        ;     Child Loop BB56_11 Depth 2
                                        ;     Child Loop BB56_32 Depth 2
	;; [unrolled: 1-line block ×26, first 2 shown]
	ds_read_b64 v[1:2], v9 offset:4096
	s_waitcnt lgkmcnt(0)
	v_readfirstlane_b32 s82, v1
	s_cmp_lg_u32 s82, 0
	s_cbranch_scc1 .LBB56_51
; %bb.7:                                ;   in Loop: Header=BB56_6 Depth=1
	s_and_b32 vcc_lo, exec_lo, s57
	s_cbranch_vccz .LBB56_19
; %bb.8:                                ;   in Loop: Header=BB56_6 Depth=1
	v_cmp_gt_u32_e32 vcc_lo, 0x601, v2
	s_mov_b32 s16, 0
	s_mov_b32 s6, 0
	s_cbranch_vccz .LBB56_20
; %bb.9:                                ;   in Loop: Header=BB56_6 Depth=1
	global_load_ushort v1, v9, s[38:39]
	global_load_ushort v3, v[5:6], off
	v_mov_b32_e32 v4, v0
	s_mov_b32 s17, 0
	s_waitcnt vmcnt(1)
	v_add_nc_u32_e32 v2, v0, v1
	v_mul_lo_u32 v8, s40, v2
	v_mul_lo_u32 v2, s40, v1
	s_branch .LBB56_11
.LBB56_10:                              ;   in Loop: Header=BB56_11 Depth=2
	s_or_b32 exec_lo, exec_lo, s14
	v_add_nc_u32_e32 v8, v8, v2
	v_mov_b32_e32 v3, v13
	s_andn2_b32 exec_lo, exec_lo, s17
	s_cbranch_execz .LBB56_26
.LBB56_11:                              ;   Parent Loop BB56_6 Depth=1
                                        ; =>  This Inner Loop Header: Depth=2
	v_add_nc_u32_e32 v4, v4, v1
	s_waitcnt lgkmcnt(0)
	v_mov_b32_e32 v14, 0
	v_mov_b32_e32 v13, 0
	s_mov_b32 s14, exec_lo
	v_cmp_le_u32_e32 vcc_lo, s36, v4
	v_cmpx_gt_u32_e64 s36, v4
	s_cbranch_execz .LBB56_13
; %bb.12:                               ;   in Loop: Header=BB56_11 Depth=2
	v_lshlrev_b64 v[15:16], 1, v[8:9]
	v_add_co_u32 v15, s6, s46, v15
	v_add_co_ci_u32_e64 v16, null, s47, v16, s6
	global_load_ushort v13, v[15:16], off
.LBB56_13:                              ;   in Loop: Header=BB56_11 Depth=2
	s_or_b32 exec_lo, exec_lo, s14
	s_waitcnt vmcnt(0)
	v_add_nc_u32_sdwa v15, sext(v3), v35 dst_sel:DWORD dst_unused:UNUSED_PAD src0_sel:WORD_0 src1_sel:DWORD
	v_and_b32_e32 v15, v15, v36
	v_cmp_eq_u32_e64 s6, v15, v28
	s_cmp_lg_u32 s6, 0
	s_cselect_b32 s14, -1, 0
	s_and_b32 s14, s0, s14
	s_and_saveexec_b32 s18, s14
	s_cbranch_execz .LBB56_17
; %bb.14:                               ;   in Loop: Header=BB56_11 Depth=2
	s_mov_b32 s21, exec_lo
	s_bcnt1_i32_b32 s19, s6
	v_mbcnt_lo_u32_b32 v14, s21, 0
	s_mov_b32 s20, exec_lo
                                        ; implicit-def: $vgpr15
	v_cmpx_eq_u32_e32 0, v14
; %bb.15:                               ;   in Loop: Header=BB56_11 Depth=2
	s_bcnt1_i32_b32 s14, s21
	s_mul_i32 s14, s19, s14
	v_mov_b32_e32 v15, s14
	ds_add_rtn_u32 v15, v9, v15 offset:4104
; %bb.16:                               ;   in Loop: Header=BB56_11 Depth=2
	s_or_b32 exec_lo, exec_lo, s20
	s_waitcnt lgkmcnt(0)
	v_readfirstlane_b32 s14, v15
	v_mad_u32_u24 v14, s19, v14, s14
.LBB56_17:                              ;   in Loop: Header=BB56_11 Depth=2
	s_or_b32 exec_lo, exec_lo, s18
	ds_bpermute_b32 v14, v9, v14
	s_and_b32 s14, exec_lo, vcc_lo
	s_or_b32 s17, s14, s17
	s_and_saveexec_b32 s14, s6
	s_cbranch_execz .LBB56_10
; %bb.18:                               ;   in Loop: Header=BB56_11 Depth=2
	v_and_b32_e32 v15, s6, v17
	v_bcnt_u32_b32 v15, v15, 0
	v_lshlrev_b32_e32 v15, 1, v15
	s_waitcnt lgkmcnt(0)
	v_lshl_add_u32 v14, v14, 1, v15
	ds_write_b16 v14, v3
	s_branch .LBB56_10
.LBB56_19:                              ;   in Loop: Header=BB56_6 Depth=1
	s_mov_b32 s16, -1
	s_mov_b32 s6, 0
.LBB56_20:                              ;   in Loop: Header=BB56_6 Depth=1
	s_and_b32 vcc_lo, exec_lo, s16
	s_cbranch_vccz .LBB56_49
.LBB56_21:                              ;   in Loop: Header=BB56_6 Depth=1
	s_and_saveexec_b32 s14, s1
	s_cbranch_execz .LBB56_46
; %bb.22:                               ;   in Loop: Header=BB56_6 Depth=1
	global_load_ushort v1, v9, s[38:39]
	global_load_ushort v39, v[5:6], off
	v_mov_b32_e32 v2, v0
	s_mov_b32 s16, exec_lo
	s_waitcnt vmcnt(1)
	v_add_nc_u32_e32 v13, v0, v1
	v_readfirstlane_b32 s17, v1
	v_cmpx_gt_u32_e64 s36, v13
	s_cbranch_execz .LBB56_45
; %bb.23:                               ;   in Loop: Header=BB56_6 Depth=1
	s_mov_b32 s6, 0
	s_mul_i32 s18, s40, s17
                                        ; implicit-def: $vgpr2
                                        ; implicit-def: $vgpr4
                                        ; implicit-def: $vgpr1
                                        ; implicit-def: $vgpr3
	s_and_saveexec_b32 s19, s7
	s_xor_b32 s19, exec_lo, s19
	s_cbranch_execnz .LBB56_29
; %bb.24:                               ;   in Loop: Header=BB56_6 Depth=1
	s_andn2_saveexec_b32 s19, s19
	s_cbranch_execnz .LBB56_40
.LBB56_25:                              ;   in Loop: Header=BB56_6 Depth=1
	s_or_b32 exec_lo, exec_lo, s19
	s_and_saveexec_b32 s18, s6
	s_cbranch_execnz .LBB56_41
	s_branch .LBB56_44
.LBB56_26:                              ;   in Loop: Header=BB56_6 Depth=1
	s_or_b32 exec_lo, exec_lo, s17
	s_waitcnt lgkmcnt(0)
	s_barrier
	buffer_gl0_inv
	s_and_saveexec_b32 s6, s3
	s_cbranch_execz .LBB56_28
; %bb.27:                               ;   in Loop: Header=BB56_6 Depth=1
	ds_read_b32 v1, v9 offset:4104
	s_waitcnt lgkmcnt(0)
	ds_write_b32 v9, v1 offset:4096
.LBB56_28:                              ;   in Loop: Header=BB56_6 Depth=1
	s_or_b32 exec_lo, exec_lo, s6
	s_waitcnt lgkmcnt(0)
	s_mov_b32 s6, -1
	s_barrier
	s_and_b32 vcc_lo, exec_lo, s16
	s_cbranch_vccnz .LBB56_21
	s_branch .LBB56_49
.LBB56_29:                              ;   in Loop: Header=BB56_6 Depth=1
	v_cvt_f32_u32_e32 v1, s17
	v_add_nc_u32_e32 v2, s17, v13
	s_sub_i32 s6, 0, s17
	s_not_b32 s20, s18
	v_rcp_iflag_f32_e32 v1, v1
	v_max_u32_e32 v2, s36, v2
	v_sub_nc_u32_e32 v2, v2, v0
	v_mul_f32_e32 v1, 0x4f7ffffe, v1
	v_cvt_u32_f32_e32 v1, v1
	v_mul_lo_u32 v3, s6, v1
	s_lshl_b32 s6, s17, 1
	v_cmp_ne_u32_e32 vcc_lo, s6, v2
	v_cndmask_b32_e64 v4, 0, 1, vcc_lo
	v_mul_hi_u32 v3, v1, v3
	v_or_b32_e32 v4, s6, v4
	v_add_nc_u32_e32 v1, v1, v3
	v_sub_nc_u32_e32 v2, v2, v4
	v_mul_hi_u32 v1, v2, v1
	v_mul_lo_u32 v3, v1, s17
	v_sub_nc_u32_e32 v2, v2, v3
	v_add_nc_u32_e32 v3, 1, v1
	v_subrev_nc_u32_e32 v4, s17, v2
	v_cmp_le_u32_e64 s6, s17, v2
	v_cndmask_b32_e64 v1, v1, v3, s6
	v_cndmask_b32_e64 v2, v2, v4, s6
	v_add_nc_u32_e32 v3, 1, v1
	v_cmp_le_u32_e64 s6, s17, v2
	v_mul_lo_u32 v2, s40, v13
	v_cndmask_b32_e64 v1, v1, v3, s6
	s_abs_i32 s6, s18
	v_add_co_ci_u32_e64 v1, null, 0, v1, vcc_lo
	v_mul_hi_u32 v3, s6, v1
	v_mul_lo_u32 v1, s6, v1
	s_ashr_i32 s6, s20, 31
	s_cmp_eq_u32 s17, 1
	v_xor_b32_e32 v2, s6, v2
	s_cselect_b32 s20, -1, 0
	v_cmp_eq_u32_e32 vcc_lo, 0, v3
	v_cmp_le_u32_e64 s6, v1, v2
	v_mov_b32_e32 v1, v0
                                        ; implicit-def: $vgpr2
	s_and_b32 s20, vcc_lo, s20
	s_and_b32 s21, s20, s6
	s_mov_b32 s20, -1
	s_and_saveexec_b32 s6, s21
	s_cbranch_execz .LBB56_39
; %bb.30:                               ;   in Loop: Header=BB56_6 Depth=1
	v_add_nc_u32_e32 v14, 1, v13
	s_waitcnt vmcnt(0)
	v_lshlrev_b32_e32 v1, 16, v39
	v_mov_b32_e32 v8, 0
                                        ; implicit-def: $vgpr39
	v_mov_b32_e32 v16, v14
	v_mov_b32_e32 v15, v13
	s_and_saveexec_b32 s20, s8
	s_cbranch_execz .LBB56_34
; %bb.31:                               ;   in Loop: Header=BB56_6 Depth=1
	v_mov_b32_e32 v16, v14
	v_mov_b32_e32 v40, v26
	;; [unrolled: 1-line block ×4, first 2 shown]
	s_mov_b32 s21, 0
	s_mov_b32 s22, 0
.LBB56_32:                              ;   Parent Loop BB56_6 Depth=1
                                        ; =>  This Inner Loop Header: Depth=2
	v_add_nc_u32_e32 v4, 2, v16
	v_mul_lo_u32 v8, v15, s40
	v_add_nc_u32_e32 v14, 4, v16
	v_mul_lo_u32 v2, v16, s41
	;; [unrolled: 2-line block ×3, first 2 shown]
	v_mov_b32_e32 v3, v9
	v_add_nc_u32_e32 v48, 8, v16
	v_mul_lo_u32 v44, v14, s41
	v_mov_b32_e32 v43, v9
	v_add_nc_u32_e32 v50, 10, v16
	v_mul_lo_u32 v46, v39, s41
	v_lshlrev_b64 v[52:53], 1, v[8:9]
	v_mov_b32_e32 v45, v9
	v_mul_lo_u32 v48, v48, s41
	v_lshlrev_b64 v[2:3], 1, v[2:3]
	v_mov_b32_e32 v47, v9
	;; [unrolled: 3-line block ×3, first 2 shown]
	v_lshlrev_b64 v[44:45], 1, v[44:45]
	v_add_co_u32 v52, vcc_lo, s46, v52
	v_mov_b32_e32 v51, v9
	v_lshlrev_b64 v[46:47], 1, v[46:47]
	v_add_co_ci_u32_e64 v53, null, s47, v53, vcc_lo
	v_add_co_u32 v2, vcc_lo, s46, v2
	v_lshlrev_b64 v[48:49], 1, v[48:49]
	v_add_co_ci_u32_e64 v3, null, s47, v3, vcc_lo
	v_add_co_u32 v42, vcc_lo, s46, v42
	v_lshlrev_b64 v[50:51], 1, v[50:51]
	v_add_co_ci_u32_e64 v43, null, s47, v43, vcc_lo
	v_add_co_u32 v44, vcc_lo, s46, v44
	v_add_co_ci_u32_e64 v45, null, s47, v45, vcc_lo
	v_add_co_u32 v46, vcc_lo, s46, v46
	v_lshrrev_b32_e32 v1, 16, v1
	v_add_co_ci_u32_e64 v47, null, s47, v47, vcc_lo
	v_add_co_u32 v48, vcc_lo, s46, v48
	v_add_co_ci_u32_e64 v49, null, s47, v49, vcc_lo
	v_add_co_u32 v50, vcc_lo, s46, v50
	v_add_co_ci_u32_e64 v51, null, s47, v51, vcc_lo
	s_clause 0x6
	global_load_short_d16_hi v1, v[52:53], off
	global_load_ushort v2, v[2:3], off
	global_load_ushort v3, v[42:43], off
	;; [unrolled: 1-line block ×6, first 2 shown]
	v_add_nc_u32_e32 v8, 2, v15
	v_add_nc_u32_e32 v45, 12, v16
	;; [unrolled: 1-line block ×4, first 2 shown]
	v_mov_b32_e32 v46, v9
	v_mul_lo_u32 v8, v8, s40
	v_mul_lo_u32 v45, v45, s41
	;; [unrolled: 1-line block ×3, first 2 shown]
	v_mov_b32_e32 v48, v9
	v_add_nc_u32_e32 v39, 6, v15
	v_add_nc_u32_e32 v53, 8, v15
	;; [unrolled: 1-line block ×4, first 2 shown]
	v_lshlrev_b64 v[49:50], 1, v[8:9]
	v_mul_lo_u32 v8, v14, s40
	v_lshlrev_b64 v[45:46], 1, v[45:46]
	v_lshlrev_b64 v[47:48], 1, v[47:48]
	v_add_nc_u32_e32 v59, 14, v15
	v_add_nc_u32_e32 v40, -8, v40
	s_add_i32 s22, s22, 16
	v_add_nc_u32_e32 v16, 16, v16
	v_add_co_u32 v45, vcc_lo, s46, v45
	v_lshlrev_b64 v[51:52], 1, v[8:9]
	v_mul_lo_u32 v8, v39, s40
	v_add_co_ci_u32_e64 v46, null, s47, v46, vcc_lo
	v_add_co_u32 v47, vcc_lo, s46, v47
	v_add_co_ci_u32_e64 v48, null, s47, v48, vcc_lo
	v_add_co_u32 v49, vcc_lo, s46, v49
	v_add_co_ci_u32_e64 v50, null, s47, v50, vcc_lo
	global_load_ushort v14, v[45:46], off
	v_add_co_u32 v45, vcc_lo, s46, v51
	v_add_co_ci_u32_e64 v46, null, s47, v52, vcc_lo
	v_lshlrev_b64 v[51:52], 1, v[8:9]
	v_mul_lo_u32 v8, v53, s40
	v_add_nc_u32_e32 v15, 16, v15
	v_add_co_u32 v51, vcc_lo, s46, v51
	v_add_co_ci_u32_e64 v52, null, s47, v52, vcc_lo
	v_lshlrev_b64 v[53:54], 1, v[8:9]
	v_mul_lo_u32 v8, v55, s40
	v_add_co_u32 v53, vcc_lo, s46, v53
	v_add_co_ci_u32_e64 v54, null, s47, v54, vcc_lo
	v_lshlrev_b64 v[55:56], 1, v[8:9]
	v_mul_lo_u32 v8, v57, s40
	;; [unrolled: 4-line block ×3, first 2 shown]
	v_add_co_u32 v57, vcc_lo, s46, v57
	v_add_co_ci_u32_e64 v58, null, s47, v58, vcc_lo
	v_lshlrev_b64 v[59:60], 1, v[8:9]
	v_mov_b32_e32 v8, s22
	v_add_co_u32 v59, vcc_lo, s46, v59
	v_add_co_ci_u32_e64 v60, null, s47, v60, vcc_lo
	v_cmp_eq_u32_e32 vcc_lo, 0, v40
	s_clause 0x7
	global_load_short_d16_hi v2, v[49:50], off
	global_load_short_d16_hi v3, v[45:46], off
	;; [unrolled: 1-line block ×3, first 2 shown]
	global_load_ushort v46, v[59:60], off
	global_load_short_d16_hi v42, v[53:54], off
	global_load_short_d16_hi v43, v[55:56], off
	;; [unrolled: 1-line block ×3, first 2 shown]
	global_load_ushort v39, v[47:48], off
	s_or_b32 s21, vcc_lo, s21
	s_waitcnt vmcnt(5)
	ds_write_b128 v41, v[1:4]
	s_waitcnt vmcnt(4)
	v_perm_b32 v45, v46, v14, 0x5040100
	s_waitcnt vmcnt(0)
	v_perm_b32 v1, v39, v46, 0x5040100
	ds_write_b128 v41, v[42:45] offset:16
	v_add_nc_u32_e32 v41, 32, v41
	s_andn2_b32 exec_lo, exec_lo, s21
	s_cbranch_execnz .LBB56_32
; %bb.33:                               ;   in Loop: Header=BB56_6 Depth=1
	s_or_b32 exec_lo, exec_lo, s21
.LBB56_34:                              ;   in Loop: Header=BB56_6 Depth=1
	s_or_b32 exec_lo, exec_lo, s20
	s_and_saveexec_b32 s20, s9
	s_cbranch_execz .LBB56_38
; %bb.35:                               ;   in Loop: Header=BB56_6 Depth=1
	v_lshl_add_u32 v2, v8, 1, v20
	v_mov_b32_e32 v3, v27
	s_mov_b32 s21, 0
	s_inst_prefetch 0x1
	.p2align	6
.LBB56_36:                              ;   Parent Loop BB56_6 Depth=1
                                        ; =>  This Inner Loop Header: Depth=2
	v_mul_lo_u32 v8, v15, s40
	v_mul_lo_u32 v39, v16, s41
	v_mov_b32_e32 v40, v9
	v_add_nc_u32_e32 v3, -4, v3
	v_add_nc_u32_e32 v16, 2, v16
	v_add_nc_u32_e32 v15, 2, v15
	v_lshlrev_b64 v[41:42], 1, v[8:9]
	v_lshlrev_b64 v[39:40], 1, v[39:40]
	v_add_co_u32 v41, vcc_lo, s46, v41
	v_add_co_ci_u32_e64 v42, null, s47, v42, vcc_lo
	v_add_co_u32 v39, vcc_lo, s46, v39
	v_add_co_ci_u32_e64 v40, null, s47, v40, vcc_lo
	s_clause 0x1
	global_load_ushort v4, v[41:42], off
	global_load_ushort v39, v[39:40], off
	v_cmp_eq_u32_e32 vcc_lo, 0, v3
	s_or_b32 s21, vcc_lo, s21
	s_waitcnt vmcnt(1)
	v_alignbit_b32 v1, v4, v1, 16
	s_waitcnt vmcnt(0)
	v_perm_b32 v4, v39, v4, 0x5040100
	ds_write_b32 v2, v1
	v_add_nc_u32_e32 v2, 4, v2
	v_mov_b32_e32 v1, v4
	s_andn2_b32 exec_lo, exec_lo, s21
	s_cbranch_execnz .LBB56_36
; %bb.37:                               ;   in Loop: Header=BB56_6 Depth=1
	s_inst_prefetch 0x2
	s_or_b32 exec_lo, exec_lo, s21
.LBB56_38:                              ;   in Loop: Header=BB56_6 Depth=1
	s_or_b32 exec_lo, exec_lo, s20
	v_add_nc_u32_e32 v13, v13, v23
	v_mov_b32_e32 v1, v24
	s_orn2_b32 s20, s10, exec_lo
	v_add_nc_u32_e32 v2, -1, v13
.LBB56_39:                              ;   in Loop: Header=BB56_6 Depth=1
	s_or_b32 exec_lo, exec_lo, s6
	v_mov_b32_e32 v3, s18
	s_waitcnt vmcnt(0)
	v_mov_b32_e32 v4, v39
	s_and_b32 s6, s20, exec_lo
	s_andn2_saveexec_b32 s19, s19
	s_cbranch_execz .LBB56_25
.LBB56_40:                              ;   in Loop: Header=BB56_6 Depth=1
	v_mov_b32_e32 v3, s18
	s_waitcnt vmcnt(0)
	v_mov_b32_e32 v4, v39
	v_mov_b32_e32 v1, v0
	s_or_b32 s6, s6, exec_lo
	s_or_b32 exec_lo, exec_lo, s19
	s_and_saveexec_b32 s18, s6
	s_cbranch_execz .LBB56_44
.LBB56_41:                              ;   in Loop: Header=BB56_6 Depth=1
	v_mul_lo_u32 v8, s40, v13
	s_mov_b32 s19, 0
	s_sub_i32 s6, 0, s17
	.p2align	6
.LBB56_42:                              ;   Parent Loop BB56_6 Depth=1
                                        ; =>  This Inner Loop Header: Depth=2
	v_lshlrev_b64 v[14:15], 1, v[8:9]
	v_mov_b32_e32 v2, v13
	v_lshlrev_b32_e32 v1, 1, v1
	v_add_nc_u32_e32 v8, v8, v3
	v_add_nc_u32_e32 v13, s17, v2
	v_add_co_u32 v14, vcc_lo, s46, v14
	v_add_co_ci_u32_e64 v15, null, s47, v15, vcc_lo
	v_cmp_le_u32_e32 vcc_lo, s36, v13
	ds_write_b16 v1, v4
	v_mov_b32_e32 v1, v2
	global_load_ushort v39, v[14:15], off
	s_or_b32 s19, vcc_lo, s19
	s_waitcnt vmcnt(0)
	v_mov_b32_e32 v4, v39
	s_andn2_b32 exec_lo, exec_lo, s19
	s_cbranch_execnz .LBB56_42
; %bb.43:                               ;   in Loop: Header=BB56_6 Depth=1
	s_or_b32 exec_lo, exec_lo, s19
	v_add_nc_u32_e32 v2, s6, v13
.LBB56_44:                              ;   in Loop: Header=BB56_6 Depth=1
	s_or_b32 exec_lo, exec_lo, s18
.LBB56_45:                              ;   in Loop: Header=BB56_6 Depth=1
	s_or_b32 exec_lo, exec_lo, s16
	v_lshlrev_b32_e32 v1, 1, v2
	s_waitcnt vmcnt(0)
	ds_write_b16 v1, v39
.LBB56_46:                              ;   in Loop: Header=BB56_6 Depth=1
	s_or_b32 exec_lo, exec_lo, s14
	s_waitcnt lgkmcnt(0)
	s_barrier
	buffer_gl0_inv
	s_and_saveexec_b32 s6, s3
; %bb.47:                               ;   in Loop: Header=BB56_6 Depth=1
	v_mov_b32_e32 v1, s36
	ds_write_b32 v9, v1 offset:4096
; %bb.48:                               ;   in Loop: Header=BB56_6 Depth=1
	s_or_b32 exec_lo, exec_lo, s6
	s_mov_b32 s6, -1
	s_waitcnt lgkmcnt(0)
	s_barrier
.LBB56_49:                              ;   in Loop: Header=BB56_6 Depth=1
	s_and_b32 vcc_lo, exec_lo, s6
	s_mov_b32 s82, 0
	s_cbranch_vccz .LBB56_51
; %bb.50:                               ;   in Loop: Header=BB56_6 Depth=1
	buffer_gl0_inv
	ds_read_b32 v1, v9 offset:4096
	s_waitcnt lgkmcnt(0)
	v_readfirstlane_b32 s82, v1
.LBB56_51:                              ;   in Loop: Header=BB56_6 Depth=1
	s_cmp_lt_i32 s82, 1
	s_mov_b32 s6, -1
                                        ; implicit-def: $vgpr1
	s_cbranch_scc1 .LBB56_61
; %bb.52:                               ;   in Loop: Header=BB56_6 Depth=1
	s_and_b32 vcc_lo, exec_lo, s6
	s_cbranch_vccnz .LBB56_72
.LBB56_53:                              ;   in Loop: Header=BB56_6 Depth=1
	s_lshl_b32 s6, s71, 7
	s_and_saveexec_b32 s14, s0
.LBB56_54:                              ;   in Loop: Header=BB56_6 Depth=1
	v_lshl_add_u32 v8, s6, 2, v22
	ds_write_b128 v8, v[1:4]
.LBB56_55:                              ;   in Loop: Header=BB56_6 Depth=1
	s_or_b32 exec_lo, exec_lo, s14
	s_waitcnt lgkmcnt(0)
	s_barrier
	buffer_gl0_inv
	s_and_saveexec_b32 s14, s56
	s_cbranch_execz .LBB56_85
; %bb.56:                               ;   in Loop: Header=BB56_6 Depth=1
	v_mov_b32_e32 v1, 0
	s_andn2_b32 vcc_lo, exec_lo, s58
	s_cbranch_vccnz .LBB56_84
; %bb.57:                               ;   in Loop: Header=BB56_6 Depth=1
	s_andn2_b32 vcc_lo, exec_lo, s61
	s_cbranch_vccnz .LBB56_81
; %bb.58:                               ;   in Loop: Header=BB56_6 Depth=1
	v_lshl_add_u32 v2, s71, 9, v34
	v_mov_b32_e32 v1, 0
	s_mov_b32 s16, 0
	.p2align	6
.LBB56_59:                              ;   Parent Loop BB56_6 Depth=1
                                        ; =>  This Inner Loop Header: Depth=2
	ds_read2_b32 v[3:4], v2 offset1:4
	ds_read2_b32 v[13:14], v2 offset0:8 offset1:12
	ds_read2_b32 v[15:16], v2 offset0:16 offset1:20
	;; [unrolled: 1-line block ×3, first 2 shown]
	v_add_nc_u32_e32 v2, 0x80, v2
	s_add_i32 s16, s16, 8
	s_cmp_eq_u32 s55, s16
	s_waitcnt lgkmcnt(3)
	v_add3_u32 v1, v3, v1, v4
	s_waitcnt lgkmcnt(2)
	v_add3_u32 v1, v13, v1, v14
	;; [unrolled: 2-line block ×4, first 2 shown]
	s_cbranch_scc0 .LBB56_59
; %bb.60:                               ;   in Loop: Header=BB56_6 Depth=1
	s_mov_b32 s16, s55
	s_andn2_b32 vcc_lo, exec_lo, s62
	s_cbranch_vccz .LBB56_82
	s_branch .LBB56_84
.LBB56_61:                              ;   in Loop: Header=BB56_6 Depth=1
	v_mov_b32_e32 v1, 0
	v_mov_b32_e32 v2, 0
	;; [unrolled: 1-line block ×4, first 2 shown]
	s_and_saveexec_b32 s25, s11
	s_cbranch_execz .LBB56_65
; %bb.62:                               ;   in Loop: Header=BB56_6 Depth=1
	v_mov_b32_e32 v13, v18
	s_mov_b32 s26, 0
	s_mov_b32 s27, 0
	;; [unrolled: 1-line block ×6, first 2 shown]
.LBB56_63:                              ;   Parent Loop BB56_6 Depth=1
                                        ; =>  This Inner Loop Header: Depth=2
	v_add_nc_u32_e32 v8, s27, v31
	v_add_nc_u32_e32 v13, s54, v13
	v_lshlrev_b64 v[1:2], 1, v[8:9]
	v_add_nc_u32_e32 v8, s27, v12
	v_lshlrev_b64 v[3:4], 1, v[8:9]
	v_add_nc_u32_e32 v8, s27, v29
	v_add_co_u32 v1, vcc_lo, s46, v1
	v_add_co_ci_u32_e64 v2, null, s47, v2, vcc_lo
	v_lshlrev_b64 v[14:15], 1, v[8:9]
	v_add_nc_u32_e32 v8, s27, v30
	s_add_i32 s27, s27, s67
	global_load_sshort v16, v[1:2], off
	v_add_co_u32 v1, vcc_lo, s46, v3
	v_add_co_ci_u32_e64 v2, null, s47, v4, vcc_lo
	v_add_co_u32 v14, vcc_lo, s46, v14
	v_add_co_ci_u32_e64 v15, null, s47, v15, vcc_lo
	v_lshlrev_b64 v[3:4], 1, v[8:9]
	s_clause 0x1
	global_load_sshort v8, v[1:2], off
	global_load_sshort v14, v[14:15], off
	v_add_co_u32 v1, vcc_lo, s46, v3
	v_add_co_ci_u32_e64 v2, null, s47, v4, vcc_lo
	v_cmp_le_u32_e32 vcc_lo, s64, v13
	global_load_sshort v1, v[1:2], off
	s_waitcnt vmcnt(3)
	v_add_nc_u32_e32 v2, 0x8000, v16
	v_and_b32_e32 v3, v2, v36
	v_bfe_u32 v2, v2, s75, 2
	s_waitcnt vmcnt(2)
	v_add_nc_u32_e32 v4, 0x8000, v8
	v_cmp_eq_u32_e64 s6, v3, v28
	v_cmp_eq_u32_e64 s14, 0, v2
	s_waitcnt vmcnt(1)
	v_add_nc_u32_e32 v8, 0x8000, v14
	v_cmp_eq_u32_e64 s16, 1, v2
	v_and_b32_e32 v3, v4, v36
	v_bfe_u32 v4, v4, s75, 2
	v_cmp_eq_u32_e64 s17, 2, v2
	s_and_b32 s14, s6, s14
	v_cmp_eq_u32_e64 s18, 3, v2
	v_cmp_eq_u32_e64 s19, v3, v28
	v_and_b32_e32 v2, v8, v36
	v_bfe_u32 v3, v8, s75, 2
	v_cmp_eq_u32_e64 s20, 0, v4
	v_cndmask_b32_e64 v8, 0, 1, s14
	v_cmp_eq_u32_e64 s14, 1, v4
	s_and_b32 s16, s6, s16
	s_and_b32 s17, s6, s17
	v_cndmask_b32_e64 v14, 0, 1, s16
	v_cmp_eq_u32_e64 s16, 2, v4
	s_waitcnt vmcnt(0)
	v_add_nc_u32_e32 v1, 0x8000, v1
	v_cndmask_b32_e64 v15, 0, 1, s17
	s_and_b32 s6, s6, s18
	s_and_b32 s20, s19, s20
	;; [unrolled: 1-line block ×3, first 2 shown]
	v_cmp_eq_u32_e64 s17, 3, v4
	v_cndmask_b32_e64 v4, 0, 1, s6
	v_cmp_eq_u32_e64 s6, v2, v28
	v_cmp_eq_u32_e64 s18, 0, v3
	v_cmp_ne_u32_e64 s21, 0, v8
	v_cndmask_b32_e64 v8, 0, 1, s20
	v_cmp_eq_u32_e64 s20, 1, v3
	v_cmp_ne_u32_e64 s22, 0, v14
	v_cndmask_b32_e64 v14, 0, 1, s14
	v_cmp_eq_u32_e64 s14, 2, v3
	s_and_b32 s16, s19, s16
	v_and_b32_e32 v2, v1, v36
	v_bfe_u32 v1, v1, s75, 2
	v_cmp_ne_u32_e64 s23, 0, v15
	v_cndmask_b32_e64 v15, 0, 1, s16
	v_cmp_eq_u32_e64 s16, 3, v3
	s_and_b32 s17, s19, s17
	s_and_b32 s18, s6, s18
	;; [unrolled: 1-line block ×4, first 2 shown]
	v_cmp_ne_u32_e64 s24, 0, v4
	v_cndmask_b32_e64 v3, 0, 1, s17
	v_cmp_eq_u32_e64 s17, v2, v28
	v_cmp_eq_u32_e64 s19, 0, v1
	s_bcnt1_i32_b32 s33, s21
	v_cmp_ne_u32_e64 s21, 0, v8
	v_cndmask_b32_e64 v2, 0, 1, s18
	v_cmp_eq_u32_e64 s18, 1, v1
	v_cndmask_b32_e64 v4, 0, 1, s20
	v_cmp_eq_u32_e64 s20, 2, v1
	;; [unrolled: 2-line block ×3, first 2 shown]
	s_and_b32 s6, s6, s16
	s_bcnt1_i32_b32 s84, s24
	v_cndmask_b32_e64 v1, 0, 1, s6
	v_cmp_ne_u32_e64 s24, 0, v3
	s_and_b32 s16, s17, s19
	s_and_b32 s18, s17, s18
	;; [unrolled: 1-line block ×4, first 2 shown]
	v_cmp_ne_u32_e64 s6, 0, v2
	v_cndmask_b32_e64 v2, 0, 1, s16
	v_cmp_ne_u32_e64 s16, 0, v4
	v_cndmask_b32_e64 v3, 0, 1, s18
	v_cndmask_b32_e64 v4, 0, 1, s19
	v_cmp_ne_u32_e64 s19, 0, v1
	v_cndmask_b32_e64 v1, 0, 1, s14
	s_bcnt1_i32_b32 s34, s22
	v_cmp_ne_u32_e64 s22, 0, v14
	s_bcnt1_i32_b32 s83, s23
	v_cmp_ne_u32_e64 s23, 0, v15
	s_add_i32 s28, s84, s28
	v_cmp_ne_u32_e64 s18, 0, v8
	s_bcnt1_i32_b32 s20, s24
	s_bcnt1_i32_b32 s24, s6
	s_add_i32 s20, s28, s20
	v_cmp_ne_u32_e64 s6, 0, v2
	s_bcnt1_i32_b32 s28, s16
	v_cmp_ne_u32_e64 s14, 0, v3
	v_cmp_ne_u32_e64 s16, 0, v4
	;; [unrolled: 1-line block ×3, first 2 shown]
	s_add_i32 s31, s33, s31
	s_add_i32 s30, s34, s30
	;; [unrolled: 1-line block ×3, first 2 shown]
	s_bcnt1_i32_b32 s21, s21
	s_bcnt1_i32_b32 s22, s22
	;; [unrolled: 1-line block ×3, first 2 shown]
	s_add_i32 s21, s31, s21
	s_add_i32 s22, s30, s22
	;; [unrolled: 1-line block ×3, first 2 shown]
	s_bcnt1_i32_b32 s18, s18
	s_bcnt1_i32_b32 s19, s19
	s_add_i32 s21, s21, s24
	s_add_i32 s22, s22, s28
	;; [unrolled: 1-line block ×4, first 2 shown]
	s_bcnt1_i32_b32 s6, s6
	s_bcnt1_i32_b32 s14, s14
	;; [unrolled: 1-line block ×4, first 2 shown]
	s_add_i32 s31, s21, s6
	s_add_i32 s30, s22, s14
	s_add_i32 s29, s18, s16
	s_add_i32 s28, s19, s17
	v_mov_b32_e32 v1, s31
	v_mov_b32_e32 v2, s30
	;; [unrolled: 1-line block ×4, first 2 shown]
	s_or_b32 s26, vcc_lo, s26
	s_andn2_b32 exec_lo, exec_lo, s26
	s_cbranch_execnz .LBB56_63
; %bb.64:                               ;   in Loop: Header=BB56_6 Depth=1
	s_or_b32 exec_lo, exec_lo, s26
.LBB56_65:                              ;   in Loop: Header=BB56_6 Depth=1
	s_or_b32 exec_lo, exec_lo, s25
	s_and_saveexec_b32 s18, s12
	s_cbranch_execz .LBB56_71
; %bb.66:                               ;   in Loop: Header=BB56_6 Depth=1
	global_load_ushort v15, v[10:11], off
	v_mov_b32_e32 v8, v32
	v_mov_b32_e32 v13, v25
	s_mov_b32 s19, 0
	s_branch .LBB56_68
.LBB56_67:                              ;   in Loop: Header=BB56_68 Depth=2
	s_or_b32 exec_lo, exec_lo, s14
	s_waitcnt vmcnt(0)
	v_add_nc_u32_sdwa v15, sext(v15), v35 dst_sel:DWORD dst_unused:UNUSED_PAD src0_sel:WORD_0 src1_sel:DWORD
	s_and_b32 s14, exec_lo, vcc_lo
	v_add_nc_u32_e32 v8, s49, v8
	s_or_b32 s19, s14, s19
	v_and_b32_e32 v16, v15, v36
	v_bfe_u32 v15, v15, s75, 2
	v_cmp_eq_u32_e32 vcc_lo, v16, v28
	v_cmp_eq_u32_e64 s6, 0, v15
	v_cmp_eq_u32_e64 s14, 1, v15
	;; [unrolled: 1-line block ×4, first 2 shown]
	s_and_b32 s6, vcc_lo, s6
	v_cndmask_b32_e64 v15, 0, 1, s6
	s_and_b32 s6, vcc_lo, s14
	v_cndmask_b32_e64 v16, 0, 1, s6
	;; [unrolled: 2-line block ×3, first 2 shown]
	s_and_b32 s6, vcc_lo, s17
	v_cmp_ne_u32_e32 vcc_lo, 0, v15
	v_cndmask_b32_e64 v40, 0, 1, s6
	v_cmp_ne_u32_e64 s6, 0, v16
	v_cmp_ne_u32_e64 s14, 0, v39
	v_mov_b32_e32 v15, v14
	s_bcnt1_i32_b32 s17, vcc_lo
	v_cmp_ne_u32_e64 s16, 0, v40
	s_bcnt1_i32_b32 s6, s6
	s_bcnt1_i32_b32 s14, s14
	v_add_nc_u32_e32 v1, s17, v1
	v_add_nc_u32_e32 v2, s6, v2
	s_bcnt1_i32_b32 s16, s16
	v_add_nc_u32_e32 v3, s14, v3
	v_add_nc_u32_e32 v4, s16, v4
	s_andn2_b32 exec_lo, exec_lo, s19
	s_cbranch_execz .LBB56_70
.LBB56_68:                              ;   Parent Loop BB56_6 Depth=1
                                        ; =>  This Inner Loop Header: Depth=2
	v_add_nc_u32_e32 v13, s48, v13
	v_mov_b32_e32 v14, 0
	s_mov_b32 s14, exec_lo
	v_cmp_le_u32_e32 vcc_lo, s36, v13
	v_cmpx_gt_u32_e64 s36, v13
	s_cbranch_execz .LBB56_67
; %bb.69:                               ;   in Loop: Header=BB56_68 Depth=2
	v_lshlrev_b64 v[39:40], 1, v[8:9]
	v_add_co_u32 v39, s6, s46, v39
	v_add_co_ci_u32_e64 v40, null, s47, v40, s6
	global_load_ushort v14, v[39:40], off
	s_branch .LBB56_67
.LBB56_70:                              ;   in Loop: Header=BB56_6 Depth=1
	s_or_b32 exec_lo, exec_lo, s19
.LBB56_71:                              ;   in Loop: Header=BB56_6 Depth=1
	s_or_b32 exec_lo, exec_lo, s18
	s_branch .LBB56_53
.LBB56_72:                              ;   in Loop: Header=BB56_6 Depth=1
	s_mul_hi_u32 s6, s82, s63
	v_mov_b32_e32 v1, 0
	s_mul_i32 s6, s6, s54
	v_mov_b32_e32 v2, 0
	s_sub_i32 s6, s82, s6
	v_mov_b32_e32 v3, 0
	s_sub_i32 s14, s6, s54
	s_cmp_ge_u32 s6, s54
	v_mov_b32_e32 v4, 0
	s_cselect_b32 s6, s14, s6
	s_mov_b32 s84, exec_lo
	s_sub_i32 s14, s6, s54
	s_cmp_ge_u32 s6, s54
	s_cselect_b32 s6, s14, s6
	s_sub_i32 s83, s82, s6
	v_cmpx_gt_u32_e64 s83, v18
	s_cbranch_execz .LBB56_76
; %bb.73:                               ;   in Loop: Header=BB56_6 Depth=1
	v_mov_b32_e32 v8, v33
	v_mov_b32_e32 v13, v18
	s_mov_b32 s85, 0
	s_mov_b32 s86, 0
	;; [unrolled: 1-line block ×5, first 2 shown]
.LBB56_74:                              ;   Parent Loop BB56_6 Depth=1
                                        ; =>  This Inner Loop Header: Depth=2
	ds_read_b64 v[1:2], v8
	v_add_nc_u32_e32 v13, s54, v13
	v_add_nc_u32_e32 v8, s68, v8
	v_cmp_le_u32_e32 vcc_lo, s83, v13
	s_waitcnt lgkmcnt(0)
	v_add_nc_u32_sdwa v3, sext(v1), v35 dst_sel:DWORD dst_unused:UNUSED_PAD src0_sel:WORD_0 src1_sel:DWORD
	v_add_nc_u32_sdwa v1, sext(v1), v35 dst_sel:DWORD dst_unused:UNUSED_PAD src0_sel:WORD_1 src1_sel:DWORD
	v_add_nc_u32_sdwa v4, sext(v2), v35 dst_sel:DWORD dst_unused:UNUSED_PAD src0_sel:WORD_0 src1_sel:DWORD
	v_add_nc_u32_sdwa v2, sext(v2), v35 dst_sel:DWORD dst_unused:UNUSED_PAD src0_sel:WORD_1 src1_sel:DWORD
	v_and_b32_e32 v14, v3, v36
	v_bfe_u32 v3, v3, s75, 2
	v_and_b32_e32 v15, v1, v36
	v_bfe_u32 v1, v1, s75, 2
	;; [unrolled: 2-line block ×3, first 2 shown]
	v_cmp_eq_u32_e64 s6, v14, v28
	v_cmp_eq_u32_e64 s18, 0, v3
	v_and_b32_e32 v39, v2, v36
	v_bfe_u32 v2, v2, s75, 2
	v_cmp_eq_u32_e64 s14, v15, v28
	v_cmp_eq_u32_e64 s19, 0, v1
	;; [unrolled: 1-line block ×4, first 2 shown]
	s_and_b32 s18, s6, s18
	v_cmp_eq_u32_e64 s17, v39, v28
	v_cmp_eq_u32_e64 s21, 0, v2
	;; [unrolled: 1-line block ×5, first 2 shown]
	v_cndmask_b32_e64 v1, 0, 1, s18
	s_and_b32 s18, s14, s19
	v_cmp_eq_u32_e64 s22, 1, v3
	v_cmp_eq_u32_e64 s25, 1, v2
	;; [unrolled: 1-line block ×4, first 2 shown]
	v_cndmask_b32_e64 v2, 0, 1, s18
	s_and_b32 s18, s16, s20
	v_cmp_eq_u32_e64 s26, 2, v3
	v_cmp_eq_u32_e64 s30, 3, v3
	v_cndmask_b32_e64 v3, 0, 1, s18
	s_and_b32 s18, s17, s21
	v_cmp_eq_u32_e64 s24, 1, v4
	v_cmp_eq_u32_e64 s28, 2, v4
	;; [unrolled: 1-line block ×3, first 2 shown]
	v_cndmask_b32_e64 v4, 0, 1, s18
	s_and_b32 s18, s6, s22
	v_cndmask_b32_e64 v14, 0, 1, s18
	s_and_b32 s18, s14, s23
	;; [unrolled: 2-line block ×4, first 2 shown]
	v_cmp_ne_u32_e64 s19, 0, v15
	v_cndmask_b32_e64 v39, 0, 1, s18
	s_and_b32 s18, s6, s26
	s_and_b32 s6, s6, s30
	v_cndmask_b32_e64 v40, 0, 1, s18
	s_and_b32 s18, s14, s27
	v_cndmask_b32_e64 v44, 0, 1, s6
	;; [unrolled: 2-line block ×7, first 2 shown]
	v_cndmask_b32_e64 v47, 0, 1, s6
	v_cmp_ne_u32_e64 s6, 0, v1
	v_cmp_ne_u32_e64 s18, 0, v14
	;; [unrolled: 1-line block ×11, first 2 shown]
	s_bcnt1_i32_b32 s6, s6
	s_bcnt1_i32_b32 s18, s18
	;; [unrolled: 1-line block ×4, first 2 shown]
	v_cmp_ne_u32_e64 s17, 0, v4
	v_cmp_ne_u32_e64 s21, 0, v39
	;; [unrolled: 1-line block ×4, first 2 shown]
	s_bcnt1_i32_b32 s14, s14
	s_bcnt1_i32_b32 s19, s19
	s_bcnt1_i32_b32 s23, s23
	s_bcnt1_i32_b32 s27, s27
	s_add_i32 s6, s6, s89
	s_add_i32 s18, s18, s88
	s_add_i32 s22, s22, s87
	s_add_i32 s26, s26, s86
	s_bcnt1_i32_b32 s16, s16
	s_bcnt1_i32_b32 s20, s20
	s_bcnt1_i32_b32 s24, s24
	s_bcnt1_i32_b32 s28, s28
	s_add_i32 s6, s6, s14
	s_add_i32 s14, s18, s19
	s_add_i32 s18, s22, s23
	s_add_i32 s19, s26, s27
	;; [unrolled: 8-line block ×3, first 2 shown]
	s_add_i32 s89, s6, s17
	s_add_i32 s88, s14, s21
	;; [unrolled: 1-line block ×4, first 2 shown]
	v_mov_b32_e32 v1, s89
	v_mov_b32_e32 v2, s88
	;; [unrolled: 1-line block ×4, first 2 shown]
	s_or_b32 s85, vcc_lo, s85
	s_andn2_b32 exec_lo, exec_lo, s85
	s_cbranch_execnz .LBB56_74
; %bb.75:                               ;   in Loop: Header=BB56_6 Depth=1
	s_or_b32 exec_lo, exec_lo, s85
.LBB56_76:                              ;   in Loop: Header=BB56_6 Depth=1
	s_or_b32 exec_lo, exec_lo, s84
	v_add_nc_u32_e32 v8, s83, v0
	s_mov_b32 s19, exec_lo
	v_cmpx_gt_u32_e64 s82, v8
	s_cbranch_execz .LBB56_80
; %bb.77:                               ;   in Loop: Header=BB56_6 Depth=1
	v_lshlrev_b32_e32 v13, 1, v8
	s_mov_b32 s20, 0
.LBB56_78:                              ;   Parent Loop BB56_6 Depth=1
                                        ; =>  This Inner Loop Header: Depth=2
	ds_read_i16 v14, v13
	v_add_nc_u32_e32 v8, s48, v8
	v_add_nc_u32_e32 v13, s69, v13
	v_cmp_le_u32_e32 vcc_lo, s82, v8
	s_waitcnt lgkmcnt(0)
	v_add_nc_u32_e32 v14, 0x8000, v14
	v_and_b32_e32 v15, v14, v36
	v_bfe_u32 v14, v14, s75, 2
	v_cmp_eq_u32_e64 s6, v15, v28
	v_cmp_eq_u32_e64 s14, 0, v14
	;; [unrolled: 1-line block ×5, first 2 shown]
	s_and_b32 s14, s6, s14
	v_cndmask_b32_e64 v14, 0, 1, s14
	s_and_b32 s14, s6, s16
	v_cndmask_b32_e64 v15, 0, 1, s14
	s_and_b32 s14, s6, s17
	s_and_b32 s6, s6, s18
	v_cndmask_b32_e64 v16, 0, 1, s14
	v_cndmask_b32_e64 v39, 0, 1, s6
	v_cmp_ne_u32_e64 s6, 0, v14
	v_cmp_ne_u32_e64 s14, 0, v15
	;; [unrolled: 1-line block ×4, first 2 shown]
	s_bcnt1_i32_b32 s6, s6
	s_bcnt1_i32_b32 s14, s14
	v_add_nc_u32_e32 v1, s6, v1
	s_bcnt1_i32_b32 s16, s16
	s_bcnt1_i32_b32 s17, s17
	v_add_nc_u32_e32 v2, s14, v2
	v_add_nc_u32_e32 v3, s16, v3
	;; [unrolled: 1-line block ×3, first 2 shown]
	s_or_b32 s20, vcc_lo, s20
	s_andn2_b32 exec_lo, exec_lo, s20
	s_cbranch_execnz .LBB56_78
; %bb.79:                               ;   in Loop: Header=BB56_6 Depth=1
	s_or_b32 exec_lo, exec_lo, s20
.LBB56_80:                              ;   in Loop: Header=BB56_6 Depth=1
	s_or_b32 exec_lo, exec_lo, s19
	s_lshl_b32 s6, s71, 7
	s_and_saveexec_b32 s14, s0
	s_cbranch_execnz .LBB56_54
	s_branch .LBB56_55
.LBB56_81:                              ;   in Loop: Header=BB56_6 Depth=1
	v_mov_b32_e32 v1, 0
	s_mov_b32 s16, 0
	s_andn2_b32 vcc_lo, exec_lo, s62
	s_cbranch_vccnz .LBB56_84
.LBB56_82:                              ;   in Loop: Header=BB56_6 Depth=1
	s_lshl_b32 s17, s71, 9
	s_lshl_b32 s16, s16, 4
	v_add3_u32 v2, s17, s16, v34
	s_mov_b32 s16, s60
.LBB56_83:                              ;   Parent Loop BB56_6 Depth=1
                                        ; =>  This Inner Loop Header: Depth=2
	ds_read_b32 v3, v2
	v_add_nc_u32_e32 v2, 16, v2
	s_add_i32 s16, s16, -1
	s_cmp_lg_u32 s16, 0
	s_waitcnt lgkmcnt(0)
	v_add_nc_u32_e32 v1, v3, v1
	s_cbranch_scc1 .LBB56_83
.LBB56_84:                              ;   in Loop: Header=BB56_6 Depth=1
	v_add_lshl_u32 v2, s6, v19, 2
	ds_write_b32 v2, v1 offset:3072
.LBB56_85:                              ;   in Loop: Header=BB56_6 Depth=1
	s_or_b32 exec_lo, exec_lo, s14
	s_lshl_b32 s6, s6, 2
	s_waitcnt lgkmcnt(0)
	v_mov_b32_e32 v1, s6
	s_barrier
	buffer_gl0_inv
	v_cmp_eq_u32_e64 s14, 1, v38
	s_lshl_b32 s18, 3, s75
	ds_read_b128 v[1:4], v1 offset:3072
	s_mov_b32 s27, -1
	s_not_b32 s19, s18
	s_mov_b32 s16, 0
	s_andn2_b32 vcc_lo, exec_lo, s53
	s_mov_b32 s24, 0
	s_mov_b32 s23, 0
                                        ; implicit-def: $sgpr25
                                        ; implicit-def: $sgpr26
                                        ; implicit-def: $vgpr8
	s_waitcnt lgkmcnt(0)
	v_readfirstlane_b32 s17, v1
	v_readfirstlane_b32 s20, v2
	;; [unrolled: 1-line block ×4, first 2 shown]
                                        ; implicit-def: $vgpr4
                                        ; implicit-def: $vgpr1
                                        ; implicit-def: $vgpr2
                                        ; implicit-def: $vgpr3
	s_cbranch_vccnz .LBB56_243
; %bb.86:                               ;   in Loop: Header=BB56_6 Depth=1
	s_cmp_eq_u32 s17, 1
	v_mov_b32_e32 v2, v28
	v_mov_b32_e32 v3, v36
	;; [unrolled: 1-line block ×3, first 2 shown]
	s_cselect_b32 s6, -1, 0
	s_mov_b32 s29, -1
	s_and_b32 s6, s6, s14
                                        ; implicit-def: $sgpr26
                                        ; implicit-def: $sgpr25
	s_and_saveexec_b32 s23, s6
	s_cbranch_execz .LBB56_112
; %bb.87:                               ;   in Loop: Header=BB56_6 Depth=1
	ds_read_b32 v1, v9 offset:4096
	s_waitcnt lgkmcnt(0)
	s_barrier
	buffer_gl0_inv
	v_readfirstlane_b32 s27, v1
	s_and_saveexec_b32 s24, s15
; %bb.88:                               ;   in Loop: Header=BB56_6 Depth=1
	ds_write_b16 v21, v9
; %bb.89:                               ;   in Loop: Header=BB56_6 Depth=1
	s_or_b32 exec_lo, exec_lo, s24
	v_and_b32_e32 v2, s19, v28
	v_or_b32_e32 v3, s18, v36
	s_mov_b32 s25, -1
	s_mov_b32 s26, 0
	s_cmp_eq_u32 s27, 0
	s_mov_b32 s24, 0
	s_mov_b32 s28, -1
	s_waitcnt lgkmcnt(0)
	s_barrier
	buffer_gl0_inv
                                        ; implicit-def: $vgpr8
	s_cbranch_scc1 .LBB56_100
; %bb.90:                               ;   in Loop: Header=BB56_6 Depth=1
	s_add_i32 s24, s27, s59
                                        ; implicit-def: $vgpr8
	s_mul_hi_u32 s28, s24, s65
	s_mul_i32 s28, s28, s48
	s_sub_i32 s28, s24, s28
	s_sub_i32 s29, s28, s48
	s_cmp_ge_u32 s28, s48
	s_cselect_b32 s28, s29, s28
	s_sub_i32 s29, s28, s48
	s_cmp_ge_u32 s28, s48
	s_cselect_b32 s28, s29, s28
	s_mov_b32 s29, exec_lo
	s_sub_i32 s30, s24, s28
	s_mov_b32 s28, 0
	s_mov_b32 s24, 0
	v_cmpx_gt_u32_e64 s30, v0
	s_cbranch_execz .LBB56_99
; %bb.91:                               ;   in Loop: Header=BB56_6 Depth=1
	v_mov_b32_e32 v1, v20
	v_mov_b32_e32 v4, v0
                                        ; implicit-def: $sgpr31
	s_inst_prefetch 0x1
	s_branch .LBB56_94
	.p2align	6
.LBB56_92:                              ;   in Loop: Header=BB56_94 Depth=2
	s_or_b32 exec_lo, exec_lo, s33
	s_waitcnt lgkmcnt(0)
	s_barrier
	buffer_gl0_inv
	ds_read_b32 v8, v9 offset:3072
	s_mov_b32 s33, -1
	s_waitcnt lgkmcnt(0)
	s_barrier
	buffer_gl0_inv
	v_cmp_ne_u32_sdwa s34, v8, v9 src0_sel:WORD_0 src1_sel:DWORD
	s_and_b32 vcc_lo, exec_lo, s34
	s_mov_b32 s34, -1
	s_cbranch_vccz .LBB56_97
.LBB56_93:                              ;   in Loop: Header=BB56_94 Depth=2
	s_and_b32 s33, exec_lo, s33
	s_or_b32 s24, s33, s24
	s_andn2_b32 s31, s31, exec_lo
	s_and_b32 s33, s34, exec_lo
	s_or_b32 s31, s31, s33
	s_andn2_b32 exec_lo, exec_lo, s24
	s_cbranch_execz .LBB56_98
.LBB56_94:                              ;   Parent Loop BB56_6 Depth=1
                                        ; =>  This Inner Loop Header: Depth=2
	s_mov_b32 s33, exec_lo
	v_cmpx_gt_u32_e64 s27, v4
	s_cbranch_execz .LBB56_92
; %bb.95:                               ;   in Loop: Header=BB56_94 Depth=2
	ds_read_u16 v8, v1
	s_waitcnt lgkmcnt(0)
	v_add_nc_u32_sdwa v13, sext(v8), v35 dst_sel:DWORD dst_unused:UNUSED_PAD src0_sel:WORD_0 src1_sel:DWORD
	v_and_b32_e32 v13, v13, v3
	v_cmp_eq_u32_e32 vcc_lo, v13, v2
	s_and_b32 exec_lo, exec_lo, vcc_lo
	s_cbranch_execz .LBB56_92
; %bb.96:                               ;   in Loop: Header=BB56_94 Depth=2
	v_perm_b32 v8, v8, 1, 0x5040100
	ds_write_b32 v9, v8 offset:3072
	s_branch .LBB56_92
.LBB56_97:                              ;   in Loop: Header=BB56_94 Depth=2
	v_add_nc_u32_e32 v4, s48, v4
	v_add_nc_u32_e32 v1, s69, v1
	s_mov_b32 s34, 0
	v_cmp_le_u32_e32 vcc_lo, s30, v4
	s_orn2_b32 s33, vcc_lo, exec_lo
	s_branch .LBB56_93
.LBB56_98:                              ;   in Loop: Header=BB56_6 Depth=1
	s_inst_prefetch 0x2
	s_or_b32 exec_lo, exec_lo, s24
	v_lshrrev_b32_e32 v8, 16, v8
	s_and_b32 s24, s31, exec_lo
.LBB56_99:                              ;   in Loop: Header=BB56_6 Depth=1
	s_or_b32 exec_lo, exec_lo, s29
.LBB56_100:                             ;   in Loop: Header=BB56_6 Depth=1
	s_and_b32 vcc_lo, exec_lo, s28
	s_cbranch_vccz .LBB56_111
; %bb.101:                              ;   in Loop: Header=BB56_6 Depth=1
                                        ; implicit-def: $vgpr8
	s_and_saveexec_b32 s25, s13
	s_cbranch_execz .LBB56_110
; %bb.102:                              ;   in Loop: Header=BB56_6 Depth=1
	v_mov_b32_e32 v8, v7
	v_mov_b32_e32 v1, v0
	s_mov_b32 s26, 0
                                        ; implicit-def: $sgpr27
	s_inst_prefetch 0x1
	s_branch .LBB56_105
	.p2align	6
.LBB56_103:                             ;   in Loop: Header=BB56_105 Depth=2
	s_or_b32 exec_lo, exec_lo, s28
	s_waitcnt lgkmcnt(0)
	s_barrier
	buffer_gl0_inv
	ds_read_b32 v4, v9 offset:3072
	s_mov_b32 s28, -1
	s_waitcnt lgkmcnt(0)
	s_barrier
	buffer_gl0_inv
	v_cmp_ne_u32_sdwa s29, v4, v9 src0_sel:WORD_0 src1_sel:DWORD
	s_and_b32 vcc_lo, exec_lo, s29
	s_mov_b32 s29, -1
	s_cbranch_vccz .LBB56_108
.LBB56_104:                             ;   in Loop: Header=BB56_105 Depth=2
	s_and_b32 s28, exec_lo, s28
	s_or_b32 s26, s28, s26
	s_andn2_b32 s27, s27, exec_lo
	s_and_b32 s28, s29, exec_lo
	s_or_b32 s27, s27, s28
	s_andn2_b32 exec_lo, exec_lo, s26
	s_cbranch_execz .LBB56_109
.LBB56_105:                             ;   Parent Loop BB56_6 Depth=1
                                        ; =>  This Inner Loop Header: Depth=2
	s_mov_b32 s28, exec_lo
	v_cmpx_gt_u32_e64 s36, v1
	s_cbranch_execz .LBB56_103
; %bb.106:                              ;   in Loop: Header=BB56_105 Depth=2
	v_lshlrev_b64 v[13:14], 1, v[8:9]
	v_add_co_u32 v13, vcc_lo, s46, v13
	v_add_co_ci_u32_e64 v14, null, s47, v14, vcc_lo
	global_load_ushort v4, v[13:14], off
	s_waitcnt vmcnt(0)
	v_add_nc_u32_sdwa v13, sext(v4), v35 dst_sel:DWORD dst_unused:UNUSED_PAD src0_sel:WORD_0 src1_sel:DWORD
	v_and_b32_e32 v13, v13, v3
	v_cmp_eq_u32_e32 vcc_lo, v13, v2
	s_and_b32 exec_lo, exec_lo, vcc_lo
	s_cbranch_execz .LBB56_103
; %bb.107:                              ;   in Loop: Header=BB56_105 Depth=2
	v_perm_b32 v4, v4, 1, 0x5040100
	ds_write_b32 v9, v4 offset:3072
	s_branch .LBB56_103
.LBB56_108:                             ;   in Loop: Header=BB56_105 Depth=2
	v_add_nc_u32_e32 v1, s48, v1
	v_add_nc_u32_e32 v8, s49, v8
	s_mov_b32 s29, 0
	v_cmp_le_u32_e32 vcc_lo, s66, v1
	s_orn2_b32 s28, vcc_lo, exec_lo
	s_branch .LBB56_104
.LBB56_109:                             ;   in Loop: Header=BB56_6 Depth=1
	s_inst_prefetch 0x2
	s_or_b32 exec_lo, exec_lo, s26
	v_lshrrev_b32_e32 v8, 16, v4
	s_andn2_b32 s24, s24, exec_lo
	s_and_b32 s26, s27, exec_lo
	s_or_b32 s24, s24, s26
.LBB56_110:                             ;   in Loop: Header=BB56_6 Depth=1
	s_or_b32 exec_lo, exec_lo, s25
	s_mov_b32 s25, 0
	s_mov_b32 s26, -1
.LBB56_111:                             ;   in Loop: Header=BB56_6 Depth=1
	s_orn2_b32 s29, s24, exec_lo
.LBB56_112:                             ;   in Loop: Header=BB56_6 Depth=1
	s_or_b32 exec_lo, exec_lo, s23
	s_mov_b32 s27, 0
	s_mov_b32 s24, 0
	;; [unrolled: 1-line block ×3, first 2 shown]
                                        ; implicit-def: $vgpr4
                                        ; implicit-def: $vgpr1
	s_and_saveexec_b32 s28, s29
	s_cbranch_execz .LBB56_242
; %bb.113:                              ;   in Loop: Header=BB56_6 Depth=1
	v_mov_b32_e32 v4, 1
	v_mov_b32_e32 v1, 1
	s_xor_b32 s23, s6, -1
	s_mov_b32 s30, 0
	s_and_saveexec_b32 s6, s23
	s_cbranch_execz .LBB56_122
; %bb.114:                              ;   in Loop: Header=BB56_6 Depth=1
	s_mov_b32 s23, exec_lo
	v_cmpx_ge_u32_e64 s17, v38
	s_xor_b32 s23, exec_lo, s23
	s_cbranch_execz .LBB56_119
; %bb.115:                              ;   in Loop: Header=BB56_6 Depth=1
	ds_read_b32 v1, v9 offset:4096
	v_and_b32_e32 v2, s19, v2
	v_or_b32_e32 v3, s18, v3
	s_waitcnt lgkmcnt(0)
	v_cmp_ne_u32_e32 vcc_lo, 0, v1
	s_cbranch_vccnz .LBB56_119
; %bb.116:                              ;   in Loop: Header=BB56_6 Depth=1
	s_and_saveexec_b32 s24, s3
; %bb.117:                              ;   in Loop: Header=BB56_6 Depth=1
	v_mov_b32_e32 v1, s17
	ds_write_b32 v9, v1 offset:4100
; %bb.118:                              ;   in Loop: Header=BB56_6 Depth=1
	s_or_b32 exec_lo, exec_lo, s24
	s_waitcnt lgkmcnt(0)
	s_barrier
	buffer_gl0_inv
.LBB56_119:                             ;   in Loop: Header=BB56_6 Depth=1
	s_or_saveexec_b32 s23, s23
	v_mov_b32_e32 v1, 8
	v_mov_b32_e32 v4, v38
	s_mov_b32 s24, 0
	s_xor_b32 exec_lo, exec_lo, s23
; %bb.120:                              ;   in Loop: Header=BB56_6 Depth=1
	v_subrev_nc_u32_e32 v4, s17, v38
	v_mov_b32_e32 v1, 0
	s_mov_b32 s24, exec_lo
; %bb.121:                              ;   in Loop: Header=BB56_6 Depth=1
	s_or_b32 exec_lo, exec_lo, s23
	s_and_b32 s30, s24, exec_lo
.LBB56_122:                             ;   in Loop: Header=BB56_6 Depth=1
	s_or_b32 exec_lo, exec_lo, s6
	s_mov_b32 s29, -1
                                        ; implicit-def: $sgpr23
                                        ; implicit-def: $sgpr24
	s_and_saveexec_b32 s6, s30
	s_xor_b32 s6, exec_lo, s6
	s_cbranch_execz .LBB56_239
; %bb.123:                              ;   in Loop: Header=BB56_6 Depth=1
	v_cmp_eq_u32_e32 vcc_lo, 1, v4
	s_cmp_eq_u32 s20, 1
	s_mov_b32 s31, -1
	s_cselect_b32 s23, -1, 0
                                        ; implicit-def: $sgpr24
	s_and_b32 s30, s23, vcc_lo
                                        ; implicit-def: $sgpr23
	s_and_saveexec_b32 s29, s30
	s_cbranch_execz .LBB56_149
; %bb.124:                              ;   in Loop: Header=BB56_6 Depth=1
	ds_read_b32 v8, v9 offset:4096
	s_waitcnt lgkmcnt(0)
	s_barrier
	buffer_gl0_inv
	v_readfirstlane_b32 s33, v8
	s_and_saveexec_b32 s23, s15
; %bb.125:                              ;   in Loop: Header=BB56_6 Depth=1
	ds_write_b16 v21, v9
; %bb.126:                              ;   in Loop: Header=BB56_6 Depth=1
	s_or_b32 exec_lo, exec_lo, s23
	s_lshl_b32 s23, 1, s75
	v_or_b32_e32 v3, s18, v3
	v_and_or_b32 v2, v2, s19, s23
	s_mov_b32 s23, -1
	s_mov_b32 s24, 0
	s_cmp_eq_u32 s33, 0
	s_mov_b32 s31, 0
	s_mov_b32 s34, -1
	s_waitcnt lgkmcnt(0)
	s_barrier
	buffer_gl0_inv
                                        ; implicit-def: $vgpr8
	s_cbranch_scc1 .LBB56_137
; %bb.127:                              ;   in Loop: Header=BB56_6 Depth=1
	s_add_i32 s31, s33, s59
                                        ; implicit-def: $vgpr8
	s_mul_hi_u32 s34, s31, s65
	s_mul_i32 s34, s34, s48
	s_sub_i32 s34, s31, s34
	s_sub_i32 s82, s34, s48
	s_cmp_ge_u32 s34, s48
	s_cselect_b32 s34, s82, s34
	s_sub_i32 s82, s34, s48
	s_cmp_ge_u32 s34, s48
	s_cselect_b32 s34, s82, s34
	s_mov_b32 s82, exec_lo
	s_sub_i32 s83, s31, s34
	s_mov_b32 s34, 0
	s_mov_b32 s31, 0
	v_cmpx_gt_u32_e64 s83, v0
	s_cbranch_execz .LBB56_136
; %bb.128:                              ;   in Loop: Header=BB56_6 Depth=1
	v_mov_b32_e32 v8, v20
	v_mov_b32_e32 v13, v0
                                        ; implicit-def: $sgpr84
	s_inst_prefetch 0x1
	s_branch .LBB56_131
	.p2align	6
.LBB56_129:                             ;   in Loop: Header=BB56_131 Depth=2
	s_or_b32 exec_lo, exec_lo, s85
	s_waitcnt lgkmcnt(0)
	s_barrier
	buffer_gl0_inv
	ds_read_b32 v14, v9 offset:3072
	s_mov_b32 s85, -1
	s_waitcnt lgkmcnt(0)
	s_barrier
	buffer_gl0_inv
	v_cmp_ne_u32_sdwa s86, v14, v9 src0_sel:WORD_0 src1_sel:DWORD
	s_and_b32 vcc_lo, exec_lo, s86
	s_mov_b32 s86, -1
	s_cbranch_vccz .LBB56_134
.LBB56_130:                             ;   in Loop: Header=BB56_131 Depth=2
	s_and_b32 s85, exec_lo, s85
	s_or_b32 s31, s85, s31
	s_andn2_b32 s84, s84, exec_lo
	s_and_b32 s85, s86, exec_lo
	s_or_b32 s84, s84, s85
	s_andn2_b32 exec_lo, exec_lo, s31
	s_cbranch_execz .LBB56_135
.LBB56_131:                             ;   Parent Loop BB56_6 Depth=1
                                        ; =>  This Inner Loop Header: Depth=2
	s_mov_b32 s85, exec_lo
	v_cmpx_gt_u32_e64 s33, v13
	s_cbranch_execz .LBB56_129
; %bb.132:                              ;   in Loop: Header=BB56_131 Depth=2
	ds_read_u16 v14, v8
	s_waitcnt lgkmcnt(0)
	v_add_nc_u32_sdwa v15, sext(v14), v35 dst_sel:DWORD dst_unused:UNUSED_PAD src0_sel:WORD_0 src1_sel:DWORD
	v_and_b32_e32 v15, v15, v3
	v_cmp_eq_u32_e32 vcc_lo, v15, v2
	s_and_b32 exec_lo, exec_lo, vcc_lo
	s_cbranch_execz .LBB56_129
; %bb.133:                              ;   in Loop: Header=BB56_131 Depth=2
	v_perm_b32 v14, v14, 1, 0x5040100
	ds_write_b32 v9, v14 offset:3072
	s_branch .LBB56_129
.LBB56_134:                             ;   in Loop: Header=BB56_131 Depth=2
	v_add_nc_u32_e32 v13, s48, v13
	v_add_nc_u32_e32 v8, s69, v8
	s_mov_b32 s86, 0
	v_cmp_le_u32_e32 vcc_lo, s83, v13
	s_orn2_b32 s85, vcc_lo, exec_lo
	s_branch .LBB56_130
.LBB56_135:                             ;   in Loop: Header=BB56_6 Depth=1
	s_inst_prefetch 0x2
	s_or_b32 exec_lo, exec_lo, s31
	v_lshrrev_b32_e32 v8, 16, v14
	s_and_b32 s31, s84, exec_lo
.LBB56_136:                             ;   in Loop: Header=BB56_6 Depth=1
	s_or_b32 exec_lo, exec_lo, s82
.LBB56_137:                             ;   in Loop: Header=BB56_6 Depth=1
	s_and_b32 vcc_lo, exec_lo, s34
	s_cbranch_vccz .LBB56_148
; %bb.138:                              ;   in Loop: Header=BB56_6 Depth=1
                                        ; implicit-def: $vgpr8
	s_and_saveexec_b32 s23, s13
	s_cbranch_execz .LBB56_147
; %bb.139:                              ;   in Loop: Header=BB56_6 Depth=1
	v_mov_b32_e32 v8, v7
	v_mov_b32_e32 v13, v0
	s_mov_b32 s24, 0
                                        ; implicit-def: $sgpr33
	s_inst_prefetch 0x1
	s_branch .LBB56_142
	.p2align	6
.LBB56_140:                             ;   in Loop: Header=BB56_142 Depth=2
	s_or_b32 exec_lo, exec_lo, s34
	s_waitcnt lgkmcnt(0)
	s_barrier
	buffer_gl0_inv
	ds_read_b32 v14, v9 offset:3072
	s_mov_b32 s34, -1
	s_waitcnt lgkmcnt(0)
	s_barrier
	buffer_gl0_inv
	v_cmp_eq_u32_sdwa s82, v14, v9 src0_sel:WORD_0 src1_sel:DWORD
	s_and_b32 vcc_lo, exec_lo, s82
	s_mov_b32 s82, -1
	s_cbranch_vccnz .LBB56_145
.LBB56_141:                             ;   in Loop: Header=BB56_142 Depth=2
	s_and_b32 s34, exec_lo, s34
	s_or_b32 s24, s34, s24
	s_andn2_b32 s33, s33, exec_lo
	s_and_b32 s34, s82, exec_lo
	s_or_b32 s33, s33, s34
	s_andn2_b32 exec_lo, exec_lo, s24
	s_cbranch_execz .LBB56_146
.LBB56_142:                             ;   Parent Loop BB56_6 Depth=1
                                        ; =>  This Inner Loop Header: Depth=2
	s_mov_b32 s34, exec_lo
	v_cmpx_gt_u32_e64 s36, v13
	s_cbranch_execz .LBB56_140
; %bb.143:                              ;   in Loop: Header=BB56_142 Depth=2
	v_lshlrev_b64 v[14:15], 1, v[8:9]
	v_add_co_u32 v14, vcc_lo, s46, v14
	v_add_co_ci_u32_e64 v15, null, s47, v15, vcc_lo
	global_load_ushort v14, v[14:15], off
	s_waitcnt vmcnt(0)
	v_add_nc_u32_sdwa v15, sext(v14), v35 dst_sel:DWORD dst_unused:UNUSED_PAD src0_sel:WORD_0 src1_sel:DWORD
	v_and_b32_e32 v15, v15, v3
	v_cmp_eq_u32_e32 vcc_lo, v15, v2
	s_and_b32 exec_lo, exec_lo, vcc_lo
	s_cbranch_execz .LBB56_140
; %bb.144:                              ;   in Loop: Header=BB56_142 Depth=2
	v_perm_b32 v14, v14, 1, 0x5040100
	ds_write_b32 v9, v14 offset:3072
	s_branch .LBB56_140
.LBB56_145:                             ;   in Loop: Header=BB56_142 Depth=2
	v_add_nc_u32_e32 v13, s48, v13
	v_add_nc_u32_e32 v8, s49, v8
	s_mov_b32 s82, 0
	v_cmp_le_u32_e32 vcc_lo, s66, v13
	s_orn2_b32 s34, vcc_lo, exec_lo
	s_branch .LBB56_141
.LBB56_146:                             ;   in Loop: Header=BB56_6 Depth=1
	s_inst_prefetch 0x2
	s_or_b32 exec_lo, exec_lo, s24
	v_lshrrev_b32_e32 v8, 16, v14
	s_andn2_b32 s24, s31, exec_lo
	s_and_b32 s31, s33, exec_lo
	s_or_b32 s31, s24, s31
.LBB56_147:                             ;   in Loop: Header=BB56_6 Depth=1
	s_or_b32 exec_lo, exec_lo, s23
	s_mov_b32 s23, 0
	s_mov_b32 s24, -1
.LBB56_148:                             ;   in Loop: Header=BB56_6 Depth=1
	s_orn2_b32 s31, s31, exec_lo
.LBB56_149:                             ;   in Loop: Header=BB56_6 Depth=1
	s_or_b32 exec_lo, exec_lo, s29
	s_mov_b32 s33, 0
	s_and_saveexec_b32 s29, s31
	s_cbranch_execz .LBB56_238
; %bb.150:                              ;   in Loop: Header=BB56_6 Depth=1
	v_mov_b32_e32 v13, 1
	v_mov_b32_e32 v1, 1
	s_xor_b32 s31, s30, -1
	s_mov_b32 s82, 0
	s_and_saveexec_b32 s30, s31
	s_cbranch_execz .LBB56_159
; %bb.151:                              ;   in Loop: Header=BB56_6 Depth=1
	s_mov_b32 s31, exec_lo
	v_cmpx_ge_u32_e64 s20, v4
	s_xor_b32 s31, exec_lo, s31
	s_cbranch_execz .LBB56_156
; %bb.152:                              ;   in Loop: Header=BB56_6 Depth=1
	ds_read_b32 v1, v9 offset:4096
	s_lshl_b32 s33, 1, s75
	v_or_b32_e32 v3, s18, v3
	v_and_or_b32 v2, v2, s19, s33
	s_waitcnt lgkmcnt(0)
	v_cmp_ne_u32_e32 vcc_lo, 0, v1
	s_cbranch_vccnz .LBB56_156
; %bb.153:                              ;   in Loop: Header=BB56_6 Depth=1
	s_and_saveexec_b32 s33, s3
; %bb.154:                              ;   in Loop: Header=BB56_6 Depth=1
	v_mov_b32_e32 v1, s20
	ds_write_b32 v9, v1 offset:4100
; %bb.155:                              ;   in Loop: Header=BB56_6 Depth=1
	s_or_b32 exec_lo, exec_lo, s33
	s_waitcnt lgkmcnt(0)
	s_barrier
	buffer_gl0_inv
.LBB56_156:                             ;   in Loop: Header=BB56_6 Depth=1
	s_or_saveexec_b32 s31, s31
	v_mov_b32_e32 v1, 8
	s_mov_b32 s33, 0
	s_xor_b32 exec_lo, exec_lo, s31
; %bb.157:                              ;   in Loop: Header=BB56_6 Depth=1
	v_subrev_nc_u32_e32 v4, s20, v4
	v_mov_b32_e32 v1, 0
	s_mov_b32 s33, exec_lo
; %bb.158:                              ;   in Loop: Header=BB56_6 Depth=1
	s_or_b32 exec_lo, exec_lo, s31
	v_mov_b32_e32 v13, v4
	s_and_b32 s82, s33, exec_lo
.LBB56_159:                             ;   in Loop: Header=BB56_6 Depth=1
	s_or_b32 exec_lo, exec_lo, s30
	s_mov_b32 s34, -1
                                        ; implicit-def: $sgpr31
                                        ; implicit-def: $sgpr33
	s_and_saveexec_b32 s30, s82
	s_cbranch_execz .LBB56_237
; %bb.160:                              ;   in Loop: Header=BB56_6 Depth=1
	v_cmp_eq_u32_e32 vcc_lo, 1, v13
	s_cmp_eq_u32 s21, 1
	s_mov_b32 s83, -1
	s_cselect_b32 s31, -1, 0
                                        ; implicit-def: $sgpr33
	s_and_b32 s82, s31, vcc_lo
                                        ; implicit-def: $sgpr31
	s_and_saveexec_b32 s34, s82
	s_cbranch_execz .LBB56_186
; %bb.161:                              ;   in Loop: Header=BB56_6 Depth=1
	ds_read_b32 v4, v9 offset:4096
	s_waitcnt lgkmcnt(0)
	s_barrier
	buffer_gl0_inv
	v_readfirstlane_b32 s84, v4
	s_and_saveexec_b32 s31, s15
; %bb.162:                              ;   in Loop: Header=BB56_6 Depth=1
	ds_write_b16 v21, v9
; %bb.163:                              ;   in Loop: Header=BB56_6 Depth=1
	s_or_b32 exec_lo, exec_lo, s31
	s_lshl_b32 s31, 2, s75
	v_or_b32_e32 v3, s18, v3
	v_and_or_b32 v2, v2, s19, s31
	s_mov_b32 s31, -1
	s_mov_b32 s33, 0
	s_cmp_eq_u32 s84, 0
	s_mov_b32 s83, 0
	s_mov_b32 s85, -1
	s_waitcnt lgkmcnt(0)
	s_barrier
	buffer_gl0_inv
                                        ; implicit-def: $vgpr8
	s_cbranch_scc1 .LBB56_174
; %bb.164:                              ;   in Loop: Header=BB56_6 Depth=1
	s_add_i32 s83, s84, s59
                                        ; implicit-def: $vgpr8
	s_mul_hi_u32 s85, s83, s65
	s_mul_i32 s85, s85, s48
	s_sub_i32 s85, s83, s85
	s_sub_i32 s86, s85, s48
	s_cmp_ge_u32 s85, s48
	s_cselect_b32 s85, s86, s85
	s_sub_i32 s86, s85, s48
	s_cmp_ge_u32 s85, s48
	s_cselect_b32 s85, s86, s85
	s_mov_b32 s86, exec_lo
	s_sub_i32 s87, s83, s85
	s_mov_b32 s85, 0
	s_mov_b32 s83, 0
	v_cmpx_gt_u32_e64 s87, v0
	s_cbranch_execz .LBB56_173
; %bb.165:                              ;   in Loop: Header=BB56_6 Depth=1
	v_mov_b32_e32 v4, v20
	v_mov_b32_e32 v8, v0
                                        ; implicit-def: $sgpr88
	s_inst_prefetch 0x1
	s_branch .LBB56_168
	.p2align	6
.LBB56_166:                             ;   in Loop: Header=BB56_168 Depth=2
	s_or_b32 exec_lo, exec_lo, s89
	s_waitcnt lgkmcnt(0)
	s_barrier
	buffer_gl0_inv
	ds_read_b32 v14, v9 offset:3072
	s_mov_b32 s89, -1
	s_waitcnt lgkmcnt(0)
	s_barrier
	buffer_gl0_inv
	v_cmp_ne_u32_sdwa s90, v14, v9 src0_sel:WORD_0 src1_sel:DWORD
	s_and_b32 vcc_lo, exec_lo, s90
	s_mov_b32 s90, -1
	s_cbranch_vccz .LBB56_171
.LBB56_167:                             ;   in Loop: Header=BB56_168 Depth=2
	s_and_b32 s89, exec_lo, s89
	s_or_b32 s83, s89, s83
	s_andn2_b32 s88, s88, exec_lo
	s_and_b32 s89, s90, exec_lo
	s_or_b32 s88, s88, s89
	s_andn2_b32 exec_lo, exec_lo, s83
	s_cbranch_execz .LBB56_172
.LBB56_168:                             ;   Parent Loop BB56_6 Depth=1
                                        ; =>  This Inner Loop Header: Depth=2
	s_mov_b32 s89, exec_lo
	v_cmpx_gt_u32_e64 s84, v8
	s_cbranch_execz .LBB56_166
; %bb.169:                              ;   in Loop: Header=BB56_168 Depth=2
	ds_read_u16 v14, v4
	s_waitcnt lgkmcnt(0)
	v_add_nc_u32_sdwa v15, sext(v14), v35 dst_sel:DWORD dst_unused:UNUSED_PAD src0_sel:WORD_0 src1_sel:DWORD
	v_and_b32_e32 v15, v15, v3
	v_cmp_eq_u32_e32 vcc_lo, v15, v2
	s_and_b32 exec_lo, exec_lo, vcc_lo
	s_cbranch_execz .LBB56_166
; %bb.170:                              ;   in Loop: Header=BB56_168 Depth=2
	v_perm_b32 v14, v14, 1, 0x5040100
	ds_write_b32 v9, v14 offset:3072
	s_branch .LBB56_166
.LBB56_171:                             ;   in Loop: Header=BB56_168 Depth=2
	v_add_nc_u32_e32 v8, s48, v8
	v_add_nc_u32_e32 v4, s69, v4
	s_mov_b32 s90, 0
	v_cmp_le_u32_e32 vcc_lo, s87, v8
	s_orn2_b32 s89, vcc_lo, exec_lo
	s_branch .LBB56_167
.LBB56_172:                             ;   in Loop: Header=BB56_6 Depth=1
	s_inst_prefetch 0x2
	s_or_b32 exec_lo, exec_lo, s83
	v_lshrrev_b32_e32 v8, 16, v14
	s_and_b32 s83, s88, exec_lo
.LBB56_173:                             ;   in Loop: Header=BB56_6 Depth=1
	s_or_b32 exec_lo, exec_lo, s86
.LBB56_174:                             ;   in Loop: Header=BB56_6 Depth=1
	s_and_b32 vcc_lo, exec_lo, s85
	s_cbranch_vccz .LBB56_185
; %bb.175:                              ;   in Loop: Header=BB56_6 Depth=1
                                        ; implicit-def: $vgpr8
	s_and_saveexec_b32 s31, s13
	s_cbranch_execz .LBB56_184
; %bb.176:                              ;   in Loop: Header=BB56_6 Depth=1
	v_mov_b32_e32 v8, v7
	v_mov_b32_e32 v4, v0
	s_mov_b32 s33, 0
                                        ; implicit-def: $sgpr84
	s_inst_prefetch 0x1
	s_branch .LBB56_179
	.p2align	6
.LBB56_177:                             ;   in Loop: Header=BB56_179 Depth=2
	s_or_b32 exec_lo, exec_lo, s85
	s_waitcnt lgkmcnt(0)
	s_barrier
	buffer_gl0_inv
	ds_read_b32 v14, v9 offset:3072
	s_mov_b32 s85, -1
	s_waitcnt lgkmcnt(0)
	s_barrier
	buffer_gl0_inv
	v_cmp_eq_u32_sdwa s86, v14, v9 src0_sel:WORD_0 src1_sel:DWORD
	s_and_b32 vcc_lo, exec_lo, s86
	s_mov_b32 s86, -1
	s_cbranch_vccnz .LBB56_182
.LBB56_178:                             ;   in Loop: Header=BB56_179 Depth=2
	s_and_b32 s85, exec_lo, s85
	s_or_b32 s33, s85, s33
	s_andn2_b32 s84, s84, exec_lo
	s_and_b32 s85, s86, exec_lo
	s_or_b32 s84, s84, s85
	s_andn2_b32 exec_lo, exec_lo, s33
	s_cbranch_execz .LBB56_183
.LBB56_179:                             ;   Parent Loop BB56_6 Depth=1
                                        ; =>  This Inner Loop Header: Depth=2
	s_mov_b32 s85, exec_lo
	v_cmpx_gt_u32_e64 s36, v4
	s_cbranch_execz .LBB56_177
; %bb.180:                              ;   in Loop: Header=BB56_179 Depth=2
	v_lshlrev_b64 v[14:15], 1, v[8:9]
	v_add_co_u32 v14, vcc_lo, s46, v14
	v_add_co_ci_u32_e64 v15, null, s47, v15, vcc_lo
	global_load_ushort v14, v[14:15], off
	s_waitcnt vmcnt(0)
	v_add_nc_u32_sdwa v15, sext(v14), v35 dst_sel:DWORD dst_unused:UNUSED_PAD src0_sel:WORD_0 src1_sel:DWORD
	v_and_b32_e32 v15, v15, v3
	v_cmp_eq_u32_e32 vcc_lo, v15, v2
	s_and_b32 exec_lo, exec_lo, vcc_lo
	s_cbranch_execz .LBB56_177
; %bb.181:                              ;   in Loop: Header=BB56_179 Depth=2
	v_perm_b32 v14, v14, 1, 0x5040100
	ds_write_b32 v9, v14 offset:3072
	s_branch .LBB56_177
.LBB56_182:                             ;   in Loop: Header=BB56_179 Depth=2
	v_add_nc_u32_e32 v4, s48, v4
	v_add_nc_u32_e32 v8, s49, v8
	s_mov_b32 s86, 0
	v_cmp_le_u32_e32 vcc_lo, s66, v4
	s_orn2_b32 s85, vcc_lo, exec_lo
	s_branch .LBB56_178
.LBB56_183:                             ;   in Loop: Header=BB56_6 Depth=1
	s_inst_prefetch 0x2
	s_or_b32 exec_lo, exec_lo, s33
	v_lshrrev_b32_e32 v8, 16, v14
	s_andn2_b32 s33, s83, exec_lo
	s_and_b32 s83, s84, exec_lo
	s_or_b32 s83, s33, s83
.LBB56_184:                             ;   in Loop: Header=BB56_6 Depth=1
	s_or_b32 exec_lo, exec_lo, s31
	s_mov_b32 s31, 0
	s_mov_b32 s33, -1
.LBB56_185:                             ;   in Loop: Header=BB56_6 Depth=1
	s_orn2_b32 s83, s83, exec_lo
.LBB56_186:                             ;   in Loop: Header=BB56_6 Depth=1
	s_or_b32 exec_lo, exec_lo, s34
	s_mov_b32 s84, 0
	s_and_saveexec_b32 s34, s83
	s_cbranch_execz .LBB56_236
; %bb.187:                              ;   in Loop: Header=BB56_6 Depth=1
	v_mov_b32_e32 v4, 1
	v_mov_b32_e32 v1, 1
	s_xor_b32 s83, s82, -1
	s_mov_b32 s86, 0
	s_and_saveexec_b32 s82, s83
	s_cbranch_execz .LBB56_196
; %bb.188:                              ;   in Loop: Header=BB56_6 Depth=1
	s_mov_b32 s83, exec_lo
	v_cmpx_ge_u32_e64 s21, v13
	s_xor_b32 s83, exec_lo, s83
	s_cbranch_execz .LBB56_193
; %bb.189:                              ;   in Loop: Header=BB56_6 Depth=1
	ds_read_b32 v1, v9 offset:4096
	s_lshl_b32 s84, 2, s75
	v_or_b32_e32 v3, s18, v3
	v_and_or_b32 v2, v2, s19, s84
	s_waitcnt lgkmcnt(0)
	v_cmp_ne_u32_e32 vcc_lo, 0, v1
	s_cbranch_vccnz .LBB56_193
; %bb.190:                              ;   in Loop: Header=BB56_6 Depth=1
	s_and_saveexec_b32 s84, s3
; %bb.191:                              ;   in Loop: Header=BB56_6 Depth=1
	v_mov_b32_e32 v1, s21
	ds_write_b32 v9, v1 offset:4100
; %bb.192:                              ;   in Loop: Header=BB56_6 Depth=1
	s_or_b32 exec_lo, exec_lo, s84
	s_waitcnt lgkmcnt(0)
	s_barrier
	buffer_gl0_inv
.LBB56_193:                             ;   in Loop: Header=BB56_6 Depth=1
	s_or_saveexec_b32 s83, s83
	v_mov_b32_e32 v1, 8
	s_mov_b32 s84, 0
	s_xor_b32 exec_lo, exec_lo, s83
; %bb.194:                              ;   in Loop: Header=BB56_6 Depth=1
	v_subrev_nc_u32_e32 v13, s21, v13
	v_mov_b32_e32 v1, 0
	s_mov_b32 s84, exec_lo
; %bb.195:                              ;   in Loop: Header=BB56_6 Depth=1
	s_or_b32 exec_lo, exec_lo, s83
	v_mov_b32_e32 v4, v13
	s_and_b32 s86, s84, exec_lo
.LBB56_196:                             ;   in Loop: Header=BB56_6 Depth=1
	s_or_b32 exec_lo, exec_lo, s82
	s_mov_b32 s83, -1
                                        ; implicit-def: $sgpr85
                                        ; implicit-def: $sgpr84
	s_and_saveexec_b32 s82, s86
	s_cbranch_execz .LBB56_235
; %bb.197:                              ;   in Loop: Header=BB56_6 Depth=1
	v_cmp_eq_u32_e32 vcc_lo, 1, v4
	s_cmp_eq_u32 s22, 1
	s_mov_b32 s87, -1
	s_cselect_b32 s83, -1, 0
                                        ; implicit-def: $sgpr85
                                        ; implicit-def: $sgpr84
	s_and_b32 s83, s83, vcc_lo
	s_and_saveexec_b32 s86, s83
	s_cbranch_execz .LBB56_223
; %bb.198:                              ;   in Loop: Header=BB56_6 Depth=1
	ds_read_b32 v8, v9 offset:4096
	s_waitcnt lgkmcnt(0)
	s_barrier
	buffer_gl0_inv
	v_readfirstlane_b32 s88, v8
	s_and_saveexec_b32 s84, s15
; %bb.199:                              ;   in Loop: Header=BB56_6 Depth=1
	ds_write_b16 v21, v9
; %bb.200:                              ;   in Loop: Header=BB56_6 Depth=1
	s_or_b32 exec_lo, exec_lo, s84
	v_or_b32_e32 v2, s18, v2
	v_or_b32_e32 v3, s18, v3
	s_mov_b32 s84, -1
	s_mov_b32 s85, 0
	s_cmp_eq_u32 s88, 0
	s_mov_b32 s87, 0
	s_mov_b32 s89, -1
	s_waitcnt lgkmcnt(0)
	s_barrier
	buffer_gl0_inv
                                        ; implicit-def: $vgpr8
	s_cbranch_scc1 .LBB56_211
; %bb.201:                              ;   in Loop: Header=BB56_6 Depth=1
	s_add_i32 s87, s88, s59
                                        ; implicit-def: $vgpr8
	s_mul_hi_u32 s89, s87, s65
	s_mul_i32 s89, s89, s48
	s_sub_i32 s89, s87, s89
	s_sub_i32 s90, s89, s48
	s_cmp_ge_u32 s89, s48
	s_cselect_b32 s89, s90, s89
	s_sub_i32 s90, s89, s48
	s_cmp_ge_u32 s89, s48
	s_cselect_b32 s89, s90, s89
	s_mov_b32 s90, exec_lo
	s_sub_i32 s91, s87, s89
	s_mov_b32 s89, 0
	s_mov_b32 s87, 0
	v_cmpx_gt_u32_e64 s91, v0
	s_cbranch_execz .LBB56_210
; %bb.202:                              ;   in Loop: Header=BB56_6 Depth=1
	v_mov_b32_e32 v8, v20
	v_mov_b32_e32 v13, v0
                                        ; implicit-def: $sgpr92
	s_inst_prefetch 0x1
	s_branch .LBB56_205
	.p2align	6
.LBB56_203:                             ;   in Loop: Header=BB56_205 Depth=2
	s_or_b32 exec_lo, exec_lo, s93
	s_waitcnt lgkmcnt(0)
	s_barrier
	buffer_gl0_inv
	ds_read_b32 v14, v9 offset:3072
	s_mov_b32 s93, -1
	s_waitcnt lgkmcnt(0)
	s_barrier
	buffer_gl0_inv
	v_cmp_ne_u32_sdwa s94, v14, v9 src0_sel:WORD_0 src1_sel:DWORD
	s_and_b32 vcc_lo, exec_lo, s94
	s_mov_b32 s94, -1
	s_cbranch_vccz .LBB56_208
.LBB56_204:                             ;   in Loop: Header=BB56_205 Depth=2
	s_and_b32 s93, exec_lo, s93
	s_or_b32 s87, s93, s87
	s_andn2_b32 s92, s92, exec_lo
	s_and_b32 s93, s94, exec_lo
	s_or_b32 s92, s92, s93
	s_andn2_b32 exec_lo, exec_lo, s87
	s_cbranch_execz .LBB56_209
.LBB56_205:                             ;   Parent Loop BB56_6 Depth=1
                                        ; =>  This Inner Loop Header: Depth=2
	s_mov_b32 s93, exec_lo
	v_cmpx_gt_u32_e64 s88, v13
	s_cbranch_execz .LBB56_203
; %bb.206:                              ;   in Loop: Header=BB56_205 Depth=2
	ds_read_u16 v14, v8
	s_waitcnt lgkmcnt(0)
	v_add_nc_u32_sdwa v15, sext(v14), v35 dst_sel:DWORD dst_unused:UNUSED_PAD src0_sel:WORD_0 src1_sel:DWORD
	v_and_b32_e32 v15, v15, v3
	v_cmp_eq_u32_e32 vcc_lo, v15, v2
	s_and_b32 exec_lo, exec_lo, vcc_lo
	s_cbranch_execz .LBB56_203
; %bb.207:                              ;   in Loop: Header=BB56_205 Depth=2
	v_perm_b32 v14, v14, 1, 0x5040100
	ds_write_b32 v9, v14 offset:3072
	s_branch .LBB56_203
.LBB56_208:                             ;   in Loop: Header=BB56_205 Depth=2
	v_add_nc_u32_e32 v13, s48, v13
	v_add_nc_u32_e32 v8, s69, v8
	s_mov_b32 s94, 0
	v_cmp_le_u32_e32 vcc_lo, s91, v13
	s_orn2_b32 s93, vcc_lo, exec_lo
	s_branch .LBB56_204
.LBB56_209:                             ;   in Loop: Header=BB56_6 Depth=1
	s_inst_prefetch 0x2
	s_or_b32 exec_lo, exec_lo, s87
	v_lshrrev_b32_e32 v8, 16, v14
	s_and_b32 s87, s92, exec_lo
.LBB56_210:                             ;   in Loop: Header=BB56_6 Depth=1
	s_or_b32 exec_lo, exec_lo, s90
.LBB56_211:                             ;   in Loop: Header=BB56_6 Depth=1
	s_and_b32 vcc_lo, exec_lo, s89
	s_cbranch_vccz .LBB56_222
; %bb.212:                              ;   in Loop: Header=BB56_6 Depth=1
                                        ; implicit-def: $vgpr8
	s_and_saveexec_b32 s84, s13
	s_cbranch_execz .LBB56_221
; %bb.213:                              ;   in Loop: Header=BB56_6 Depth=1
	v_mov_b32_e32 v8, v7
	v_mov_b32_e32 v13, v0
	s_mov_b32 s85, 0
                                        ; implicit-def: $sgpr88
	s_inst_prefetch 0x1
	s_branch .LBB56_216
	.p2align	6
.LBB56_214:                             ;   in Loop: Header=BB56_216 Depth=2
	s_or_b32 exec_lo, exec_lo, s89
	s_waitcnt lgkmcnt(0)
	s_barrier
	buffer_gl0_inv
	ds_read_b32 v14, v9 offset:3072
	s_mov_b32 s89, -1
	s_waitcnt lgkmcnt(0)
	s_barrier
	buffer_gl0_inv
	v_cmp_eq_u32_sdwa s90, v14, v9 src0_sel:WORD_0 src1_sel:DWORD
	s_and_b32 vcc_lo, exec_lo, s90
	s_mov_b32 s90, -1
	s_cbranch_vccnz .LBB56_219
.LBB56_215:                             ;   in Loop: Header=BB56_216 Depth=2
	s_and_b32 s89, exec_lo, s89
	s_or_b32 s85, s89, s85
	s_andn2_b32 s88, s88, exec_lo
	s_and_b32 s89, s90, exec_lo
	s_or_b32 s88, s88, s89
	s_andn2_b32 exec_lo, exec_lo, s85
	s_cbranch_execz .LBB56_220
.LBB56_216:                             ;   Parent Loop BB56_6 Depth=1
                                        ; =>  This Inner Loop Header: Depth=2
	s_mov_b32 s89, exec_lo
	v_cmpx_gt_u32_e64 s36, v13
	s_cbranch_execz .LBB56_214
; %bb.217:                              ;   in Loop: Header=BB56_216 Depth=2
	v_lshlrev_b64 v[14:15], 1, v[8:9]
	v_add_co_u32 v14, vcc_lo, s46, v14
	v_add_co_ci_u32_e64 v15, null, s47, v15, vcc_lo
	global_load_ushort v14, v[14:15], off
	s_waitcnt vmcnt(0)
	v_add_nc_u32_sdwa v15, sext(v14), v35 dst_sel:DWORD dst_unused:UNUSED_PAD src0_sel:WORD_0 src1_sel:DWORD
	v_and_b32_e32 v15, v15, v3
	v_cmp_eq_u32_e32 vcc_lo, v15, v2
	s_and_b32 exec_lo, exec_lo, vcc_lo
	s_cbranch_execz .LBB56_214
; %bb.218:                              ;   in Loop: Header=BB56_216 Depth=2
	v_perm_b32 v14, v14, 1, 0x5040100
	ds_write_b32 v9, v14 offset:3072
	s_branch .LBB56_214
.LBB56_219:                             ;   in Loop: Header=BB56_216 Depth=2
	v_add_nc_u32_e32 v13, s48, v13
	v_add_nc_u32_e32 v8, s49, v8
	s_mov_b32 s90, 0
	v_cmp_le_u32_e32 vcc_lo, s66, v13
	s_orn2_b32 s89, vcc_lo, exec_lo
	s_branch .LBB56_215
.LBB56_220:                             ;   in Loop: Header=BB56_6 Depth=1
	s_inst_prefetch 0x2
	s_or_b32 exec_lo, exec_lo, s85
	v_lshrrev_b32_e32 v8, 16, v14
	s_andn2_b32 s85, s87, exec_lo
	s_and_b32 s87, s88, exec_lo
	s_or_b32 s87, s85, s87
.LBB56_221:                             ;   in Loop: Header=BB56_6 Depth=1
	s_or_b32 exec_lo, exec_lo, s84
	s_mov_b32 s84, 0
	s_mov_b32 s85, -1
.LBB56_222:                             ;   in Loop: Header=BB56_6 Depth=1
	s_orn2_b32 s87, s87, exec_lo
.LBB56_223:                             ;   in Loop: Header=BB56_6 Depth=1
	s_or_b32 exec_lo, exec_lo, s86
	s_mov_b32 s88, 0
	s_and_saveexec_b32 s86, s87
	s_cbranch_execz .LBB56_234
; %bb.224:                              ;   in Loop: Header=BB56_6 Depth=1
	v_mov_b32_e32 v1, 1
	v_mov_b32_e32 v13, 1
	s_xor_b32 s87, s83, -1
	s_and_saveexec_b32 s83, s87
	s_cbranch_execz .LBB56_233
; %bb.225:                              ;   in Loop: Header=BB56_6 Depth=1
	s_mov_b32 s87, exec_lo
	v_cmpx_ge_u32_e64 s22, v4
	s_xor_b32 s87, exec_lo, s87
	s_cbranch_execz .LBB56_230
; %bb.226:                              ;   in Loop: Header=BB56_6 Depth=1
	ds_read_b32 v1, v9 offset:4096
	v_or_b32_e32 v2, s18, v2
	v_or_b32_e32 v3, s18, v3
	s_waitcnt lgkmcnt(0)
	v_cmp_ne_u32_e32 vcc_lo, 0, v1
	s_cbranch_vccnz .LBB56_230
; %bb.227:                              ;   in Loop: Header=BB56_6 Depth=1
	s_and_saveexec_b32 s88, s3
; %bb.228:                              ;   in Loop: Header=BB56_6 Depth=1
	v_mov_b32_e32 v1, s22
	ds_write_b32 v9, v1 offset:4100
; %bb.229:                              ;   in Loop: Header=BB56_6 Depth=1
	s_or_b32 exec_lo, exec_lo, s88
	s_waitcnt lgkmcnt(0)
	s_barrier
	buffer_gl0_inv
.LBB56_230:                             ;   in Loop: Header=BB56_6 Depth=1
	s_andn2_saveexec_b32 s87, s87
; %bb.231:                              ;   in Loop: Header=BB56_6 Depth=1
	v_subrev_nc_u32_e32 v4, s22, v4
; %bb.232:                              ;   in Loop: Header=BB56_6 Depth=1
	s_or_b32 exec_lo, exec_lo, s87
	v_mov_b32_e32 v1, 8
	v_mov_b32_e32 v13, v4
.LBB56_233:                             ;   in Loop: Header=BB56_6 Depth=1
	s_or_b32 exec_lo, exec_lo, s83
	v_mov_b32_e32 v4, v13
	s_mov_b32 s88, exec_lo
.LBB56_234:                             ;   in Loop: Header=BB56_6 Depth=1
	s_or_b32 exec_lo, exec_lo, s86
	s_orn2_b32 s83, s88, exec_lo
.LBB56_235:                             ;   in Loop: Header=BB56_6 Depth=1
	s_or_b32 exec_lo, exec_lo, s82
	v_mov_b32_e32 v13, v4
	s_andn2_b32 s33, s33, exec_lo
	s_and_b32 s82, s85, exec_lo
	s_andn2_b32 s31, s31, exec_lo
	s_and_b32 s84, s84, exec_lo
	s_or_b32 s33, s33, s82
	s_or_b32 s31, s31, s84
	s_and_b32 s84, s83, exec_lo
.LBB56_236:                             ;   in Loop: Header=BB56_6 Depth=1
	s_or_b32 exec_lo, exec_lo, s34
	s_orn2_b32 s34, s84, exec_lo
.LBB56_237:                             ;   in Loop: Header=BB56_6 Depth=1
	s_or_b32 exec_lo, exec_lo, s30
	v_mov_b32_e32 v4, v13
	s_andn2_b32 s24, s24, exec_lo
	s_and_b32 s30, s33, exec_lo
	s_andn2_b32 s23, s23, exec_lo
	s_and_b32 s31, s31, exec_lo
	s_or_b32 s24, s24, s30
	s_or_b32 s23, s23, s31
	s_and_b32 s33, s34, exec_lo
.LBB56_238:                             ;   in Loop: Header=BB56_6 Depth=1
	s_or_b32 exec_lo, exec_lo, s29
	s_orn2_b32 s29, s33, exec_lo
.LBB56_239:                             ;   in Loop: Header=BB56_6 Depth=1
	s_or_b32 exec_lo, exec_lo, s6
	s_mov_b32 s6, 0
	s_mov_b32 s30, 0
	s_and_saveexec_b32 s31, s29
	s_xor_b32 s29, exec_lo, s31
; %bb.240:                              ;   in Loop: Header=BB56_6 Depth=1
	v_cmp_ne_u32_e32 vcc_lo, 8, v1
	v_cmp_eq_u32_e64 s6, 8, v1
	s_and_b32 s30, vcc_lo, exec_lo
	s_and_b32 s6, s6, exec_lo
; %bb.241:                              ;   in Loop: Header=BB56_6 Depth=1
	s_or_b32 exec_lo, exec_lo, s29
	s_andn2_b32 s26, s26, exec_lo
	s_and_b32 s24, s24, exec_lo
	s_andn2_b32 s25, s25, exec_lo
	s_and_b32 s23, s23, exec_lo
	s_or_b32 s26, s26, s24
	s_or_b32 s25, s25, s23
	s_and_b32 s23, s30, exec_lo
	s_and_b32 s24, s6, exec_lo
.LBB56_242:                             ;   in Loop: Header=BB56_6 Depth=1
	s_or_b32 exec_lo, exec_lo, s28
.LBB56_243:                             ;   in Loop: Header=BB56_6 Depth=1
	s_and_b32 vcc_lo, exec_lo, s27
	s_cbranch_vccz .LBB56_256
; %bb.244:                              ;   in Loop: Header=BB56_6 Depth=1
	s_cmp_eq_u32 s22, 1
	s_mov_b32 s26, -1
	s_cselect_b32 s6, -1, 0
                                        ; implicit-def: $sgpr16
	s_and_b32 s6, s6, s14
                                        ; implicit-def: $sgpr14
	s_and_saveexec_b32 s25, s6
	s_cbranch_execz .LBB56_271
; %bb.245:                              ;   in Loop: Header=BB56_6 Depth=1
	ds_read_b32 v1, v9 offset:4096
	s_waitcnt lgkmcnt(0)
	s_barrier
	buffer_gl0_inv
	v_readfirstlane_b32 s27, v1
	s_and_saveexec_b32 s14, s15
; %bb.246:                              ;   in Loop: Header=BB56_6 Depth=1
	ds_write_b16 v21, v9
; %bb.247:                              ;   in Loop: Header=BB56_6 Depth=1
	s_or_b32 exec_lo, exec_lo, s14
	v_or_b32_e32 v28, s18, v28
	v_or_b32_e32 v36, s18, v36
	s_mov_b32 s16, -1
	s_mov_b32 s14, 0
	s_cmp_eq_u32 s27, 0
	s_mov_b32 s26, 0
	s_mov_b32 s28, -1
	s_waitcnt lgkmcnt(0)
	s_barrier
	buffer_gl0_inv
                                        ; implicit-def: $vgpr37
	s_cbranch_scc1 .LBB56_259
; %bb.248:                              ;   in Loop: Header=BB56_6 Depth=1
	s_add_i32 s26, s27, s59
                                        ; implicit-def: $vgpr37
	s_mul_hi_u32 s28, s26, s65
	s_mul_i32 s28, s28, s48
	s_sub_i32 s28, s26, s28
	s_sub_i32 s29, s28, s48
	s_cmp_ge_u32 s28, s48
	s_cselect_b32 s28, s29, s28
	s_sub_i32 s29, s28, s48
	s_cmp_ge_u32 s28, s48
	s_cselect_b32 s28, s29, s28
	s_mov_b32 s29, exec_lo
	s_sub_i32 s30, s26, s28
	s_mov_b32 s28, 0
	s_mov_b32 s26, 0
	v_cmpx_gt_u32_e64 s30, v0
	s_cbranch_execz .LBB56_258
; %bb.249:                              ;   in Loop: Header=BB56_6 Depth=1
	v_mov_b32_e32 v1, v20
	v_mov_b32_e32 v2, v0
                                        ; implicit-def: $sgpr31
	s_inst_prefetch 0x1
	s_branch .LBB56_252
	.p2align	6
.LBB56_250:                             ;   in Loop: Header=BB56_252 Depth=2
	s_or_b32 exec_lo, exec_lo, s33
	s_waitcnt lgkmcnt(0)
	s_barrier
	buffer_gl0_inv
	ds_read_b32 v3, v9 offset:3072
	s_mov_b32 s33, -1
	s_waitcnt lgkmcnt(0)
	s_barrier
	buffer_gl0_inv
	v_cmp_ne_u32_sdwa s34, v3, v9 src0_sel:WORD_0 src1_sel:DWORD
	s_and_b32 vcc_lo, exec_lo, s34
	s_mov_b32 s34, -1
	s_cbranch_vccz .LBB56_255
.LBB56_251:                             ;   in Loop: Header=BB56_252 Depth=2
	s_and_b32 s33, exec_lo, s33
	s_or_b32 s26, s33, s26
	s_andn2_b32 s31, s31, exec_lo
	s_and_b32 s33, s34, exec_lo
	s_or_b32 s31, s31, s33
	s_andn2_b32 exec_lo, exec_lo, s26
	s_cbranch_execz .LBB56_257
.LBB56_252:                             ;   Parent Loop BB56_6 Depth=1
                                        ; =>  This Inner Loop Header: Depth=2
	s_mov_b32 s33, exec_lo
	v_cmpx_gt_u32_e64 s27, v2
	s_cbranch_execz .LBB56_250
; %bb.253:                              ;   in Loop: Header=BB56_252 Depth=2
	ds_read_u16 v3, v1
	s_waitcnt lgkmcnt(0)
	v_add_nc_u32_sdwa v4, sext(v3), v35 dst_sel:DWORD dst_unused:UNUSED_PAD src0_sel:WORD_0 src1_sel:DWORD
	v_and_b32_e32 v4, v4, v36
	v_cmp_eq_u32_e32 vcc_lo, v4, v28
	s_and_b32 exec_lo, exec_lo, vcc_lo
	s_cbranch_execz .LBB56_250
; %bb.254:                              ;   in Loop: Header=BB56_252 Depth=2
	v_perm_b32 v3, v3, 1, 0x5040100
	ds_write_b32 v9, v3 offset:3072
	s_branch .LBB56_250
.LBB56_255:                             ;   in Loop: Header=BB56_252 Depth=2
	v_add_nc_u32_e32 v2, s48, v2
	v_add_nc_u32_e32 v1, s69, v1
	s_mov_b32 s34, 0
	v_cmp_le_u32_e32 vcc_lo, s30, v2
	s_orn2_b32 s33, vcc_lo, exec_lo
	s_branch .LBB56_251
.LBB56_256:                             ;   in Loop: Header=BB56_6 Depth=1
	v_mov_b32_e32 v28, v2
	v_mov_b32_e32 v36, v3
	;; [unrolled: 1-line block ×3, first 2 shown]
	s_mov_b32 s14, 0
	s_and_saveexec_b32 s6, s24
	s_cbranch_execnz .LBB56_402
	s_branch .LBB56_403
.LBB56_257:                             ;   in Loop: Header=BB56_6 Depth=1
	s_inst_prefetch 0x2
	s_or_b32 exec_lo, exec_lo, s26
	v_lshrrev_b32_e32 v37, 16, v3
	s_and_b32 s26, s31, exec_lo
.LBB56_258:                             ;   in Loop: Header=BB56_6 Depth=1
	s_or_b32 exec_lo, exec_lo, s29
.LBB56_259:                             ;   in Loop: Header=BB56_6 Depth=1
	s_and_b32 vcc_lo, exec_lo, s28
	s_cbranch_vccz .LBB56_270
; %bb.260:                              ;   in Loop: Header=BB56_6 Depth=1
                                        ; implicit-def: $vgpr37
	s_and_saveexec_b32 s14, s13
	s_cbranch_execz .LBB56_269
; %bb.261:                              ;   in Loop: Header=BB56_6 Depth=1
	v_mov_b32_e32 v8, v7
	v_mov_b32_e32 v1, v0
	s_mov_b32 s16, 0
                                        ; implicit-def: $sgpr27
	s_inst_prefetch 0x1
	s_branch .LBB56_264
	.p2align	6
.LBB56_262:                             ;   in Loop: Header=BB56_264 Depth=2
	s_or_b32 exec_lo, exec_lo, s28
	s_waitcnt lgkmcnt(0)
	s_barrier
	buffer_gl0_inv
	ds_read_b32 v2, v9 offset:3072
	s_mov_b32 s28, -1
	s_waitcnt lgkmcnt(0)
	s_barrier
	buffer_gl0_inv
	v_cmp_ne_u32_sdwa s29, v2, v9 src0_sel:WORD_0 src1_sel:DWORD
	s_and_b32 vcc_lo, exec_lo, s29
	s_mov_b32 s29, -1
	s_cbranch_vccz .LBB56_267
.LBB56_263:                             ;   in Loop: Header=BB56_264 Depth=2
	s_and_b32 s28, exec_lo, s28
	s_or_b32 s16, s28, s16
	s_andn2_b32 s27, s27, exec_lo
	s_and_b32 s28, s29, exec_lo
	s_or_b32 s27, s27, s28
	s_andn2_b32 exec_lo, exec_lo, s16
	s_cbranch_execz .LBB56_268
.LBB56_264:                             ;   Parent Loop BB56_6 Depth=1
                                        ; =>  This Inner Loop Header: Depth=2
	s_mov_b32 s28, exec_lo
	v_cmpx_gt_u32_e64 s36, v1
	s_cbranch_execz .LBB56_262
; %bb.265:                              ;   in Loop: Header=BB56_264 Depth=2
	v_lshlrev_b64 v[2:3], 1, v[8:9]
	v_add_co_u32 v2, vcc_lo, s46, v2
	v_add_co_ci_u32_e64 v3, null, s47, v3, vcc_lo
	global_load_ushort v2, v[2:3], off
	s_waitcnt vmcnt(0)
	v_add_nc_u32_sdwa v3, sext(v2), v35 dst_sel:DWORD dst_unused:UNUSED_PAD src0_sel:WORD_0 src1_sel:DWORD
	v_and_b32_e32 v3, v3, v36
	v_cmp_eq_u32_e32 vcc_lo, v3, v28
	s_and_b32 exec_lo, exec_lo, vcc_lo
	s_cbranch_execz .LBB56_262
; %bb.266:                              ;   in Loop: Header=BB56_264 Depth=2
	v_perm_b32 v2, v2, 1, 0x5040100
	ds_write_b32 v9, v2 offset:3072
	s_branch .LBB56_262
.LBB56_267:                             ;   in Loop: Header=BB56_264 Depth=2
	v_add_nc_u32_e32 v1, s48, v1
	v_add_nc_u32_e32 v8, s49, v8
	s_mov_b32 s29, 0
	v_cmp_le_u32_e32 vcc_lo, s66, v1
	s_orn2_b32 s28, vcc_lo, exec_lo
	s_branch .LBB56_263
.LBB56_268:                             ;   in Loop: Header=BB56_6 Depth=1
	s_inst_prefetch 0x2
	s_or_b32 exec_lo, exec_lo, s16
	v_lshrrev_b32_e32 v37, 16, v2
	s_andn2_b32 s16, s26, exec_lo
	s_and_b32 s26, s27, exec_lo
	s_or_b32 s26, s16, s26
.LBB56_269:                             ;   in Loop: Header=BB56_6 Depth=1
	s_or_b32 exec_lo, exec_lo, s14
	s_mov_b32 s16, 0
	s_mov_b32 s14, -1
.LBB56_270:                             ;   in Loop: Header=BB56_6 Depth=1
	s_orn2_b32 s26, s26, exec_lo
.LBB56_271:                             ;   in Loop: Header=BB56_6 Depth=1
	s_or_b32 exec_lo, exec_lo, s25
                                        ; implicit-def: $vgpr4
                                        ; implicit-def: $vgpr1
	s_and_saveexec_b32 s25, s26
	s_cbranch_execz .LBB56_401
; %bb.272:                              ;   in Loop: Header=BB56_6 Depth=1
	v_mov_b32_e32 v4, 1
	v_mov_b32_e32 v1, 1
	s_xor_b32 s26, s6, -1
	s_mov_b32 s28, 0
	s_and_saveexec_b32 s6, s26
	s_cbranch_execz .LBB56_281
; %bb.273:                              ;   in Loop: Header=BB56_6 Depth=1
	s_mov_b32 s26, exec_lo
	v_cmpx_ge_u32_e64 s22, v38
	s_xor_b32 s26, exec_lo, s26
	s_cbranch_execz .LBB56_278
; %bb.274:                              ;   in Loop: Header=BB56_6 Depth=1
	ds_read_b32 v1, v9 offset:4096
	v_or_b32_e32 v28, s18, v28
	v_or_b32_e32 v36, s18, v36
	s_waitcnt lgkmcnt(0)
	v_cmp_ne_u32_e32 vcc_lo, 0, v1
	s_cbranch_vccnz .LBB56_278
; %bb.275:                              ;   in Loop: Header=BB56_6 Depth=1
	s_and_saveexec_b32 s27, s3
; %bb.276:                              ;   in Loop: Header=BB56_6 Depth=1
	v_mov_b32_e32 v1, s22
	ds_write_b32 v9, v1 offset:4100
; %bb.277:                              ;   in Loop: Header=BB56_6 Depth=1
	s_or_b32 exec_lo, exec_lo, s27
	s_waitcnt lgkmcnt(0)
	s_barrier
	buffer_gl0_inv
.LBB56_278:                             ;   in Loop: Header=BB56_6 Depth=1
	s_or_saveexec_b32 s26, s26
	v_mov_b32_e32 v1, 5
	s_mov_b32 s27, 0
	s_xor_b32 exec_lo, exec_lo, s26
; %bb.279:                              ;   in Loop: Header=BB56_6 Depth=1
	v_subrev_nc_u32_e32 v38, s22, v38
	v_mov_b32_e32 v1, 0
	s_mov_b32 s27, exec_lo
; %bb.280:                              ;   in Loop: Header=BB56_6 Depth=1
	s_or_b32 exec_lo, exec_lo, s26
	v_mov_b32_e32 v4, v38
	s_and_b32 s28, s27, exec_lo
.LBB56_281:                             ;   in Loop: Header=BB56_6 Depth=1
	s_or_b32 exec_lo, exec_lo, s6
	s_mov_b32 s27, -1
                                        ; implicit-def: $sgpr22
                                        ; implicit-def: $sgpr26
	s_and_saveexec_b32 s6, s28
	s_xor_b32 s6, exec_lo, s6
	s_cbranch_execz .LBB56_398
; %bb.282:                              ;   in Loop: Header=BB56_6 Depth=1
	v_cmp_eq_u32_e32 vcc_lo, 1, v4
	s_cmp_eq_u32 s21, 1
	s_mov_b32 s29, -1
	s_cselect_b32 s22, -1, 0
                                        ; implicit-def: $sgpr26
	s_and_b32 s28, s22, vcc_lo
                                        ; implicit-def: $sgpr22
	s_and_saveexec_b32 s27, s28
	s_cbranch_execz .LBB56_308
; %bb.283:                              ;   in Loop: Header=BB56_6 Depth=1
	ds_read_b32 v2, v9 offset:4096
	s_waitcnt lgkmcnt(0)
	s_barrier
	buffer_gl0_inv
	v_readfirstlane_b32 s30, v2
	s_and_saveexec_b32 s22, s15
; %bb.284:                              ;   in Loop: Header=BB56_6 Depth=1
	ds_write_b16 v21, v9
; %bb.285:                              ;   in Loop: Header=BB56_6 Depth=1
	s_or_b32 exec_lo, exec_lo, s22
	s_lshl_b32 s22, 2, s75
	v_or_b32_e32 v36, s18, v36
	v_and_or_b32 v28, v28, s19, s22
	s_mov_b32 s22, -1
	s_mov_b32 s26, 0
	s_cmp_eq_u32 s30, 0
	s_mov_b32 s29, 0
	s_mov_b32 s31, -1
	s_waitcnt lgkmcnt(0)
	s_barrier
	buffer_gl0_inv
                                        ; implicit-def: $vgpr37
	s_cbranch_scc1 .LBB56_296
; %bb.286:                              ;   in Loop: Header=BB56_6 Depth=1
	s_add_i32 s29, s30, s59
                                        ; implicit-def: $vgpr37
	s_mul_hi_u32 s31, s29, s65
	s_mul_i32 s31, s31, s48
	s_sub_i32 s31, s29, s31
	s_sub_i32 s33, s31, s48
	s_cmp_ge_u32 s31, s48
	s_cselect_b32 s31, s33, s31
	s_sub_i32 s33, s31, s48
	s_cmp_ge_u32 s31, s48
	s_cselect_b32 s31, s33, s31
	s_mov_b32 s33, exec_lo
	s_sub_i32 s34, s29, s31
	s_mov_b32 s31, 0
	s_mov_b32 s29, 0
	v_cmpx_gt_u32_e64 s34, v0
	s_cbranch_execz .LBB56_295
; %bb.287:                              ;   in Loop: Header=BB56_6 Depth=1
	v_mov_b32_e32 v2, v20
	v_mov_b32_e32 v3, v0
                                        ; implicit-def: $sgpr82
	s_inst_prefetch 0x1
	s_branch .LBB56_290
	.p2align	6
.LBB56_288:                             ;   in Loop: Header=BB56_290 Depth=2
	s_or_b32 exec_lo, exec_lo, s83
	s_waitcnt lgkmcnt(0)
	s_barrier
	buffer_gl0_inv
	ds_read_b32 v8, v9 offset:3072
	s_mov_b32 s83, -1
	s_waitcnt lgkmcnt(0)
	s_barrier
	buffer_gl0_inv
	v_cmp_ne_u32_sdwa s84, v8, v9 src0_sel:WORD_0 src1_sel:DWORD
	s_and_b32 vcc_lo, exec_lo, s84
	s_mov_b32 s84, -1
	s_cbranch_vccz .LBB56_293
.LBB56_289:                             ;   in Loop: Header=BB56_290 Depth=2
	s_and_b32 s83, exec_lo, s83
	s_or_b32 s29, s83, s29
	s_andn2_b32 s82, s82, exec_lo
	s_and_b32 s83, s84, exec_lo
	s_or_b32 s82, s82, s83
	s_andn2_b32 exec_lo, exec_lo, s29
	s_cbranch_execz .LBB56_294
.LBB56_290:                             ;   Parent Loop BB56_6 Depth=1
                                        ; =>  This Inner Loop Header: Depth=2
	s_mov_b32 s83, exec_lo
	v_cmpx_gt_u32_e64 s30, v3
	s_cbranch_execz .LBB56_288
; %bb.291:                              ;   in Loop: Header=BB56_290 Depth=2
	ds_read_u16 v8, v2
	s_waitcnt lgkmcnt(0)
	v_add_nc_u32_sdwa v13, sext(v8), v35 dst_sel:DWORD dst_unused:UNUSED_PAD src0_sel:WORD_0 src1_sel:DWORD
	v_and_b32_e32 v13, v13, v36
	v_cmp_eq_u32_e32 vcc_lo, v13, v28
	s_and_b32 exec_lo, exec_lo, vcc_lo
	s_cbranch_execz .LBB56_288
; %bb.292:                              ;   in Loop: Header=BB56_290 Depth=2
	v_perm_b32 v8, v8, 1, 0x5040100
	ds_write_b32 v9, v8 offset:3072
	s_branch .LBB56_288
.LBB56_293:                             ;   in Loop: Header=BB56_290 Depth=2
	v_add_nc_u32_e32 v3, s48, v3
	v_add_nc_u32_e32 v2, s69, v2
	s_mov_b32 s84, 0
	v_cmp_le_u32_e32 vcc_lo, s34, v3
	s_orn2_b32 s83, vcc_lo, exec_lo
	s_branch .LBB56_289
.LBB56_294:                             ;   in Loop: Header=BB56_6 Depth=1
	s_inst_prefetch 0x2
	s_or_b32 exec_lo, exec_lo, s29
	v_lshrrev_b32_e32 v37, 16, v8
	s_and_b32 s29, s82, exec_lo
.LBB56_295:                             ;   in Loop: Header=BB56_6 Depth=1
	s_or_b32 exec_lo, exec_lo, s33
.LBB56_296:                             ;   in Loop: Header=BB56_6 Depth=1
	s_and_b32 vcc_lo, exec_lo, s31
	s_cbranch_vccz .LBB56_307
; %bb.297:                              ;   in Loop: Header=BB56_6 Depth=1
                                        ; implicit-def: $vgpr37
	s_and_saveexec_b32 s22, s13
	s_cbranch_execz .LBB56_306
; %bb.298:                              ;   in Loop: Header=BB56_6 Depth=1
	v_mov_b32_e32 v8, v7
	v_mov_b32_e32 v2, v0
	s_mov_b32 s26, 0
                                        ; implicit-def: $sgpr30
	s_inst_prefetch 0x1
	s_branch .LBB56_301
	.p2align	6
.LBB56_299:                             ;   in Loop: Header=BB56_301 Depth=2
	s_or_b32 exec_lo, exec_lo, s31
	s_waitcnt lgkmcnt(0)
	s_barrier
	buffer_gl0_inv
	ds_read_b32 v3, v9 offset:3072
	s_mov_b32 s31, -1
	s_waitcnt lgkmcnt(0)
	s_barrier
	buffer_gl0_inv
	v_cmp_eq_u32_sdwa s33, v3, v9 src0_sel:WORD_0 src1_sel:DWORD
	s_and_b32 vcc_lo, exec_lo, s33
	s_mov_b32 s33, -1
	s_cbranch_vccnz .LBB56_304
.LBB56_300:                             ;   in Loop: Header=BB56_301 Depth=2
	s_and_b32 s31, exec_lo, s31
	s_or_b32 s26, s31, s26
	s_andn2_b32 s30, s30, exec_lo
	s_and_b32 s31, s33, exec_lo
	s_or_b32 s30, s30, s31
	s_andn2_b32 exec_lo, exec_lo, s26
	s_cbranch_execz .LBB56_305
.LBB56_301:                             ;   Parent Loop BB56_6 Depth=1
                                        ; =>  This Inner Loop Header: Depth=2
	s_mov_b32 s31, exec_lo
	v_cmpx_gt_u32_e64 s36, v2
	s_cbranch_execz .LBB56_299
; %bb.302:                              ;   in Loop: Header=BB56_301 Depth=2
	v_lshlrev_b64 v[13:14], 1, v[8:9]
	v_add_co_u32 v13, vcc_lo, s46, v13
	v_add_co_ci_u32_e64 v14, null, s47, v14, vcc_lo
	global_load_ushort v3, v[13:14], off
	s_waitcnt vmcnt(0)
	v_add_nc_u32_sdwa v13, sext(v3), v35 dst_sel:DWORD dst_unused:UNUSED_PAD src0_sel:WORD_0 src1_sel:DWORD
	v_and_b32_e32 v13, v13, v36
	v_cmp_eq_u32_e32 vcc_lo, v13, v28
	s_and_b32 exec_lo, exec_lo, vcc_lo
	s_cbranch_execz .LBB56_299
; %bb.303:                              ;   in Loop: Header=BB56_301 Depth=2
	v_perm_b32 v3, v3, 1, 0x5040100
	ds_write_b32 v9, v3 offset:3072
	s_branch .LBB56_299
.LBB56_304:                             ;   in Loop: Header=BB56_301 Depth=2
	v_add_nc_u32_e32 v2, s48, v2
	v_add_nc_u32_e32 v8, s49, v8
	s_mov_b32 s33, 0
	v_cmp_le_u32_e32 vcc_lo, s66, v2
	s_orn2_b32 s31, vcc_lo, exec_lo
	s_branch .LBB56_300
.LBB56_305:                             ;   in Loop: Header=BB56_6 Depth=1
	s_inst_prefetch 0x2
	s_or_b32 exec_lo, exec_lo, s26
	v_lshrrev_b32_e32 v37, 16, v3
	s_andn2_b32 s26, s29, exec_lo
	s_and_b32 s29, s30, exec_lo
	s_or_b32 s29, s26, s29
.LBB56_306:                             ;   in Loop: Header=BB56_6 Depth=1
	s_or_b32 exec_lo, exec_lo, s22
	s_mov_b32 s22, 0
	s_mov_b32 s26, -1
.LBB56_307:                             ;   in Loop: Header=BB56_6 Depth=1
	s_orn2_b32 s29, s29, exec_lo
.LBB56_308:                             ;   in Loop: Header=BB56_6 Depth=1
	s_or_b32 exec_lo, exec_lo, s27
	s_mov_b32 s30, 0
	s_and_saveexec_b32 s27, s29
	s_cbranch_execz .LBB56_397
; %bb.309:                              ;   in Loop: Header=BB56_6 Depth=1
	v_mov_b32_e32 v2, 1
	v_mov_b32_e32 v1, 1
	s_xor_b32 s29, s28, -1
	s_mov_b32 s31, 0
	s_and_saveexec_b32 s28, s29
	s_cbranch_execz .LBB56_318
; %bb.310:                              ;   in Loop: Header=BB56_6 Depth=1
	s_mov_b32 s29, exec_lo
	v_cmpx_ge_u32_e64 s21, v4
	s_xor_b32 s29, exec_lo, s29
	s_cbranch_execz .LBB56_315
; %bb.311:                              ;   in Loop: Header=BB56_6 Depth=1
	ds_read_b32 v1, v9 offset:4096
	s_lshl_b32 s30, 2, s75
	v_or_b32_e32 v36, s18, v36
	v_and_or_b32 v28, v28, s19, s30
	s_waitcnt lgkmcnt(0)
	v_cmp_ne_u32_e32 vcc_lo, 0, v1
	s_cbranch_vccnz .LBB56_315
; %bb.312:                              ;   in Loop: Header=BB56_6 Depth=1
	s_and_saveexec_b32 s30, s3
; %bb.313:                              ;   in Loop: Header=BB56_6 Depth=1
	v_mov_b32_e32 v1, s21
	ds_write_b32 v9, v1 offset:4100
; %bb.314:                              ;   in Loop: Header=BB56_6 Depth=1
	s_or_b32 exec_lo, exec_lo, s30
	s_waitcnt lgkmcnt(0)
	s_barrier
	buffer_gl0_inv
.LBB56_315:                             ;   in Loop: Header=BB56_6 Depth=1
	s_or_saveexec_b32 s29, s29
	v_mov_b32_e32 v1, 5
	s_mov_b32 s30, 0
	s_xor_b32 exec_lo, exec_lo, s29
; %bb.316:                              ;   in Loop: Header=BB56_6 Depth=1
	v_subrev_nc_u32_e32 v4, s21, v4
	v_mov_b32_e32 v1, 0
	s_mov_b32 s30, exec_lo
; %bb.317:                              ;   in Loop: Header=BB56_6 Depth=1
	s_or_b32 exec_lo, exec_lo, s29
	v_mov_b32_e32 v2, v4
	s_and_b32 s31, s30, exec_lo
.LBB56_318:                             ;   in Loop: Header=BB56_6 Depth=1
	s_or_b32 exec_lo, exec_lo, s28
	s_mov_b32 s30, -1
                                        ; implicit-def: $sgpr28
                                        ; implicit-def: $sgpr29
	s_and_saveexec_b32 s21, s31
	s_cbranch_execz .LBB56_396
; %bb.319:                              ;   in Loop: Header=BB56_6 Depth=1
	v_cmp_eq_u32_e32 vcc_lo, 1, v2
	s_cmp_eq_u32 s20, 1
	s_mov_b32 s33, -1
	s_cselect_b32 s28, -1, 0
                                        ; implicit-def: $sgpr29
	s_and_b32 s31, s28, vcc_lo
                                        ; implicit-def: $sgpr28
	s_and_saveexec_b32 s30, s31
	s_cbranch_execz .LBB56_345
; %bb.320:                              ;   in Loop: Header=BB56_6 Depth=1
	ds_read_b32 v3, v9 offset:4096
	s_waitcnt lgkmcnt(0)
	s_barrier
	buffer_gl0_inv
	v_readfirstlane_b32 s34, v3
	s_and_saveexec_b32 s28, s15
; %bb.321:                              ;   in Loop: Header=BB56_6 Depth=1
	ds_write_b16 v21, v9
; %bb.322:                              ;   in Loop: Header=BB56_6 Depth=1
	s_or_b32 exec_lo, exec_lo, s28
	s_lshl_b32 s28, 1, s75
	v_or_b32_e32 v36, s18, v36
	v_and_or_b32 v28, v28, s19, s28
	s_mov_b32 s28, -1
	s_mov_b32 s29, 0
	s_cmp_eq_u32 s34, 0
	s_mov_b32 s33, 0
	s_mov_b32 s82, -1
	s_waitcnt lgkmcnt(0)
	s_barrier
	buffer_gl0_inv
                                        ; implicit-def: $vgpr37
	s_cbranch_scc1 .LBB56_333
; %bb.323:                              ;   in Loop: Header=BB56_6 Depth=1
	s_add_i32 s33, s34, s59
                                        ; implicit-def: $vgpr37
	s_mul_hi_u32 s82, s33, s65
	s_mul_i32 s82, s82, s48
	s_sub_i32 s82, s33, s82
	s_sub_i32 s83, s82, s48
	s_cmp_ge_u32 s82, s48
	s_cselect_b32 s82, s83, s82
	s_sub_i32 s83, s82, s48
	s_cmp_ge_u32 s82, s48
	s_cselect_b32 s82, s83, s82
	s_mov_b32 s83, exec_lo
	s_sub_i32 s84, s33, s82
	s_mov_b32 s82, 0
	s_mov_b32 s33, 0
	v_cmpx_gt_u32_e64 s84, v0
	s_cbranch_execz .LBB56_332
; %bb.324:                              ;   in Loop: Header=BB56_6 Depth=1
	v_mov_b32_e32 v3, v20
	v_mov_b32_e32 v4, v0
                                        ; implicit-def: $sgpr85
	s_inst_prefetch 0x1
	s_branch .LBB56_327
	.p2align	6
.LBB56_325:                             ;   in Loop: Header=BB56_327 Depth=2
	s_or_b32 exec_lo, exec_lo, s86
	s_waitcnt lgkmcnt(0)
	s_barrier
	buffer_gl0_inv
	ds_read_b32 v8, v9 offset:3072
	s_mov_b32 s86, -1
	s_waitcnt lgkmcnt(0)
	s_barrier
	buffer_gl0_inv
	v_cmp_ne_u32_sdwa s87, v8, v9 src0_sel:WORD_0 src1_sel:DWORD
	s_and_b32 vcc_lo, exec_lo, s87
	s_mov_b32 s87, -1
	s_cbranch_vccz .LBB56_330
.LBB56_326:                             ;   in Loop: Header=BB56_327 Depth=2
	s_and_b32 s86, exec_lo, s86
	s_or_b32 s33, s86, s33
	s_andn2_b32 s85, s85, exec_lo
	s_and_b32 s86, s87, exec_lo
	s_or_b32 s85, s85, s86
	s_andn2_b32 exec_lo, exec_lo, s33
	s_cbranch_execz .LBB56_331
.LBB56_327:                             ;   Parent Loop BB56_6 Depth=1
                                        ; =>  This Inner Loop Header: Depth=2
	s_mov_b32 s86, exec_lo
	v_cmpx_gt_u32_e64 s34, v4
	s_cbranch_execz .LBB56_325
; %bb.328:                              ;   in Loop: Header=BB56_327 Depth=2
	ds_read_u16 v8, v3
	s_waitcnt lgkmcnt(0)
	v_add_nc_u32_sdwa v13, sext(v8), v35 dst_sel:DWORD dst_unused:UNUSED_PAD src0_sel:WORD_0 src1_sel:DWORD
	v_and_b32_e32 v13, v13, v36
	v_cmp_eq_u32_e32 vcc_lo, v13, v28
	s_and_b32 exec_lo, exec_lo, vcc_lo
	s_cbranch_execz .LBB56_325
; %bb.329:                              ;   in Loop: Header=BB56_327 Depth=2
	v_perm_b32 v8, v8, 1, 0x5040100
	ds_write_b32 v9, v8 offset:3072
	s_branch .LBB56_325
.LBB56_330:                             ;   in Loop: Header=BB56_327 Depth=2
	v_add_nc_u32_e32 v4, s48, v4
	v_add_nc_u32_e32 v3, s69, v3
	s_mov_b32 s87, 0
	v_cmp_le_u32_e32 vcc_lo, s84, v4
	s_orn2_b32 s86, vcc_lo, exec_lo
	s_branch .LBB56_326
.LBB56_331:                             ;   in Loop: Header=BB56_6 Depth=1
	s_inst_prefetch 0x2
	s_or_b32 exec_lo, exec_lo, s33
	v_lshrrev_b32_e32 v37, 16, v8
	s_and_b32 s33, s85, exec_lo
.LBB56_332:                             ;   in Loop: Header=BB56_6 Depth=1
	s_or_b32 exec_lo, exec_lo, s83
.LBB56_333:                             ;   in Loop: Header=BB56_6 Depth=1
	s_and_b32 vcc_lo, exec_lo, s82
	s_cbranch_vccz .LBB56_344
; %bb.334:                              ;   in Loop: Header=BB56_6 Depth=1
                                        ; implicit-def: $vgpr37
	s_and_saveexec_b32 s28, s13
	s_cbranch_execz .LBB56_343
; %bb.335:                              ;   in Loop: Header=BB56_6 Depth=1
	v_mov_b32_e32 v8, v7
	v_mov_b32_e32 v3, v0
	s_mov_b32 s29, 0
                                        ; implicit-def: $sgpr34
	s_inst_prefetch 0x1
	s_branch .LBB56_338
	.p2align	6
.LBB56_336:                             ;   in Loop: Header=BB56_338 Depth=2
	s_or_b32 exec_lo, exec_lo, s82
	s_waitcnt lgkmcnt(0)
	s_barrier
	buffer_gl0_inv
	ds_read_b32 v4, v9 offset:3072
	s_mov_b32 s82, -1
	s_waitcnt lgkmcnt(0)
	s_barrier
	buffer_gl0_inv
	v_cmp_eq_u32_sdwa s83, v4, v9 src0_sel:WORD_0 src1_sel:DWORD
	s_and_b32 vcc_lo, exec_lo, s83
	s_mov_b32 s83, -1
	s_cbranch_vccnz .LBB56_341
.LBB56_337:                             ;   in Loop: Header=BB56_338 Depth=2
	s_and_b32 s82, exec_lo, s82
	s_or_b32 s29, s82, s29
	s_andn2_b32 s34, s34, exec_lo
	s_and_b32 s82, s83, exec_lo
	s_or_b32 s34, s34, s82
	s_andn2_b32 exec_lo, exec_lo, s29
	s_cbranch_execz .LBB56_342
.LBB56_338:                             ;   Parent Loop BB56_6 Depth=1
                                        ; =>  This Inner Loop Header: Depth=2
	s_mov_b32 s82, exec_lo
	v_cmpx_gt_u32_e64 s36, v3
	s_cbranch_execz .LBB56_336
; %bb.339:                              ;   in Loop: Header=BB56_338 Depth=2
	v_lshlrev_b64 v[13:14], 1, v[8:9]
	v_add_co_u32 v13, vcc_lo, s46, v13
	v_add_co_ci_u32_e64 v14, null, s47, v14, vcc_lo
	global_load_ushort v4, v[13:14], off
	s_waitcnt vmcnt(0)
	v_add_nc_u32_sdwa v13, sext(v4), v35 dst_sel:DWORD dst_unused:UNUSED_PAD src0_sel:WORD_0 src1_sel:DWORD
	v_and_b32_e32 v13, v13, v36
	v_cmp_eq_u32_e32 vcc_lo, v13, v28
	s_and_b32 exec_lo, exec_lo, vcc_lo
	s_cbranch_execz .LBB56_336
; %bb.340:                              ;   in Loop: Header=BB56_338 Depth=2
	v_perm_b32 v4, v4, 1, 0x5040100
	ds_write_b32 v9, v4 offset:3072
	s_branch .LBB56_336
.LBB56_341:                             ;   in Loop: Header=BB56_338 Depth=2
	v_add_nc_u32_e32 v3, s48, v3
	v_add_nc_u32_e32 v8, s49, v8
	s_mov_b32 s83, 0
	v_cmp_le_u32_e32 vcc_lo, s66, v3
	s_orn2_b32 s82, vcc_lo, exec_lo
	s_branch .LBB56_337
.LBB56_342:                             ;   in Loop: Header=BB56_6 Depth=1
	s_inst_prefetch 0x2
	s_or_b32 exec_lo, exec_lo, s29
	v_lshrrev_b32_e32 v37, 16, v4
	s_andn2_b32 s29, s33, exec_lo
	s_and_b32 s33, s34, exec_lo
	s_or_b32 s33, s29, s33
.LBB56_343:                             ;   in Loop: Header=BB56_6 Depth=1
	s_or_b32 exec_lo, exec_lo, s28
	s_mov_b32 s28, 0
	s_mov_b32 s29, -1
.LBB56_344:                             ;   in Loop: Header=BB56_6 Depth=1
	s_orn2_b32 s33, s33, exec_lo
.LBB56_345:                             ;   in Loop: Header=BB56_6 Depth=1
	s_or_b32 exec_lo, exec_lo, s30
	s_mov_b32 s34, 0
	s_and_saveexec_b32 s30, s33
	s_cbranch_execz .LBB56_395
; %bb.346:                              ;   in Loop: Header=BB56_6 Depth=1
	v_mov_b32_e32 v3, 1
	v_mov_b32_e32 v1, 1
	s_xor_b32 s33, s31, -1
	s_mov_b32 s82, 0
	s_and_saveexec_b32 s31, s33
	s_cbranch_execz .LBB56_355
; %bb.347:                              ;   in Loop: Header=BB56_6 Depth=1
	s_mov_b32 s33, exec_lo
	v_cmpx_ge_u32_e64 s20, v2
	s_xor_b32 s33, exec_lo, s33
	s_cbranch_execz .LBB56_352
; %bb.348:                              ;   in Loop: Header=BB56_6 Depth=1
	ds_read_b32 v1, v9 offset:4096
	s_lshl_b32 s34, 1, s75
	v_or_b32_e32 v36, s18, v36
	v_and_or_b32 v28, v28, s19, s34
	s_waitcnt lgkmcnt(0)
	v_cmp_ne_u32_e32 vcc_lo, 0, v1
	s_cbranch_vccnz .LBB56_352
; %bb.349:                              ;   in Loop: Header=BB56_6 Depth=1
	s_and_saveexec_b32 s34, s3
; %bb.350:                              ;   in Loop: Header=BB56_6 Depth=1
	v_mov_b32_e32 v1, s20
	ds_write_b32 v9, v1 offset:4100
; %bb.351:                              ;   in Loop: Header=BB56_6 Depth=1
	s_or_b32 exec_lo, exec_lo, s34
	s_waitcnt lgkmcnt(0)
	s_barrier
	buffer_gl0_inv
.LBB56_352:                             ;   in Loop: Header=BB56_6 Depth=1
	s_or_saveexec_b32 s33, s33
	v_mov_b32_e32 v1, 5
	s_mov_b32 s34, 0
	s_xor_b32 exec_lo, exec_lo, s33
; %bb.353:                              ;   in Loop: Header=BB56_6 Depth=1
	v_subrev_nc_u32_e32 v2, s20, v2
	v_mov_b32_e32 v1, 0
	s_mov_b32 s34, exec_lo
; %bb.354:                              ;   in Loop: Header=BB56_6 Depth=1
	s_or_b32 exec_lo, exec_lo, s33
	v_mov_b32_e32 v3, v2
	s_and_b32 s82, s34, exec_lo
.LBB56_355:                             ;   in Loop: Header=BB56_6 Depth=1
	s_or_b32 exec_lo, exec_lo, s31
	s_mov_b32 s31, -1
                                        ; implicit-def: $sgpr34
                                        ; implicit-def: $sgpr33
	s_and_saveexec_b32 s20, s82
	s_cbranch_execz .LBB56_394
; %bb.356:                              ;   in Loop: Header=BB56_6 Depth=1
	v_cmp_eq_u32_e32 vcc_lo, 1, v3
	s_cmp_eq_u32 s17, 1
	s_mov_b32 s83, -1
	s_cselect_b32 s31, -1, 0
                                        ; implicit-def: $sgpr34
                                        ; implicit-def: $sgpr33
	s_and_b32 s31, s31, vcc_lo
	s_and_saveexec_b32 s82, s31
	s_cbranch_execz .LBB56_382
; %bb.357:                              ;   in Loop: Header=BB56_6 Depth=1
	ds_read_b32 v2, v9 offset:4096
	s_waitcnt lgkmcnt(0)
	s_barrier
	buffer_gl0_inv
	v_readfirstlane_b32 s84, v2
	s_and_saveexec_b32 s33, s15
; %bb.358:                              ;   in Loop: Header=BB56_6 Depth=1
	ds_write_b16 v21, v9
; %bb.359:                              ;   in Loop: Header=BB56_6 Depth=1
	s_or_b32 exec_lo, exec_lo, s33
	v_and_b32_e32 v28, s19, v28
	v_or_b32_e32 v36, s18, v36
	s_mov_b32 s33, -1
	s_mov_b32 s34, 0
	s_cmp_eq_u32 s84, 0
	s_mov_b32 s83, 0
	s_mov_b32 s85, -1
	s_waitcnt lgkmcnt(0)
	s_barrier
	buffer_gl0_inv
                                        ; implicit-def: $vgpr37
	s_cbranch_scc1 .LBB56_370
; %bb.360:                              ;   in Loop: Header=BB56_6 Depth=1
	s_add_i32 s83, s84, s59
                                        ; implicit-def: $vgpr37
	s_mul_hi_u32 s85, s83, s65
	s_mul_i32 s85, s85, s48
	s_sub_i32 s85, s83, s85
	s_sub_i32 s86, s85, s48
	s_cmp_ge_u32 s85, s48
	s_cselect_b32 s85, s86, s85
	s_sub_i32 s86, s85, s48
	s_cmp_ge_u32 s85, s48
	s_cselect_b32 s85, s86, s85
	s_mov_b32 s86, exec_lo
	s_sub_i32 s87, s83, s85
	s_mov_b32 s85, 0
	s_mov_b32 s83, 0
	v_cmpx_gt_u32_e64 s87, v0
	s_cbranch_execz .LBB56_369
; %bb.361:                              ;   in Loop: Header=BB56_6 Depth=1
	v_mov_b32_e32 v2, v20
	v_mov_b32_e32 v4, v0
                                        ; implicit-def: $sgpr88
	s_inst_prefetch 0x1
	s_branch .LBB56_364
	.p2align	6
.LBB56_362:                             ;   in Loop: Header=BB56_364 Depth=2
	s_or_b32 exec_lo, exec_lo, s89
	s_waitcnt lgkmcnt(0)
	s_barrier
	buffer_gl0_inv
	ds_read_b32 v8, v9 offset:3072
	s_mov_b32 s89, -1
	s_waitcnt lgkmcnt(0)
	s_barrier
	buffer_gl0_inv
	v_cmp_ne_u32_sdwa s90, v8, v9 src0_sel:WORD_0 src1_sel:DWORD
	s_and_b32 vcc_lo, exec_lo, s90
	s_mov_b32 s90, -1
	s_cbranch_vccz .LBB56_367
.LBB56_363:                             ;   in Loop: Header=BB56_364 Depth=2
	s_and_b32 s89, exec_lo, s89
	s_or_b32 s83, s89, s83
	s_andn2_b32 s88, s88, exec_lo
	s_and_b32 s89, s90, exec_lo
	s_or_b32 s88, s88, s89
	s_andn2_b32 exec_lo, exec_lo, s83
	s_cbranch_execz .LBB56_368
.LBB56_364:                             ;   Parent Loop BB56_6 Depth=1
                                        ; =>  This Inner Loop Header: Depth=2
	s_mov_b32 s89, exec_lo
	v_cmpx_gt_u32_e64 s84, v4
	s_cbranch_execz .LBB56_362
; %bb.365:                              ;   in Loop: Header=BB56_364 Depth=2
	ds_read_u16 v8, v2
	s_waitcnt lgkmcnt(0)
	v_add_nc_u32_sdwa v13, sext(v8), v35 dst_sel:DWORD dst_unused:UNUSED_PAD src0_sel:WORD_0 src1_sel:DWORD
	v_and_b32_e32 v13, v13, v36
	v_cmp_eq_u32_e32 vcc_lo, v13, v28
	s_and_b32 exec_lo, exec_lo, vcc_lo
	s_cbranch_execz .LBB56_362
; %bb.366:                              ;   in Loop: Header=BB56_364 Depth=2
	v_perm_b32 v8, v8, 1, 0x5040100
	ds_write_b32 v9, v8 offset:3072
	s_branch .LBB56_362
.LBB56_367:                             ;   in Loop: Header=BB56_364 Depth=2
	v_add_nc_u32_e32 v4, s48, v4
	v_add_nc_u32_e32 v2, s69, v2
	s_mov_b32 s90, 0
	v_cmp_le_u32_e32 vcc_lo, s87, v4
	s_orn2_b32 s89, vcc_lo, exec_lo
	s_branch .LBB56_363
.LBB56_368:                             ;   in Loop: Header=BB56_6 Depth=1
	s_inst_prefetch 0x2
	s_or_b32 exec_lo, exec_lo, s83
	v_lshrrev_b32_e32 v37, 16, v8
	s_and_b32 s83, s88, exec_lo
.LBB56_369:                             ;   in Loop: Header=BB56_6 Depth=1
	s_or_b32 exec_lo, exec_lo, s86
.LBB56_370:                             ;   in Loop: Header=BB56_6 Depth=1
	s_and_b32 vcc_lo, exec_lo, s85
	s_cbranch_vccz .LBB56_381
; %bb.371:                              ;   in Loop: Header=BB56_6 Depth=1
                                        ; implicit-def: $vgpr37
	s_and_saveexec_b32 s33, s13
	s_cbranch_execz .LBB56_380
; %bb.372:                              ;   in Loop: Header=BB56_6 Depth=1
	v_mov_b32_e32 v8, v7
	v_mov_b32_e32 v2, v0
	s_mov_b32 s34, 0
                                        ; implicit-def: $sgpr84
	s_inst_prefetch 0x1
	s_branch .LBB56_375
	.p2align	6
.LBB56_373:                             ;   in Loop: Header=BB56_375 Depth=2
	s_or_b32 exec_lo, exec_lo, s85
	s_waitcnt lgkmcnt(0)
	s_barrier
	buffer_gl0_inv
	ds_read_b32 v4, v9 offset:3072
	s_mov_b32 s85, -1
	s_waitcnt lgkmcnt(0)
	s_barrier
	buffer_gl0_inv
	v_cmp_eq_u32_sdwa s86, v4, v9 src0_sel:WORD_0 src1_sel:DWORD
	s_and_b32 vcc_lo, exec_lo, s86
	s_mov_b32 s86, -1
	s_cbranch_vccnz .LBB56_378
.LBB56_374:                             ;   in Loop: Header=BB56_375 Depth=2
	s_and_b32 s85, exec_lo, s85
	s_or_b32 s34, s85, s34
	s_andn2_b32 s84, s84, exec_lo
	s_and_b32 s85, s86, exec_lo
	s_or_b32 s84, s84, s85
	s_andn2_b32 exec_lo, exec_lo, s34
	s_cbranch_execz .LBB56_379
.LBB56_375:                             ;   Parent Loop BB56_6 Depth=1
                                        ; =>  This Inner Loop Header: Depth=2
	s_mov_b32 s85, exec_lo
	v_cmpx_gt_u32_e64 s36, v2
	s_cbranch_execz .LBB56_373
; %bb.376:                              ;   in Loop: Header=BB56_375 Depth=2
	v_lshlrev_b64 v[13:14], 1, v[8:9]
	v_add_co_u32 v13, vcc_lo, s46, v13
	v_add_co_ci_u32_e64 v14, null, s47, v14, vcc_lo
	global_load_ushort v4, v[13:14], off
	s_waitcnt vmcnt(0)
	v_add_nc_u32_sdwa v13, sext(v4), v35 dst_sel:DWORD dst_unused:UNUSED_PAD src0_sel:WORD_0 src1_sel:DWORD
	v_and_b32_e32 v13, v13, v36
	v_cmp_eq_u32_e32 vcc_lo, v13, v28
	s_and_b32 exec_lo, exec_lo, vcc_lo
	s_cbranch_execz .LBB56_373
; %bb.377:                              ;   in Loop: Header=BB56_375 Depth=2
	v_perm_b32 v4, v4, 1, 0x5040100
	ds_write_b32 v9, v4 offset:3072
	s_branch .LBB56_373
.LBB56_378:                             ;   in Loop: Header=BB56_375 Depth=2
	v_add_nc_u32_e32 v2, s48, v2
	v_add_nc_u32_e32 v8, s49, v8
	s_mov_b32 s86, 0
	v_cmp_le_u32_e32 vcc_lo, s66, v2
	s_orn2_b32 s85, vcc_lo, exec_lo
	s_branch .LBB56_374
.LBB56_379:                             ;   in Loop: Header=BB56_6 Depth=1
	s_inst_prefetch 0x2
	s_or_b32 exec_lo, exec_lo, s34
	v_lshrrev_b32_e32 v37, 16, v4
	s_andn2_b32 s34, s83, exec_lo
	s_and_b32 s83, s84, exec_lo
	s_or_b32 s83, s34, s83
.LBB56_380:                             ;   in Loop: Header=BB56_6 Depth=1
	s_or_b32 exec_lo, exec_lo, s33
	s_mov_b32 s33, 0
	s_mov_b32 s34, -1
.LBB56_381:                             ;   in Loop: Header=BB56_6 Depth=1
	s_orn2_b32 s83, s83, exec_lo
.LBB56_382:                             ;   in Loop: Header=BB56_6 Depth=1
	s_or_b32 exec_lo, exec_lo, s82
	s_mov_b32 s84, 0
	s_and_saveexec_b32 s82, s83
	s_cbranch_execz .LBB56_393
; %bb.383:                              ;   in Loop: Header=BB56_6 Depth=1
	v_mov_b32_e32 v1, 1
	v_mov_b32_e32 v2, 1
	s_xor_b32 s83, s31, -1
	s_and_saveexec_b32 s31, s83
	s_cbranch_execz .LBB56_392
; %bb.384:                              ;   in Loop: Header=BB56_6 Depth=1
	s_mov_b32 s83, exec_lo
	v_cmpx_ge_u32_e64 s17, v3
	s_xor_b32 s83, exec_lo, s83
	s_cbranch_execz .LBB56_389
; %bb.385:                              ;   in Loop: Header=BB56_6 Depth=1
	ds_read_b32 v1, v9 offset:4096
	v_and_b32_e32 v28, s19, v28
	v_or_b32_e32 v36, s18, v36
	s_waitcnt lgkmcnt(0)
	v_cmp_ne_u32_e32 vcc_lo, 0, v1
	s_cbranch_vccnz .LBB56_389
; %bb.386:                              ;   in Loop: Header=BB56_6 Depth=1
	s_and_saveexec_b32 s18, s3
; %bb.387:                              ;   in Loop: Header=BB56_6 Depth=1
	v_mov_b32_e32 v1, s17
	ds_write_b32 v9, v1 offset:4100
; %bb.388:                              ;   in Loop: Header=BB56_6 Depth=1
	s_or_b32 exec_lo, exec_lo, s18
	s_waitcnt lgkmcnt(0)
	s_barrier
	buffer_gl0_inv
.LBB56_389:                             ;   in Loop: Header=BB56_6 Depth=1
	s_andn2_saveexec_b32 s18, s83
; %bb.390:                              ;   in Loop: Header=BB56_6 Depth=1
	v_subrev_nc_u32_e32 v3, s17, v3
; %bb.391:                              ;   in Loop: Header=BB56_6 Depth=1
	s_or_b32 exec_lo, exec_lo, s18
	v_mov_b32_e32 v1, 5
	v_mov_b32_e32 v2, v3
.LBB56_392:                             ;   in Loop: Header=BB56_6 Depth=1
	s_or_b32 exec_lo, exec_lo, s31
	v_mov_b32_e32 v3, v2
	s_mov_b32 s84, exec_lo
.LBB56_393:                             ;   in Loop: Header=BB56_6 Depth=1
	s_or_b32 exec_lo, exec_lo, s82
	s_orn2_b32 s31, s84, exec_lo
.LBB56_394:                             ;   in Loop: Header=BB56_6 Depth=1
	s_or_b32 exec_lo, exec_lo, s20
	v_mov_b32_e32 v2, v3
	s_andn2_b32 s17, s29, exec_lo
	s_and_b32 s18, s34, exec_lo
	s_andn2_b32 s19, s28, exec_lo
	s_and_b32 s20, s33, exec_lo
	s_or_b32 s29, s17, s18
	s_or_b32 s28, s19, s20
	s_and_b32 s34, s31, exec_lo
.LBB56_395:                             ;   in Loop: Header=BB56_6 Depth=1
	s_or_b32 exec_lo, exec_lo, s30
	s_orn2_b32 s30, s34, exec_lo
.LBB56_396:                             ;   in Loop: Header=BB56_6 Depth=1
	s_or_b32 exec_lo, exec_lo, s21
	v_mov_b32_e32 v4, v2
	s_andn2_b32 s17, s26, exec_lo
	s_and_b32 s18, s29, exec_lo
	s_andn2_b32 s19, s22, exec_lo
	s_and_b32 s20, s28, exec_lo
	s_or_b32 s26, s17, s18
	s_or_b32 s22, s19, s20
	s_and_b32 s30, s30, exec_lo
.LBB56_397:                             ;   in Loop: Header=BB56_6 Depth=1
	s_or_b32 exec_lo, exec_lo, s27
	s_orn2_b32 s27, s30, exec_lo
.LBB56_398:                             ;   in Loop: Header=BB56_6 Depth=1
	s_or_b32 exec_lo, exec_lo, s6
	s_mov_b32 s6, s24
	s_mov_b32 s17, s23
	s_and_saveexec_b32 s18, s27
; %bb.399:                              ;   in Loop: Header=BB56_6 Depth=1
	v_cmp_ne_u32_e32 vcc_lo, 5, v1
	v_cmp_eq_u32_e64 s6, 5, v1
	s_andn2_b32 s17, s23, exec_lo
	s_andn2_b32 s19, s24, exec_lo
	s_and_b32 s20, vcc_lo, exec_lo
	s_and_b32 s6, s6, exec_lo
	s_or_b32 s17, s17, s20
	s_or_b32 s6, s19, s6
; %bb.400:                              ;   in Loop: Header=BB56_6 Depth=1
	s_or_b32 exec_lo, exec_lo, s18
	s_andn2_b32 s14, s14, exec_lo
	s_and_b32 s18, s26, exec_lo
	s_andn2_b32 s16, s16, exec_lo
	s_and_b32 s19, s22, exec_lo
	s_or_b32 s14, s14, s18
	s_or_b32 s16, s16, s19
	s_andn2_b32 s18, s23, exec_lo
	s_and_b32 s17, s17, exec_lo
	s_andn2_b32 s19, s24, exec_lo
	s_and_b32 s6, s6, exec_lo
	s_or_b32 s23, s18, s17
	s_or_b32 s24, s19, s6
.LBB56_401:                             ;   in Loop: Header=BB56_6 Depth=1
	s_or_b32 exec_lo, exec_lo, s25
	s_mov_b32 s25, 0
	s_mov_b32 s26, 0
	s_and_saveexec_b32 s6, s24
.LBB56_402:                             ;   in Loop: Header=BB56_6 Depth=1
	v_mov_b32_e32 v1, 0
	s_or_b32 s23, s23, exec_lo
.LBB56_403:                             ;   in Loop: Header=BB56_6 Depth=1
	s_or_b32 exec_lo, exec_lo, s6
	s_andn2_b32 s6, s79, exec_lo
	s_and_b32 s14, s14, exec_lo
	s_andn2_b32 s18, s77, exec_lo
	s_and_b32 s16, s16, exec_lo
	v_mov_b32_e32 v38, v4
	s_or_b32 s79, s6, s14
	s_or_b32 s77, s18, s16
	s_andn2_b32 s6, s81, exec_lo
	s_and_b32 s14, s26, exec_lo
	s_andn2_b32 s16, s80, exec_lo
	s_and_b32 s18, s25, exec_lo
	s_mov_b32 s17, -1
	s_andn2_b32 s78, s78, exec_lo
	s_or_b32 s81, s6, s14
	s_or_b32 s80, s16, s18
	s_and_saveexec_b32 s6, s23
	s_xor_b32 s6, exec_lo, s6
	s_cbranch_execz .LBB56_5
; %bb.404:                              ;   in Loop: Header=BB56_6 Depth=1
	s_mov_b32 s14, -1
	s_mov_b32 s16, -1
	s_mov_b32 s17, exec_lo
	v_cmpx_eq_u32_e32 0, v1
	s_cbranch_execz .LBB56_4
; %bb.405:                              ;   in Loop: Header=BB56_6 Depth=1
	s_xor_b32 s71, s71, 1
	s_add_i32 s18, s75, -2
	s_cmp_eq_u32 s75, 0
	s_mov_b32 s75, s18
	s_cselect_b32 s14, -1, 0
	s_xor_b32 s16, exec_lo, -1
	s_orn2_b32 s14, s14, exec_lo
	s_branch .LBB56_4
.LBB56_406:
	s_or_b32 exec_lo, exec_lo, s35
	s_xor_b32 s9, s76, -1
	s_xor_b32 s12, s73, -1
	;; [unrolled: 1-line block ×5, first 2 shown]
	s_mov_b32 s7, 0
	s_and_saveexec_b32 s8, s6
	s_xor_b32 s6, exec_lo, s8
	s_cbranch_execnz .LBB56_411
; %bb.407:
	s_andn2_saveexec_b32 s0, s6
	s_cbranch_execnz .LBB56_430
.LBB56_408:
	s_or_b32 exec_lo, exec_lo, s0
	s_and_saveexec_b32 s0, s7
.LBB56_409:
	; divergent unreachable
.LBB56_410:
	s_endpgm
.LBB56_411:
	s_mov_b32 s8, 0
	s_and_saveexec_b32 s7, s11
	s_xor_b32 s7, exec_lo, s7
	s_cbranch_execz .LBB56_428
; %bb.412:
	s_mov_b32 s11, 0
	s_and_saveexec_b32 s8, s12
	s_xor_b32 s8, exec_lo, s8
	s_cbranch_execz .LBB56_426
; %bb.413:
	s_and_saveexec_b32 s12, s9
	s_xor_b32 s9, exec_lo, s12
	s_cbranch_execz .LBB56_424
; %bb.414:
	s_and_saveexec_b32 s11, s10
	s_xor_b32 s10, exec_lo, s11
; %bb.415:
	v_xor_b32_e32 v37, 0xffff8000, v28
; %bb.416:
	s_or_b32 exec_lo, exec_lo, s10
	s_and_saveexec_b32 s10, s3
; %bb.417:
	v_mov_b32_e32 v1, 0
	ds_write_b32 v1, v1 offset:4108
; %bb.418:
	s_or_b32 exec_lo, exec_lo, s10
	v_mov_b32_e32 v7, 0
	s_waitcnt lgkmcnt(0)
	s_barrier
	buffer_gl0_inv
	s_and_saveexec_b32 s3, s1
	s_cbranch_execz .LBB56_420
; %bb.419:
	global_load_ushort v7, v[5:6], off
.LBB56_420:
	s_or_b32 exec_lo, exec_lo, s3
	s_clause 0x1
	s_load_dword s10, s[4:5], 0x1c8
	s_load_dword s11, s[4:5], 0x2a8
	s_mul_i32 s4, s52, s50
	s_mov_b32 s5, 0
	s_add_i32 s12, s36, 31
	s_lshl_b64 s[14:15], s[4:5], 1
	s_andn2_b32 s12, s12, 31
	s_mul_i32 s16, s51, s50
	s_mov_b32 s17, s5
	s_add_u32 s13, s44, s14
	s_addc_u32 s14, s45, s15
	s_lshl_b64 s[16:17], s[16:17], 3
	v_cmp_gt_u32_e32 vcc_lo, s12, v0
	s_add_u32 s15, s42, s16
	s_addc_u32 s16, s43, s17
	s_mov_b32 s4, -1
	s_mov_b32 s3, 0
	s_and_saveexec_b32 s17, vcc_lo
	s_cbranch_execnz .LBB56_431
; %bb.421:
	s_or_b32 exec_lo, exec_lo, s17
	s_and_saveexec_b32 s2, s4
	s_cbranch_execnz .LBB56_446
.LBB56_422:
	s_or_b32 exec_lo, exec_lo, s2
	s_and_saveexec_b32 s0, s3
	s_xor_b32 s0, exec_lo, s0
	s_cbranch_execnz .LBB56_469
.LBB56_423:
	s_or_b32 exec_lo, exec_lo, s0
	s_waitcnt lgkmcnt(0)
	s_and_b32 s11, s5, exec_lo
.LBB56_424:
	s_andn2_saveexec_b32 s0, s9
	s_cbranch_execnz .LBB56_471
.LBB56_425:
	s_or_b32 exec_lo, exec_lo, s0
	s_and_b32 s11, s11, exec_lo
.LBB56_426:
	s_andn2_saveexec_b32 s0, s8
	s_cbranch_execnz .LBB56_470
.LBB56_427:
	s_or_b32 exec_lo, exec_lo, s0
	s_and_b32 s8, s11, exec_lo
.LBB56_428:
	s_andn2_saveexec_b32 s0, s7
	s_cbranch_execnz .LBB56_465
.LBB56_429:
	s_or_b32 exec_lo, exec_lo, s0
	s_and_b32 s7, s8, exec_lo
	s_andn2_saveexec_b32 s0, s6
	s_cbranch_execz .LBB56_408
.LBB56_430:
	s_or_b32 s7, s7, exec_lo
	s_trap 2
	s_or_b32 exec_lo, exec_lo, s0
	s_and_saveexec_b32 s0, s7
	s_cbranch_execnz .LBB56_409
	s_branch .LBB56_410
.LBB56_431:
	v_add_nc_u32_e32 v1, s48, v0
	v_mov_b32_e32 v8, 0x8000
	v_mov_b32_e32 v2, 0
	;; [unrolled: 1-line block ×3, first 2 shown]
	s_mov_b32 s18, 0
	v_mul_lo_u32 v1, s40, v1
	v_add_nc_u32_sdwa v9, sext(v37), v8 dst_sel:DWORD dst_unused:UNUSED_PAD src0_sel:WORD_0 src1_sel:DWORD
                                        ; implicit-def: $sgpr19
                                        ; implicit-def: $vgpr11
	s_branch .LBB56_433
.LBB56_432:                             ;   in Loop: Header=BB56_433 Depth=1
	s_or_b32 exec_lo, exec_lo, s21
	s_xor_b32 s3, s20, -1
	s_and_b32 s4, exec_lo, s4
	v_mov_b32_e32 v7, v12
	s_or_b32 s18, s4, s18
	v_mov_b32_e32 v3, v10
	s_andn2_b32 s4, s19, exec_lo
	s_and_b32 s3, s3, exec_lo
	s_or_b32 s19, s4, s3
	s_andn2_b32 exec_lo, exec_lo, s18
	s_cbranch_execz .LBB56_445
.LBB56_433:                             ; =>This Inner Loop Header: Depth=1
	v_add_nc_u32_e32 v10, s48, v3
	v_mov_b32_e32 v12, 0
	s_mov_b32 s4, exec_lo
	v_cmpx_gt_u32_e64 s36, v10
	s_cbranch_execz .LBB56_435
; %bb.434:                              ;   in Loop: Header=BB56_433 Depth=1
	v_lshlrev_b64 v[12:13], 1, v[1:2]
	v_add_co_u32 v12, s3, s46, v12
	v_add_co_ci_u32_e64 v13, null, s47, v13, s3
	global_load_ushort v12, v[12:13], off
.LBB56_435:                             ;   in Loop: Header=BB56_433 Depth=1
	s_or_b32 exec_lo, exec_lo, s4
	s_waitcnt vmcnt(0)
	v_add_nc_u32_sdwa v4, sext(v7), v8 dst_sel:DWORD dst_unused:UNUSED_PAD src0_sel:WORD_0 src1_sel:DWORD
	v_cmp_gt_u32_e64 s3, v4, v9
	v_cndmask_b32_e64 v13, 0, 1, s3
	v_cmp_lt_u32_e64 s3, v4, v9
	v_cndmask_b32_e64 v4, 0, 1, s3
	v_cmp_gt_u32_e64 s3, s36, v3
	v_cndmask_b32_e64 v4, v4, v13, s2
	v_and_b32_e32 v4, 1, v4
	v_cmp_eq_u32_e64 s4, 1, v4
	s_and_b32 s21, s3, s4
	v_cndmask_b32_e64 v4, 0, 1, s21
	v_cmp_ne_u32_e64 s3, 0, v4
	s_cmp_lg_u32 s3, 0
	s_cselect_b32 s4, -1, 0
	s_and_b32 s4, s0, s4
	s_and_saveexec_b32 s20, s4
	s_cbranch_execz .LBB56_439
; %bb.436:                              ;   in Loop: Header=BB56_433 Depth=1
	s_mov_b32 s24, exec_lo
	s_bcnt1_i32_b32 s22, s3
	v_mbcnt_lo_u32_b32 v4, s24, 0
	s_mov_b32 s23, exec_lo
                                        ; implicit-def: $vgpr11
	v_cmpx_eq_u32_e32 0, v4
	s_cbranch_execz .LBB56_438
; %bb.437:                              ;   in Loop: Header=BB56_433 Depth=1
	s_bcnt1_i32_b32 s4, s24
	s_mul_i32 s4, s22, s4
	s_waitcnt lgkmcnt(0)
	v_mov_b32_e32 v11, s4
	ds_add_rtn_u32 v11, v2, v11 offset:4108
.LBB56_438:                             ;   in Loop: Header=BB56_433 Depth=1
	s_or_b32 exec_lo, exec_lo, s23
	s_waitcnt lgkmcnt(0)
	v_readfirstlane_b32 s4, v11
	v_mad_u32_u24 v11, s22, v4, s4
.LBB56_439:                             ;   in Loop: Header=BB56_433 Depth=1
	s_or_b32 exec_lo, exec_lo, s20
	s_waitcnt lgkmcnt(0)
	ds_bpermute_b32 v11, v2, v11
	s_mov_b32 s4, -1
	s_mov_b32 s22, -1
	s_and_saveexec_b32 s20, s21
	s_cbranch_execz .LBB56_443
; %bb.440:                              ;   in Loop: Header=BB56_433 Depth=1
	v_and_b32_e32 v4, s3, v17
	s_mov_b32 s21, 0
	s_mov_b32 s22, exec_lo
	s_waitcnt lgkmcnt(0)
	v_bcnt_u32_b32 v4, v4, v11
	v_cmpx_gt_u32_e64 s37, v4
; %bb.441:                              ;   in Loop: Header=BB56_433 Depth=1
	v_mul_lo_u32 v13, v4, s10
	v_mul_lo_u32 v15, v4, s11
	v_mov_b32_e32 v14, v2
	v_mov_b32_e32 v16, v2
	;; [unrolled: 1-line block ×3, first 2 shown]
	s_mov_b32 s21, exec_lo
	v_lshlrev_b64 v[13:14], 1, v[13:14]
	v_lshlrev_b64 v[15:16], 3, v[15:16]
	v_add_co_u32 v13, s3, s13, v13
	v_add_co_ci_u32_e64 v14, null, s14, v14, s3
	v_add_co_u32 v15, s3, s15, v15
	v_add_co_ci_u32_e64 v16, null, s16, v16, s3
	global_store_short v[13:14], v7, off
	global_store_dwordx2 v[15:16], v[3:4], off
; %bb.442:                              ;   in Loop: Header=BB56_433 Depth=1
	s_or_b32 exec_lo, exec_lo, s22
	s_orn2_b32 s22, s21, exec_lo
.LBB56_443:                             ;   in Loop: Header=BB56_433 Depth=1
	s_or_b32 exec_lo, exec_lo, s20
	s_mov_b32 s20, -1
	s_and_saveexec_b32 s21, s22
	s_cbranch_execz .LBB56_432
; %bb.444:                              ;   in Loop: Header=BB56_433 Depth=1
	v_cmp_le_u32_e64 s3, s12, v10
	v_add_nc_u32_e32 v1, s49, v1
	s_xor_b32 s20, exec_lo, -1
	s_orn2_b32 s4, s3, exec_lo
	s_branch .LBB56_432
.LBB56_445:
	s_or_b32 exec_lo, exec_lo, s18
	s_mov_b32 s3, exec_lo
	s_orn2_b32 s4, s19, exec_lo
	s_or_b32 exec_lo, exec_lo, s17
	s_and_saveexec_b32 s2, s4
	s_cbranch_execz .LBB56_422
.LBB56_446:
	v_mov_b32_e32 v1, 0
	s_waitcnt vmcnt(0) lgkmcnt(0)
	s_waitcnt_vscnt null, 0x0
	s_barrier
	buffer_gl0_inv
	s_and_saveexec_b32 s4, s1
	s_cbranch_execz .LBB56_448
; %bb.447:
	global_load_ushort v1, v[5:6], off
.LBB56_448:
	s_or_b32 exec_lo, exec_lo, s4
	s_mov_b32 s1, 0
	s_and_saveexec_b32 s4, vcc_lo
	s_cbranch_execz .LBB56_468
; %bb.449:
	v_add_nc_u32_e32 v2, s48, v0
	v_mov_b32_e32 v3, 0
	s_mov_b32 s5, 0
                                        ; implicit-def: $sgpr17
                                        ; implicit-def: $vgpr5
	v_mul_lo_u32 v2, s40, v2
	s_branch .LBB56_452
.LBB56_450:                             ;   in Loop: Header=BB56_452 Depth=1
	s_or_b32 exec_lo, exec_lo, s19
	s_orn2_b32 s20, s21, exec_lo
	s_orn2_b32 s18, s18, exec_lo
.LBB56_451:                             ;   in Loop: Header=BB56_452 Depth=1
	s_or_b32 exec_lo, exec_lo, s1
	s_xor_b32 s1, s20, -1
	s_and_b32 s18, exec_lo, s18
	v_mov_b32_e32 v0, v4
	s_or_b32 s5, s18, s5
	v_mov_b32_e32 v1, v6
	s_andn2_b32 s17, s17, exec_lo
	s_and_b32 s1, s1, exec_lo
	s_or_b32 s17, s17, s1
	s_andn2_b32 exec_lo, exec_lo, s5
	s_cbranch_execz .LBB56_466
.LBB56_452:                             ; =>This Inner Loop Header: Depth=1
	v_add_nc_u32_e32 v4, s48, v0
	v_mov_b32_e32 v6, 0
	s_mov_b32 s1, exec_lo
	v_cmpx_gt_u32_e64 s36, v4
	s_cbranch_execz .LBB56_454
; %bb.453:                              ;   in Loop: Header=BB56_452 Depth=1
	v_lshlrev_b64 v[6:7], 1, v[2:3]
	v_add_co_u32 v6, vcc_lo, s46, v6
	v_add_co_ci_u32_e64 v7, null, s47, v7, vcc_lo
	global_load_ushort v6, v[6:7], off
.LBB56_454:                             ;   in Loop: Header=BB56_452 Depth=1
	s_or_b32 exec_lo, exec_lo, s1
	v_cmp_gt_u32_e32 vcc_lo, s36, v0
	s_waitcnt vmcnt(0)
	v_cmp_eq_u16_e64 s1, v1, v37
	s_and_b32 s19, vcc_lo, s1
	v_cndmask_b32_e64 v1, 0, 1, s19
	v_cmp_ne_u32_e32 vcc_lo, 0, v1
	s_cmp_lg_u32 vcc_lo, 0
	s_cselect_b32 s1, -1, 0
	s_and_b32 s1, s0, s1
	s_and_saveexec_b32 s18, s1
	s_cbranch_execz .LBB56_458
; %bb.455:                              ;   in Loop: Header=BB56_452 Depth=1
	s_mov_b32 s22, exec_lo
	s_bcnt1_i32_b32 s20, vcc_lo
	v_mbcnt_lo_u32_b32 v1, s22, 0
	s_mov_b32 s21, exec_lo
                                        ; implicit-def: $vgpr5
	v_cmpx_eq_u32_e32 0, v1
; %bb.456:                              ;   in Loop: Header=BB56_452 Depth=1
	s_bcnt1_i32_b32 s1, s22
	s_mul_i32 s1, s20, s1
	v_mov_b32_e32 v5, s1
	ds_add_rtn_u32 v5, v3, v5 offset:4108
; %bb.457:                              ;   in Loop: Header=BB56_452 Depth=1
	s_or_b32 exec_lo, exec_lo, s21
	s_waitcnt lgkmcnt(0)
	v_readfirstlane_b32 s1, v5
	v_mad_u32_u24 v5, s20, v1, s1
.LBB56_458:                             ;   in Loop: Header=BB56_452 Depth=1
	s_or_b32 exec_lo, exec_lo, s18
	ds_bpermute_b32 v5, v3, v5
	s_cmp_eq_u32 vcc_lo, 0
	s_mov_b32 s18, -1
	s_cselect_b32 s20, -1, 0
	s_waitcnt lgkmcnt(0)
	v_cmp_gt_u32_e64 s1, s37, v5
	s_or_b32 s21, s20, s1
	s_mov_b32 s20, -1
	s_and_saveexec_b32 s1, s21
	s_cbranch_execz .LBB56_451
; %bb.459:                              ;   in Loop: Header=BB56_452 Depth=1
	v_and_b32_e32 v1, vcc_lo, v17
	v_sub_nc_u32_e32 v7, s37, v5
	s_mov_b32 s21, -1
	v_bcnt_u32_b32 v1, v1, 0
	v_bcnt_u32_b32 v1, 0, v1
	v_cmp_gt_u32_e32 vcc_lo, v7, v1
	s_and_b32 s22, s19, vcc_lo
	s_and_saveexec_b32 s19, s22
	s_cbranch_execz .LBB56_463
; %bb.460:                              ;   in Loop: Header=BB56_452 Depth=1
	v_add_nc_u32_e32 v1, v5, v1
	s_mov_b32 s20, 0
	s_mov_b32 s21, exec_lo
	v_cmpx_gt_u32_e64 s37, v1
; %bb.461:                              ;   in Loop: Header=BB56_452 Depth=1
	v_mul_lo_u32 v7, v1, s10
	v_mul_lo_u32 v9, v1, s11
	v_mov_b32_e32 v8, v3
	v_mov_b32_e32 v10, v3
	v_mov_b32_e32 v1, v3
	s_mov_b32 s20, exec_lo
	v_lshlrev_b64 v[7:8], 1, v[7:8]
	v_lshlrev_b64 v[9:10], 3, v[9:10]
	v_add_co_u32 v7, vcc_lo, s13, v7
	v_add_co_ci_u32_e64 v8, null, s14, v8, vcc_lo
	v_add_co_u32 v9, vcc_lo, s15, v9
	v_add_co_ci_u32_e64 v10, null, s16, v10, vcc_lo
	global_store_short v[7:8], v37, off
	global_store_dwordx2 v[9:10], v[0:1], off
; %bb.462:                              ;   in Loop: Header=BB56_452 Depth=1
	s_or_b32 exec_lo, exec_lo, s21
	s_xor_b32 s21, exec_lo, -1
	s_orn2_b32 s20, s20, exec_lo
.LBB56_463:                             ;   in Loop: Header=BB56_452 Depth=1
	s_or_b32 exec_lo, exec_lo, s19
	s_and_saveexec_b32 s19, s20
	s_cbranch_execz .LBB56_450
; %bb.464:                              ;   in Loop: Header=BB56_452 Depth=1
	v_cmp_le_u32_e32 vcc_lo, s12, v4
	v_add_nc_u32_e32 v2, s49, v2
	s_or_b32 s21, s21, exec_lo
	s_orn2_b32 s18, vcc_lo, exec_lo
	s_branch .LBB56_450
.LBB56_465:
	s_or_b32 s8, s8, exec_lo
	s_trap 2
	s_branch .LBB56_429
.LBB56_466:
	s_or_b32 exec_lo, exec_lo, s5
	s_mov_b32 s0, 0
	s_and_saveexec_b32 s1, s17
	s_xor_b32 s1, exec_lo, s1
	s_cbranch_execnz .LBB56_472
.LBB56_467:
	s_or_b32 exec_lo, exec_lo, s1
	s_and_b32 s1, s0, exec_lo
.LBB56_468:
	s_or_b32 exec_lo, exec_lo, s4
	s_and_b32 s5, s1, exec_lo
	s_andn2_b32 s3, s3, exec_lo
	s_or_b32 exec_lo, exec_lo, s2
	s_and_saveexec_b32 s0, s3
	s_xor_b32 s0, exec_lo, s0
	s_cbranch_execz .LBB56_423
.LBB56_469:
	s_or_b32 s5, s5, exec_lo
	s_trap 2
	s_branch .LBB56_423
.LBB56_470:
	s_or_b32 s11, s11, exec_lo
	s_trap 2
	s_branch .LBB56_427
.LBB56_471:
	s_or_b32 s11, s11, exec_lo
	s_trap 2
	s_branch .LBB56_425
.LBB56_472:
	s_mov_b32 s0, exec_lo
	s_trap 2
	s_branch .LBB56_467
	.section	.rodata,"a",@progbits
	.p2align	6, 0x0
	.amdhsa_kernel _ZN2at6native6sbtopk10gatherTopKIsjLi1ELb0EEEvNS_4cuda6detail10TensorInfoIKT_T0_EES8_S8_bS8_S8_NS5_IS6_S8_EES8_NS5_IlS8_EES8_PS6_
		.amdhsa_group_segment_fixed_size 4112
		.amdhsa_private_segment_fixed_size 0
		.amdhsa_kernarg_size 952
		.amdhsa_user_sgpr_count 6
		.amdhsa_user_sgpr_private_segment_buffer 1
		.amdhsa_user_sgpr_dispatch_ptr 0
		.amdhsa_user_sgpr_queue_ptr 0
		.amdhsa_user_sgpr_kernarg_segment_ptr 1
		.amdhsa_user_sgpr_dispatch_id 0
		.amdhsa_user_sgpr_flat_scratch_init 0
		.amdhsa_user_sgpr_private_segment_size 0
		.amdhsa_wavefront_size32 1
		.amdhsa_uses_dynamic_stack 0
		.amdhsa_system_sgpr_private_segment_wavefront_offset 0
		.amdhsa_system_sgpr_workgroup_id_x 1
		.amdhsa_system_sgpr_workgroup_id_y 1
		.amdhsa_system_sgpr_workgroup_id_z 1
		.amdhsa_system_sgpr_workgroup_info 0
		.amdhsa_system_vgpr_workitem_id 0
		.amdhsa_next_free_vgpr 61
		.amdhsa_next_free_sgpr 95
		.amdhsa_reserve_vcc 1
		.amdhsa_reserve_flat_scratch 0
		.amdhsa_float_round_mode_32 0
		.amdhsa_float_round_mode_16_64 0
		.amdhsa_float_denorm_mode_32 3
		.amdhsa_float_denorm_mode_16_64 3
		.amdhsa_dx10_clamp 1
		.amdhsa_ieee_mode 1
		.amdhsa_fp16_overflow 0
		.amdhsa_workgroup_processor_mode 1
		.amdhsa_memory_ordered 1
		.amdhsa_forward_progress 1
		.amdhsa_shared_vgpr_count 0
		.amdhsa_exception_fp_ieee_invalid_op 0
		.amdhsa_exception_fp_denorm_src 0
		.amdhsa_exception_fp_ieee_div_zero 0
		.amdhsa_exception_fp_ieee_overflow 0
		.amdhsa_exception_fp_ieee_underflow 0
		.amdhsa_exception_fp_ieee_inexact 0
		.amdhsa_exception_int_div_zero 0
	.end_amdhsa_kernel
	.section	.text._ZN2at6native6sbtopk10gatherTopKIsjLi1ELb0EEEvNS_4cuda6detail10TensorInfoIKT_T0_EES8_S8_bS8_S8_NS5_IS6_S8_EES8_NS5_IlS8_EES8_PS6_,"axG",@progbits,_ZN2at6native6sbtopk10gatherTopKIsjLi1ELb0EEEvNS_4cuda6detail10TensorInfoIKT_T0_EES8_S8_bS8_S8_NS5_IS6_S8_EES8_NS5_IlS8_EES8_PS6_,comdat
.Lfunc_end56:
	.size	_ZN2at6native6sbtopk10gatherTopKIsjLi1ELb0EEEvNS_4cuda6detail10TensorInfoIKT_T0_EES8_S8_bS8_S8_NS5_IS6_S8_EES8_NS5_IlS8_EES8_PS6_, .Lfunc_end56-_ZN2at6native6sbtopk10gatherTopKIsjLi1ELb0EEEvNS_4cuda6detail10TensorInfoIKT_T0_EES8_S8_bS8_S8_NS5_IS6_S8_EES8_NS5_IlS8_EES8_PS6_
                                        ; -- End function
	.set _ZN2at6native6sbtopk10gatherTopKIsjLi1ELb0EEEvNS_4cuda6detail10TensorInfoIKT_T0_EES8_S8_bS8_S8_NS5_IS6_S8_EES8_NS5_IlS8_EES8_PS6_.num_vgpr, 61
	.set _ZN2at6native6sbtopk10gatherTopKIsjLi1ELb0EEEvNS_4cuda6detail10TensorInfoIKT_T0_EES8_S8_bS8_S8_NS5_IS6_S8_EES8_NS5_IlS8_EES8_PS6_.num_agpr, 0
	.set _ZN2at6native6sbtopk10gatherTopKIsjLi1ELb0EEEvNS_4cuda6detail10TensorInfoIKT_T0_EES8_S8_bS8_S8_NS5_IS6_S8_EES8_NS5_IlS8_EES8_PS6_.numbered_sgpr, 95
	.set _ZN2at6native6sbtopk10gatherTopKIsjLi1ELb0EEEvNS_4cuda6detail10TensorInfoIKT_T0_EES8_S8_bS8_S8_NS5_IS6_S8_EES8_NS5_IlS8_EES8_PS6_.num_named_barrier, 0
	.set _ZN2at6native6sbtopk10gatherTopKIsjLi1ELb0EEEvNS_4cuda6detail10TensorInfoIKT_T0_EES8_S8_bS8_S8_NS5_IS6_S8_EES8_NS5_IlS8_EES8_PS6_.private_seg_size, 0
	.set _ZN2at6native6sbtopk10gatherTopKIsjLi1ELb0EEEvNS_4cuda6detail10TensorInfoIKT_T0_EES8_S8_bS8_S8_NS5_IS6_S8_EES8_NS5_IlS8_EES8_PS6_.uses_vcc, 1
	.set _ZN2at6native6sbtopk10gatherTopKIsjLi1ELb0EEEvNS_4cuda6detail10TensorInfoIKT_T0_EES8_S8_bS8_S8_NS5_IS6_S8_EES8_NS5_IlS8_EES8_PS6_.uses_flat_scratch, 0
	.set _ZN2at6native6sbtopk10gatherTopKIsjLi1ELb0EEEvNS_4cuda6detail10TensorInfoIKT_T0_EES8_S8_bS8_S8_NS5_IS6_S8_EES8_NS5_IlS8_EES8_PS6_.has_dyn_sized_stack, 0
	.set _ZN2at6native6sbtopk10gatherTopKIsjLi1ELb0EEEvNS_4cuda6detail10TensorInfoIKT_T0_EES8_S8_bS8_S8_NS5_IS6_S8_EES8_NS5_IlS8_EES8_PS6_.has_recursion, 0
	.set _ZN2at6native6sbtopk10gatherTopKIsjLi1ELb0EEEvNS_4cuda6detail10TensorInfoIKT_T0_EES8_S8_bS8_S8_NS5_IS6_S8_EES8_NS5_IlS8_EES8_PS6_.has_indirect_call, 0
	.section	.AMDGPU.csdata,"",@progbits
; Kernel info:
; codeLenInByte = 15844
; TotalNumSgprs: 97
; NumVgprs: 61
; ScratchSize: 0
; MemoryBound: 0
; FloatMode: 240
; IeeeMode: 1
; LDSByteSize: 4112 bytes/workgroup (compile time only)
; SGPRBlocks: 0
; VGPRBlocks: 7
; NumSGPRsForWavesPerEU: 97
; NumVGPRsForWavesPerEU: 61
; Occupancy: 16
; WaveLimiterHint : 1
; COMPUTE_PGM_RSRC2:SCRATCH_EN: 0
; COMPUTE_PGM_RSRC2:USER_SGPR: 6
; COMPUTE_PGM_RSRC2:TRAP_HANDLER: 0
; COMPUTE_PGM_RSRC2:TGID_X_EN: 1
; COMPUTE_PGM_RSRC2:TGID_Y_EN: 1
; COMPUTE_PGM_RSRC2:TGID_Z_EN: 1
; COMPUTE_PGM_RSRC2:TIDIG_COMP_CNT: 0
	.section	.text._ZN2at6native6mbtopk23computeBlockDigitCountsIsjjLi2EEEvNS_4cuda6detail10TensorInfoIKT_T0_EEjPjjS8_iijT1_PSB_Ps,"axG",@progbits,_ZN2at6native6mbtopk23computeBlockDigitCountsIsjjLi2EEEvNS_4cuda6detail10TensorInfoIKT_T0_EEjPjjS8_iijT1_PSB_Ps,comdat
	.protected	_ZN2at6native6mbtopk23computeBlockDigitCountsIsjjLi2EEEvNS_4cuda6detail10TensorInfoIKT_T0_EEjPjjS8_iijT1_PSB_Ps ; -- Begin function _ZN2at6native6mbtopk23computeBlockDigitCountsIsjjLi2EEEvNS_4cuda6detail10TensorInfoIKT_T0_EEjPjjS8_iijT1_PSB_Ps
	.globl	_ZN2at6native6mbtopk23computeBlockDigitCountsIsjjLi2EEEvNS_4cuda6detail10TensorInfoIKT_T0_EEjPjjS8_iijT1_PSB_Ps
	.p2align	8
	.type	_ZN2at6native6mbtopk23computeBlockDigitCountsIsjjLi2EEEvNS_4cuda6detail10TensorInfoIKT_T0_EEjPjjS8_iijT1_PSB_Ps,@function
_ZN2at6native6mbtopk23computeBlockDigitCountsIsjjLi2EEEvNS_4cuda6detail10TensorInfoIKT_T0_EEjPjjS8_iijT1_PSB_Ps: ; @_ZN2at6native6mbtopk23computeBlockDigitCountsIsjjLi2EEEvNS_4cuda6detail10TensorInfoIKT_T0_EEjPjjS8_iijT1_PSB_Ps
; %bb.0:
	s_clause 0x2
	s_load_dwordx2 s[10:11], s[4:5], 0xf8
	s_load_dwordx4 s[12:15], s[4:5], 0xe8
	s_load_dwordx2 s[0:1], s[4:5], 0x110
	s_waitcnt lgkmcnt(0)
	v_cvt_f32_u32_e32 v1, s10
	s_sub_i32 s3, 0, s10
	s_mul_i32 s1, s1, s8
	s_add_i32 s1, s1, s7
	v_rcp_iflag_f32_e32 v1, v1
	s_mul_i32 s16, s1, s0
	s_mov_b32 s7, 0
	s_add_i32 s16, s16, s6
	v_mul_f32_e32 v1, 0x4f7ffffe, v1
	v_cvt_u32_f32_e32 v1, v1
	v_readfirstlane_b32 s2, v1
	s_mul_i32 s3, s3, s2
	s_mul_hi_u32 s0, s2, s3
	s_add_i32 s2, s2, s0
	s_mul_hi_u32 s0, s16, s2
	s_mul_i32 s1, s0, s10
	s_add_i32 s2, s0, 1
	s_sub_i32 s1, s16, s1
	s_sub_i32 s3, s1, s10
	s_cmp_ge_u32 s1, s10
	s_cselect_b32 s0, s2, s0
	s_cselect_b32 s1, s3, s1
	s_add_i32 s2, s0, 1
	s_cmp_ge_u32 s1, s10
	s_cselect_b32 s6, s2, s0
	s_cmp_ge_u32 s6, s12
	s_cbranch_scc1 .LBB57_27
; %bb.1:
	s_clause 0x1
	s_load_dword s17, s[4:5], 0xc
	s_load_dwordx4 s[0:3], s[4:5], 0x100
	s_lshl_b64 s[8:9], s[6:7], 2
	v_cmp_gt_u32_e32 vcc_lo, 0x100, v0
	v_lshlrev_b32_e32 v3, 2, v0
	s_waitcnt lgkmcnt(0)
	v_cvt_f32_u32_e32 v1, s17
	s_add_u32 s8, s0, s8
	s_addc_u32 s9, s1, s9
	v_rcp_iflag_f32_e32 v1, v1
	v_mul_f32_e32 v1, 0x4f7ffffe, v1
	v_cvt_u32_f32_e32 v1, v1
	v_readfirstlane_b32 s18, v1
	s_and_saveexec_b32 s0, vcc_lo
; %bb.2:
	v_mov_b32_e32 v1, 0
	ds_write_b32 v3, v1
; %bb.3:
	s_or_b32 exec_lo, exec_lo, s0
	s_load_dword s7, s[4:5], 0xd8
	s_mul_i32 s0, s6, s10
	s_waitcnt lgkmcnt(0)
	s_sub_i32 s0, s16, s0
	s_barrier
	s_mul_i32 s1, s15, s0
	s_add_i32 s19, s0, 1
	s_lshl_b32 s12, s1, 8
	buffer_gl0_inv
	s_sub_i32 s1, s7, s12
	s_add_u32 s0, s1, 0xff
	s_addc_u32 s1, 0, 0
	s_lshr_b64 s[0:1], s[0:1], 8
	s_cmp_lt_u32 s19, s10
	s_mov_b32 s1, 0
	s_cselect_b32 s10, s15, s0
	s_cmp_lt_i32 s10, 1
	s_cbranch_scc1 .LBB57_25
; %bb.4:
	s_sub_i32 s0, 0, s17
	s_load_dwordx2 s[20:21], s[4:5], 0x0
	s_mul_i32 s0, s0, s18
	s_mul_hi_u32 s0, s18, s0
	s_add_i32 s0, s18, s0
	s_load_dwordx2 s[18:19], s[4:5], 0x6c
	s_mul_hi_u32 s0, s6, s0
	s_load_dword s4, s[8:9], 0x0
	s_mul_i32 s15, s0, s17
	s_sub_i32 s5, s6, s15
	s_add_i32 s15, s0, 1
	s_sub_i32 s22, s5, s17
	s_cmp_ge_u32 s5, s17
	s_cselect_b32 s0, s15, s0
	s_cselect_b32 s5, s22, s5
	s_add_i32 s8, s0, 1
	s_cmp_ge_u32 s5, s17
	s_cselect_b32 s0, s8, s0
	s_mul_i32 s5, s0, s17
	s_sub_i32 s5, s6, s5
	s_waitcnt lgkmcnt(0)
	s_mul_i32 s0, s0, s18
	s_mul_i32 s5, s5, s19
	s_add_i32 s0, s0, s5
	s_lshl_b64 s[8:9], s[0:1], 1
	s_add_u32 s5, s20, s8
	s_addc_u32 s6, s21, s9
	s_and_b32 s8, s14, 0xff
	s_cmp_lt_u32 s10, 4
	s_cbranch_scc1 .LBB57_19
; %bb.5:
	v_add_nc_u32_e32 v1, s12, v0
	v_mov_b32_e32 v9, 1
	s_and_b32 s1, s10, 0x7ffffffc
	s_lshl_b32 s9, s13, 10
	s_mov_b32 s14, 0
	v_add_nc_u32_e32 v4, 0x300, v1
	v_add_nc_u32_e32 v2, 0x200, v1
	;; [unrolled: 1-line block ×3, first 2 shown]
	v_mul_lo_u32 v8, s13, v1
	s_mov_b32 s15, 0
	v_mul_lo_u32 v5, s13, v4
	v_mul_lo_u32 v6, s13, v2
	;; [unrolled: 1-line block ×3, first 2 shown]
	v_mov_b32_e32 v2, 0
	s_branch .LBB57_7
.LBB57_6:                               ;   in Loop: Header=BB57_7 Depth=1
	s_or_b32 exec_lo, exec_lo, s17
	v_add_nc_u32_e32 v4, 0x400, v4
	s_add_i32 s15, s15, 4
	s_add_i32 s14, s14, s9
	s_cmp_eq_u32 s1, s15
	s_cbranch_scc1 .LBB57_19
.LBB57_7:                               ; =>This Inner Loop Header: Depth=1
	v_add_nc_u32_e32 v1, 0xfffffd00, v4
	s_mov_b32 s17, exec_lo
	v_cmpx_gt_u32_e64 s7, v1
	s_cbranch_execz .LBB57_10
; %bb.8:                                ;   in Loop: Header=BB57_7 Depth=1
	v_add_nc_u32_e32 v1, s14, v8
	v_lshlrev_b64 v[10:11], 1, v[1:2]
	v_add_co_u32 v10, s0, s5, v10
	v_add_co_ci_u32_e64 v11, null, s6, v11, s0
	global_load_sshort v1, v[10:11], off
	s_waitcnt vmcnt(0)
	v_add_nc_u32_e32 v1, 0x8000, v1
	v_xor_b32_e32 v10, s4, v1
	v_and_b32_e32 v10, s11, v10
	v_cmp_eq_u32_e64 s0, 0, v10
	s_and_b32 exec_lo, exec_lo, s0
; %bb.9:                                ;   in Loop: Header=BB57_7 Depth=1
	v_bfe_u32 v1, v1, s8, 8
	v_lshlrev_b32_e32 v1, 2, v1
	ds_add_u32 v1, v9
.LBB57_10:                              ;   in Loop: Header=BB57_7 Depth=1
	s_or_b32 exec_lo, exec_lo, s17
	v_add_nc_u32_e32 v1, 0xfffffe00, v4
	s_mov_b32 s17, exec_lo
	v_cmpx_gt_u32_e64 s7, v1
	s_cbranch_execz .LBB57_13
; %bb.11:                               ;   in Loop: Header=BB57_7 Depth=1
	v_add_nc_u32_e32 v1, s14, v7
	v_lshlrev_b64 v[10:11], 1, v[1:2]
	v_add_co_u32 v10, s0, s5, v10
	v_add_co_ci_u32_e64 v11, null, s6, v11, s0
	global_load_sshort v1, v[10:11], off
	s_waitcnt vmcnt(0)
	v_add_nc_u32_e32 v1, 0x8000, v1
	v_xor_b32_e32 v10, s4, v1
	v_and_b32_e32 v10, s11, v10
	v_cmp_eq_u32_e64 s0, 0, v10
	s_and_b32 exec_lo, exec_lo, s0
; %bb.12:                               ;   in Loop: Header=BB57_7 Depth=1
	v_bfe_u32 v1, v1, s8, 8
	v_lshlrev_b32_e32 v1, 2, v1
	ds_add_u32 v1, v9
.LBB57_13:                              ;   in Loop: Header=BB57_7 Depth=1
	s_or_b32 exec_lo, exec_lo, s17
	v_add_nc_u32_e32 v1, 0xffffff00, v4
	s_mov_b32 s17, exec_lo
	v_cmpx_gt_u32_e64 s7, v1
	s_cbranch_execz .LBB57_16
; %bb.14:                               ;   in Loop: Header=BB57_7 Depth=1
	v_add_nc_u32_e32 v1, s14, v6
	v_lshlrev_b64 v[10:11], 1, v[1:2]
	v_add_co_u32 v10, s0, s5, v10
	v_add_co_ci_u32_e64 v11, null, s6, v11, s0
	global_load_sshort v1, v[10:11], off
	s_waitcnt vmcnt(0)
	v_add_nc_u32_e32 v1, 0x8000, v1
	v_xor_b32_e32 v10, s4, v1
	v_and_b32_e32 v10, s11, v10
	v_cmp_eq_u32_e64 s0, 0, v10
	s_and_b32 exec_lo, exec_lo, s0
; %bb.15:                               ;   in Loop: Header=BB57_7 Depth=1
	v_bfe_u32 v1, v1, s8, 8
	v_lshlrev_b32_e32 v1, 2, v1
	ds_add_u32 v1, v9
.LBB57_16:                              ;   in Loop: Header=BB57_7 Depth=1
	s_or_b32 exec_lo, exec_lo, s17
	s_mov_b32 s17, exec_lo
	v_cmpx_gt_u32_e64 s7, v4
	s_cbranch_execz .LBB57_6
; %bb.17:                               ;   in Loop: Header=BB57_7 Depth=1
	v_add_nc_u32_e32 v1, s14, v5
	v_lshlrev_b64 v[10:11], 1, v[1:2]
	v_add_co_u32 v10, s0, s5, v10
	v_add_co_ci_u32_e64 v11, null, s6, v11, s0
	global_load_sshort v1, v[10:11], off
	s_waitcnt vmcnt(0)
	v_add_nc_u32_e32 v1, 0x8000, v1
	v_xor_b32_e32 v10, s4, v1
	v_and_b32_e32 v10, s11, v10
	v_cmp_eq_u32_e64 s0, 0, v10
	s_and_b32 exec_lo, exec_lo, s0
	s_cbranch_execz .LBB57_6
; %bb.18:                               ;   in Loop: Header=BB57_7 Depth=1
	v_bfe_u32 v1, v1, s8, 8
	v_lshlrev_b32_e32 v1, 2, v1
	ds_add_u32 v1, v9
	s_branch .LBB57_6
.LBB57_19:
	s_and_b32 s9, s10, 3
	s_cmp_eq_u32 s9, 0
	s_cbranch_scc1 .LBB57_25
; %bb.20:
	s_lshl_b32 s0, s1, 8
	v_mov_b32_e32 v2, 0
	v_add3_u32 v4, s0, s12, v0
	v_mov_b32_e32 v5, 1
	s_lshl_b32 s1, s13, 8
	v_mul_lo_u32 v1, s13, v4
	s_inst_prefetch 0x1
	s_branch .LBB57_22
	.p2align	6
.LBB57_21:                              ;   in Loop: Header=BB57_22 Depth=1
	s_or_b32 exec_lo, exec_lo, s10
	v_add_nc_u32_e32 v1, s1, v1
	v_add_nc_u32_e32 v4, 0x100, v4
	s_add_i32 s9, s9, -1
	s_cmp_lg_u32 s9, 0
	s_cbranch_scc0 .LBB57_25
.LBB57_22:                              ; =>This Inner Loop Header: Depth=1
	s_mov_b32 s10, exec_lo
	v_cmpx_gt_u32_e64 s7, v4
	s_cbranch_execz .LBB57_21
; %bb.23:                               ;   in Loop: Header=BB57_22 Depth=1
	v_lshlrev_b64 v[6:7], 1, v[1:2]
	v_add_co_u32 v6, s0, s5, v6
	v_add_co_ci_u32_e64 v7, null, s6, v7, s0
	global_load_sshort v6, v[6:7], off
	s_waitcnt vmcnt(0)
	v_add_nc_u32_e32 v6, 0x8000, v6
	v_xor_b32_e32 v7, s4, v6
	v_and_b32_e32 v7, s11, v7
	v_cmp_eq_u32_e64 s0, 0, v7
	s_and_b32 exec_lo, exec_lo, s0
	s_cbranch_execz .LBB57_21
; %bb.24:                               ;   in Loop: Header=BB57_22 Depth=1
	v_bfe_u32 v6, v6, s8, 8
	v_lshlrev_b32_e32 v6, 2, v6
	ds_add_u32 v6, v5
	s_branch .LBB57_21
.LBB57_25:
	s_inst_prefetch 0x2
	s_waitcnt lgkmcnt(0)
	s_barrier
	buffer_gl0_inv
	s_and_saveexec_b32 s0, vcc_lo
	s_cbranch_execz .LBB57_27
; %bb.26:
	ds_read_b32 v2, v3
	v_lshl_or_b32 v0, s16, 8, v0
	v_mov_b32_e32 v1, 0
	v_lshlrev_b64 v[0:1], 1, v[0:1]
	v_add_co_u32 v0, vcc_lo, s2, v0
	v_add_co_ci_u32_e64 v1, null, s3, v1, vcc_lo
	s_waitcnt lgkmcnt(0)
	global_store_short v[0:1], v2, off
.LBB57_27:
	s_endpgm
	.section	.rodata,"a",@progbits
	.p2align	6, 0x0
	.amdhsa_kernel _ZN2at6native6mbtopk23computeBlockDigitCountsIsjjLi2EEEvNS_4cuda6detail10TensorInfoIKT_T0_EEjPjjS8_iijT1_PSB_Ps
		.amdhsa_group_segment_fixed_size 1024
		.amdhsa_private_segment_fixed_size 0
		.amdhsa_kernarg_size 528
		.amdhsa_user_sgpr_count 6
		.amdhsa_user_sgpr_private_segment_buffer 1
		.amdhsa_user_sgpr_dispatch_ptr 0
		.amdhsa_user_sgpr_queue_ptr 0
		.amdhsa_user_sgpr_kernarg_segment_ptr 1
		.amdhsa_user_sgpr_dispatch_id 0
		.amdhsa_user_sgpr_flat_scratch_init 0
		.amdhsa_user_sgpr_private_segment_size 0
		.amdhsa_wavefront_size32 1
		.amdhsa_uses_dynamic_stack 0
		.amdhsa_system_sgpr_private_segment_wavefront_offset 0
		.amdhsa_system_sgpr_workgroup_id_x 1
		.amdhsa_system_sgpr_workgroup_id_y 1
		.amdhsa_system_sgpr_workgroup_id_z 1
		.amdhsa_system_sgpr_workgroup_info 0
		.amdhsa_system_vgpr_workitem_id 0
		.amdhsa_next_free_vgpr 12
		.amdhsa_next_free_sgpr 23
		.amdhsa_reserve_vcc 1
		.amdhsa_reserve_flat_scratch 0
		.amdhsa_float_round_mode_32 0
		.amdhsa_float_round_mode_16_64 0
		.amdhsa_float_denorm_mode_32 3
		.amdhsa_float_denorm_mode_16_64 3
		.amdhsa_dx10_clamp 1
		.amdhsa_ieee_mode 1
		.amdhsa_fp16_overflow 0
		.amdhsa_workgroup_processor_mode 1
		.amdhsa_memory_ordered 1
		.amdhsa_forward_progress 1
		.amdhsa_shared_vgpr_count 0
		.amdhsa_exception_fp_ieee_invalid_op 0
		.amdhsa_exception_fp_denorm_src 0
		.amdhsa_exception_fp_ieee_div_zero 0
		.amdhsa_exception_fp_ieee_overflow 0
		.amdhsa_exception_fp_ieee_underflow 0
		.amdhsa_exception_fp_ieee_inexact 0
		.amdhsa_exception_int_div_zero 0
	.end_amdhsa_kernel
	.section	.text._ZN2at6native6mbtopk23computeBlockDigitCountsIsjjLi2EEEvNS_4cuda6detail10TensorInfoIKT_T0_EEjPjjS8_iijT1_PSB_Ps,"axG",@progbits,_ZN2at6native6mbtopk23computeBlockDigitCountsIsjjLi2EEEvNS_4cuda6detail10TensorInfoIKT_T0_EEjPjjS8_iijT1_PSB_Ps,comdat
.Lfunc_end57:
	.size	_ZN2at6native6mbtopk23computeBlockDigitCountsIsjjLi2EEEvNS_4cuda6detail10TensorInfoIKT_T0_EEjPjjS8_iijT1_PSB_Ps, .Lfunc_end57-_ZN2at6native6mbtopk23computeBlockDigitCountsIsjjLi2EEEvNS_4cuda6detail10TensorInfoIKT_T0_EEjPjjS8_iijT1_PSB_Ps
                                        ; -- End function
	.set _ZN2at6native6mbtopk23computeBlockDigitCountsIsjjLi2EEEvNS_4cuda6detail10TensorInfoIKT_T0_EEjPjjS8_iijT1_PSB_Ps.num_vgpr, 12
	.set _ZN2at6native6mbtopk23computeBlockDigitCountsIsjjLi2EEEvNS_4cuda6detail10TensorInfoIKT_T0_EEjPjjS8_iijT1_PSB_Ps.num_agpr, 0
	.set _ZN2at6native6mbtopk23computeBlockDigitCountsIsjjLi2EEEvNS_4cuda6detail10TensorInfoIKT_T0_EEjPjjS8_iijT1_PSB_Ps.numbered_sgpr, 23
	.set _ZN2at6native6mbtopk23computeBlockDigitCountsIsjjLi2EEEvNS_4cuda6detail10TensorInfoIKT_T0_EEjPjjS8_iijT1_PSB_Ps.num_named_barrier, 0
	.set _ZN2at6native6mbtopk23computeBlockDigitCountsIsjjLi2EEEvNS_4cuda6detail10TensorInfoIKT_T0_EEjPjjS8_iijT1_PSB_Ps.private_seg_size, 0
	.set _ZN2at6native6mbtopk23computeBlockDigitCountsIsjjLi2EEEvNS_4cuda6detail10TensorInfoIKT_T0_EEjPjjS8_iijT1_PSB_Ps.uses_vcc, 1
	.set _ZN2at6native6mbtopk23computeBlockDigitCountsIsjjLi2EEEvNS_4cuda6detail10TensorInfoIKT_T0_EEjPjjS8_iijT1_PSB_Ps.uses_flat_scratch, 0
	.set _ZN2at6native6mbtopk23computeBlockDigitCountsIsjjLi2EEEvNS_4cuda6detail10TensorInfoIKT_T0_EEjPjjS8_iijT1_PSB_Ps.has_dyn_sized_stack, 0
	.set _ZN2at6native6mbtopk23computeBlockDigitCountsIsjjLi2EEEvNS_4cuda6detail10TensorInfoIKT_T0_EEjPjjS8_iijT1_PSB_Ps.has_recursion, 0
	.set _ZN2at6native6mbtopk23computeBlockDigitCountsIsjjLi2EEEvNS_4cuda6detail10TensorInfoIKT_T0_EEjPjjS8_iijT1_PSB_Ps.has_indirect_call, 0
	.section	.AMDGPU.csdata,"",@progbits
; Kernel info:
; codeLenInByte = 1312
; TotalNumSgprs: 25
; NumVgprs: 12
; ScratchSize: 0
; MemoryBound: 0
; FloatMode: 240
; IeeeMode: 1
; LDSByteSize: 1024 bytes/workgroup (compile time only)
; SGPRBlocks: 0
; VGPRBlocks: 1
; NumSGPRsForWavesPerEU: 25
; NumVGPRsForWavesPerEU: 12
; Occupancy: 16
; WaveLimiterHint : 1
; COMPUTE_PGM_RSRC2:SCRATCH_EN: 0
; COMPUTE_PGM_RSRC2:USER_SGPR: 6
; COMPUTE_PGM_RSRC2:TRAP_HANDLER: 0
; COMPUTE_PGM_RSRC2:TGID_X_EN: 1
; COMPUTE_PGM_RSRC2:TGID_Y_EN: 1
; COMPUTE_PGM_RSRC2:TGID_Z_EN: 1
; COMPUTE_PGM_RSRC2:TIDIG_COMP_CNT: 0
	.section	.text._ZN2at6native6mbtopk10gatherTopKIsjLi2EEEvNS_4cuda6detail10TensorInfoIKT_T0_EES8_S8_bjS8_NS5_IS6_S8_EES8_NS5_IlS8_EES8_jjPS6_PjSD_j,"axG",@progbits,_ZN2at6native6mbtopk10gatherTopKIsjLi2EEEvNS_4cuda6detail10TensorInfoIKT_T0_EES8_S8_bjS8_NS5_IS6_S8_EES8_NS5_IlS8_EES8_jjPS6_PjSD_j,comdat
	.protected	_ZN2at6native6mbtopk10gatherTopKIsjLi2EEEvNS_4cuda6detail10TensorInfoIKT_T0_EES8_S8_bjS8_NS5_IS6_S8_EES8_NS5_IlS8_EES8_jjPS6_PjSD_j ; -- Begin function _ZN2at6native6mbtopk10gatherTopKIsjLi2EEEvNS_4cuda6detail10TensorInfoIKT_T0_EES8_S8_bjS8_NS5_IS6_S8_EES8_NS5_IlS8_EES8_jjPS6_PjSD_j
	.globl	_ZN2at6native6mbtopk10gatherTopKIsjLi2EEEvNS_4cuda6detail10TensorInfoIKT_T0_EES8_S8_bjS8_NS5_IS6_S8_EES8_NS5_IlS8_EES8_jjPS6_PjSD_j
	.p2align	8
	.type	_ZN2at6native6mbtopk10gatherTopKIsjLi2EEEvNS_4cuda6detail10TensorInfoIKT_T0_EES8_S8_bjS8_NS5_IS6_S8_EES8_NS5_IlS8_EES8_jjPS6_PjSD_j,@function
_ZN2at6native6mbtopk10gatherTopKIsjLi2EEEvNS_4cuda6detail10TensorInfoIKT_T0_EES8_S8_bjS8_NS5_IS6_S8_EES8_NS5_IlS8_EES8_jjPS6_PjSD_j: ; @_ZN2at6native6mbtopk10gatherTopKIsjLi2EEEvNS_4cuda6detail10TensorInfoIKT_T0_EES8_S8_bjS8_NS5_IS6_S8_EES8_NS5_IlS8_EES8_jjPS6_PjSD_j
; %bb.0:
	s_clause 0x1
	s_load_dwordx2 s[0:1], s[4:5], 0x2d8
	s_load_dword s2, s[4:5], 0x2d0
	s_waitcnt lgkmcnt(0)
	s_mul_i32 s1, s1, s8
	s_add_i32 s1, s1, s7
	s_mul_i32 s0, s1, s0
	s_add_i32 s0, s0, s6
	s_cmp_ge_u32 s0, s2
	s_cbranch_scc1 .LBB58_40
; %bb.1:
	s_clause 0x3
	s_load_dwordx8 s[8:15], s[4:5], 0x2a8
	s_load_dword s37, s[4:5], 0xc
	s_load_dword s36, s[4:5], 0xfc
	;; [unrolled: 1-line block ×3, first 2 shown]
	s_mov_b32 s7, 0
	s_load_dwordx2 s[2:3], s[4:5], 0x1d0
	s_waitcnt lgkmcnt(0)
	v_cvt_f32_u32_e32 v1, s10
	v_cvt_f32_u32_e32 v2, s37
	;; [unrolled: 1-line block ×4, first 2 shown]
	s_sub_i32 s6, 0, s10
	v_rcp_iflag_f32_e32 v1, v1
	v_rcp_iflag_f32_e32 v2, v2
	;; [unrolled: 1-line block ×4, first 2 shown]
	v_mul_f32_e32 v1, 0x4f7ffffe, v1
	v_mul_f32_e32 v2, 0x4f7ffffe, v2
	;; [unrolled: 1-line block ×4, first 2 shown]
	v_cvt_u32_f32_e32 v1, v1
	v_cvt_u32_f32_e32 v2, v2
	;; [unrolled: 1-line block ×4, first 2 shown]
	v_readfirstlane_b32 s1, v1
	v_readfirstlane_b32 s17, v2
	;; [unrolled: 1-line block ×4, first 2 shown]
	v_mov_b32_e32 v1, 0
	s_mul_i32 s6, s6, s1
	s_mul_hi_u32 s6, s1, s6
	s_add_i32 s1, s1, s6
	s_mul_hi_u32 s1, s0, s1
	s_mul_i32 s6, s1, s10
	s_add_i32 s11, s1, 1
	s_sub_i32 s6, s0, s6
	s_sub_i32 s16, s6, s10
	s_cmp_ge_u32 s6, s10
	s_cselect_b32 s1, s11, s1
	s_cselect_b32 s6, s16, s6
	s_add_i32 s11, s1, 1
	s_cmp_ge_u32 s6, s10
	s_cselect_b32 s6, s11, s1
	s_sub_i32 s1, 0, s37
	s_sub_i32 s11, 0, s36
	;; [unrolled: 1-line block ×3, first 2 shown]
	s_mul_i32 s16, s6, s10
	s_mul_i32 s1, s1, s17
	;; [unrolled: 1-line block ×4, first 2 shown]
	s_sub_i32 s11, s0, s16
	s_mul_hi_u32 s0, s17, s1
	s_mul_hi_u32 s1, s20, s22
	s_mul_hi_u32 s22, s21, s23
	s_lshl_b64 s[18:19], s[6:7], 1
	s_add_i32 s17, s17, s0
	s_add_i32 s30, s20, s1
	;; [unrolled: 1-line block ×3, first 2 shown]
	s_add_u32 s0, s12, s18
	s_addc_u32 s1, s13, s19
	s_mul_hi_u32 s40, s6, s17
	global_load_ushort v6, v1, s[0:1]
	s_clause 0x4
	s_load_dwordx2 s[26:27], s[4:5], 0x15c
	s_load_dwordx2 s[20:21], s[4:5], 0xf0
	;; [unrolled: 1-line block ×5, first 2 shown]
	v_cmp_ne_u32_e64 s0, 0, v0
	v_cmp_eq_u32_e64 s1, 0, v0
	s_mul_hi_u32 s39, s6, s30
	s_mul_hi_u32 s38, s6, s31
	s_and_saveexec_b32 s41, s1
	s_cbranch_execz .LBB58_17
; %bb.2:
	s_load_dwordx2 s[12:13], s[4:5], 0x2c8
	s_mov_b32 s17, s7
	s_lshl_b64 s[30:31], s[16:17], 2
	s_add_u32 s16, s14, s30
	s_addc_u32 s17, s15, s31
	s_waitcnt lgkmcnt(0)
	s_add_u32 s18, s12, s30
	s_addc_u32 s19, s13, s31
	s_cmp_lt_u32 s10, 4
	s_cbranch_scc1 .LBB58_14
; %bb.3:
	s_mov_b32 s42, s7
	s_mov_b32 s43, s7
	;; [unrolled: 1-line block ×3, first 2 shown]
.LBB58_4:                               ; =>This Inner Loop Header: Depth=1
	s_add_u32 s16, s14, s30
	s_addc_u32 s17, s15, s31
	s_add_u32 s34, s12, s30
	s_load_dwordx4 s[16:19], s[16:17], 0x0
	s_addc_u32 s35, s13, s31
	s_cmp_ge_u32 s44, s11
	s_cbranch_scc0 .LBB58_11
; %bb.5:                                ;   in Loop: Header=BB58_4 Depth=1
	s_add_i32 s45, s44, 1
	s_cmp_ge_u32 s45, s11
	s_cbranch_scc0 .LBB58_12
.LBB58_6:                               ;   in Loop: Header=BB58_4 Depth=1
	s_add_i32 s45, s45, 1
	s_cmp_ge_u32 s45, s11
	s_cbranch_scc0 .LBB58_13
.LBB58_7:                               ;   in Loop: Header=BB58_4 Depth=1
	s_add_i32 s45, s45, 1
	s_cmp_ge_u32 s45, s11
	s_cbranch_scc1 .LBB58_9
.LBB58_8:                               ;   in Loop: Header=BB58_4 Depth=1
	s_load_dword s34, s[34:35], 0xc
	s_waitcnt lgkmcnt(0)
	s_add_i32 s7, s7, s19
	s_add_i32 s42, s34, s42
.LBB58_9:                               ;   in Loop: Header=BB58_4 Depth=1
	s_waitcnt lgkmcnt(0)
	s_add_i32 s16, s16, s43
	s_add_i32 s16, s16, s17
	;; [unrolled: 1-line block ×4, first 2 shown]
	s_add_u32 s14, s14, 16
	s_addc_u32 s15, s15, 0
	s_add_u32 s12, s12, 16
	s_addc_u32 s13, s13, 0
	s_add_i32 s35, s45, 4
	s_add_u32 s18, s12, s30
	s_addc_u32 s19, s13, s31
	s_add_u32 s16, s14, s30
	s_addc_u32 s17, s15, s31
	s_add_i32 s34, s45, 1
	s_cmp_ge_u32 s35, s10
	s_cbranch_scc1 .LBB58_15
; %bb.10:                               ;   in Loop: Header=BB58_4 Depth=1
	s_mov_b32 s44, s34
	s_branch .LBB58_4
.LBB58_11:                              ;   in Loop: Header=BB58_4 Depth=1
	s_load_dword s45, s[34:35], 0x0
	s_waitcnt lgkmcnt(0)
	s_add_i32 s7, s16, s7
	s_add_i32 s42, s45, s42
	;; [unrolled: 1-line block ×3, first 2 shown]
	s_cmp_ge_u32 s45, s11
	s_cbranch_scc1 .LBB58_6
.LBB58_12:                              ;   in Loop: Header=BB58_4 Depth=1
	s_load_dword s46, s[34:35], 0x4
	s_waitcnt lgkmcnt(0)
	s_add_i32 s7, s7, s17
	s_add_i32 s42, s46, s42
	;; [unrolled: 1-line block ×3, first 2 shown]
	s_cmp_ge_u32 s45, s11
	s_cbranch_scc1 .LBB58_7
.LBB58_13:                              ;   in Loop: Header=BB58_4 Depth=1
	s_load_dword s46, s[34:35], 0x8
	s_waitcnt lgkmcnt(0)
	s_add_i32 s7, s7, s18
	s_add_i32 s42, s46, s42
	;; [unrolled: 1-line block ×3, first 2 shown]
	s_cmp_ge_u32 s45, s11
	s_cbranch_scc0 .LBB58_8
	s_branch .LBB58_9
.LBB58_14:
	s_mov_b32 s42, 0
	s_mov_b32 s43, 0
	;; [unrolled: 1-line block ×3, first 2 shown]
	s_cmp_ge_u32 s12, s10
	s_cbranch_scc0 .LBB58_38
	s_branch .LBB58_16
.LBB58_15:
	s_add_i32 s12, s44, 4
	s_cmp_ge_u32 s12, s10
	s_cbranch_scc0 .LBB58_38
.LBB58_16:
	v_mov_b32_e32 v1, s42
	v_mov_b32_e32 v2, s43
	;; [unrolled: 1-line block ×4, first 2 shown]
	ds_write_b96 v4, v[1:3] offset:1056
.LBB58_17:
	s_or_b32 exec_lo, exec_lo, s41
	s_load_dwordx4 s[12:15], s[4:5], 0xd8
	s_mul_i32 s7, s9, s11
	s_add_i32 s11, s11, 1
	s_lshl_b32 s17, s7, 8
	s_waitcnt vmcnt(0) lgkmcnt(0)
	s_barrier
	buffer_gl0_inv
	s_sub_i32 s7, s12, s17
	s_add_u32 s18, s7, 0xff
	s_addc_u32 s19, 0, 0
	s_lshr_b64 s[18:19], s[18:19], 8
	s_cmp_lt_u32 s11, s10
	s_mov_b32 s11, 0
	s_cselect_b32 s7, s9, s18
	s_cmp_eq_u32 s7, 0
	s_cbranch_scc1 .LBB58_40
; %bb.18:
	s_mul_i32 s9, s40, s37
	s_add_i32 s10, s40, 1
	s_sub_i32 s9, s6, s9
	v_mov_b32_e32 v5, 0
	s_sub_i32 s15, s9, s37
	s_cmp_ge_u32 s9, s37
	s_mov_b32 s19, s11
	s_cselect_b32 s10, s10, s40
	s_cselect_b32 s9, s15, s9
	s_add_i32 s15, s10, 1
	s_cmp_ge_u32 s9, s37
	s_mul_i32 s9, s39, s36
	s_cselect_b32 s10, s15, s10
	s_sub_i32 s9, s6, s9
	s_mul_i32 s15, s10, s37
	s_mul_i32 s10, s10, s28
	s_sub_i32 s15, s6, s15
	s_add_i32 s16, s39, 1
	s_mul_i32 s15, s15, s29
	s_sub_i32 s18, s9, s36
	s_add_i32 s10, s10, s15
	s_cmp_ge_u32 s9, s36
	s_mul_i32 s15, s38, s33
	s_cselect_b32 s16, s16, s39
	s_cselect_b32 s9, s18, s9
	s_add_i32 s18, s16, 1
	s_cmp_ge_u32 s9, s36
	ds_read_b96 v[1:3], v5 offset:1056
	s_cselect_b32 s9, s18, s16
	s_sub_i32 s15, s6, s15
	s_mul_i32 s16, s9, s36
	s_mul_i32 s9, s9, s26
	s_sub_i32 s16, s6, s16
	s_add_i32 s28, s38, 1
	s_mul_i32 s16, s16, s27
	s_sub_i32 s26, s15, s33
	s_add_i32 s18, s9, s16
	s_cmp_ge_u32 s15, s33
	s_mov_b32 s27, s11
	s_cselect_b32 s9, s28, s38
	s_cselect_b32 s15, s26, s15
	s_add_i32 s16, s9, 1
	s_cmp_ge_u32 s15, s33
	v_lshrrev_b32_e32 v4, 3, v0
	s_cselect_b32 s9, s16, s9
	s_lshl_b64 s[10:11], s[10:11], 1
	s_mul_i32 s15, s9, s33
	s_mul_i32 s9, s9, s24
	s_sub_i32 s6, s6, s15
	v_add_nc_u32_e32 v12, -1, v0
	s_mul_i32 s6, s6, s25
	v_and_b32_e32 v4, 28, v4
	s_add_i32 s26, s9, s6
	s_add_u32 s6, s22, s10
	s_clause 0x1
	s_load_dword s22, s[4:5], 0xe8
	s_load_dword s4, s[4:5], 0x1c8
	v_lshrrev_b32_e32 v11, 3, v12
	s_addc_u32 s9, s23, s11
	s_lshl_b64 s[10:11], s[18:19], 1
	s_waitcnt lgkmcnt(0)
	v_add_nc_u32_e32 v9, v1, v2
	v_lshl_add_u32 v10, v0, 2, v4
	v_and_b32_e32 v4, 0x1ffffffc, v11
	v_add_nc_u32_e32 v1, s17, v0
	s_add_u32 s10, s20, s10
	v_mov_b32_e32 v7, 0x8000
	s_addc_u32 s11, s21, s11
	s_lshl_b64 s[18:19], s[26:27], 3
	v_and_b32_e32 v2, 0xfc, v0
	v_lshlrev_b32_e32 v13, 5, v0
	v_mbcnt_lo_u32_b32 v11, -1, 0
	s_add_u32 s15, s2, s18
	v_cmp_gt_u32_e64 s2, 32, v0
	v_lshl_add_u32 v0, v12, 2, v4
	s_addc_u32 s16, s3, s19
	v_mul_lo_u32 v4, s22, v1
	v_add_nc_u32_sdwa v8, sext(v6), v7 dst_sel:DWORD dst_unused:UNUSED_PAD src0_sel:WORD_0 src1_sel:DWORD
	v_add_nc_u32_e32 v12, v2, v13
	v_and_b32_e32 v13, 15, v11
	v_bfe_i32 v14, v11, 4, 1
	v_add_nc_u32_e32 v15, -1, v11
	s_bitcmp1_b32 s14, 0
                                        ; implicit-def: $vgpr16
	s_cselect_b32 s3, -1, 0
	s_lshl_b32 s5, s22, 8
	s_branch .LBB58_21
.LBB58_19:                              ;   in Loop: Header=BB58_21 Depth=1
	s_or_b32 exec_lo, exec_lo, s14
	v_add_nc_u32_e32 v9, v19, v9
.LBB58_20:                              ;   in Loop: Header=BB58_21 Depth=1
	v_add_nc_u32_e32 v3, v18, v3
	v_add_nc_u32_e32 v4, s5, v4
	;; [unrolled: 1-line block ×3, first 2 shown]
	s_add_i32 s7, s7, -1
	s_cmp_lg_u32 s7, 0
	s_cbranch_scc0 .LBB58_40
.LBB58_21:                              ; =>This Inner Loop Header: Depth=1
	v_mov_b32_e32 v2, 0
	v_mov_b32_e32 v17, 0
	s_mov_b32 s14, exec_lo
	v_cmpx_gt_u32_e64 s12, v1
	s_cbranch_execz .LBB58_23
; %bb.22:                               ;   in Loop: Header=BB58_21 Depth=1
	v_lshlrev_b64 v[16:17], 1, v[4:5]
	v_add_co_u32 v16, vcc_lo, s6, v16
	v_add_co_ci_u32_e64 v17, null, s9, v17, vcc_lo
	global_load_ushort v16, v[16:17], off
	s_waitcnt vmcnt(0)
	v_add_nc_u32_sdwa v2, sext(v16), v7 dst_sel:DWORD dst_unused:UNUSED_PAD src0_sel:WORD_0 src1_sel:DWORD
	v_cmp_gt_u32_e32 vcc_lo, v2, v8
	v_cndmask_b32_e64 v17, 0, 1, vcc_lo
	v_cmp_lt_u32_e32 vcc_lo, v2, v8
	v_cndmask_b32_e64 v2, 0, 1, vcc_lo
	v_cmp_eq_u16_e32 vcc_lo, v16, v6
	v_cndmask_b32_e64 v2, v2, v17, s3
	v_cndmask_b32_e64 v17, 0, 1, vcc_lo
	v_and_b32_e32 v2, 1, v2
.LBB58_23:                              ;   in Loop: Header=BB58_21 Depth=1
	s_or_b32 exec_lo, exec_lo, s14
	ds_write_b32 v10, v2
	s_waitcnt lgkmcnt(0)
	s_barrier
	buffer_gl0_inv
	s_and_saveexec_b32 s14, s2
	s_cbranch_execz .LBB58_25
; %bb.24:                               ;   in Loop: Header=BB58_21 Depth=1
	ds_read2_b32 v[18:19], v12 offset1:1
	ds_read2_b32 v[20:21], v12 offset0:2 offset1:3
	ds_read2_b32 v[22:23], v12 offset0:4 offset1:5
	;; [unrolled: 1-line block ×3, first 2 shown]
	v_cmp_ne_u32_e32 vcc_lo, 0, v13
	; wave barrier
	s_waitcnt lgkmcnt(3)
	v_add_nc_u32_e32 v19, v19, v18
	s_waitcnt lgkmcnt(2)
	v_add3_u32 v19, v19, v20, v21
	s_waitcnt lgkmcnt(1)
	v_add3_u32 v19, v19, v22, v23
	s_waitcnt lgkmcnt(0)
	v_add3_u32 v19, v19, v24, v25
	v_mov_b32_dpp v20, v19 row_shr:1 row_mask:0xf bank_mask:0xf
	v_cndmask_b32_e32 v20, 0, v20, vcc_lo
	v_cmp_lt_u32_e32 vcc_lo, 1, v13
	v_add_nc_u32_e32 v19, v20, v19
	v_mov_b32_dpp v20, v19 row_shr:2 row_mask:0xf bank_mask:0xf
	v_cndmask_b32_e32 v20, 0, v20, vcc_lo
	v_cmp_lt_u32_e32 vcc_lo, 3, v13
	v_add_nc_u32_e32 v19, v19, v20
	;; [unrolled: 4-line block ×3, first 2 shown]
	v_mov_b32_dpp v20, v19 row_shr:8 row_mask:0xf bank_mask:0xf
	v_cndmask_b32_e32 v20, 0, v20, vcc_lo
	v_cmp_gt_i32_e32 vcc_lo, 0, v15
	v_add_nc_u32_e32 v19, v19, v20
	v_cndmask_b32_e32 v21, v15, v11, vcc_lo
	ds_swizzle_b32 v20, v19 offset:swizzle(BROADCAST,32,15)
	v_lshlrev_b32_e32 v21, 2, v21
	s_waitcnt lgkmcnt(0)
	v_and_b32_e32 v20, v14, v20
	v_add_nc_u32_e32 v19, v19, v20
	ds_bpermute_b32 v19, v21, v19
	s_waitcnt lgkmcnt(0)
	v_add_nc_u32_e32 v18, v19, v18
	v_cndmask_b32_e64 v24, v18, v2, s1
	ds_write_b32 v12, v24
	; wave barrier
	ds_read2_b32 v[18:19], v12 offset0:1 offset1:2
	ds_read2_b32 v[20:21], v12 offset0:3 offset1:4
	;; [unrolled: 1-line block ×3, first 2 shown]
	ds_read_b32 v25, v12 offset:28
	s_waitcnt lgkmcnt(3)
	v_add_nc_u32_e32 v18, v18, v24
	v_add_nc_u32_e32 v19, v19, v18
	s_waitcnt lgkmcnt(2)
	v_add_nc_u32_e32 v20, v20, v19
	v_add_nc_u32_e32 v21, v21, v20
	;; [unrolled: 3-line block ×3, first 2 shown]
	s_waitcnt lgkmcnt(0)
	v_add_nc_u32_e32 v24, v25, v23
	ds_write2_b32 v12, v18, v19 offset0:1 offset1:2
	ds_write2_b32 v12, v20, v21 offset0:3 offset1:4
	;; [unrolled: 1-line block ×3, first 2 shown]
	ds_write_b32 v12, v24 offset:28
.LBB58_25:                              ;   in Loop: Header=BB58_21 Depth=1
	s_or_b32 exec_lo, exec_lo, s14
	v_mov_b32_e32 v19, 0
	s_waitcnt lgkmcnt(0)
	s_barrier
	buffer_gl0_inv
	s_and_saveexec_b32 s14, s0
; %bb.26:                               ;   in Loop: Header=BB58_21 Depth=1
	ds_read_b32 v19, v0
; %bb.27:                               ;   in Loop: Header=BB58_21 Depth=1
	s_or_b32 exec_lo, exec_lo, s14
	ds_read_b32 v18, v5 offset:1048
	s_mov_b32 s14, exec_lo
	s_waitcnt lgkmcnt(0)
	s_barrier
	buffer_gl0_inv
	v_cmpx_ne_u32_e32 0, v2
	s_cbranch_execz .LBB58_29
; %bb.28:                               ;   in Loop: Header=BB58_21 Depth=1
	v_add_nc_u32_e32 v2, v19, v3
	v_mov_b32_e32 v20, v5
	v_mov_b32_e32 v22, v5
	v_mul_lo_u32 v19, v2, s4
	v_mul_lo_u32 v21, v2, s8
	v_mov_b32_e32 v2, v5
	v_lshlrev_b64 v[19:20], 1, v[19:20]
	v_lshlrev_b64 v[21:22], 3, v[21:22]
	v_add_co_u32 v19, vcc_lo, s10, v19
	v_add_co_ci_u32_e64 v20, null, s11, v20, vcc_lo
	v_add_co_u32 v21, vcc_lo, s15, v21
	v_add_co_ci_u32_e64 v22, null, s16, v22, vcc_lo
	global_store_short v[19:20], v16, off
	global_store_dwordx2 v[21:22], v[1:2], off
.LBB58_29:                              ;   in Loop: Header=BB58_21 Depth=1
	s_or_b32 exec_lo, exec_lo, s14
	v_cmp_le_u32_e32 vcc_lo, s13, v9
	s_cbranch_vccnz .LBB58_20
; %bb.30:                               ;   in Loop: Header=BB58_21 Depth=1
	ds_write_b32 v10, v17
	s_waitcnt lgkmcnt(0)
	s_waitcnt_vscnt null, 0x0
	s_barrier
	buffer_gl0_inv
	s_and_saveexec_b32 s14, s2
	s_cbranch_execz .LBB58_32
; %bb.31:                               ;   in Loop: Header=BB58_21 Depth=1
	ds_read2_b32 v[19:20], v12 offset1:1
	ds_read2_b32 v[21:22], v12 offset0:2 offset1:3
	ds_read2_b32 v[23:24], v12 offset0:4 offset1:5
	;; [unrolled: 1-line block ×3, first 2 shown]
	v_cmp_ne_u32_e32 vcc_lo, 0, v13
	; wave barrier
	s_waitcnt lgkmcnt(3)
	v_add_nc_u32_e32 v2, v20, v19
	s_waitcnt lgkmcnt(2)
	v_add3_u32 v2, v2, v21, v22
	s_waitcnt lgkmcnt(1)
	v_add3_u32 v2, v2, v23, v24
	s_waitcnt lgkmcnt(0)
	v_add3_u32 v2, v2, v25, v26
	v_mov_b32_dpp v20, v2 row_shr:1 row_mask:0xf bank_mask:0xf
	v_cndmask_b32_e32 v20, 0, v20, vcc_lo
	v_cmp_lt_u32_e32 vcc_lo, 1, v13
	v_add_nc_u32_e32 v2, v20, v2
	v_mov_b32_dpp v20, v2 row_shr:2 row_mask:0xf bank_mask:0xf
	v_cndmask_b32_e32 v20, 0, v20, vcc_lo
	v_cmp_lt_u32_e32 vcc_lo, 3, v13
	v_add_nc_u32_e32 v2, v2, v20
	;; [unrolled: 4-line block ×3, first 2 shown]
	v_mov_b32_dpp v20, v2 row_shr:8 row_mask:0xf bank_mask:0xf
	v_cndmask_b32_e32 v20, 0, v20, vcc_lo
	v_cmp_gt_i32_e32 vcc_lo, 0, v15
	v_add_nc_u32_e32 v2, v2, v20
	v_cndmask_b32_e32 v21, v15, v11, vcc_lo
	ds_swizzle_b32 v20, v2 offset:swizzle(BROADCAST,32,15)
	v_lshlrev_b32_e32 v21, 2, v21
	s_waitcnt lgkmcnt(0)
	v_and_b32_e32 v20, v14, v20
	v_add_nc_u32_e32 v2, v2, v20
	ds_bpermute_b32 v2, v21, v2
	s_waitcnt lgkmcnt(0)
	v_add_nc_u32_e32 v2, v2, v19
	v_cndmask_b32_e64 v2, v2, v17, s1
	ds_write_b32 v12, v2
	; wave barrier
	ds_read2_b32 v[19:20], v12 offset0:1 offset1:2
	ds_read2_b32 v[21:22], v12 offset0:3 offset1:4
	;; [unrolled: 1-line block ×3, first 2 shown]
	ds_read_b32 v25, v12 offset:28
	s_waitcnt lgkmcnt(3)
	v_add_nc_u32_e32 v2, v19, v2
	v_add_nc_u32_e32 v19, v20, v2
	s_waitcnt lgkmcnt(2)
	v_add_nc_u32_e32 v20, v21, v19
	v_add_nc_u32_e32 v21, v22, v20
	;; [unrolled: 3-line block ×3, first 2 shown]
	s_waitcnt lgkmcnt(0)
	v_add_nc_u32_e32 v24, v25, v23
	ds_write2_b32 v12, v2, v19 offset0:1 offset1:2
	ds_write2_b32 v12, v20, v21 offset0:3 offset1:4
	;; [unrolled: 1-line block ×3, first 2 shown]
	ds_write_b32 v12, v24 offset:28
.LBB58_32:                              ;   in Loop: Header=BB58_21 Depth=1
	s_or_b32 exec_lo, exec_lo, s14
	v_mov_b32_e32 v2, 0
	s_waitcnt lgkmcnt(0)
	s_barrier
	buffer_gl0_inv
	s_and_saveexec_b32 s14, s0
; %bb.33:                               ;   in Loop: Header=BB58_21 Depth=1
	ds_read_b32 v2, v0
; %bb.34:                               ;   in Loop: Header=BB58_21 Depth=1
	s_or_b32 exec_lo, exec_lo, s14
	ds_read_b32 v19, v5 offset:1048
	s_mov_b32 s14, exec_lo
	s_waitcnt lgkmcnt(0)
	s_barrier
	buffer_gl0_inv
	v_cmpx_ne_u32_e32 0, v17
	s_cbranch_execz .LBB58_19
; %bb.35:                               ;   in Loop: Header=BB58_21 Depth=1
	v_add_nc_u32_e32 v2, v2, v9
	v_cmp_gt_u32_e32 vcc_lo, s13, v2
	s_and_b32 exec_lo, exec_lo, vcc_lo
	s_cbranch_execz .LBB58_19
; %bb.36:                               ;   in Loop: Header=BB58_21 Depth=1
	v_mul_lo_u32 v20, v2, s4
	v_mul_lo_u32 v22, v2, s8
	v_mov_b32_e32 v21, v5
	v_mov_b32_e32 v23, v5
	;; [unrolled: 1-line block ×3, first 2 shown]
	v_lshlrev_b64 v[20:21], 1, v[20:21]
	v_lshlrev_b64 v[22:23], 3, v[22:23]
	v_add_co_u32 v20, vcc_lo, s10, v20
	v_add_co_ci_u32_e64 v21, null, s11, v21, vcc_lo
	v_add_co_u32 v22, vcc_lo, s15, v22
	v_add_co_ci_u32_e64 v23, null, s16, v23, vcc_lo
	global_store_short v[20:21], v16, off
	global_store_dwordx2 v[22:23], v[1:2], off
	s_branch .LBB58_19
	.p2align	6
.LBB58_37:                              ;   in Loop: Header=BB58_38 Depth=1
	s_add_u32 s16, s16, 4
	s_addc_u32 s17, s17, 0
	s_waitcnt lgkmcnt(0)
	s_add_i32 s43, s13, s43
	s_add_u32 s18, s18, 4
	s_addc_u32 s19, s19, 0
	s_add_i32 s12, s12, 1
	s_cmp_lt_u32 s12, s10
	s_cbranch_scc0 .LBB58_16
.LBB58_38:                              ; =>This Inner Loop Header: Depth=1
	s_load_dword s13, s[16:17], 0x0
	s_cmp_ge_u32 s12, s11
	s_cbranch_scc1 .LBB58_37
; %bb.39:                               ;   in Loop: Header=BB58_38 Depth=1
	s_load_dword s14, s[18:19], 0x0
	s_waitcnt lgkmcnt(0)
	s_add_i32 s7, s13, s7
	s_add_i32 s42, s14, s42
	s_branch .LBB58_37
.LBB58_40:
	s_endpgm
	.section	.rodata,"a",@progbits
	.p2align	6, 0x0
	.amdhsa_kernel _ZN2at6native6mbtopk10gatherTopKIsjLi2EEEvNS_4cuda6detail10TensorInfoIKT_T0_EES8_S8_bjS8_NS5_IS6_S8_EES8_NS5_IlS8_EES8_jjPS6_PjSD_j
		.amdhsa_group_segment_fixed_size 1068
		.amdhsa_private_segment_fixed_size 0
		.amdhsa_kernarg_size 984
		.amdhsa_user_sgpr_count 6
		.amdhsa_user_sgpr_private_segment_buffer 1
		.amdhsa_user_sgpr_dispatch_ptr 0
		.amdhsa_user_sgpr_queue_ptr 0
		.amdhsa_user_sgpr_kernarg_segment_ptr 1
		.amdhsa_user_sgpr_dispatch_id 0
		.amdhsa_user_sgpr_flat_scratch_init 0
		.amdhsa_user_sgpr_private_segment_size 0
		.amdhsa_wavefront_size32 1
		.amdhsa_uses_dynamic_stack 0
		.amdhsa_system_sgpr_private_segment_wavefront_offset 0
		.amdhsa_system_sgpr_workgroup_id_x 1
		.amdhsa_system_sgpr_workgroup_id_y 1
		.amdhsa_system_sgpr_workgroup_id_z 1
		.amdhsa_system_sgpr_workgroup_info 0
		.amdhsa_system_vgpr_workitem_id 0
		.amdhsa_next_free_vgpr 27
		.amdhsa_next_free_sgpr 47
		.amdhsa_reserve_vcc 1
		.amdhsa_reserve_flat_scratch 0
		.amdhsa_float_round_mode_32 0
		.amdhsa_float_round_mode_16_64 0
		.amdhsa_float_denorm_mode_32 3
		.amdhsa_float_denorm_mode_16_64 3
		.amdhsa_dx10_clamp 1
		.amdhsa_ieee_mode 1
		.amdhsa_fp16_overflow 0
		.amdhsa_workgroup_processor_mode 1
		.amdhsa_memory_ordered 1
		.amdhsa_forward_progress 1
		.amdhsa_shared_vgpr_count 0
		.amdhsa_exception_fp_ieee_invalid_op 0
		.amdhsa_exception_fp_denorm_src 0
		.amdhsa_exception_fp_ieee_div_zero 0
		.amdhsa_exception_fp_ieee_overflow 0
		.amdhsa_exception_fp_ieee_underflow 0
		.amdhsa_exception_fp_ieee_inexact 0
		.amdhsa_exception_int_div_zero 0
	.end_amdhsa_kernel
	.section	.text._ZN2at6native6mbtopk10gatherTopKIsjLi2EEEvNS_4cuda6detail10TensorInfoIKT_T0_EES8_S8_bjS8_NS5_IS6_S8_EES8_NS5_IlS8_EES8_jjPS6_PjSD_j,"axG",@progbits,_ZN2at6native6mbtopk10gatherTopKIsjLi2EEEvNS_4cuda6detail10TensorInfoIKT_T0_EES8_S8_bjS8_NS5_IS6_S8_EES8_NS5_IlS8_EES8_jjPS6_PjSD_j,comdat
.Lfunc_end58:
	.size	_ZN2at6native6mbtopk10gatherTopKIsjLi2EEEvNS_4cuda6detail10TensorInfoIKT_T0_EES8_S8_bjS8_NS5_IS6_S8_EES8_NS5_IlS8_EES8_jjPS6_PjSD_j, .Lfunc_end58-_ZN2at6native6mbtopk10gatherTopKIsjLi2EEEvNS_4cuda6detail10TensorInfoIKT_T0_EES8_S8_bjS8_NS5_IS6_S8_EES8_NS5_IlS8_EES8_jjPS6_PjSD_j
                                        ; -- End function
	.set _ZN2at6native6mbtopk10gatherTopKIsjLi2EEEvNS_4cuda6detail10TensorInfoIKT_T0_EES8_S8_bjS8_NS5_IS6_S8_EES8_NS5_IlS8_EES8_jjPS6_PjSD_j.num_vgpr, 27
	.set _ZN2at6native6mbtopk10gatherTopKIsjLi2EEEvNS_4cuda6detail10TensorInfoIKT_T0_EES8_S8_bjS8_NS5_IS6_S8_EES8_NS5_IlS8_EES8_jjPS6_PjSD_j.num_agpr, 0
	.set _ZN2at6native6mbtopk10gatherTopKIsjLi2EEEvNS_4cuda6detail10TensorInfoIKT_T0_EES8_S8_bjS8_NS5_IS6_S8_EES8_NS5_IlS8_EES8_jjPS6_PjSD_j.numbered_sgpr, 47
	.set _ZN2at6native6mbtopk10gatherTopKIsjLi2EEEvNS_4cuda6detail10TensorInfoIKT_T0_EES8_S8_bjS8_NS5_IS6_S8_EES8_NS5_IlS8_EES8_jjPS6_PjSD_j.num_named_barrier, 0
	.set _ZN2at6native6mbtopk10gatherTopKIsjLi2EEEvNS_4cuda6detail10TensorInfoIKT_T0_EES8_S8_bjS8_NS5_IS6_S8_EES8_NS5_IlS8_EES8_jjPS6_PjSD_j.private_seg_size, 0
	.set _ZN2at6native6mbtopk10gatherTopKIsjLi2EEEvNS_4cuda6detail10TensorInfoIKT_T0_EES8_S8_bjS8_NS5_IS6_S8_EES8_NS5_IlS8_EES8_jjPS6_PjSD_j.uses_vcc, 1
	.set _ZN2at6native6mbtopk10gatherTopKIsjLi2EEEvNS_4cuda6detail10TensorInfoIKT_T0_EES8_S8_bjS8_NS5_IS6_S8_EES8_NS5_IlS8_EES8_jjPS6_PjSD_j.uses_flat_scratch, 0
	.set _ZN2at6native6mbtopk10gatherTopKIsjLi2EEEvNS_4cuda6detail10TensorInfoIKT_T0_EES8_S8_bjS8_NS5_IS6_S8_EES8_NS5_IlS8_EES8_jjPS6_PjSD_j.has_dyn_sized_stack, 0
	.set _ZN2at6native6mbtopk10gatherTopKIsjLi2EEEvNS_4cuda6detail10TensorInfoIKT_T0_EES8_S8_bjS8_NS5_IS6_S8_EES8_NS5_IlS8_EES8_jjPS6_PjSD_j.has_recursion, 0
	.set _ZN2at6native6mbtopk10gatherTopKIsjLi2EEEvNS_4cuda6detail10TensorInfoIKT_T0_EES8_S8_bjS8_NS5_IS6_S8_EES8_NS5_IlS8_EES8_jjPS6_PjSD_j.has_indirect_call, 0
	.section	.AMDGPU.csdata,"",@progbits
; Kernel info:
; codeLenInByte = 2640
; TotalNumSgprs: 49
; NumVgprs: 27
; ScratchSize: 0
; MemoryBound: 0
; FloatMode: 240
; IeeeMode: 1
; LDSByteSize: 1068 bytes/workgroup (compile time only)
; SGPRBlocks: 0
; VGPRBlocks: 3
; NumSGPRsForWavesPerEU: 49
; NumVGPRsForWavesPerEU: 27
; Occupancy: 16
; WaveLimiterHint : 1
; COMPUTE_PGM_RSRC2:SCRATCH_EN: 0
; COMPUTE_PGM_RSRC2:USER_SGPR: 6
; COMPUTE_PGM_RSRC2:TRAP_HANDLER: 0
; COMPUTE_PGM_RSRC2:TGID_X_EN: 1
; COMPUTE_PGM_RSRC2:TGID_Y_EN: 1
; COMPUTE_PGM_RSRC2:TGID_Z_EN: 1
; COMPUTE_PGM_RSRC2:TIDIG_COMP_CNT: 0
	.section	.text._ZN2at6native6sbtopk10gatherTopKIsjLi2ELb0EEEvNS_4cuda6detail10TensorInfoIKT_T0_EES8_S8_bS8_S8_NS5_IS6_S8_EES8_NS5_IlS8_EES8_PS6_,"axG",@progbits,_ZN2at6native6sbtopk10gatherTopKIsjLi2ELb0EEEvNS_4cuda6detail10TensorInfoIKT_T0_EES8_S8_bS8_S8_NS5_IS6_S8_EES8_NS5_IlS8_EES8_PS6_,comdat
	.protected	_ZN2at6native6sbtopk10gatherTopKIsjLi2ELb0EEEvNS_4cuda6detail10TensorInfoIKT_T0_EES8_S8_bS8_S8_NS5_IS6_S8_EES8_NS5_IlS8_EES8_PS6_ ; -- Begin function _ZN2at6native6sbtopk10gatherTopKIsjLi2ELb0EEEvNS_4cuda6detail10TensorInfoIKT_T0_EES8_S8_bS8_S8_NS5_IS6_S8_EES8_NS5_IlS8_EES8_PS6_
	.globl	_ZN2at6native6sbtopk10gatherTopKIsjLi2ELb0EEEvNS_4cuda6detail10TensorInfoIKT_T0_EES8_S8_bS8_S8_NS5_IS6_S8_EES8_NS5_IlS8_EES8_PS6_
	.p2align	8
	.type	_ZN2at6native6sbtopk10gatherTopKIsjLi2ELb0EEEvNS_4cuda6detail10TensorInfoIKT_T0_EES8_S8_bS8_S8_NS5_IS6_S8_EES8_NS5_IlS8_EES8_PS6_,@function
_ZN2at6native6sbtopk10gatherTopKIsjLi2ELb0EEEvNS_4cuda6detail10TensorInfoIKT_T0_EES8_S8_bS8_S8_NS5_IS6_S8_EES8_NS5_IlS8_EES8_PS6_: ; @_ZN2at6native6sbtopk10gatherTopKIsjLi2ELb0EEEvNS_4cuda6detail10TensorInfoIKT_T0_EES8_S8_bS8_S8_NS5_IS6_S8_EES8_NS5_IlS8_EES8_PS6_
; %bb.0:
	s_clause 0x1
	s_load_dwordx2 s[12:13], s[4:5], 0x2b8
	s_load_dwordx4 s[36:39], s[4:5], 0xd8
	s_add_u32 s10, s4, 0x2b8
	s_addc_u32 s11, s5, 0
	s_waitcnt lgkmcnt(0)
	s_mul_i32 s0, s13, s8
	s_add_i32 s0, s0, s7
	s_mul_i32 s54, s0, s12
	s_add_i32 s54, s54, s6
	s_cmp_ge_u32 s54, s39
	s_cbranch_scc1 .LBB59_410
; %bb.1:
	s_clause 0x9
	s_load_dword s2, s[4:5], 0xc
	s_load_dword s56, s[4:5], 0xfc
	;; [unrolled: 1-line block ×3, first 2 shown]
	s_load_dwordx2 s[42:43], s[4:5], 0xf0
	s_load_dwordx2 s[46:47], s[4:5], 0x23c
	;; [unrolled: 1-line block ×4, first 2 shown]
	s_load_dword s40, s[4:5], 0xe8
	s_load_dwordx2 s[8:9], s[4:5], 0x6c
	s_load_dwordx2 s[0:1], s[4:5], 0x0
	v_cmp_eq_u32_e64 s3, 0, v0
	s_mov_b32 s35, 0
	s_waitcnt lgkmcnt(0)
	v_cvt_f32_u32_e32 v1, s2
	v_cvt_f32_u32_e32 v2, s56
	;; [unrolled: 1-line block ×3, first 2 shown]
	s_sub_i32 s7, 0, s2
	s_sub_i32 s16, 0, s56
	v_rcp_iflag_f32_e32 v1, v1
	v_rcp_iflag_f32_e32 v2, v2
	;; [unrolled: 1-line block ×3, first 2 shown]
	s_sub_i32 s17, 0, s55
	v_mul_f32_e32 v1, 0x4f7ffffe, v1
	v_mul_f32_e32 v2, 0x4f7ffffe, v2
	;; [unrolled: 1-line block ×3, first 2 shown]
	v_cvt_u32_f32_e32 v1, v1
	v_cvt_u32_f32_e32 v2, v2
	;; [unrolled: 1-line block ×3, first 2 shown]
	v_readfirstlane_b32 s13, v1
	v_readfirstlane_b32 s14, v2
	;; [unrolled: 1-line block ×3, first 2 shown]
	s_mul_i32 s7, s7, s13
	s_mul_i32 s16, s16, s14
	;; [unrolled: 1-line block ×3, first 2 shown]
	s_mul_hi_u32 s7, s13, s7
	s_mul_hi_u32 s16, s14, s16
	;; [unrolled: 1-line block ×3, first 2 shown]
	s_add_i32 s13, s13, s7
	s_add_i32 s14, s14, s16
	s_add_i32 s15, s15, s17
	s_mul_hi_u32 s7, s54, s13
	s_mul_hi_u32 s58, s54, s14
	s_mul_hi_u32 s57, s54, s15
	s_and_saveexec_b32 s13, s3
	s_cbranch_execz .LBB59_3
; %bb.2:
	v_mov_b32_e32 v1, 0
	v_mov_b32_e32 v2, s36
	;; [unrolled: 1-line block ×3, first 2 shown]
	ds_write_b96 v1, v[1:3] offset:4096
.LBB59_3:
	s_or_b32 exec_lo, exec_lo, s13
	s_mul_i32 s13, s7, s2
	s_add_i32 s14, s7, 1
	s_sub_i32 s13, s54, s13
	s_waitcnt lgkmcnt(0)
	s_sub_i32 s15, s13, s2
	s_cmp_ge_u32 s13, s2
	s_barrier
	s_cselect_b32 s7, s14, s7
	s_cselect_b32 s13, s15, s13
	buffer_gl0_inv
	s_load_dword s15, s[10:11], 0xc
	s_add_i32 s14, s7, 1
	s_cmp_ge_u32 s13, s2
	v_mov_b32_e32 v9, 0
	s_cselect_b32 s7, s14, s7
	v_mul_lo_u32 v7, s40, v0
	s_mul_i32 s2, s7, s2
	s_mul_i32 s7, s7, s8
	s_sub_i32 s2, s54, s2
	v_mov_b32_e32 v8, v9
	s_mul_i32 s2, s2, s9
	v_mbcnt_lo_u32_b32 v18, -1, 0
	s_add_i32 s34, s7, s2
	v_cmp_gt_u32_e32 vcc_lo, 32, v0
	s_lshl_b64 s[8:9], s[34:35], 1
	v_lshlrev_b64 v[1:2], 1, v[7:8]
	s_add_u32 s50, s0, s8
	s_addc_u32 s51, s1, s9
	s_bitcmp1_b32 s38, 0
	v_cmp_gt_i32_e64 s0, 4, v18
	s_cselect_b32 s2, -1, 0
	s_waitcnt lgkmcnt(0)
	s_and_b32 s52, s15, 0xffff
	s_xor_b32 s59, s2, -1
	s_lshl_b32 s60, s52, 2
	s_and_b32 s62, vcc_lo, s0
	v_cvt_f32_u32_e32 v3, s60
	v_add_co_u32 v5, vcc_lo, s50, v1
	v_add_co_ci_u32_e64 v6, null, s51, v2, vcc_lo
	v_lshlrev_b64 v[1:2], v18, -1
	s_bfe_u32 s1, s52, 0x80008
	v_rcp_iflag_f32_e32 v2, v3
	s_lshl_b32 s61, s1, 3
	s_bfe_u32 s7, s15, 0xb0005
	s_cmpk_gt_u32 s36, 0x600
	v_add_nc_u32_e32 v3, 2, v0
	s_cselect_b32 s63, -1, 0
	s_cmp_gt_u32 s52, 31
	v_cvt_f32_u32_e32 v8, s52
	s_cselect_b32 s64, -1, 0
	s_add_i32 s65, s52, -1
	v_mul_f32_e32 v2, 0x4f7ffffe, v2
	s_add_i32 s13, s65, s36
	s_cmp_lt_u32 s6, s12
	v_max_u32_e32 v3, s36, v3
	s_cselect_b32 s6, 12, 18
	v_cvt_u32_f32_e32 v2, v2
	s_add_u32 s38, s10, s6
	s_addc_u32 s39, s11, 0
	s_add_i32 s7, s7, -1
	s_bfe_u32 s66, s52, 0x30005
	s_and_b32 s6, s7, 0xffff
	v_xad_u32 v3, v0, -1, v3
	s_cmp_gt_u32 s6, 6
	v_readfirstlane_b32 s6, v2
	s_cselect_b32 s67, -1, 0
	s_cmp_lg_u32 s66, 0
	v_not_b32_e32 v17, v1
	s_cselect_b32 s68, -1, 0
	s_sub_i32 s7, 0, s60
	v_lshrrev_b32_e32 v1, 1, v0
	s_mul_i32 s7, s7, s6
	v_add_nc_u32_e32 v4, -2, v3
	s_mul_hi_u32 s7, s6, s7
	v_rcp_iflag_f32_e32 v8, v8
	s_add_i32 s69, s6, s7
	s_movk_i32 s8, 0x1f0
	s_mul_hi_u32 s6, s36, s69
	v_lshrrev_b32_e32 v2, 1, v4
	s_mul_i32 s6, s6, s60
	v_and_or_b32 v22, v1, s8, 0xc00
	s_sub_i32 s6, s36, s6
	v_lshlrev_b32_e32 v19, 2, v0
	s_sub_i32 s8, s6, s60
	s_cmp_ge_u32 s6, s60
	v_add_nc_u32_e32 v1, 1, v2
	s_cselect_b32 s6, s8, s6
	v_mul_f32_e32 v2, 0x4f7ffffe, v8
	s_sub_i32 s8, s6, s60
	s_cmp_ge_u32 s6, s60
	v_and_b32_e32 v12, 7, v1
	s_cselect_b32 s6, s8, s6
	v_cvt_u32_f32_e32 v2, v2
	s_sub_i32 s70, s36, s6
	s_sub_i32 s8, 0, s52
	v_add_nc_u32_e32 v25, s70, v0
	v_and_b32_e32 v26, -8, v1
	v_readfirstlane_b32 s9, v2
	v_and_b32_e32 v23, -2, v3
	v_cmp_lt_u32_e64 s7, 31, v3
	v_mul_lo_u32 v8, v25, s40
	v_lshlrev_b32_e32 v20, 1, v0
	s_mul_i32 s8, s8, s9
	v_cmp_ne_u32_e64 s10, v3, v23
	s_mul_hi_u32 s8, s9, s8
	v_or_b32_e32 v3, 3, v19
	s_add_i32 s71, s9, s8
	s_mov_b32 s41, s40
	v_lshlrev_b64 v[1:2], 1, v[8:9]
	s_mul_hi_u32 s9, s13, s71
	v_lshlrev_b32_e32 v27, 2, v12
	s_mul_i32 s9, s9, s52
	v_mul_lo_u32 v30, s40, v3
	s_sub_i32 s11, s13, s9
	v_add_co_u32 v10, vcc_lo, s50, v1
	v_add3_u32 v1, s52, s36, v0
	s_sub_i32 s12, s11, s52
	s_cmp_ge_u32 s11, s52
	v_add_co_ci_u32_e64 v11, null, s51, v2, vcc_lo
	s_cselect_b32 s12, s12, s11
	v_or_b32_e32 v2, 2, v19
	v_subrev_nc_u32_e32 v1, s6, v1
	s_sub_i32 s14, s12, s52
	s_cmp_ge_u32 s12, s52
	v_cmp_ne_u32_e64 s9, 0, v12
	s_cselect_b32 s14, s14, s12
	v_mad_u64_u32 v[12:13], null, s40, v19, s[40:41]
	v_mul_lo_u32 v29, s40, v2
	v_mul_lo_u32 v32, s40, v1
	s_sub_i32 s72, s13, s14
	v_cmp_eq_u32_e64 s0, 0, v18
	v_cmp_gt_u32_e64 s1, s36, v0
	v_cmp_gt_u32_e64 s15, 2, v0
	v_add_nc_u32_e32 v21, 0xc00, v20
	v_add_nc_u32_e32 v24, v0, v23
	v_cmp_lt_u32_e64 s8, 13, v4
	v_cmp_gt_u32_e64 s11, s70, v19
	v_cmp_gt_u32_e64 s12, s36, v25
	;; [unrolled: 1-line block ×3, first 2 shown]
	v_lshlrev_b32_e32 v31, 2, v7
	v_lshlrev_b32_e32 v33, 3, v0
	v_lshl_or_b32 v34, v18, 2, 0xc00
	v_mov_b32_e32 v38, s37
	v_mov_b32_e32 v35, 0x8000
	;; [unrolled: 1-line block ×5, first 2 shown]
	s_mul_i32 s53, s40, s52
	s_lshl_b32 s74, s52, 3
	s_lshl_b32 s73, s53, 2
	;; [unrolled: 1-line block ×3, first 2 shown]
	s_mov_b32 s81, 14
	s_mov_b32 s77, 0
                                        ; implicit-def: $sgpr76
                                        ; implicit-def: $sgpr80
                                        ; implicit-def: $sgpr79
                                        ; implicit-def: $sgpr82
                                        ; implicit-def: $sgpr78
                                        ; implicit-def: $sgpr86
                                        ; implicit-def: $sgpr87
                                        ; implicit-def: $sgpr83
                                        ; implicit-def: $sgpr85
                                        ; implicit-def: $sgpr84
	s_branch .LBB59_6
.LBB59_4:                               ;   in Loop: Header=BB59_6 Depth=1
	s_or_b32 exec_lo, exec_lo, s17
	v_mov_b32_e32 v38, v4
	s_andn2_b32 s17, s84, exec_lo
	s_and_b32 s16, s16, exec_lo
	s_andn2_b32 s85, s85, exec_lo
	s_or_b32 s84, s17, s16
	s_andn2_b32 s83, s83, exec_lo
	s_andn2_b32 s87, s87, exec_lo
	s_andn2_b32 s86, s86, exec_lo
	s_orn2_b32 s17, s14, exec_lo
.LBB59_5:                               ;   in Loop: Header=BB59_6 Depth=1
	s_or_b32 exec_lo, exec_lo, s6
	s_and_b32 s6, exec_lo, s17
	s_or_b32 s35, s6, s35
	s_andn2_b32 s6, s78, exec_lo
	s_and_b32 s14, s84, exec_lo
	s_andn2_b32 s16, s82, exec_lo
	s_or_b32 s78, s6, s14
	s_and_b32 s6, s85, exec_lo
	s_andn2_b32 s14, s79, exec_lo
	s_and_b32 s17, s83, exec_lo
	s_or_b32 s82, s16, s6
	s_or_b32 s79, s14, s17
	s_andn2_b32 s6, s80, exec_lo
	s_and_b32 s14, s87, exec_lo
	s_andn2_b32 s16, s76, exec_lo
	s_and_b32 s17, s86, exec_lo
	s_or_b32 s80, s6, s14
	s_or_b32 s76, s16, s17
	s_andn2_b32 exec_lo, exec_lo, s35
	s_cbranch_execz .LBB59_406
.LBB59_6:                               ; =>This Loop Header: Depth=1
                                        ;     Child Loop BB59_11 Depth 2
                                        ;     Child Loop BB59_32 Depth 2
	;; [unrolled: 1-line block ×26, first 2 shown]
	ds_read_b64 v[1:2], v9 offset:4096
	s_waitcnt lgkmcnt(0)
	v_readfirstlane_b32 s88, v1
	s_cmp_lg_u32 s88, 0
	s_cbranch_scc1 .LBB59_51
; %bb.7:                                ;   in Loop: Header=BB59_6 Depth=1
	s_and_b32 vcc_lo, exec_lo, s63
	s_cbranch_vccz .LBB59_19
; %bb.8:                                ;   in Loop: Header=BB59_6 Depth=1
	v_cmp_gt_u32_e32 vcc_lo, 0x601, v2
	s_mov_b32 s16, 0
	s_mov_b32 s6, 0
	s_cbranch_vccz .LBB59_20
; %bb.9:                                ;   in Loop: Header=BB59_6 Depth=1
	global_load_ushort v1, v9, s[38:39]
	global_load_ushort v3, v[5:6], off
	v_mov_b32_e32 v4, v0
	s_mov_b32 s17, 0
	s_waitcnt vmcnt(1)
	v_add_nc_u32_e32 v2, v0, v1
	v_mul_lo_u32 v8, s40, v2
	v_mul_lo_u32 v2, s40, v1
	s_branch .LBB59_11
.LBB59_10:                              ;   in Loop: Header=BB59_11 Depth=2
	s_or_b32 exec_lo, exec_lo, s14
	v_add_nc_u32_e32 v8, v8, v2
	v_mov_b32_e32 v3, v13
	s_andn2_b32 exec_lo, exec_lo, s17
	s_cbranch_execz .LBB59_26
.LBB59_11:                              ;   Parent Loop BB59_6 Depth=1
                                        ; =>  This Inner Loop Header: Depth=2
	v_add_nc_u32_e32 v4, v4, v1
	s_waitcnt lgkmcnt(0)
	v_mov_b32_e32 v14, 0
	v_mov_b32_e32 v13, 0
	s_mov_b32 s14, exec_lo
	v_cmp_le_u32_e32 vcc_lo, s36, v4
	v_cmpx_gt_u32_e64 s36, v4
	s_cbranch_execz .LBB59_13
; %bb.12:                               ;   in Loop: Header=BB59_11 Depth=2
	v_lshlrev_b64 v[15:16], 1, v[8:9]
	v_add_co_u32 v15, s6, s50, v15
	v_add_co_ci_u32_e64 v16, null, s51, v16, s6
	global_load_ushort v13, v[15:16], off
.LBB59_13:                              ;   in Loop: Header=BB59_11 Depth=2
	s_or_b32 exec_lo, exec_lo, s14
	s_waitcnt vmcnt(0)
	v_add_nc_u32_sdwa v15, sext(v3), v35 dst_sel:DWORD dst_unused:UNUSED_PAD src0_sel:WORD_0 src1_sel:DWORD
	v_and_b32_e32 v15, v15, v36
	v_cmp_eq_u32_e64 s6, v15, v28
	s_cmp_lg_u32 s6, 0
	s_cselect_b32 s14, -1, 0
	s_and_b32 s14, s0, s14
	s_and_saveexec_b32 s18, s14
	s_cbranch_execz .LBB59_17
; %bb.14:                               ;   in Loop: Header=BB59_11 Depth=2
	s_mov_b32 s21, exec_lo
	s_bcnt1_i32_b32 s19, s6
	v_mbcnt_lo_u32_b32 v14, s21, 0
	s_mov_b32 s20, exec_lo
                                        ; implicit-def: $vgpr15
	v_cmpx_eq_u32_e32 0, v14
; %bb.15:                               ;   in Loop: Header=BB59_11 Depth=2
	s_bcnt1_i32_b32 s14, s21
	s_mul_i32 s14, s19, s14
	v_mov_b32_e32 v15, s14
	ds_add_rtn_u32 v15, v9, v15 offset:4104
; %bb.16:                               ;   in Loop: Header=BB59_11 Depth=2
	s_or_b32 exec_lo, exec_lo, s20
	s_waitcnt lgkmcnt(0)
	v_readfirstlane_b32 s14, v15
	v_mad_u32_u24 v14, s19, v14, s14
.LBB59_17:                              ;   in Loop: Header=BB59_11 Depth=2
	s_or_b32 exec_lo, exec_lo, s18
	ds_bpermute_b32 v14, v9, v14
	s_and_b32 s14, exec_lo, vcc_lo
	s_or_b32 s17, s14, s17
	s_and_saveexec_b32 s14, s6
	s_cbranch_execz .LBB59_10
; %bb.18:                               ;   in Loop: Header=BB59_11 Depth=2
	v_and_b32_e32 v15, s6, v17
	v_bcnt_u32_b32 v15, v15, 0
	v_lshlrev_b32_e32 v15, 1, v15
	s_waitcnt lgkmcnt(0)
	v_lshl_add_u32 v14, v14, 1, v15
	ds_write_b16 v14, v3
	s_branch .LBB59_10
.LBB59_19:                              ;   in Loop: Header=BB59_6 Depth=1
	s_mov_b32 s16, -1
	s_mov_b32 s6, 0
.LBB59_20:                              ;   in Loop: Header=BB59_6 Depth=1
	s_and_b32 vcc_lo, exec_lo, s16
	s_cbranch_vccz .LBB59_49
.LBB59_21:                              ;   in Loop: Header=BB59_6 Depth=1
	s_and_saveexec_b32 s14, s1
	s_cbranch_execz .LBB59_46
; %bb.22:                               ;   in Loop: Header=BB59_6 Depth=1
	global_load_ushort v1, v9, s[38:39]
	global_load_ushort v39, v[5:6], off
	v_mov_b32_e32 v2, v0
	s_mov_b32 s16, exec_lo
	s_waitcnt vmcnt(1)
	v_add_nc_u32_e32 v13, v0, v1
	v_readfirstlane_b32 s17, v1
	v_cmpx_gt_u32_e64 s36, v13
	s_cbranch_execz .LBB59_45
; %bb.23:                               ;   in Loop: Header=BB59_6 Depth=1
	s_mov_b32 s6, 0
	s_mul_i32 s18, s40, s17
                                        ; implicit-def: $vgpr2
                                        ; implicit-def: $vgpr4
                                        ; implicit-def: $vgpr1
                                        ; implicit-def: $vgpr3
	s_and_saveexec_b32 s19, s7
	s_xor_b32 s19, exec_lo, s19
	s_cbranch_execnz .LBB59_29
; %bb.24:                               ;   in Loop: Header=BB59_6 Depth=1
	s_andn2_saveexec_b32 s19, s19
	s_cbranch_execnz .LBB59_40
.LBB59_25:                              ;   in Loop: Header=BB59_6 Depth=1
	s_or_b32 exec_lo, exec_lo, s19
	s_and_saveexec_b32 s18, s6
	s_cbranch_execnz .LBB59_41
	s_branch .LBB59_44
.LBB59_26:                              ;   in Loop: Header=BB59_6 Depth=1
	s_or_b32 exec_lo, exec_lo, s17
	s_waitcnt lgkmcnt(0)
	s_barrier
	buffer_gl0_inv
	s_and_saveexec_b32 s6, s3
	s_cbranch_execz .LBB59_28
; %bb.27:                               ;   in Loop: Header=BB59_6 Depth=1
	ds_read_b32 v1, v9 offset:4104
	s_waitcnt lgkmcnt(0)
	ds_write_b32 v9, v1 offset:4096
.LBB59_28:                              ;   in Loop: Header=BB59_6 Depth=1
	s_or_b32 exec_lo, exec_lo, s6
	s_waitcnt lgkmcnt(0)
	s_mov_b32 s6, -1
	s_barrier
	s_and_b32 vcc_lo, exec_lo, s16
	s_cbranch_vccnz .LBB59_21
	s_branch .LBB59_49
.LBB59_29:                              ;   in Loop: Header=BB59_6 Depth=1
	v_cvt_f32_u32_e32 v1, s17
	v_add_nc_u32_e32 v2, s17, v13
	s_sub_i32 s6, 0, s17
	s_not_b32 s20, s18
	v_rcp_iflag_f32_e32 v1, v1
	v_max_u32_e32 v2, s36, v2
	v_sub_nc_u32_e32 v2, v2, v0
	v_mul_f32_e32 v1, 0x4f7ffffe, v1
	v_cvt_u32_f32_e32 v1, v1
	v_mul_lo_u32 v3, s6, v1
	s_lshl_b32 s6, s17, 1
	v_cmp_ne_u32_e32 vcc_lo, s6, v2
	v_cndmask_b32_e64 v4, 0, 1, vcc_lo
	v_mul_hi_u32 v3, v1, v3
	v_or_b32_e32 v4, s6, v4
	v_add_nc_u32_e32 v1, v1, v3
	v_sub_nc_u32_e32 v2, v2, v4
	v_mul_hi_u32 v1, v2, v1
	v_mul_lo_u32 v3, v1, s17
	v_sub_nc_u32_e32 v2, v2, v3
	v_add_nc_u32_e32 v3, 1, v1
	v_subrev_nc_u32_e32 v4, s17, v2
	v_cmp_le_u32_e64 s6, s17, v2
	v_cndmask_b32_e64 v1, v1, v3, s6
	v_cndmask_b32_e64 v2, v2, v4, s6
	v_add_nc_u32_e32 v3, 1, v1
	v_cmp_le_u32_e64 s6, s17, v2
	v_mul_lo_u32 v2, s40, v13
	v_cndmask_b32_e64 v1, v1, v3, s6
	s_abs_i32 s6, s18
	v_add_co_ci_u32_e64 v1, null, 0, v1, vcc_lo
	v_mul_hi_u32 v3, s6, v1
	v_mul_lo_u32 v1, s6, v1
	s_ashr_i32 s6, s20, 31
	s_cmp_eq_u32 s17, 1
	v_xor_b32_e32 v2, s6, v2
	s_cselect_b32 s20, -1, 0
	v_cmp_eq_u32_e32 vcc_lo, 0, v3
	v_cmp_le_u32_e64 s6, v1, v2
	v_mov_b32_e32 v1, v0
                                        ; implicit-def: $vgpr2
	s_and_b32 s20, vcc_lo, s20
	s_and_b32 s21, s20, s6
	s_mov_b32 s20, -1
	s_and_saveexec_b32 s6, s21
	s_cbranch_execz .LBB59_39
; %bb.30:                               ;   in Loop: Header=BB59_6 Depth=1
	v_add_nc_u32_e32 v14, 1, v13
	s_waitcnt vmcnt(0)
	v_lshlrev_b32_e32 v1, 16, v39
	v_mov_b32_e32 v8, 0
                                        ; implicit-def: $vgpr39
	v_mov_b32_e32 v16, v14
	v_mov_b32_e32 v15, v13
	s_and_saveexec_b32 s20, s8
	s_cbranch_execz .LBB59_34
; %bb.31:                               ;   in Loop: Header=BB59_6 Depth=1
	v_mov_b32_e32 v16, v14
	v_mov_b32_e32 v40, v26
	;; [unrolled: 1-line block ×4, first 2 shown]
	s_mov_b32 s21, 0
	s_mov_b32 s22, 0
.LBB59_32:                              ;   Parent Loop BB59_6 Depth=1
                                        ; =>  This Inner Loop Header: Depth=2
	v_add_nc_u32_e32 v4, 2, v16
	v_mul_lo_u32 v8, v15, s40
	v_add_nc_u32_e32 v14, 4, v16
	v_mul_lo_u32 v2, v16, s41
	;; [unrolled: 2-line block ×3, first 2 shown]
	v_mov_b32_e32 v3, v9
	v_add_nc_u32_e32 v48, 8, v16
	v_mul_lo_u32 v44, v14, s41
	v_mov_b32_e32 v43, v9
	v_add_nc_u32_e32 v50, 10, v16
	v_mul_lo_u32 v46, v39, s41
	v_lshlrev_b64 v[52:53], 1, v[8:9]
	v_mov_b32_e32 v45, v9
	v_mul_lo_u32 v48, v48, s41
	v_lshlrev_b64 v[2:3], 1, v[2:3]
	v_mov_b32_e32 v47, v9
	v_mul_lo_u32 v50, v50, s41
	v_lshlrev_b64 v[42:43], 1, v[42:43]
	v_mov_b32_e32 v49, v9
	v_lshlrev_b64 v[44:45], 1, v[44:45]
	v_add_co_u32 v52, vcc_lo, s50, v52
	v_mov_b32_e32 v51, v9
	v_lshlrev_b64 v[46:47], 1, v[46:47]
	v_add_co_ci_u32_e64 v53, null, s51, v53, vcc_lo
	v_add_co_u32 v2, vcc_lo, s50, v2
	v_lshlrev_b64 v[48:49], 1, v[48:49]
	v_add_co_ci_u32_e64 v3, null, s51, v3, vcc_lo
	v_add_co_u32 v42, vcc_lo, s50, v42
	;; [unrolled: 3-line block ×3, first 2 shown]
	v_add_co_ci_u32_e64 v45, null, s51, v45, vcc_lo
	v_add_co_u32 v46, vcc_lo, s50, v46
	v_lshrrev_b32_e32 v1, 16, v1
	v_add_co_ci_u32_e64 v47, null, s51, v47, vcc_lo
	v_add_co_u32 v48, vcc_lo, s50, v48
	v_add_co_ci_u32_e64 v49, null, s51, v49, vcc_lo
	v_add_co_u32 v50, vcc_lo, s50, v50
	v_add_co_ci_u32_e64 v51, null, s51, v51, vcc_lo
	s_clause 0x6
	global_load_short_d16_hi v1, v[52:53], off
	global_load_ushort v2, v[2:3], off
	global_load_ushort v3, v[42:43], off
	global_load_ushort v4, v[44:45], off
	global_load_ushort v42, v[46:47], off
	global_load_ushort v43, v[48:49], off
	global_load_ushort v44, v[50:51], off
	v_add_nc_u32_e32 v8, 2, v15
	v_add_nc_u32_e32 v45, 12, v16
	;; [unrolled: 1-line block ×4, first 2 shown]
	v_mov_b32_e32 v46, v9
	v_mul_lo_u32 v8, v8, s40
	v_mul_lo_u32 v45, v45, s41
	;; [unrolled: 1-line block ×3, first 2 shown]
	v_mov_b32_e32 v48, v9
	v_add_nc_u32_e32 v39, 6, v15
	v_add_nc_u32_e32 v53, 8, v15
	v_add_nc_u32_e32 v55, 10, v15
	v_add_nc_u32_e32 v57, 12, v15
	v_lshlrev_b64 v[49:50], 1, v[8:9]
	v_mul_lo_u32 v8, v14, s40
	v_lshlrev_b64 v[45:46], 1, v[45:46]
	v_lshlrev_b64 v[47:48], 1, v[47:48]
	v_add_nc_u32_e32 v59, 14, v15
	v_add_nc_u32_e32 v40, -8, v40
	s_add_i32 s22, s22, 16
	v_add_nc_u32_e32 v16, 16, v16
	v_add_co_u32 v45, vcc_lo, s50, v45
	v_lshlrev_b64 v[51:52], 1, v[8:9]
	v_mul_lo_u32 v8, v39, s40
	v_add_co_ci_u32_e64 v46, null, s51, v46, vcc_lo
	v_add_co_u32 v47, vcc_lo, s50, v47
	v_add_co_ci_u32_e64 v48, null, s51, v48, vcc_lo
	v_add_co_u32 v49, vcc_lo, s50, v49
	v_add_co_ci_u32_e64 v50, null, s51, v50, vcc_lo
	global_load_ushort v14, v[45:46], off
	v_add_co_u32 v45, vcc_lo, s50, v51
	v_add_co_ci_u32_e64 v46, null, s51, v52, vcc_lo
	v_lshlrev_b64 v[51:52], 1, v[8:9]
	v_mul_lo_u32 v8, v53, s40
	v_add_nc_u32_e32 v15, 16, v15
	v_add_co_u32 v51, vcc_lo, s50, v51
	v_add_co_ci_u32_e64 v52, null, s51, v52, vcc_lo
	v_lshlrev_b64 v[53:54], 1, v[8:9]
	v_mul_lo_u32 v8, v55, s40
	v_add_co_u32 v53, vcc_lo, s50, v53
	v_add_co_ci_u32_e64 v54, null, s51, v54, vcc_lo
	v_lshlrev_b64 v[55:56], 1, v[8:9]
	v_mul_lo_u32 v8, v57, s40
	;; [unrolled: 4-line block ×3, first 2 shown]
	v_add_co_u32 v57, vcc_lo, s50, v57
	v_add_co_ci_u32_e64 v58, null, s51, v58, vcc_lo
	v_lshlrev_b64 v[59:60], 1, v[8:9]
	v_mov_b32_e32 v8, s22
	v_add_co_u32 v59, vcc_lo, s50, v59
	v_add_co_ci_u32_e64 v60, null, s51, v60, vcc_lo
	v_cmp_eq_u32_e32 vcc_lo, 0, v40
	s_clause 0x7
	global_load_short_d16_hi v2, v[49:50], off
	global_load_short_d16_hi v3, v[45:46], off
	;; [unrolled: 1-line block ×3, first 2 shown]
	global_load_ushort v46, v[59:60], off
	global_load_short_d16_hi v42, v[53:54], off
	global_load_short_d16_hi v43, v[55:56], off
	;; [unrolled: 1-line block ×3, first 2 shown]
	global_load_ushort v39, v[47:48], off
	s_or_b32 s21, vcc_lo, s21
	s_waitcnt vmcnt(5)
	ds_write_b128 v41, v[1:4]
	s_waitcnt vmcnt(4)
	v_perm_b32 v45, v46, v14, 0x5040100
	s_waitcnt vmcnt(0)
	v_perm_b32 v1, v39, v46, 0x5040100
	ds_write_b128 v41, v[42:45] offset:16
	v_add_nc_u32_e32 v41, 32, v41
	s_andn2_b32 exec_lo, exec_lo, s21
	s_cbranch_execnz .LBB59_32
; %bb.33:                               ;   in Loop: Header=BB59_6 Depth=1
	s_or_b32 exec_lo, exec_lo, s21
.LBB59_34:                              ;   in Loop: Header=BB59_6 Depth=1
	s_or_b32 exec_lo, exec_lo, s20
	s_and_saveexec_b32 s20, s9
	s_cbranch_execz .LBB59_38
; %bb.35:                               ;   in Loop: Header=BB59_6 Depth=1
	v_lshl_add_u32 v2, v8, 1, v20
	v_mov_b32_e32 v3, v27
	s_mov_b32 s21, 0
	s_inst_prefetch 0x1
	.p2align	6
.LBB59_36:                              ;   Parent Loop BB59_6 Depth=1
                                        ; =>  This Inner Loop Header: Depth=2
	v_mul_lo_u32 v8, v15, s40
	v_mul_lo_u32 v39, v16, s41
	v_mov_b32_e32 v40, v9
	v_add_nc_u32_e32 v3, -4, v3
	v_add_nc_u32_e32 v16, 2, v16
	v_add_nc_u32_e32 v15, 2, v15
	v_lshlrev_b64 v[41:42], 1, v[8:9]
	v_lshlrev_b64 v[39:40], 1, v[39:40]
	v_add_co_u32 v41, vcc_lo, s50, v41
	v_add_co_ci_u32_e64 v42, null, s51, v42, vcc_lo
	v_add_co_u32 v39, vcc_lo, s50, v39
	v_add_co_ci_u32_e64 v40, null, s51, v40, vcc_lo
	s_clause 0x1
	global_load_ushort v4, v[41:42], off
	global_load_ushort v39, v[39:40], off
	v_cmp_eq_u32_e32 vcc_lo, 0, v3
	s_or_b32 s21, vcc_lo, s21
	s_waitcnt vmcnt(1)
	v_alignbit_b32 v1, v4, v1, 16
	s_waitcnt vmcnt(0)
	v_perm_b32 v4, v39, v4, 0x5040100
	ds_write_b32 v2, v1
	v_add_nc_u32_e32 v2, 4, v2
	v_mov_b32_e32 v1, v4
	s_andn2_b32 exec_lo, exec_lo, s21
	s_cbranch_execnz .LBB59_36
; %bb.37:                               ;   in Loop: Header=BB59_6 Depth=1
	s_inst_prefetch 0x2
	s_or_b32 exec_lo, exec_lo, s21
.LBB59_38:                              ;   in Loop: Header=BB59_6 Depth=1
	s_or_b32 exec_lo, exec_lo, s20
	v_add_nc_u32_e32 v13, v13, v23
	v_mov_b32_e32 v1, v24
	s_orn2_b32 s20, s10, exec_lo
	v_add_nc_u32_e32 v2, -1, v13
.LBB59_39:                              ;   in Loop: Header=BB59_6 Depth=1
	s_or_b32 exec_lo, exec_lo, s6
	v_mov_b32_e32 v3, s18
	s_waitcnt vmcnt(0)
	v_mov_b32_e32 v4, v39
	s_and_b32 s6, s20, exec_lo
	s_andn2_saveexec_b32 s19, s19
	s_cbranch_execz .LBB59_25
.LBB59_40:                              ;   in Loop: Header=BB59_6 Depth=1
	v_mov_b32_e32 v3, s18
	s_waitcnt vmcnt(0)
	v_mov_b32_e32 v4, v39
	v_mov_b32_e32 v1, v0
	s_or_b32 s6, s6, exec_lo
	s_or_b32 exec_lo, exec_lo, s19
	s_and_saveexec_b32 s18, s6
	s_cbranch_execz .LBB59_44
.LBB59_41:                              ;   in Loop: Header=BB59_6 Depth=1
	v_mul_lo_u32 v8, s40, v13
	s_mov_b32 s19, 0
	s_sub_i32 s6, 0, s17
	.p2align	6
.LBB59_42:                              ;   Parent Loop BB59_6 Depth=1
                                        ; =>  This Inner Loop Header: Depth=2
	v_lshlrev_b64 v[14:15], 1, v[8:9]
	v_mov_b32_e32 v2, v13
	v_lshlrev_b32_e32 v1, 1, v1
	v_add_nc_u32_e32 v8, v8, v3
	v_add_nc_u32_e32 v13, s17, v2
	v_add_co_u32 v14, vcc_lo, s50, v14
	v_add_co_ci_u32_e64 v15, null, s51, v15, vcc_lo
	v_cmp_le_u32_e32 vcc_lo, s36, v13
	ds_write_b16 v1, v4
	v_mov_b32_e32 v1, v2
	global_load_ushort v39, v[14:15], off
	s_or_b32 s19, vcc_lo, s19
	s_waitcnt vmcnt(0)
	v_mov_b32_e32 v4, v39
	s_andn2_b32 exec_lo, exec_lo, s19
	s_cbranch_execnz .LBB59_42
; %bb.43:                               ;   in Loop: Header=BB59_6 Depth=1
	s_or_b32 exec_lo, exec_lo, s19
	v_add_nc_u32_e32 v2, s6, v13
.LBB59_44:                              ;   in Loop: Header=BB59_6 Depth=1
	s_or_b32 exec_lo, exec_lo, s18
.LBB59_45:                              ;   in Loop: Header=BB59_6 Depth=1
	s_or_b32 exec_lo, exec_lo, s16
	v_lshlrev_b32_e32 v1, 1, v2
	s_waitcnt vmcnt(0)
	ds_write_b16 v1, v39
.LBB59_46:                              ;   in Loop: Header=BB59_6 Depth=1
	s_or_b32 exec_lo, exec_lo, s14
	s_waitcnt lgkmcnt(0)
	s_barrier
	buffer_gl0_inv
	s_and_saveexec_b32 s6, s3
; %bb.47:                               ;   in Loop: Header=BB59_6 Depth=1
	v_mov_b32_e32 v1, s36
	ds_write_b32 v9, v1 offset:4096
; %bb.48:                               ;   in Loop: Header=BB59_6 Depth=1
	s_or_b32 exec_lo, exec_lo, s6
	s_mov_b32 s6, -1
	s_waitcnt lgkmcnt(0)
	s_barrier
.LBB59_49:                              ;   in Loop: Header=BB59_6 Depth=1
	s_and_b32 vcc_lo, exec_lo, s6
	s_mov_b32 s88, 0
	s_cbranch_vccz .LBB59_51
; %bb.50:                               ;   in Loop: Header=BB59_6 Depth=1
	buffer_gl0_inv
	ds_read_b32 v1, v9 offset:4096
	s_waitcnt lgkmcnt(0)
	v_readfirstlane_b32 s88, v1
.LBB59_51:                              ;   in Loop: Header=BB59_6 Depth=1
	s_cmp_lt_i32 s88, 1
	s_mov_b32 s6, -1
                                        ; implicit-def: $vgpr1
	s_cbranch_scc1 .LBB59_61
; %bb.52:                               ;   in Loop: Header=BB59_6 Depth=1
	s_and_b32 vcc_lo, exec_lo, s6
	s_cbranch_vccnz .LBB59_72
.LBB59_53:                              ;   in Loop: Header=BB59_6 Depth=1
	s_lshl_b32 s6, s77, 7
	s_and_saveexec_b32 s14, s0
.LBB59_54:                              ;   in Loop: Header=BB59_6 Depth=1
	v_lshl_add_u32 v8, s6, 2, v22
	ds_write_b128 v8, v[1:4]
.LBB59_55:                              ;   in Loop: Header=BB59_6 Depth=1
	s_or_b32 exec_lo, exec_lo, s14
	s_waitcnt lgkmcnt(0)
	s_barrier
	buffer_gl0_inv
	s_and_saveexec_b32 s14, s62
	s_cbranch_execz .LBB59_85
; %bb.56:                               ;   in Loop: Header=BB59_6 Depth=1
	v_mov_b32_e32 v1, 0
	s_andn2_b32 vcc_lo, exec_lo, s64
	s_cbranch_vccnz .LBB59_84
; %bb.57:                               ;   in Loop: Header=BB59_6 Depth=1
	s_andn2_b32 vcc_lo, exec_lo, s67
	s_cbranch_vccnz .LBB59_81
; %bb.58:                               ;   in Loop: Header=BB59_6 Depth=1
	v_lshl_add_u32 v2, s77, 9, v34
	v_mov_b32_e32 v1, 0
	s_mov_b32 s16, 0
	.p2align	6
.LBB59_59:                              ;   Parent Loop BB59_6 Depth=1
                                        ; =>  This Inner Loop Header: Depth=2
	ds_read2_b32 v[3:4], v2 offset1:4
	ds_read2_b32 v[13:14], v2 offset0:8 offset1:12
	ds_read2_b32 v[15:16], v2 offset0:16 offset1:20
	ds_read2_b32 v[39:40], v2 offset0:24 offset1:28
	v_add_nc_u32_e32 v2, 0x80, v2
	s_add_i32 s16, s16, 8
	s_cmp_eq_u32 s61, s16
	s_waitcnt lgkmcnt(3)
	v_add3_u32 v1, v3, v1, v4
	s_waitcnt lgkmcnt(2)
	v_add3_u32 v1, v13, v1, v14
	s_waitcnt lgkmcnt(1)
	v_add3_u32 v1, v15, v1, v16
	s_waitcnt lgkmcnt(0)
	v_add3_u32 v1, v39, v1, v40
	s_cbranch_scc0 .LBB59_59
; %bb.60:                               ;   in Loop: Header=BB59_6 Depth=1
	s_mov_b32 s16, s61
	s_andn2_b32 vcc_lo, exec_lo, s68
	s_cbranch_vccz .LBB59_82
	s_branch .LBB59_84
.LBB59_61:                              ;   in Loop: Header=BB59_6 Depth=1
	v_mov_b32_e32 v1, 0
	v_mov_b32_e32 v2, 0
	;; [unrolled: 1-line block ×4, first 2 shown]
	s_and_saveexec_b32 s25, s11
	s_cbranch_execz .LBB59_65
; %bb.62:                               ;   in Loop: Header=BB59_6 Depth=1
	v_mov_b32_e32 v13, v19
	s_mov_b32 s26, 0
	s_mov_b32 s27, 0
	;; [unrolled: 1-line block ×6, first 2 shown]
.LBB59_63:                              ;   Parent Loop BB59_6 Depth=1
                                        ; =>  This Inner Loop Header: Depth=2
	v_add_nc_u32_e32 v8, s27, v31
	v_add_nc_u32_e32 v13, s60, v13
	v_lshlrev_b64 v[1:2], 1, v[8:9]
	v_add_nc_u32_e32 v8, s27, v12
	v_lshlrev_b64 v[3:4], 1, v[8:9]
	v_add_nc_u32_e32 v8, s27, v29
	v_add_co_u32 v1, vcc_lo, s50, v1
	v_add_co_ci_u32_e64 v2, null, s51, v2, vcc_lo
	v_lshlrev_b64 v[14:15], 1, v[8:9]
	v_add_nc_u32_e32 v8, s27, v30
	s_add_i32 s27, s27, s73
	global_load_sshort v16, v[1:2], off
	v_add_co_u32 v1, vcc_lo, s50, v3
	v_add_co_ci_u32_e64 v2, null, s51, v4, vcc_lo
	v_add_co_u32 v14, vcc_lo, s50, v14
	v_add_co_ci_u32_e64 v15, null, s51, v15, vcc_lo
	v_lshlrev_b64 v[3:4], 1, v[8:9]
	s_clause 0x1
	global_load_sshort v8, v[1:2], off
	global_load_sshort v14, v[14:15], off
	v_add_co_u32 v1, vcc_lo, s50, v3
	v_add_co_ci_u32_e64 v2, null, s51, v4, vcc_lo
	v_cmp_le_u32_e32 vcc_lo, s70, v13
	global_load_sshort v1, v[1:2], off
	s_waitcnt vmcnt(3)
	v_add_nc_u32_e32 v2, 0x8000, v16
	v_and_b32_e32 v3, v2, v36
	v_bfe_u32 v2, v2, s81, 2
	s_waitcnt vmcnt(2)
	v_add_nc_u32_e32 v4, 0x8000, v8
	v_cmp_eq_u32_e64 s6, v3, v28
	v_cmp_eq_u32_e64 s14, 0, v2
	s_waitcnt vmcnt(1)
	v_add_nc_u32_e32 v8, 0x8000, v14
	v_cmp_eq_u32_e64 s16, 1, v2
	v_and_b32_e32 v3, v4, v36
	v_bfe_u32 v4, v4, s81, 2
	v_cmp_eq_u32_e64 s17, 2, v2
	s_and_b32 s14, s6, s14
	v_cmp_eq_u32_e64 s18, 3, v2
	v_cmp_eq_u32_e64 s19, v3, v28
	v_and_b32_e32 v2, v8, v36
	v_bfe_u32 v3, v8, s81, 2
	v_cmp_eq_u32_e64 s20, 0, v4
	v_cndmask_b32_e64 v8, 0, 1, s14
	v_cmp_eq_u32_e64 s14, 1, v4
	s_and_b32 s16, s6, s16
	s_and_b32 s17, s6, s17
	v_cndmask_b32_e64 v14, 0, 1, s16
	v_cmp_eq_u32_e64 s16, 2, v4
	s_waitcnt vmcnt(0)
	v_add_nc_u32_e32 v1, 0x8000, v1
	v_cndmask_b32_e64 v15, 0, 1, s17
	s_and_b32 s6, s6, s18
	s_and_b32 s20, s19, s20
	;; [unrolled: 1-line block ×3, first 2 shown]
	v_cmp_eq_u32_e64 s17, 3, v4
	v_cndmask_b32_e64 v4, 0, 1, s6
	v_cmp_eq_u32_e64 s6, v2, v28
	v_cmp_eq_u32_e64 s18, 0, v3
	v_cmp_ne_u32_e64 s21, 0, v8
	v_cndmask_b32_e64 v8, 0, 1, s20
	v_cmp_eq_u32_e64 s20, 1, v3
	v_cmp_ne_u32_e64 s22, 0, v14
	v_cndmask_b32_e64 v14, 0, 1, s14
	v_cmp_eq_u32_e64 s14, 2, v3
	s_and_b32 s16, s19, s16
	v_and_b32_e32 v2, v1, v36
	v_bfe_u32 v1, v1, s81, 2
	v_cmp_ne_u32_e64 s23, 0, v15
	v_cndmask_b32_e64 v15, 0, 1, s16
	v_cmp_eq_u32_e64 s16, 3, v3
	s_and_b32 s17, s19, s17
	s_and_b32 s18, s6, s18
	;; [unrolled: 1-line block ×4, first 2 shown]
	v_cmp_ne_u32_e64 s24, 0, v4
	v_cndmask_b32_e64 v3, 0, 1, s17
	v_cmp_eq_u32_e64 s17, v2, v28
	v_cmp_eq_u32_e64 s19, 0, v1
	s_bcnt1_i32_b32 s33, s21
	v_cmp_ne_u32_e64 s21, 0, v8
	v_cndmask_b32_e64 v2, 0, 1, s18
	v_cmp_eq_u32_e64 s18, 1, v1
	v_cndmask_b32_e64 v4, 0, 1, s20
	v_cmp_eq_u32_e64 s20, 2, v1
	;; [unrolled: 2-line block ×3, first 2 shown]
	s_and_b32 s6, s6, s16
	s_bcnt1_i32_b32 s90, s24
	v_cndmask_b32_e64 v1, 0, 1, s6
	v_cmp_ne_u32_e64 s24, 0, v3
	s_and_b32 s16, s17, s19
	s_and_b32 s18, s17, s18
	;; [unrolled: 1-line block ×4, first 2 shown]
	v_cmp_ne_u32_e64 s6, 0, v2
	v_cndmask_b32_e64 v2, 0, 1, s16
	v_cmp_ne_u32_e64 s16, 0, v4
	v_cndmask_b32_e64 v3, 0, 1, s18
	v_cndmask_b32_e64 v4, 0, 1, s19
	v_cmp_ne_u32_e64 s19, 0, v1
	v_cndmask_b32_e64 v1, 0, 1, s14
	s_bcnt1_i32_b32 s34, s22
	v_cmp_ne_u32_e64 s22, 0, v14
	s_bcnt1_i32_b32 s89, s23
	v_cmp_ne_u32_e64 s23, 0, v15
	s_add_i32 s28, s90, s28
	v_cmp_ne_u32_e64 s18, 0, v8
	s_bcnt1_i32_b32 s20, s24
	s_bcnt1_i32_b32 s24, s6
	s_add_i32 s20, s28, s20
	v_cmp_ne_u32_e64 s6, 0, v2
	s_bcnt1_i32_b32 s28, s16
	v_cmp_ne_u32_e64 s14, 0, v3
	v_cmp_ne_u32_e64 s16, 0, v4
	;; [unrolled: 1-line block ×3, first 2 shown]
	s_add_i32 s31, s33, s31
	s_add_i32 s30, s34, s30
	;; [unrolled: 1-line block ×3, first 2 shown]
	s_bcnt1_i32_b32 s21, s21
	s_bcnt1_i32_b32 s22, s22
	;; [unrolled: 1-line block ×3, first 2 shown]
	s_add_i32 s21, s31, s21
	s_add_i32 s22, s30, s22
	;; [unrolled: 1-line block ×3, first 2 shown]
	s_bcnt1_i32_b32 s18, s18
	s_bcnt1_i32_b32 s19, s19
	s_add_i32 s21, s21, s24
	s_add_i32 s22, s22, s28
	;; [unrolled: 1-line block ×4, first 2 shown]
	s_bcnt1_i32_b32 s6, s6
	s_bcnt1_i32_b32 s14, s14
	;; [unrolled: 1-line block ×4, first 2 shown]
	s_add_i32 s31, s21, s6
	s_add_i32 s30, s22, s14
	s_add_i32 s29, s18, s16
	s_add_i32 s28, s19, s17
	v_mov_b32_e32 v1, s31
	v_mov_b32_e32 v2, s30
	;; [unrolled: 1-line block ×4, first 2 shown]
	s_or_b32 s26, vcc_lo, s26
	s_andn2_b32 exec_lo, exec_lo, s26
	s_cbranch_execnz .LBB59_63
; %bb.64:                               ;   in Loop: Header=BB59_6 Depth=1
	s_or_b32 exec_lo, exec_lo, s26
.LBB59_65:                              ;   in Loop: Header=BB59_6 Depth=1
	s_or_b32 exec_lo, exec_lo, s25
	s_and_saveexec_b32 s18, s12
	s_cbranch_execz .LBB59_71
; %bb.66:                               ;   in Loop: Header=BB59_6 Depth=1
	global_load_ushort v15, v[10:11], off
	v_mov_b32_e32 v8, v32
	v_mov_b32_e32 v13, v25
	s_mov_b32 s19, 0
	s_branch .LBB59_68
.LBB59_67:                              ;   in Loop: Header=BB59_68 Depth=2
	s_or_b32 exec_lo, exec_lo, s14
	s_waitcnt vmcnt(0)
	v_add_nc_u32_sdwa v15, sext(v15), v35 dst_sel:DWORD dst_unused:UNUSED_PAD src0_sel:WORD_0 src1_sel:DWORD
	s_and_b32 s14, exec_lo, vcc_lo
	v_add_nc_u32_e32 v8, s53, v8
	s_or_b32 s19, s14, s19
	v_and_b32_e32 v16, v15, v36
	v_bfe_u32 v15, v15, s81, 2
	v_cmp_eq_u32_e32 vcc_lo, v16, v28
	v_cmp_eq_u32_e64 s6, 0, v15
	v_cmp_eq_u32_e64 s14, 1, v15
	;; [unrolled: 1-line block ×4, first 2 shown]
	s_and_b32 s6, vcc_lo, s6
	v_cndmask_b32_e64 v15, 0, 1, s6
	s_and_b32 s6, vcc_lo, s14
	v_cndmask_b32_e64 v16, 0, 1, s6
	;; [unrolled: 2-line block ×3, first 2 shown]
	s_and_b32 s6, vcc_lo, s17
	v_cmp_ne_u32_e32 vcc_lo, 0, v15
	v_cndmask_b32_e64 v40, 0, 1, s6
	v_cmp_ne_u32_e64 s6, 0, v16
	v_cmp_ne_u32_e64 s14, 0, v39
	v_mov_b32_e32 v15, v14
	s_bcnt1_i32_b32 s17, vcc_lo
	v_cmp_ne_u32_e64 s16, 0, v40
	s_bcnt1_i32_b32 s6, s6
	s_bcnt1_i32_b32 s14, s14
	v_add_nc_u32_e32 v1, s17, v1
	v_add_nc_u32_e32 v2, s6, v2
	s_bcnt1_i32_b32 s16, s16
	v_add_nc_u32_e32 v3, s14, v3
	v_add_nc_u32_e32 v4, s16, v4
	s_andn2_b32 exec_lo, exec_lo, s19
	s_cbranch_execz .LBB59_70
.LBB59_68:                              ;   Parent Loop BB59_6 Depth=1
                                        ; =>  This Inner Loop Header: Depth=2
	v_add_nc_u32_e32 v13, s52, v13
	v_mov_b32_e32 v14, 0
	s_mov_b32 s14, exec_lo
	v_cmp_le_u32_e32 vcc_lo, s36, v13
	v_cmpx_gt_u32_e64 s36, v13
	s_cbranch_execz .LBB59_67
; %bb.69:                               ;   in Loop: Header=BB59_68 Depth=2
	v_lshlrev_b64 v[39:40], 1, v[8:9]
	v_add_co_u32 v39, s6, s50, v39
	v_add_co_ci_u32_e64 v40, null, s51, v40, s6
	global_load_ushort v14, v[39:40], off
	s_branch .LBB59_67
.LBB59_70:                              ;   in Loop: Header=BB59_6 Depth=1
	s_or_b32 exec_lo, exec_lo, s19
.LBB59_71:                              ;   in Loop: Header=BB59_6 Depth=1
	s_or_b32 exec_lo, exec_lo, s18
	s_branch .LBB59_53
.LBB59_72:                              ;   in Loop: Header=BB59_6 Depth=1
	s_mul_hi_u32 s6, s88, s69
	v_mov_b32_e32 v1, 0
	s_mul_i32 s6, s6, s60
	v_mov_b32_e32 v2, 0
	s_sub_i32 s6, s88, s6
	v_mov_b32_e32 v3, 0
	s_sub_i32 s14, s6, s60
	s_cmp_ge_u32 s6, s60
	v_mov_b32_e32 v4, 0
	s_cselect_b32 s6, s14, s6
	s_mov_b32 s90, exec_lo
	s_sub_i32 s14, s6, s60
	s_cmp_ge_u32 s6, s60
	s_cselect_b32 s6, s14, s6
	s_sub_i32 s89, s88, s6
	v_cmpx_gt_u32_e64 s89, v19
	s_cbranch_execz .LBB59_76
; %bb.73:                               ;   in Loop: Header=BB59_6 Depth=1
	v_mov_b32_e32 v8, v33
	v_mov_b32_e32 v13, v19
	s_mov_b32 s91, 0
	s_mov_b32 s92, 0
	;; [unrolled: 1-line block ×5, first 2 shown]
.LBB59_74:                              ;   Parent Loop BB59_6 Depth=1
                                        ; =>  This Inner Loop Header: Depth=2
	ds_read_b64 v[1:2], v8
	v_add_nc_u32_e32 v13, s60, v13
	v_add_nc_u32_e32 v8, s74, v8
	v_cmp_le_u32_e32 vcc_lo, s89, v13
	s_waitcnt lgkmcnt(0)
	v_add_nc_u32_sdwa v3, sext(v1), v35 dst_sel:DWORD dst_unused:UNUSED_PAD src0_sel:WORD_0 src1_sel:DWORD
	v_add_nc_u32_sdwa v1, sext(v1), v35 dst_sel:DWORD dst_unused:UNUSED_PAD src0_sel:WORD_1 src1_sel:DWORD
	v_add_nc_u32_sdwa v4, sext(v2), v35 dst_sel:DWORD dst_unused:UNUSED_PAD src0_sel:WORD_0 src1_sel:DWORD
	v_add_nc_u32_sdwa v2, sext(v2), v35 dst_sel:DWORD dst_unused:UNUSED_PAD src0_sel:WORD_1 src1_sel:DWORD
	v_and_b32_e32 v14, v3, v36
	v_bfe_u32 v3, v3, s81, 2
	v_and_b32_e32 v15, v1, v36
	v_bfe_u32 v1, v1, s81, 2
	;; [unrolled: 2-line block ×3, first 2 shown]
	v_cmp_eq_u32_e64 s6, v14, v28
	v_cmp_eq_u32_e64 s18, 0, v3
	v_and_b32_e32 v39, v2, v36
	v_bfe_u32 v2, v2, s81, 2
	v_cmp_eq_u32_e64 s14, v15, v28
	v_cmp_eq_u32_e64 s19, 0, v1
	;; [unrolled: 1-line block ×4, first 2 shown]
	s_and_b32 s18, s6, s18
	v_cmp_eq_u32_e64 s17, v39, v28
	v_cmp_eq_u32_e64 s21, 0, v2
	;; [unrolled: 1-line block ×5, first 2 shown]
	v_cndmask_b32_e64 v1, 0, 1, s18
	s_and_b32 s18, s14, s19
	v_cmp_eq_u32_e64 s22, 1, v3
	v_cmp_eq_u32_e64 s25, 1, v2
	;; [unrolled: 1-line block ×4, first 2 shown]
	v_cndmask_b32_e64 v2, 0, 1, s18
	s_and_b32 s18, s16, s20
	v_cmp_eq_u32_e64 s26, 2, v3
	v_cmp_eq_u32_e64 s30, 3, v3
	v_cndmask_b32_e64 v3, 0, 1, s18
	s_and_b32 s18, s17, s21
	v_cmp_eq_u32_e64 s24, 1, v4
	v_cmp_eq_u32_e64 s28, 2, v4
	;; [unrolled: 1-line block ×3, first 2 shown]
	v_cndmask_b32_e64 v4, 0, 1, s18
	s_and_b32 s18, s6, s22
	v_cndmask_b32_e64 v14, 0, 1, s18
	s_and_b32 s18, s14, s23
	;; [unrolled: 2-line block ×4, first 2 shown]
	v_cmp_ne_u32_e64 s19, 0, v15
	v_cndmask_b32_e64 v39, 0, 1, s18
	s_and_b32 s18, s6, s26
	s_and_b32 s6, s6, s30
	v_cndmask_b32_e64 v40, 0, 1, s18
	s_and_b32 s18, s14, s27
	v_cndmask_b32_e64 v44, 0, 1, s6
	;; [unrolled: 2-line block ×7, first 2 shown]
	v_cndmask_b32_e64 v47, 0, 1, s6
	v_cmp_ne_u32_e64 s6, 0, v1
	v_cmp_ne_u32_e64 s18, 0, v14
	;; [unrolled: 1-line block ×11, first 2 shown]
	s_bcnt1_i32_b32 s6, s6
	s_bcnt1_i32_b32 s18, s18
	;; [unrolled: 1-line block ×4, first 2 shown]
	v_cmp_ne_u32_e64 s17, 0, v4
	v_cmp_ne_u32_e64 s21, 0, v39
	;; [unrolled: 1-line block ×4, first 2 shown]
	s_bcnt1_i32_b32 s14, s14
	s_bcnt1_i32_b32 s19, s19
	s_bcnt1_i32_b32 s23, s23
	s_bcnt1_i32_b32 s27, s27
	s_add_i32 s6, s6, s95
	s_add_i32 s18, s18, s94
	s_add_i32 s22, s22, s93
	s_add_i32 s26, s26, s92
	s_bcnt1_i32_b32 s16, s16
	s_bcnt1_i32_b32 s20, s20
	s_bcnt1_i32_b32 s24, s24
	s_bcnt1_i32_b32 s28, s28
	s_add_i32 s6, s6, s14
	s_add_i32 s14, s18, s19
	s_add_i32 s18, s22, s23
	s_add_i32 s19, s26, s27
	;; [unrolled: 8-line block ×3, first 2 shown]
	s_add_i32 s95, s6, s17
	s_add_i32 s94, s14, s21
	;; [unrolled: 1-line block ×4, first 2 shown]
	v_mov_b32_e32 v1, s95
	v_mov_b32_e32 v2, s94
	;; [unrolled: 1-line block ×4, first 2 shown]
	s_or_b32 s91, vcc_lo, s91
	s_andn2_b32 exec_lo, exec_lo, s91
	s_cbranch_execnz .LBB59_74
; %bb.75:                               ;   in Loop: Header=BB59_6 Depth=1
	s_or_b32 exec_lo, exec_lo, s91
.LBB59_76:                              ;   in Loop: Header=BB59_6 Depth=1
	s_or_b32 exec_lo, exec_lo, s90
	v_add_nc_u32_e32 v8, s89, v0
	s_mov_b32 s19, exec_lo
	v_cmpx_gt_u32_e64 s88, v8
	s_cbranch_execz .LBB59_80
; %bb.77:                               ;   in Loop: Header=BB59_6 Depth=1
	v_lshlrev_b32_e32 v13, 1, v8
	s_mov_b32 s20, 0
.LBB59_78:                              ;   Parent Loop BB59_6 Depth=1
                                        ; =>  This Inner Loop Header: Depth=2
	ds_read_i16 v14, v13
	v_add_nc_u32_e32 v8, s52, v8
	v_add_nc_u32_e32 v13, s75, v13
	v_cmp_le_u32_e32 vcc_lo, s88, v8
	s_waitcnt lgkmcnt(0)
	v_add_nc_u32_e32 v14, 0x8000, v14
	v_and_b32_e32 v15, v14, v36
	v_bfe_u32 v14, v14, s81, 2
	v_cmp_eq_u32_e64 s6, v15, v28
	v_cmp_eq_u32_e64 s14, 0, v14
	;; [unrolled: 1-line block ×5, first 2 shown]
	s_and_b32 s14, s6, s14
	v_cndmask_b32_e64 v14, 0, 1, s14
	s_and_b32 s14, s6, s16
	v_cndmask_b32_e64 v15, 0, 1, s14
	s_and_b32 s14, s6, s17
	s_and_b32 s6, s6, s18
	v_cndmask_b32_e64 v16, 0, 1, s14
	v_cndmask_b32_e64 v39, 0, 1, s6
	v_cmp_ne_u32_e64 s6, 0, v14
	v_cmp_ne_u32_e64 s14, 0, v15
	;; [unrolled: 1-line block ×4, first 2 shown]
	s_bcnt1_i32_b32 s6, s6
	s_bcnt1_i32_b32 s14, s14
	v_add_nc_u32_e32 v1, s6, v1
	s_bcnt1_i32_b32 s16, s16
	s_bcnt1_i32_b32 s17, s17
	v_add_nc_u32_e32 v2, s14, v2
	v_add_nc_u32_e32 v3, s16, v3
	;; [unrolled: 1-line block ×3, first 2 shown]
	s_or_b32 s20, vcc_lo, s20
	s_andn2_b32 exec_lo, exec_lo, s20
	s_cbranch_execnz .LBB59_78
; %bb.79:                               ;   in Loop: Header=BB59_6 Depth=1
	s_or_b32 exec_lo, exec_lo, s20
.LBB59_80:                              ;   in Loop: Header=BB59_6 Depth=1
	s_or_b32 exec_lo, exec_lo, s19
	s_lshl_b32 s6, s77, 7
	s_and_saveexec_b32 s14, s0
	s_cbranch_execnz .LBB59_54
	s_branch .LBB59_55
.LBB59_81:                              ;   in Loop: Header=BB59_6 Depth=1
	v_mov_b32_e32 v1, 0
	s_mov_b32 s16, 0
	s_andn2_b32 vcc_lo, exec_lo, s68
	s_cbranch_vccnz .LBB59_84
.LBB59_82:                              ;   in Loop: Header=BB59_6 Depth=1
	s_lshl_b32 s17, s77, 9
	s_lshl_b32 s16, s16, 4
	v_add3_u32 v2, s17, s16, v34
	s_mov_b32 s16, s66
.LBB59_83:                              ;   Parent Loop BB59_6 Depth=1
                                        ; =>  This Inner Loop Header: Depth=2
	ds_read_b32 v3, v2
	v_add_nc_u32_e32 v2, 16, v2
	s_add_i32 s16, s16, -1
	s_cmp_lg_u32 s16, 0
	s_waitcnt lgkmcnt(0)
	v_add_nc_u32_e32 v1, v3, v1
	s_cbranch_scc1 .LBB59_83
.LBB59_84:                              ;   in Loop: Header=BB59_6 Depth=1
	v_add_lshl_u32 v2, s6, v18, 2
	ds_write_b32 v2, v1 offset:3072
.LBB59_85:                              ;   in Loop: Header=BB59_6 Depth=1
	s_or_b32 exec_lo, exec_lo, s14
	s_lshl_b32 s6, s6, 2
	s_waitcnt lgkmcnt(0)
	v_mov_b32_e32 v1, s6
	s_barrier
	buffer_gl0_inv
	v_cmp_eq_u32_e64 s14, 1, v38
	s_lshl_b32 s18, 3, s81
	ds_read_b128 v[1:4], v1 offset:3072
	s_mov_b32 s27, -1
	s_not_b32 s19, s18
	s_mov_b32 s16, 0
	s_andn2_b32 vcc_lo, exec_lo, s59
	s_mov_b32 s24, 0
	s_mov_b32 s23, 0
                                        ; implicit-def: $sgpr25
                                        ; implicit-def: $sgpr26
                                        ; implicit-def: $vgpr8
	s_waitcnt lgkmcnt(0)
	v_readfirstlane_b32 s17, v1
	v_readfirstlane_b32 s20, v2
	;; [unrolled: 1-line block ×4, first 2 shown]
                                        ; implicit-def: $vgpr4
                                        ; implicit-def: $vgpr1
                                        ; implicit-def: $vgpr2
                                        ; implicit-def: $vgpr3
	s_cbranch_vccnz .LBB59_243
; %bb.86:                               ;   in Loop: Header=BB59_6 Depth=1
	s_cmp_eq_u32 s17, 1
	v_mov_b32_e32 v2, v28
	v_mov_b32_e32 v3, v36
	;; [unrolled: 1-line block ×3, first 2 shown]
	s_cselect_b32 s6, -1, 0
	s_mov_b32 s29, -1
	s_and_b32 s6, s6, s14
                                        ; implicit-def: $sgpr26
                                        ; implicit-def: $sgpr25
	s_and_saveexec_b32 s23, s6
	s_cbranch_execz .LBB59_112
; %bb.87:                               ;   in Loop: Header=BB59_6 Depth=1
	ds_read_b32 v1, v9 offset:4096
	s_waitcnt lgkmcnt(0)
	s_barrier
	buffer_gl0_inv
	v_readfirstlane_b32 s27, v1
	s_and_saveexec_b32 s24, s15
; %bb.88:                               ;   in Loop: Header=BB59_6 Depth=1
	ds_write_b16 v21, v9
; %bb.89:                               ;   in Loop: Header=BB59_6 Depth=1
	s_or_b32 exec_lo, exec_lo, s24
	v_and_b32_e32 v2, s19, v28
	v_or_b32_e32 v3, s18, v36
	s_mov_b32 s25, -1
	s_mov_b32 s26, 0
	s_cmp_eq_u32 s27, 0
	s_mov_b32 s24, 0
	s_mov_b32 s28, -1
	s_waitcnt lgkmcnt(0)
	s_barrier
	buffer_gl0_inv
                                        ; implicit-def: $vgpr8
	s_cbranch_scc1 .LBB59_100
; %bb.90:                               ;   in Loop: Header=BB59_6 Depth=1
	s_add_i32 s24, s27, s65
                                        ; implicit-def: $vgpr8
	s_mul_hi_u32 s28, s24, s71
	s_mul_i32 s28, s28, s52
	s_sub_i32 s28, s24, s28
	s_sub_i32 s29, s28, s52
	s_cmp_ge_u32 s28, s52
	s_cselect_b32 s28, s29, s28
	s_sub_i32 s29, s28, s52
	s_cmp_ge_u32 s28, s52
	s_cselect_b32 s28, s29, s28
	s_mov_b32 s29, exec_lo
	s_sub_i32 s30, s24, s28
	s_mov_b32 s28, 0
	s_mov_b32 s24, 0
	v_cmpx_gt_u32_e64 s30, v0
	s_cbranch_execz .LBB59_99
; %bb.91:                               ;   in Loop: Header=BB59_6 Depth=1
	v_mov_b32_e32 v1, v20
	v_mov_b32_e32 v4, v0
                                        ; implicit-def: $sgpr31
	s_inst_prefetch 0x1
	s_branch .LBB59_94
	.p2align	6
.LBB59_92:                              ;   in Loop: Header=BB59_94 Depth=2
	s_or_b32 exec_lo, exec_lo, s33
	s_waitcnt lgkmcnt(0)
	s_barrier
	buffer_gl0_inv
	ds_read_b32 v8, v9 offset:3072
	s_mov_b32 s33, -1
	s_waitcnt lgkmcnt(0)
	s_barrier
	buffer_gl0_inv
	v_cmp_ne_u32_sdwa s34, v8, v9 src0_sel:WORD_0 src1_sel:DWORD
	s_and_b32 vcc_lo, exec_lo, s34
	s_mov_b32 s34, -1
	s_cbranch_vccz .LBB59_97
.LBB59_93:                              ;   in Loop: Header=BB59_94 Depth=2
	s_and_b32 s33, exec_lo, s33
	s_or_b32 s24, s33, s24
	s_andn2_b32 s31, s31, exec_lo
	s_and_b32 s33, s34, exec_lo
	s_or_b32 s31, s31, s33
	s_andn2_b32 exec_lo, exec_lo, s24
	s_cbranch_execz .LBB59_98
.LBB59_94:                              ;   Parent Loop BB59_6 Depth=1
                                        ; =>  This Inner Loop Header: Depth=2
	s_mov_b32 s33, exec_lo
	v_cmpx_gt_u32_e64 s27, v4
	s_cbranch_execz .LBB59_92
; %bb.95:                               ;   in Loop: Header=BB59_94 Depth=2
	ds_read_u16 v8, v1
	s_waitcnt lgkmcnt(0)
	v_add_nc_u32_sdwa v13, sext(v8), v35 dst_sel:DWORD dst_unused:UNUSED_PAD src0_sel:WORD_0 src1_sel:DWORD
	v_and_b32_e32 v13, v13, v3
	v_cmp_eq_u32_e32 vcc_lo, v13, v2
	s_and_b32 exec_lo, exec_lo, vcc_lo
	s_cbranch_execz .LBB59_92
; %bb.96:                               ;   in Loop: Header=BB59_94 Depth=2
	v_perm_b32 v8, v8, 1, 0x5040100
	ds_write_b32 v9, v8 offset:3072
	s_branch .LBB59_92
.LBB59_97:                              ;   in Loop: Header=BB59_94 Depth=2
	v_add_nc_u32_e32 v4, s52, v4
	v_add_nc_u32_e32 v1, s75, v1
	s_mov_b32 s34, 0
	v_cmp_le_u32_e32 vcc_lo, s30, v4
	s_orn2_b32 s33, vcc_lo, exec_lo
	s_branch .LBB59_93
.LBB59_98:                              ;   in Loop: Header=BB59_6 Depth=1
	s_inst_prefetch 0x2
	s_or_b32 exec_lo, exec_lo, s24
	v_lshrrev_b32_e32 v8, 16, v8
	s_and_b32 s24, s31, exec_lo
.LBB59_99:                              ;   in Loop: Header=BB59_6 Depth=1
	s_or_b32 exec_lo, exec_lo, s29
.LBB59_100:                             ;   in Loop: Header=BB59_6 Depth=1
	s_and_b32 vcc_lo, exec_lo, s28
	s_cbranch_vccz .LBB59_111
; %bb.101:                              ;   in Loop: Header=BB59_6 Depth=1
                                        ; implicit-def: $vgpr8
	s_and_saveexec_b32 s25, s13
	s_cbranch_execz .LBB59_110
; %bb.102:                              ;   in Loop: Header=BB59_6 Depth=1
	v_mov_b32_e32 v8, v7
	v_mov_b32_e32 v1, v0
	s_mov_b32 s26, 0
                                        ; implicit-def: $sgpr27
	s_inst_prefetch 0x1
	s_branch .LBB59_105
	.p2align	6
.LBB59_103:                             ;   in Loop: Header=BB59_105 Depth=2
	s_or_b32 exec_lo, exec_lo, s28
	s_waitcnt lgkmcnt(0)
	s_barrier
	buffer_gl0_inv
	ds_read_b32 v4, v9 offset:3072
	s_mov_b32 s28, -1
	s_waitcnt lgkmcnt(0)
	s_barrier
	buffer_gl0_inv
	v_cmp_ne_u32_sdwa s29, v4, v9 src0_sel:WORD_0 src1_sel:DWORD
	s_and_b32 vcc_lo, exec_lo, s29
	s_mov_b32 s29, -1
	s_cbranch_vccz .LBB59_108
.LBB59_104:                             ;   in Loop: Header=BB59_105 Depth=2
	s_and_b32 s28, exec_lo, s28
	s_or_b32 s26, s28, s26
	s_andn2_b32 s27, s27, exec_lo
	s_and_b32 s28, s29, exec_lo
	s_or_b32 s27, s27, s28
	s_andn2_b32 exec_lo, exec_lo, s26
	s_cbranch_execz .LBB59_109
.LBB59_105:                             ;   Parent Loop BB59_6 Depth=1
                                        ; =>  This Inner Loop Header: Depth=2
	s_mov_b32 s28, exec_lo
	v_cmpx_gt_u32_e64 s36, v1
	s_cbranch_execz .LBB59_103
; %bb.106:                              ;   in Loop: Header=BB59_105 Depth=2
	v_lshlrev_b64 v[13:14], 1, v[8:9]
	v_add_co_u32 v13, vcc_lo, s50, v13
	v_add_co_ci_u32_e64 v14, null, s51, v14, vcc_lo
	global_load_ushort v4, v[13:14], off
	s_waitcnt vmcnt(0)
	v_add_nc_u32_sdwa v13, sext(v4), v35 dst_sel:DWORD dst_unused:UNUSED_PAD src0_sel:WORD_0 src1_sel:DWORD
	v_and_b32_e32 v13, v13, v3
	v_cmp_eq_u32_e32 vcc_lo, v13, v2
	s_and_b32 exec_lo, exec_lo, vcc_lo
	s_cbranch_execz .LBB59_103
; %bb.107:                              ;   in Loop: Header=BB59_105 Depth=2
	v_perm_b32 v4, v4, 1, 0x5040100
	ds_write_b32 v9, v4 offset:3072
	s_branch .LBB59_103
.LBB59_108:                             ;   in Loop: Header=BB59_105 Depth=2
	v_add_nc_u32_e32 v1, s52, v1
	v_add_nc_u32_e32 v8, s53, v8
	s_mov_b32 s29, 0
	v_cmp_le_u32_e32 vcc_lo, s72, v1
	s_orn2_b32 s28, vcc_lo, exec_lo
	s_branch .LBB59_104
.LBB59_109:                             ;   in Loop: Header=BB59_6 Depth=1
	s_inst_prefetch 0x2
	s_or_b32 exec_lo, exec_lo, s26
	v_lshrrev_b32_e32 v8, 16, v4
	s_andn2_b32 s24, s24, exec_lo
	s_and_b32 s26, s27, exec_lo
	s_or_b32 s24, s24, s26
.LBB59_110:                             ;   in Loop: Header=BB59_6 Depth=1
	s_or_b32 exec_lo, exec_lo, s25
	s_mov_b32 s25, 0
	s_mov_b32 s26, -1
.LBB59_111:                             ;   in Loop: Header=BB59_6 Depth=1
	s_orn2_b32 s29, s24, exec_lo
.LBB59_112:                             ;   in Loop: Header=BB59_6 Depth=1
	s_or_b32 exec_lo, exec_lo, s23
	s_mov_b32 s27, 0
	s_mov_b32 s24, 0
	;; [unrolled: 1-line block ×3, first 2 shown]
                                        ; implicit-def: $vgpr4
                                        ; implicit-def: $vgpr1
	s_and_saveexec_b32 s28, s29
	s_cbranch_execz .LBB59_242
; %bb.113:                              ;   in Loop: Header=BB59_6 Depth=1
	v_mov_b32_e32 v4, 1
	v_mov_b32_e32 v1, 1
	s_xor_b32 s23, s6, -1
	s_mov_b32 s30, 0
	s_and_saveexec_b32 s6, s23
	s_cbranch_execz .LBB59_122
; %bb.114:                              ;   in Loop: Header=BB59_6 Depth=1
	s_mov_b32 s23, exec_lo
	v_cmpx_ge_u32_e64 s17, v38
	s_xor_b32 s23, exec_lo, s23
	s_cbranch_execz .LBB59_119
; %bb.115:                              ;   in Loop: Header=BB59_6 Depth=1
	ds_read_b32 v1, v9 offset:4096
	v_and_b32_e32 v2, s19, v2
	v_or_b32_e32 v3, s18, v3
	s_waitcnt lgkmcnt(0)
	v_cmp_ne_u32_e32 vcc_lo, 0, v1
	s_cbranch_vccnz .LBB59_119
; %bb.116:                              ;   in Loop: Header=BB59_6 Depth=1
	s_and_saveexec_b32 s24, s3
; %bb.117:                              ;   in Loop: Header=BB59_6 Depth=1
	v_mov_b32_e32 v1, s17
	ds_write_b32 v9, v1 offset:4100
; %bb.118:                              ;   in Loop: Header=BB59_6 Depth=1
	s_or_b32 exec_lo, exec_lo, s24
	s_waitcnt lgkmcnt(0)
	s_barrier
	buffer_gl0_inv
.LBB59_119:                             ;   in Loop: Header=BB59_6 Depth=1
	s_or_saveexec_b32 s23, s23
	v_mov_b32_e32 v1, 8
	v_mov_b32_e32 v4, v38
	s_mov_b32 s24, 0
	s_xor_b32 exec_lo, exec_lo, s23
; %bb.120:                              ;   in Loop: Header=BB59_6 Depth=1
	v_subrev_nc_u32_e32 v4, s17, v38
	v_mov_b32_e32 v1, 0
	s_mov_b32 s24, exec_lo
; %bb.121:                              ;   in Loop: Header=BB59_6 Depth=1
	s_or_b32 exec_lo, exec_lo, s23
	s_and_b32 s30, s24, exec_lo
.LBB59_122:                             ;   in Loop: Header=BB59_6 Depth=1
	s_or_b32 exec_lo, exec_lo, s6
	s_mov_b32 s29, -1
                                        ; implicit-def: $sgpr23
                                        ; implicit-def: $sgpr24
	s_and_saveexec_b32 s6, s30
	s_xor_b32 s6, exec_lo, s6
	s_cbranch_execz .LBB59_239
; %bb.123:                              ;   in Loop: Header=BB59_6 Depth=1
	v_cmp_eq_u32_e32 vcc_lo, 1, v4
	s_cmp_eq_u32 s20, 1
	s_mov_b32 s31, -1
	s_cselect_b32 s23, -1, 0
                                        ; implicit-def: $sgpr24
	s_and_b32 s30, s23, vcc_lo
                                        ; implicit-def: $sgpr23
	s_and_saveexec_b32 s29, s30
	s_cbranch_execz .LBB59_149
; %bb.124:                              ;   in Loop: Header=BB59_6 Depth=1
	ds_read_b32 v8, v9 offset:4096
	s_waitcnt lgkmcnt(0)
	s_barrier
	buffer_gl0_inv
	v_readfirstlane_b32 s33, v8
	s_and_saveexec_b32 s23, s15
; %bb.125:                              ;   in Loop: Header=BB59_6 Depth=1
	ds_write_b16 v21, v9
; %bb.126:                              ;   in Loop: Header=BB59_6 Depth=1
	s_or_b32 exec_lo, exec_lo, s23
	s_lshl_b32 s23, 1, s81
	v_or_b32_e32 v3, s18, v3
	v_and_or_b32 v2, v2, s19, s23
	s_mov_b32 s23, -1
	s_mov_b32 s24, 0
	s_cmp_eq_u32 s33, 0
	s_mov_b32 s31, 0
	s_mov_b32 s34, -1
	s_waitcnt lgkmcnt(0)
	s_barrier
	buffer_gl0_inv
                                        ; implicit-def: $vgpr8
	s_cbranch_scc1 .LBB59_137
; %bb.127:                              ;   in Loop: Header=BB59_6 Depth=1
	s_add_i32 s31, s33, s65
                                        ; implicit-def: $vgpr8
	s_mul_hi_u32 s34, s31, s71
	s_mul_i32 s34, s34, s52
	s_sub_i32 s34, s31, s34
	s_sub_i32 s88, s34, s52
	s_cmp_ge_u32 s34, s52
	s_cselect_b32 s34, s88, s34
	s_sub_i32 s88, s34, s52
	s_cmp_ge_u32 s34, s52
	s_cselect_b32 s34, s88, s34
	s_mov_b32 s88, exec_lo
	s_sub_i32 s89, s31, s34
	s_mov_b32 s34, 0
	s_mov_b32 s31, 0
	v_cmpx_gt_u32_e64 s89, v0
	s_cbranch_execz .LBB59_136
; %bb.128:                              ;   in Loop: Header=BB59_6 Depth=1
	v_mov_b32_e32 v8, v20
	v_mov_b32_e32 v13, v0
                                        ; implicit-def: $sgpr90
	s_inst_prefetch 0x1
	s_branch .LBB59_131
	.p2align	6
.LBB59_129:                             ;   in Loop: Header=BB59_131 Depth=2
	s_or_b32 exec_lo, exec_lo, s91
	s_waitcnt lgkmcnt(0)
	s_barrier
	buffer_gl0_inv
	ds_read_b32 v14, v9 offset:3072
	s_mov_b32 s91, -1
	s_waitcnt lgkmcnt(0)
	s_barrier
	buffer_gl0_inv
	v_cmp_ne_u32_sdwa s92, v14, v9 src0_sel:WORD_0 src1_sel:DWORD
	s_and_b32 vcc_lo, exec_lo, s92
	s_mov_b32 s92, -1
	s_cbranch_vccz .LBB59_134
.LBB59_130:                             ;   in Loop: Header=BB59_131 Depth=2
	s_and_b32 s91, exec_lo, s91
	s_or_b32 s31, s91, s31
	s_andn2_b32 s90, s90, exec_lo
	s_and_b32 s91, s92, exec_lo
	s_or_b32 s90, s90, s91
	s_andn2_b32 exec_lo, exec_lo, s31
	s_cbranch_execz .LBB59_135
.LBB59_131:                             ;   Parent Loop BB59_6 Depth=1
                                        ; =>  This Inner Loop Header: Depth=2
	s_mov_b32 s91, exec_lo
	v_cmpx_gt_u32_e64 s33, v13
	s_cbranch_execz .LBB59_129
; %bb.132:                              ;   in Loop: Header=BB59_131 Depth=2
	ds_read_u16 v14, v8
	s_waitcnt lgkmcnt(0)
	v_add_nc_u32_sdwa v15, sext(v14), v35 dst_sel:DWORD dst_unused:UNUSED_PAD src0_sel:WORD_0 src1_sel:DWORD
	v_and_b32_e32 v15, v15, v3
	v_cmp_eq_u32_e32 vcc_lo, v15, v2
	s_and_b32 exec_lo, exec_lo, vcc_lo
	s_cbranch_execz .LBB59_129
; %bb.133:                              ;   in Loop: Header=BB59_131 Depth=2
	v_perm_b32 v14, v14, 1, 0x5040100
	ds_write_b32 v9, v14 offset:3072
	s_branch .LBB59_129
.LBB59_134:                             ;   in Loop: Header=BB59_131 Depth=2
	v_add_nc_u32_e32 v13, s52, v13
	v_add_nc_u32_e32 v8, s75, v8
	s_mov_b32 s92, 0
	v_cmp_le_u32_e32 vcc_lo, s89, v13
	s_orn2_b32 s91, vcc_lo, exec_lo
	s_branch .LBB59_130
.LBB59_135:                             ;   in Loop: Header=BB59_6 Depth=1
	s_inst_prefetch 0x2
	s_or_b32 exec_lo, exec_lo, s31
	v_lshrrev_b32_e32 v8, 16, v14
	s_and_b32 s31, s90, exec_lo
.LBB59_136:                             ;   in Loop: Header=BB59_6 Depth=1
	s_or_b32 exec_lo, exec_lo, s88
.LBB59_137:                             ;   in Loop: Header=BB59_6 Depth=1
	s_and_b32 vcc_lo, exec_lo, s34
	s_cbranch_vccz .LBB59_148
; %bb.138:                              ;   in Loop: Header=BB59_6 Depth=1
                                        ; implicit-def: $vgpr8
	s_and_saveexec_b32 s23, s13
	s_cbranch_execz .LBB59_147
; %bb.139:                              ;   in Loop: Header=BB59_6 Depth=1
	v_mov_b32_e32 v8, v7
	v_mov_b32_e32 v13, v0
	s_mov_b32 s24, 0
                                        ; implicit-def: $sgpr33
	s_inst_prefetch 0x1
	s_branch .LBB59_142
	.p2align	6
.LBB59_140:                             ;   in Loop: Header=BB59_142 Depth=2
	s_or_b32 exec_lo, exec_lo, s34
	s_waitcnt lgkmcnt(0)
	s_barrier
	buffer_gl0_inv
	ds_read_b32 v14, v9 offset:3072
	s_mov_b32 s34, -1
	s_waitcnt lgkmcnt(0)
	s_barrier
	buffer_gl0_inv
	v_cmp_eq_u32_sdwa s88, v14, v9 src0_sel:WORD_0 src1_sel:DWORD
	s_and_b32 vcc_lo, exec_lo, s88
	s_mov_b32 s88, -1
	s_cbranch_vccnz .LBB59_145
.LBB59_141:                             ;   in Loop: Header=BB59_142 Depth=2
	s_and_b32 s34, exec_lo, s34
	s_or_b32 s24, s34, s24
	s_andn2_b32 s33, s33, exec_lo
	s_and_b32 s34, s88, exec_lo
	s_or_b32 s33, s33, s34
	s_andn2_b32 exec_lo, exec_lo, s24
	s_cbranch_execz .LBB59_146
.LBB59_142:                             ;   Parent Loop BB59_6 Depth=1
                                        ; =>  This Inner Loop Header: Depth=2
	s_mov_b32 s34, exec_lo
	v_cmpx_gt_u32_e64 s36, v13
	s_cbranch_execz .LBB59_140
; %bb.143:                              ;   in Loop: Header=BB59_142 Depth=2
	v_lshlrev_b64 v[14:15], 1, v[8:9]
	v_add_co_u32 v14, vcc_lo, s50, v14
	v_add_co_ci_u32_e64 v15, null, s51, v15, vcc_lo
	global_load_ushort v14, v[14:15], off
	s_waitcnt vmcnt(0)
	v_add_nc_u32_sdwa v15, sext(v14), v35 dst_sel:DWORD dst_unused:UNUSED_PAD src0_sel:WORD_0 src1_sel:DWORD
	v_and_b32_e32 v15, v15, v3
	v_cmp_eq_u32_e32 vcc_lo, v15, v2
	s_and_b32 exec_lo, exec_lo, vcc_lo
	s_cbranch_execz .LBB59_140
; %bb.144:                              ;   in Loop: Header=BB59_142 Depth=2
	v_perm_b32 v14, v14, 1, 0x5040100
	ds_write_b32 v9, v14 offset:3072
	s_branch .LBB59_140
.LBB59_145:                             ;   in Loop: Header=BB59_142 Depth=2
	v_add_nc_u32_e32 v13, s52, v13
	v_add_nc_u32_e32 v8, s53, v8
	s_mov_b32 s88, 0
	v_cmp_le_u32_e32 vcc_lo, s72, v13
	s_orn2_b32 s34, vcc_lo, exec_lo
	s_branch .LBB59_141
.LBB59_146:                             ;   in Loop: Header=BB59_6 Depth=1
	s_inst_prefetch 0x2
	s_or_b32 exec_lo, exec_lo, s24
	v_lshrrev_b32_e32 v8, 16, v14
	s_andn2_b32 s24, s31, exec_lo
	s_and_b32 s31, s33, exec_lo
	s_or_b32 s31, s24, s31
.LBB59_147:                             ;   in Loop: Header=BB59_6 Depth=1
	s_or_b32 exec_lo, exec_lo, s23
	s_mov_b32 s23, 0
	s_mov_b32 s24, -1
.LBB59_148:                             ;   in Loop: Header=BB59_6 Depth=1
	s_orn2_b32 s31, s31, exec_lo
.LBB59_149:                             ;   in Loop: Header=BB59_6 Depth=1
	s_or_b32 exec_lo, exec_lo, s29
	s_mov_b32 s33, 0
	s_and_saveexec_b32 s29, s31
	s_cbranch_execz .LBB59_238
; %bb.150:                              ;   in Loop: Header=BB59_6 Depth=1
	v_mov_b32_e32 v13, 1
	v_mov_b32_e32 v1, 1
	s_xor_b32 s31, s30, -1
	s_mov_b32 s88, 0
	s_and_saveexec_b32 s30, s31
	s_cbranch_execz .LBB59_159
; %bb.151:                              ;   in Loop: Header=BB59_6 Depth=1
	s_mov_b32 s31, exec_lo
	v_cmpx_ge_u32_e64 s20, v4
	s_xor_b32 s31, exec_lo, s31
	s_cbranch_execz .LBB59_156
; %bb.152:                              ;   in Loop: Header=BB59_6 Depth=1
	ds_read_b32 v1, v9 offset:4096
	s_lshl_b32 s33, 1, s81
	v_or_b32_e32 v3, s18, v3
	v_and_or_b32 v2, v2, s19, s33
	s_waitcnt lgkmcnt(0)
	v_cmp_ne_u32_e32 vcc_lo, 0, v1
	s_cbranch_vccnz .LBB59_156
; %bb.153:                              ;   in Loop: Header=BB59_6 Depth=1
	s_and_saveexec_b32 s33, s3
; %bb.154:                              ;   in Loop: Header=BB59_6 Depth=1
	v_mov_b32_e32 v1, s20
	ds_write_b32 v9, v1 offset:4100
; %bb.155:                              ;   in Loop: Header=BB59_6 Depth=1
	s_or_b32 exec_lo, exec_lo, s33
	s_waitcnt lgkmcnt(0)
	s_barrier
	buffer_gl0_inv
.LBB59_156:                             ;   in Loop: Header=BB59_6 Depth=1
	s_or_saveexec_b32 s31, s31
	v_mov_b32_e32 v1, 8
	s_mov_b32 s33, 0
	s_xor_b32 exec_lo, exec_lo, s31
; %bb.157:                              ;   in Loop: Header=BB59_6 Depth=1
	v_subrev_nc_u32_e32 v4, s20, v4
	v_mov_b32_e32 v1, 0
	s_mov_b32 s33, exec_lo
; %bb.158:                              ;   in Loop: Header=BB59_6 Depth=1
	s_or_b32 exec_lo, exec_lo, s31
	v_mov_b32_e32 v13, v4
	s_and_b32 s88, s33, exec_lo
.LBB59_159:                             ;   in Loop: Header=BB59_6 Depth=1
	s_or_b32 exec_lo, exec_lo, s30
	s_mov_b32 s34, -1
                                        ; implicit-def: $sgpr31
                                        ; implicit-def: $sgpr33
	s_and_saveexec_b32 s30, s88
	s_cbranch_execz .LBB59_237
; %bb.160:                              ;   in Loop: Header=BB59_6 Depth=1
	v_cmp_eq_u32_e32 vcc_lo, 1, v13
	s_cmp_eq_u32 s21, 1
	s_mov_b32 s89, -1
	s_cselect_b32 s31, -1, 0
                                        ; implicit-def: $sgpr33
	s_and_b32 s88, s31, vcc_lo
                                        ; implicit-def: $sgpr31
	s_and_saveexec_b32 s34, s88
	s_cbranch_execz .LBB59_186
; %bb.161:                              ;   in Loop: Header=BB59_6 Depth=1
	ds_read_b32 v4, v9 offset:4096
	s_waitcnt lgkmcnt(0)
	s_barrier
	buffer_gl0_inv
	v_readfirstlane_b32 s90, v4
	s_and_saveexec_b32 s31, s15
; %bb.162:                              ;   in Loop: Header=BB59_6 Depth=1
	ds_write_b16 v21, v9
; %bb.163:                              ;   in Loop: Header=BB59_6 Depth=1
	s_or_b32 exec_lo, exec_lo, s31
	s_lshl_b32 s31, 2, s81
	v_or_b32_e32 v3, s18, v3
	v_and_or_b32 v2, v2, s19, s31
	s_mov_b32 s31, -1
	s_mov_b32 s33, 0
	s_cmp_eq_u32 s90, 0
	s_mov_b32 s89, 0
	s_mov_b32 s91, -1
	s_waitcnt lgkmcnt(0)
	s_barrier
	buffer_gl0_inv
                                        ; implicit-def: $vgpr8
	s_cbranch_scc1 .LBB59_174
; %bb.164:                              ;   in Loop: Header=BB59_6 Depth=1
	s_add_i32 s89, s90, s65
                                        ; implicit-def: $vgpr8
	s_mul_hi_u32 s91, s89, s71
	s_mul_i32 s91, s91, s52
	s_sub_i32 s91, s89, s91
	s_sub_i32 s92, s91, s52
	s_cmp_ge_u32 s91, s52
	s_cselect_b32 s91, s92, s91
	s_sub_i32 s92, s91, s52
	s_cmp_ge_u32 s91, s52
	s_cselect_b32 s91, s92, s91
	s_mov_b32 s92, exec_lo
	s_sub_i32 s93, s89, s91
	s_mov_b32 s91, 0
	s_mov_b32 s89, 0
	v_cmpx_gt_u32_e64 s93, v0
	s_cbranch_execz .LBB59_173
; %bb.165:                              ;   in Loop: Header=BB59_6 Depth=1
	v_mov_b32_e32 v4, v20
	v_mov_b32_e32 v8, v0
                                        ; implicit-def: $sgpr94
	s_inst_prefetch 0x1
	s_branch .LBB59_168
	.p2align	6
.LBB59_166:                             ;   in Loop: Header=BB59_168 Depth=2
	s_or_b32 exec_lo, exec_lo, s95
	s_waitcnt lgkmcnt(0)
	s_barrier
	buffer_gl0_inv
	ds_read_b32 v14, v9 offset:3072
	s_mov_b32 s95, -1
	s_waitcnt lgkmcnt(0)
	s_barrier
	buffer_gl0_inv
	v_cmp_ne_u32_sdwa s96, v14, v9 src0_sel:WORD_0 src1_sel:DWORD
	s_and_b32 vcc_lo, exec_lo, s96
	s_mov_b32 s96, -1
	s_cbranch_vccz .LBB59_171
.LBB59_167:                             ;   in Loop: Header=BB59_168 Depth=2
	s_and_b32 s95, exec_lo, s95
	s_or_b32 s89, s95, s89
	s_andn2_b32 s94, s94, exec_lo
	s_and_b32 s95, s96, exec_lo
	s_or_b32 s94, s94, s95
	s_andn2_b32 exec_lo, exec_lo, s89
	s_cbranch_execz .LBB59_172
.LBB59_168:                             ;   Parent Loop BB59_6 Depth=1
                                        ; =>  This Inner Loop Header: Depth=2
	s_mov_b32 s95, exec_lo
	v_cmpx_gt_u32_e64 s90, v8
	s_cbranch_execz .LBB59_166
; %bb.169:                              ;   in Loop: Header=BB59_168 Depth=2
	ds_read_u16 v14, v4
	s_waitcnt lgkmcnt(0)
	v_add_nc_u32_sdwa v15, sext(v14), v35 dst_sel:DWORD dst_unused:UNUSED_PAD src0_sel:WORD_0 src1_sel:DWORD
	v_and_b32_e32 v15, v15, v3
	v_cmp_eq_u32_e32 vcc_lo, v15, v2
	s_and_b32 exec_lo, exec_lo, vcc_lo
	s_cbranch_execz .LBB59_166
; %bb.170:                              ;   in Loop: Header=BB59_168 Depth=2
	v_perm_b32 v14, v14, 1, 0x5040100
	ds_write_b32 v9, v14 offset:3072
	s_branch .LBB59_166
.LBB59_171:                             ;   in Loop: Header=BB59_168 Depth=2
	v_add_nc_u32_e32 v8, s52, v8
	v_add_nc_u32_e32 v4, s75, v4
	s_mov_b32 s96, 0
	v_cmp_le_u32_e32 vcc_lo, s93, v8
	s_orn2_b32 s95, vcc_lo, exec_lo
	s_branch .LBB59_167
.LBB59_172:                             ;   in Loop: Header=BB59_6 Depth=1
	s_inst_prefetch 0x2
	s_or_b32 exec_lo, exec_lo, s89
	v_lshrrev_b32_e32 v8, 16, v14
	s_and_b32 s89, s94, exec_lo
.LBB59_173:                             ;   in Loop: Header=BB59_6 Depth=1
	s_or_b32 exec_lo, exec_lo, s92
.LBB59_174:                             ;   in Loop: Header=BB59_6 Depth=1
	s_and_b32 vcc_lo, exec_lo, s91
	s_cbranch_vccz .LBB59_185
; %bb.175:                              ;   in Loop: Header=BB59_6 Depth=1
                                        ; implicit-def: $vgpr8
	s_and_saveexec_b32 s31, s13
	s_cbranch_execz .LBB59_184
; %bb.176:                              ;   in Loop: Header=BB59_6 Depth=1
	v_mov_b32_e32 v8, v7
	v_mov_b32_e32 v4, v0
	s_mov_b32 s33, 0
                                        ; implicit-def: $sgpr90
	s_inst_prefetch 0x1
	s_branch .LBB59_179
	.p2align	6
.LBB59_177:                             ;   in Loop: Header=BB59_179 Depth=2
	s_or_b32 exec_lo, exec_lo, s91
	s_waitcnt lgkmcnt(0)
	s_barrier
	buffer_gl0_inv
	ds_read_b32 v14, v9 offset:3072
	s_mov_b32 s91, -1
	s_waitcnt lgkmcnt(0)
	s_barrier
	buffer_gl0_inv
	v_cmp_eq_u32_sdwa s92, v14, v9 src0_sel:WORD_0 src1_sel:DWORD
	s_and_b32 vcc_lo, exec_lo, s92
	s_mov_b32 s92, -1
	s_cbranch_vccnz .LBB59_182
.LBB59_178:                             ;   in Loop: Header=BB59_179 Depth=2
	s_and_b32 s91, exec_lo, s91
	s_or_b32 s33, s91, s33
	s_andn2_b32 s90, s90, exec_lo
	s_and_b32 s91, s92, exec_lo
	s_or_b32 s90, s90, s91
	s_andn2_b32 exec_lo, exec_lo, s33
	s_cbranch_execz .LBB59_183
.LBB59_179:                             ;   Parent Loop BB59_6 Depth=1
                                        ; =>  This Inner Loop Header: Depth=2
	s_mov_b32 s91, exec_lo
	v_cmpx_gt_u32_e64 s36, v4
	s_cbranch_execz .LBB59_177
; %bb.180:                              ;   in Loop: Header=BB59_179 Depth=2
	v_lshlrev_b64 v[14:15], 1, v[8:9]
	v_add_co_u32 v14, vcc_lo, s50, v14
	v_add_co_ci_u32_e64 v15, null, s51, v15, vcc_lo
	global_load_ushort v14, v[14:15], off
	s_waitcnt vmcnt(0)
	v_add_nc_u32_sdwa v15, sext(v14), v35 dst_sel:DWORD dst_unused:UNUSED_PAD src0_sel:WORD_0 src1_sel:DWORD
	v_and_b32_e32 v15, v15, v3
	v_cmp_eq_u32_e32 vcc_lo, v15, v2
	s_and_b32 exec_lo, exec_lo, vcc_lo
	s_cbranch_execz .LBB59_177
; %bb.181:                              ;   in Loop: Header=BB59_179 Depth=2
	v_perm_b32 v14, v14, 1, 0x5040100
	ds_write_b32 v9, v14 offset:3072
	s_branch .LBB59_177
.LBB59_182:                             ;   in Loop: Header=BB59_179 Depth=2
	v_add_nc_u32_e32 v4, s52, v4
	v_add_nc_u32_e32 v8, s53, v8
	s_mov_b32 s92, 0
	v_cmp_le_u32_e32 vcc_lo, s72, v4
	s_orn2_b32 s91, vcc_lo, exec_lo
	s_branch .LBB59_178
.LBB59_183:                             ;   in Loop: Header=BB59_6 Depth=1
	s_inst_prefetch 0x2
	s_or_b32 exec_lo, exec_lo, s33
	v_lshrrev_b32_e32 v8, 16, v14
	s_andn2_b32 s33, s89, exec_lo
	s_and_b32 s89, s90, exec_lo
	s_or_b32 s89, s33, s89
.LBB59_184:                             ;   in Loop: Header=BB59_6 Depth=1
	s_or_b32 exec_lo, exec_lo, s31
	s_mov_b32 s31, 0
	s_mov_b32 s33, -1
.LBB59_185:                             ;   in Loop: Header=BB59_6 Depth=1
	s_orn2_b32 s89, s89, exec_lo
.LBB59_186:                             ;   in Loop: Header=BB59_6 Depth=1
	s_or_b32 exec_lo, exec_lo, s34
	s_mov_b32 s90, 0
	s_and_saveexec_b32 s34, s89
	s_cbranch_execz .LBB59_236
; %bb.187:                              ;   in Loop: Header=BB59_6 Depth=1
	v_mov_b32_e32 v4, 1
	v_mov_b32_e32 v1, 1
	s_xor_b32 s89, s88, -1
	s_mov_b32 s92, 0
	s_and_saveexec_b32 s88, s89
	s_cbranch_execz .LBB59_196
; %bb.188:                              ;   in Loop: Header=BB59_6 Depth=1
	s_mov_b32 s89, exec_lo
	v_cmpx_ge_u32_e64 s21, v13
	s_xor_b32 s89, exec_lo, s89
	s_cbranch_execz .LBB59_193
; %bb.189:                              ;   in Loop: Header=BB59_6 Depth=1
	ds_read_b32 v1, v9 offset:4096
	s_lshl_b32 s90, 2, s81
	v_or_b32_e32 v3, s18, v3
	v_and_or_b32 v2, v2, s19, s90
	s_waitcnt lgkmcnt(0)
	v_cmp_ne_u32_e32 vcc_lo, 0, v1
	s_cbranch_vccnz .LBB59_193
; %bb.190:                              ;   in Loop: Header=BB59_6 Depth=1
	s_and_saveexec_b32 s90, s3
; %bb.191:                              ;   in Loop: Header=BB59_6 Depth=1
	v_mov_b32_e32 v1, s21
	ds_write_b32 v9, v1 offset:4100
; %bb.192:                              ;   in Loop: Header=BB59_6 Depth=1
	s_or_b32 exec_lo, exec_lo, s90
	s_waitcnt lgkmcnt(0)
	s_barrier
	buffer_gl0_inv
.LBB59_193:                             ;   in Loop: Header=BB59_6 Depth=1
	s_or_saveexec_b32 s89, s89
	v_mov_b32_e32 v1, 8
	s_mov_b32 s90, 0
	s_xor_b32 exec_lo, exec_lo, s89
; %bb.194:                              ;   in Loop: Header=BB59_6 Depth=1
	v_subrev_nc_u32_e32 v13, s21, v13
	v_mov_b32_e32 v1, 0
	s_mov_b32 s90, exec_lo
; %bb.195:                              ;   in Loop: Header=BB59_6 Depth=1
	s_or_b32 exec_lo, exec_lo, s89
	v_mov_b32_e32 v4, v13
	s_and_b32 s92, s90, exec_lo
.LBB59_196:                             ;   in Loop: Header=BB59_6 Depth=1
	s_or_b32 exec_lo, exec_lo, s88
	s_mov_b32 s89, -1
                                        ; implicit-def: $sgpr91
                                        ; implicit-def: $sgpr90
	s_and_saveexec_b32 s88, s92
	s_cbranch_execz .LBB59_235
; %bb.197:                              ;   in Loop: Header=BB59_6 Depth=1
	v_cmp_eq_u32_e32 vcc_lo, 1, v4
	s_cmp_eq_u32 s22, 1
	s_mov_b32 s93, -1
	s_cselect_b32 s89, -1, 0
                                        ; implicit-def: $sgpr91
                                        ; implicit-def: $sgpr90
	s_and_b32 s89, s89, vcc_lo
	s_and_saveexec_b32 s92, s89
	s_cbranch_execz .LBB59_223
; %bb.198:                              ;   in Loop: Header=BB59_6 Depth=1
	ds_read_b32 v8, v9 offset:4096
	s_waitcnt lgkmcnt(0)
	s_barrier
	buffer_gl0_inv
	v_readfirstlane_b32 s94, v8
	s_and_saveexec_b32 s90, s15
; %bb.199:                              ;   in Loop: Header=BB59_6 Depth=1
	ds_write_b16 v21, v9
; %bb.200:                              ;   in Loop: Header=BB59_6 Depth=1
	s_or_b32 exec_lo, exec_lo, s90
	v_or_b32_e32 v2, s18, v2
	v_or_b32_e32 v3, s18, v3
	s_mov_b32 s90, -1
	s_mov_b32 s91, 0
	s_cmp_eq_u32 s94, 0
	s_mov_b32 s93, 0
	s_mov_b32 s95, -1
	s_waitcnt lgkmcnt(0)
	s_barrier
	buffer_gl0_inv
                                        ; implicit-def: $vgpr8
	s_cbranch_scc1 .LBB59_211
; %bb.201:                              ;   in Loop: Header=BB59_6 Depth=1
	s_add_i32 s93, s94, s65
                                        ; implicit-def: $vgpr8
	s_mul_hi_u32 s95, s93, s71
	s_mul_i32 s95, s95, s52
	s_sub_i32 s95, s93, s95
	s_sub_i32 s96, s95, s52
	s_cmp_ge_u32 s95, s52
	s_cselect_b32 s95, s96, s95
	s_sub_i32 s96, s95, s52
	s_cmp_ge_u32 s95, s52
	s_cselect_b32 s95, s96, s95
	s_mov_b32 s96, exec_lo
	s_sub_i32 s97, s93, s95
	s_mov_b32 s95, 0
	s_mov_b32 s93, 0
	v_cmpx_gt_u32_e64 s97, v0
	s_cbranch_execz .LBB59_210
; %bb.202:                              ;   in Loop: Header=BB59_6 Depth=1
	v_mov_b32_e32 v8, v20
	v_mov_b32_e32 v13, v0
                                        ; implicit-def: $sgpr98
	s_inst_prefetch 0x1
	s_branch .LBB59_205
	.p2align	6
.LBB59_203:                             ;   in Loop: Header=BB59_205 Depth=2
	s_or_b32 exec_lo, exec_lo, s99
	s_waitcnt lgkmcnt(0)
	s_barrier
	buffer_gl0_inv
	ds_read_b32 v14, v9 offset:3072
	s_mov_b32 s99, -1
	s_waitcnt lgkmcnt(0)
	s_barrier
	buffer_gl0_inv
	v_cmp_ne_u32_sdwa s104, v14, v9 src0_sel:WORD_0 src1_sel:DWORD
	s_and_b32 vcc_lo, exec_lo, s104
	s_mov_b32 s104, -1
	s_cbranch_vccz .LBB59_208
.LBB59_204:                             ;   in Loop: Header=BB59_205 Depth=2
	s_and_b32 s99, exec_lo, s99
	s_or_b32 s93, s99, s93
	s_andn2_b32 s98, s98, exec_lo
	s_and_b32 s99, s104, exec_lo
	s_or_b32 s98, s98, s99
	s_andn2_b32 exec_lo, exec_lo, s93
	s_cbranch_execz .LBB59_209
.LBB59_205:                             ;   Parent Loop BB59_6 Depth=1
                                        ; =>  This Inner Loop Header: Depth=2
	s_mov_b32 s99, exec_lo
	v_cmpx_gt_u32_e64 s94, v13
	s_cbranch_execz .LBB59_203
; %bb.206:                              ;   in Loop: Header=BB59_205 Depth=2
	ds_read_u16 v14, v8
	s_waitcnt lgkmcnt(0)
	v_add_nc_u32_sdwa v15, sext(v14), v35 dst_sel:DWORD dst_unused:UNUSED_PAD src0_sel:WORD_0 src1_sel:DWORD
	v_and_b32_e32 v15, v15, v3
	v_cmp_eq_u32_e32 vcc_lo, v15, v2
	s_and_b32 exec_lo, exec_lo, vcc_lo
	s_cbranch_execz .LBB59_203
; %bb.207:                              ;   in Loop: Header=BB59_205 Depth=2
	v_perm_b32 v14, v14, 1, 0x5040100
	ds_write_b32 v9, v14 offset:3072
	s_branch .LBB59_203
.LBB59_208:                             ;   in Loop: Header=BB59_205 Depth=2
	v_add_nc_u32_e32 v13, s52, v13
	v_add_nc_u32_e32 v8, s75, v8
	s_mov_b32 s104, 0
	v_cmp_le_u32_e32 vcc_lo, s97, v13
	s_orn2_b32 s99, vcc_lo, exec_lo
	s_branch .LBB59_204
.LBB59_209:                             ;   in Loop: Header=BB59_6 Depth=1
	s_inst_prefetch 0x2
	s_or_b32 exec_lo, exec_lo, s93
	v_lshrrev_b32_e32 v8, 16, v14
	s_and_b32 s93, s98, exec_lo
.LBB59_210:                             ;   in Loop: Header=BB59_6 Depth=1
	s_or_b32 exec_lo, exec_lo, s96
.LBB59_211:                             ;   in Loop: Header=BB59_6 Depth=1
	s_and_b32 vcc_lo, exec_lo, s95
	s_cbranch_vccz .LBB59_222
; %bb.212:                              ;   in Loop: Header=BB59_6 Depth=1
                                        ; implicit-def: $vgpr8
	s_and_saveexec_b32 s90, s13
	s_cbranch_execz .LBB59_221
; %bb.213:                              ;   in Loop: Header=BB59_6 Depth=1
	v_mov_b32_e32 v8, v7
	v_mov_b32_e32 v13, v0
	s_mov_b32 s91, 0
                                        ; implicit-def: $sgpr94
	s_inst_prefetch 0x1
	s_branch .LBB59_216
	.p2align	6
.LBB59_214:                             ;   in Loop: Header=BB59_216 Depth=2
	s_or_b32 exec_lo, exec_lo, s95
	s_waitcnt lgkmcnt(0)
	s_barrier
	buffer_gl0_inv
	ds_read_b32 v14, v9 offset:3072
	s_mov_b32 s95, -1
	s_waitcnt lgkmcnt(0)
	s_barrier
	buffer_gl0_inv
	v_cmp_eq_u32_sdwa s96, v14, v9 src0_sel:WORD_0 src1_sel:DWORD
	s_and_b32 vcc_lo, exec_lo, s96
	s_mov_b32 s96, -1
	s_cbranch_vccnz .LBB59_219
.LBB59_215:                             ;   in Loop: Header=BB59_216 Depth=2
	s_and_b32 s95, exec_lo, s95
	s_or_b32 s91, s95, s91
	s_andn2_b32 s94, s94, exec_lo
	s_and_b32 s95, s96, exec_lo
	s_or_b32 s94, s94, s95
	s_andn2_b32 exec_lo, exec_lo, s91
	s_cbranch_execz .LBB59_220
.LBB59_216:                             ;   Parent Loop BB59_6 Depth=1
                                        ; =>  This Inner Loop Header: Depth=2
	s_mov_b32 s95, exec_lo
	v_cmpx_gt_u32_e64 s36, v13
	s_cbranch_execz .LBB59_214
; %bb.217:                              ;   in Loop: Header=BB59_216 Depth=2
	v_lshlrev_b64 v[14:15], 1, v[8:9]
	v_add_co_u32 v14, vcc_lo, s50, v14
	v_add_co_ci_u32_e64 v15, null, s51, v15, vcc_lo
	global_load_ushort v14, v[14:15], off
	s_waitcnt vmcnt(0)
	v_add_nc_u32_sdwa v15, sext(v14), v35 dst_sel:DWORD dst_unused:UNUSED_PAD src0_sel:WORD_0 src1_sel:DWORD
	v_and_b32_e32 v15, v15, v3
	v_cmp_eq_u32_e32 vcc_lo, v15, v2
	s_and_b32 exec_lo, exec_lo, vcc_lo
	s_cbranch_execz .LBB59_214
; %bb.218:                              ;   in Loop: Header=BB59_216 Depth=2
	v_perm_b32 v14, v14, 1, 0x5040100
	ds_write_b32 v9, v14 offset:3072
	s_branch .LBB59_214
.LBB59_219:                             ;   in Loop: Header=BB59_216 Depth=2
	v_add_nc_u32_e32 v13, s52, v13
	v_add_nc_u32_e32 v8, s53, v8
	s_mov_b32 s96, 0
	v_cmp_le_u32_e32 vcc_lo, s72, v13
	s_orn2_b32 s95, vcc_lo, exec_lo
	s_branch .LBB59_215
.LBB59_220:                             ;   in Loop: Header=BB59_6 Depth=1
	s_inst_prefetch 0x2
	s_or_b32 exec_lo, exec_lo, s91
	v_lshrrev_b32_e32 v8, 16, v14
	s_andn2_b32 s91, s93, exec_lo
	s_and_b32 s93, s94, exec_lo
	s_or_b32 s93, s91, s93
.LBB59_221:                             ;   in Loop: Header=BB59_6 Depth=1
	s_or_b32 exec_lo, exec_lo, s90
	s_mov_b32 s90, 0
	s_mov_b32 s91, -1
.LBB59_222:                             ;   in Loop: Header=BB59_6 Depth=1
	s_orn2_b32 s93, s93, exec_lo
.LBB59_223:                             ;   in Loop: Header=BB59_6 Depth=1
	s_or_b32 exec_lo, exec_lo, s92
	s_mov_b32 s94, 0
	s_and_saveexec_b32 s92, s93
	s_cbranch_execz .LBB59_234
; %bb.224:                              ;   in Loop: Header=BB59_6 Depth=1
	v_mov_b32_e32 v1, 1
	v_mov_b32_e32 v13, 1
	s_xor_b32 s93, s89, -1
	s_and_saveexec_b32 s89, s93
	s_cbranch_execz .LBB59_233
; %bb.225:                              ;   in Loop: Header=BB59_6 Depth=1
	s_mov_b32 s93, exec_lo
	v_cmpx_ge_u32_e64 s22, v4
	s_xor_b32 s93, exec_lo, s93
	s_cbranch_execz .LBB59_230
; %bb.226:                              ;   in Loop: Header=BB59_6 Depth=1
	ds_read_b32 v1, v9 offset:4096
	v_or_b32_e32 v2, s18, v2
	v_or_b32_e32 v3, s18, v3
	s_waitcnt lgkmcnt(0)
	v_cmp_ne_u32_e32 vcc_lo, 0, v1
	s_cbranch_vccnz .LBB59_230
; %bb.227:                              ;   in Loop: Header=BB59_6 Depth=1
	s_and_saveexec_b32 s94, s3
; %bb.228:                              ;   in Loop: Header=BB59_6 Depth=1
	v_mov_b32_e32 v1, s22
	ds_write_b32 v9, v1 offset:4100
; %bb.229:                              ;   in Loop: Header=BB59_6 Depth=1
	s_or_b32 exec_lo, exec_lo, s94
	s_waitcnt lgkmcnt(0)
	s_barrier
	buffer_gl0_inv
.LBB59_230:                             ;   in Loop: Header=BB59_6 Depth=1
	s_andn2_saveexec_b32 s93, s93
; %bb.231:                              ;   in Loop: Header=BB59_6 Depth=1
	v_subrev_nc_u32_e32 v4, s22, v4
; %bb.232:                              ;   in Loop: Header=BB59_6 Depth=1
	s_or_b32 exec_lo, exec_lo, s93
	v_mov_b32_e32 v1, 8
	v_mov_b32_e32 v13, v4
.LBB59_233:                             ;   in Loop: Header=BB59_6 Depth=1
	s_or_b32 exec_lo, exec_lo, s89
	v_mov_b32_e32 v4, v13
	s_mov_b32 s94, exec_lo
.LBB59_234:                             ;   in Loop: Header=BB59_6 Depth=1
	s_or_b32 exec_lo, exec_lo, s92
	s_orn2_b32 s89, s94, exec_lo
.LBB59_235:                             ;   in Loop: Header=BB59_6 Depth=1
	s_or_b32 exec_lo, exec_lo, s88
	v_mov_b32_e32 v13, v4
	s_andn2_b32 s33, s33, exec_lo
	s_and_b32 s88, s91, exec_lo
	s_andn2_b32 s31, s31, exec_lo
	s_and_b32 s90, s90, exec_lo
	s_or_b32 s33, s33, s88
	s_or_b32 s31, s31, s90
	s_and_b32 s90, s89, exec_lo
.LBB59_236:                             ;   in Loop: Header=BB59_6 Depth=1
	s_or_b32 exec_lo, exec_lo, s34
	s_orn2_b32 s34, s90, exec_lo
.LBB59_237:                             ;   in Loop: Header=BB59_6 Depth=1
	s_or_b32 exec_lo, exec_lo, s30
	v_mov_b32_e32 v4, v13
	s_andn2_b32 s24, s24, exec_lo
	s_and_b32 s30, s33, exec_lo
	s_andn2_b32 s23, s23, exec_lo
	s_and_b32 s31, s31, exec_lo
	s_or_b32 s24, s24, s30
	s_or_b32 s23, s23, s31
	s_and_b32 s33, s34, exec_lo
.LBB59_238:                             ;   in Loop: Header=BB59_6 Depth=1
	s_or_b32 exec_lo, exec_lo, s29
	s_orn2_b32 s29, s33, exec_lo
.LBB59_239:                             ;   in Loop: Header=BB59_6 Depth=1
	s_or_b32 exec_lo, exec_lo, s6
	s_mov_b32 s6, 0
	s_mov_b32 s30, 0
	s_and_saveexec_b32 s31, s29
	s_xor_b32 s29, exec_lo, s31
; %bb.240:                              ;   in Loop: Header=BB59_6 Depth=1
	v_cmp_ne_u32_e32 vcc_lo, 8, v1
	v_cmp_eq_u32_e64 s6, 8, v1
	s_and_b32 s30, vcc_lo, exec_lo
	s_and_b32 s6, s6, exec_lo
; %bb.241:                              ;   in Loop: Header=BB59_6 Depth=1
	s_or_b32 exec_lo, exec_lo, s29
	s_andn2_b32 s26, s26, exec_lo
	s_and_b32 s24, s24, exec_lo
	s_andn2_b32 s25, s25, exec_lo
	s_and_b32 s23, s23, exec_lo
	s_or_b32 s26, s26, s24
	s_or_b32 s25, s25, s23
	s_and_b32 s23, s30, exec_lo
	s_and_b32 s24, s6, exec_lo
.LBB59_242:                             ;   in Loop: Header=BB59_6 Depth=1
	s_or_b32 exec_lo, exec_lo, s28
.LBB59_243:                             ;   in Loop: Header=BB59_6 Depth=1
	s_and_b32 vcc_lo, exec_lo, s27
	s_cbranch_vccz .LBB59_256
; %bb.244:                              ;   in Loop: Header=BB59_6 Depth=1
	s_cmp_eq_u32 s22, 1
	s_mov_b32 s26, -1
	s_cselect_b32 s6, -1, 0
                                        ; implicit-def: $sgpr16
	s_and_b32 s6, s6, s14
                                        ; implicit-def: $sgpr14
	s_and_saveexec_b32 s25, s6
	s_cbranch_execz .LBB59_271
; %bb.245:                              ;   in Loop: Header=BB59_6 Depth=1
	ds_read_b32 v1, v9 offset:4096
	s_waitcnt lgkmcnt(0)
	s_barrier
	buffer_gl0_inv
	v_readfirstlane_b32 s27, v1
	s_and_saveexec_b32 s14, s15
; %bb.246:                              ;   in Loop: Header=BB59_6 Depth=1
	ds_write_b16 v21, v9
; %bb.247:                              ;   in Loop: Header=BB59_6 Depth=1
	s_or_b32 exec_lo, exec_lo, s14
	v_or_b32_e32 v28, s18, v28
	v_or_b32_e32 v36, s18, v36
	s_mov_b32 s16, -1
	s_mov_b32 s14, 0
	s_cmp_eq_u32 s27, 0
	s_mov_b32 s26, 0
	s_mov_b32 s28, -1
	s_waitcnt lgkmcnt(0)
	s_barrier
	buffer_gl0_inv
                                        ; implicit-def: $vgpr37
	s_cbranch_scc1 .LBB59_259
; %bb.248:                              ;   in Loop: Header=BB59_6 Depth=1
	s_add_i32 s26, s27, s65
                                        ; implicit-def: $vgpr37
	s_mul_hi_u32 s28, s26, s71
	s_mul_i32 s28, s28, s52
	s_sub_i32 s28, s26, s28
	s_sub_i32 s29, s28, s52
	s_cmp_ge_u32 s28, s52
	s_cselect_b32 s28, s29, s28
	s_sub_i32 s29, s28, s52
	s_cmp_ge_u32 s28, s52
	s_cselect_b32 s28, s29, s28
	s_mov_b32 s29, exec_lo
	s_sub_i32 s30, s26, s28
	s_mov_b32 s28, 0
	s_mov_b32 s26, 0
	v_cmpx_gt_u32_e64 s30, v0
	s_cbranch_execz .LBB59_258
; %bb.249:                              ;   in Loop: Header=BB59_6 Depth=1
	v_mov_b32_e32 v1, v20
	v_mov_b32_e32 v2, v0
                                        ; implicit-def: $sgpr31
	s_inst_prefetch 0x1
	s_branch .LBB59_252
	.p2align	6
.LBB59_250:                             ;   in Loop: Header=BB59_252 Depth=2
	s_or_b32 exec_lo, exec_lo, s33
	s_waitcnt lgkmcnt(0)
	s_barrier
	buffer_gl0_inv
	ds_read_b32 v3, v9 offset:3072
	s_mov_b32 s33, -1
	s_waitcnt lgkmcnt(0)
	s_barrier
	buffer_gl0_inv
	v_cmp_ne_u32_sdwa s34, v3, v9 src0_sel:WORD_0 src1_sel:DWORD
	s_and_b32 vcc_lo, exec_lo, s34
	s_mov_b32 s34, -1
	s_cbranch_vccz .LBB59_255
.LBB59_251:                             ;   in Loop: Header=BB59_252 Depth=2
	s_and_b32 s33, exec_lo, s33
	s_or_b32 s26, s33, s26
	s_andn2_b32 s31, s31, exec_lo
	s_and_b32 s33, s34, exec_lo
	s_or_b32 s31, s31, s33
	s_andn2_b32 exec_lo, exec_lo, s26
	s_cbranch_execz .LBB59_257
.LBB59_252:                             ;   Parent Loop BB59_6 Depth=1
                                        ; =>  This Inner Loop Header: Depth=2
	s_mov_b32 s33, exec_lo
	v_cmpx_gt_u32_e64 s27, v2
	s_cbranch_execz .LBB59_250
; %bb.253:                              ;   in Loop: Header=BB59_252 Depth=2
	ds_read_u16 v3, v1
	s_waitcnt lgkmcnt(0)
	v_add_nc_u32_sdwa v4, sext(v3), v35 dst_sel:DWORD dst_unused:UNUSED_PAD src0_sel:WORD_0 src1_sel:DWORD
	v_and_b32_e32 v4, v4, v36
	v_cmp_eq_u32_e32 vcc_lo, v4, v28
	s_and_b32 exec_lo, exec_lo, vcc_lo
	s_cbranch_execz .LBB59_250
; %bb.254:                              ;   in Loop: Header=BB59_252 Depth=2
	v_perm_b32 v3, v3, 1, 0x5040100
	ds_write_b32 v9, v3 offset:3072
	s_branch .LBB59_250
.LBB59_255:                             ;   in Loop: Header=BB59_252 Depth=2
	v_add_nc_u32_e32 v2, s52, v2
	v_add_nc_u32_e32 v1, s75, v1
	s_mov_b32 s34, 0
	v_cmp_le_u32_e32 vcc_lo, s30, v2
	s_orn2_b32 s33, vcc_lo, exec_lo
	s_branch .LBB59_251
.LBB59_256:                             ;   in Loop: Header=BB59_6 Depth=1
	v_mov_b32_e32 v28, v2
	v_mov_b32_e32 v36, v3
	;; [unrolled: 1-line block ×3, first 2 shown]
	s_mov_b32 s14, 0
	s_and_saveexec_b32 s6, s24
	s_cbranch_execnz .LBB59_402
	s_branch .LBB59_403
.LBB59_257:                             ;   in Loop: Header=BB59_6 Depth=1
	s_inst_prefetch 0x2
	s_or_b32 exec_lo, exec_lo, s26
	v_lshrrev_b32_e32 v37, 16, v3
	s_and_b32 s26, s31, exec_lo
.LBB59_258:                             ;   in Loop: Header=BB59_6 Depth=1
	s_or_b32 exec_lo, exec_lo, s29
.LBB59_259:                             ;   in Loop: Header=BB59_6 Depth=1
	s_and_b32 vcc_lo, exec_lo, s28
	s_cbranch_vccz .LBB59_270
; %bb.260:                              ;   in Loop: Header=BB59_6 Depth=1
                                        ; implicit-def: $vgpr37
	s_and_saveexec_b32 s14, s13
	s_cbranch_execz .LBB59_269
; %bb.261:                              ;   in Loop: Header=BB59_6 Depth=1
	v_mov_b32_e32 v8, v7
	v_mov_b32_e32 v1, v0
	s_mov_b32 s16, 0
                                        ; implicit-def: $sgpr27
	s_inst_prefetch 0x1
	s_branch .LBB59_264
	.p2align	6
.LBB59_262:                             ;   in Loop: Header=BB59_264 Depth=2
	s_or_b32 exec_lo, exec_lo, s28
	s_waitcnt lgkmcnt(0)
	s_barrier
	buffer_gl0_inv
	ds_read_b32 v2, v9 offset:3072
	s_mov_b32 s28, -1
	s_waitcnt lgkmcnt(0)
	s_barrier
	buffer_gl0_inv
	v_cmp_ne_u32_sdwa s29, v2, v9 src0_sel:WORD_0 src1_sel:DWORD
	s_and_b32 vcc_lo, exec_lo, s29
	s_mov_b32 s29, -1
	s_cbranch_vccz .LBB59_267
.LBB59_263:                             ;   in Loop: Header=BB59_264 Depth=2
	s_and_b32 s28, exec_lo, s28
	s_or_b32 s16, s28, s16
	s_andn2_b32 s27, s27, exec_lo
	s_and_b32 s28, s29, exec_lo
	s_or_b32 s27, s27, s28
	s_andn2_b32 exec_lo, exec_lo, s16
	s_cbranch_execz .LBB59_268
.LBB59_264:                             ;   Parent Loop BB59_6 Depth=1
                                        ; =>  This Inner Loop Header: Depth=2
	s_mov_b32 s28, exec_lo
	v_cmpx_gt_u32_e64 s36, v1
	s_cbranch_execz .LBB59_262
; %bb.265:                              ;   in Loop: Header=BB59_264 Depth=2
	v_lshlrev_b64 v[2:3], 1, v[8:9]
	v_add_co_u32 v2, vcc_lo, s50, v2
	v_add_co_ci_u32_e64 v3, null, s51, v3, vcc_lo
	global_load_ushort v2, v[2:3], off
	s_waitcnt vmcnt(0)
	v_add_nc_u32_sdwa v3, sext(v2), v35 dst_sel:DWORD dst_unused:UNUSED_PAD src0_sel:WORD_0 src1_sel:DWORD
	v_and_b32_e32 v3, v3, v36
	v_cmp_eq_u32_e32 vcc_lo, v3, v28
	s_and_b32 exec_lo, exec_lo, vcc_lo
	s_cbranch_execz .LBB59_262
; %bb.266:                              ;   in Loop: Header=BB59_264 Depth=2
	v_perm_b32 v2, v2, 1, 0x5040100
	ds_write_b32 v9, v2 offset:3072
	s_branch .LBB59_262
.LBB59_267:                             ;   in Loop: Header=BB59_264 Depth=2
	v_add_nc_u32_e32 v1, s52, v1
	v_add_nc_u32_e32 v8, s53, v8
	s_mov_b32 s29, 0
	v_cmp_le_u32_e32 vcc_lo, s72, v1
	s_orn2_b32 s28, vcc_lo, exec_lo
	s_branch .LBB59_263
.LBB59_268:                             ;   in Loop: Header=BB59_6 Depth=1
	s_inst_prefetch 0x2
	s_or_b32 exec_lo, exec_lo, s16
	v_lshrrev_b32_e32 v37, 16, v2
	s_andn2_b32 s16, s26, exec_lo
	s_and_b32 s26, s27, exec_lo
	s_or_b32 s26, s16, s26
.LBB59_269:                             ;   in Loop: Header=BB59_6 Depth=1
	s_or_b32 exec_lo, exec_lo, s14
	s_mov_b32 s16, 0
	s_mov_b32 s14, -1
.LBB59_270:                             ;   in Loop: Header=BB59_6 Depth=1
	s_orn2_b32 s26, s26, exec_lo
.LBB59_271:                             ;   in Loop: Header=BB59_6 Depth=1
	s_or_b32 exec_lo, exec_lo, s25
                                        ; implicit-def: $vgpr4
                                        ; implicit-def: $vgpr1
	s_and_saveexec_b32 s25, s26
	s_cbranch_execz .LBB59_401
; %bb.272:                              ;   in Loop: Header=BB59_6 Depth=1
	v_mov_b32_e32 v4, 1
	v_mov_b32_e32 v1, 1
	s_xor_b32 s26, s6, -1
	s_mov_b32 s28, 0
	s_and_saveexec_b32 s6, s26
	s_cbranch_execz .LBB59_281
; %bb.273:                              ;   in Loop: Header=BB59_6 Depth=1
	s_mov_b32 s26, exec_lo
	v_cmpx_ge_u32_e64 s22, v38
	s_xor_b32 s26, exec_lo, s26
	s_cbranch_execz .LBB59_278
; %bb.274:                              ;   in Loop: Header=BB59_6 Depth=1
	ds_read_b32 v1, v9 offset:4096
	v_or_b32_e32 v28, s18, v28
	v_or_b32_e32 v36, s18, v36
	s_waitcnt lgkmcnt(0)
	v_cmp_ne_u32_e32 vcc_lo, 0, v1
	s_cbranch_vccnz .LBB59_278
; %bb.275:                              ;   in Loop: Header=BB59_6 Depth=1
	s_and_saveexec_b32 s27, s3
; %bb.276:                              ;   in Loop: Header=BB59_6 Depth=1
	v_mov_b32_e32 v1, s22
	ds_write_b32 v9, v1 offset:4100
; %bb.277:                              ;   in Loop: Header=BB59_6 Depth=1
	s_or_b32 exec_lo, exec_lo, s27
	s_waitcnt lgkmcnt(0)
	s_barrier
	buffer_gl0_inv
.LBB59_278:                             ;   in Loop: Header=BB59_6 Depth=1
	s_or_saveexec_b32 s26, s26
	v_mov_b32_e32 v1, 5
	s_mov_b32 s27, 0
	s_xor_b32 exec_lo, exec_lo, s26
; %bb.279:                              ;   in Loop: Header=BB59_6 Depth=1
	v_subrev_nc_u32_e32 v38, s22, v38
	v_mov_b32_e32 v1, 0
	s_mov_b32 s27, exec_lo
; %bb.280:                              ;   in Loop: Header=BB59_6 Depth=1
	s_or_b32 exec_lo, exec_lo, s26
	v_mov_b32_e32 v4, v38
	s_and_b32 s28, s27, exec_lo
.LBB59_281:                             ;   in Loop: Header=BB59_6 Depth=1
	s_or_b32 exec_lo, exec_lo, s6
	s_mov_b32 s27, -1
                                        ; implicit-def: $sgpr22
                                        ; implicit-def: $sgpr26
	s_and_saveexec_b32 s6, s28
	s_xor_b32 s6, exec_lo, s6
	s_cbranch_execz .LBB59_398
; %bb.282:                              ;   in Loop: Header=BB59_6 Depth=1
	v_cmp_eq_u32_e32 vcc_lo, 1, v4
	s_cmp_eq_u32 s21, 1
	s_mov_b32 s29, -1
	s_cselect_b32 s22, -1, 0
                                        ; implicit-def: $sgpr26
	s_and_b32 s28, s22, vcc_lo
                                        ; implicit-def: $sgpr22
	s_and_saveexec_b32 s27, s28
	s_cbranch_execz .LBB59_308
; %bb.283:                              ;   in Loop: Header=BB59_6 Depth=1
	ds_read_b32 v2, v9 offset:4096
	s_waitcnt lgkmcnt(0)
	s_barrier
	buffer_gl0_inv
	v_readfirstlane_b32 s30, v2
	s_and_saveexec_b32 s22, s15
; %bb.284:                              ;   in Loop: Header=BB59_6 Depth=1
	ds_write_b16 v21, v9
; %bb.285:                              ;   in Loop: Header=BB59_6 Depth=1
	s_or_b32 exec_lo, exec_lo, s22
	s_lshl_b32 s22, 2, s81
	v_or_b32_e32 v36, s18, v36
	v_and_or_b32 v28, v28, s19, s22
	s_mov_b32 s22, -1
	s_mov_b32 s26, 0
	s_cmp_eq_u32 s30, 0
	s_mov_b32 s29, 0
	s_mov_b32 s31, -1
	s_waitcnt lgkmcnt(0)
	s_barrier
	buffer_gl0_inv
                                        ; implicit-def: $vgpr37
	s_cbranch_scc1 .LBB59_296
; %bb.286:                              ;   in Loop: Header=BB59_6 Depth=1
	s_add_i32 s29, s30, s65
                                        ; implicit-def: $vgpr37
	s_mul_hi_u32 s31, s29, s71
	s_mul_i32 s31, s31, s52
	s_sub_i32 s31, s29, s31
	s_sub_i32 s33, s31, s52
	s_cmp_ge_u32 s31, s52
	s_cselect_b32 s31, s33, s31
	s_sub_i32 s33, s31, s52
	s_cmp_ge_u32 s31, s52
	s_cselect_b32 s31, s33, s31
	s_mov_b32 s33, exec_lo
	s_sub_i32 s34, s29, s31
	s_mov_b32 s31, 0
	s_mov_b32 s29, 0
	v_cmpx_gt_u32_e64 s34, v0
	s_cbranch_execz .LBB59_295
; %bb.287:                              ;   in Loop: Header=BB59_6 Depth=1
	v_mov_b32_e32 v2, v20
	v_mov_b32_e32 v3, v0
                                        ; implicit-def: $sgpr88
	s_inst_prefetch 0x1
	s_branch .LBB59_290
	.p2align	6
.LBB59_288:                             ;   in Loop: Header=BB59_290 Depth=2
	s_or_b32 exec_lo, exec_lo, s89
	s_waitcnt lgkmcnt(0)
	s_barrier
	buffer_gl0_inv
	ds_read_b32 v8, v9 offset:3072
	s_mov_b32 s89, -1
	s_waitcnt lgkmcnt(0)
	s_barrier
	buffer_gl0_inv
	v_cmp_ne_u32_sdwa s90, v8, v9 src0_sel:WORD_0 src1_sel:DWORD
	s_and_b32 vcc_lo, exec_lo, s90
	s_mov_b32 s90, -1
	s_cbranch_vccz .LBB59_293
.LBB59_289:                             ;   in Loop: Header=BB59_290 Depth=2
	s_and_b32 s89, exec_lo, s89
	s_or_b32 s29, s89, s29
	s_andn2_b32 s88, s88, exec_lo
	s_and_b32 s89, s90, exec_lo
	s_or_b32 s88, s88, s89
	s_andn2_b32 exec_lo, exec_lo, s29
	s_cbranch_execz .LBB59_294
.LBB59_290:                             ;   Parent Loop BB59_6 Depth=1
                                        ; =>  This Inner Loop Header: Depth=2
	s_mov_b32 s89, exec_lo
	v_cmpx_gt_u32_e64 s30, v3
	s_cbranch_execz .LBB59_288
; %bb.291:                              ;   in Loop: Header=BB59_290 Depth=2
	ds_read_u16 v8, v2
	s_waitcnt lgkmcnt(0)
	v_add_nc_u32_sdwa v13, sext(v8), v35 dst_sel:DWORD dst_unused:UNUSED_PAD src0_sel:WORD_0 src1_sel:DWORD
	v_and_b32_e32 v13, v13, v36
	v_cmp_eq_u32_e32 vcc_lo, v13, v28
	s_and_b32 exec_lo, exec_lo, vcc_lo
	s_cbranch_execz .LBB59_288
; %bb.292:                              ;   in Loop: Header=BB59_290 Depth=2
	v_perm_b32 v8, v8, 1, 0x5040100
	ds_write_b32 v9, v8 offset:3072
	s_branch .LBB59_288
.LBB59_293:                             ;   in Loop: Header=BB59_290 Depth=2
	v_add_nc_u32_e32 v3, s52, v3
	v_add_nc_u32_e32 v2, s75, v2
	s_mov_b32 s90, 0
	v_cmp_le_u32_e32 vcc_lo, s34, v3
	s_orn2_b32 s89, vcc_lo, exec_lo
	s_branch .LBB59_289
.LBB59_294:                             ;   in Loop: Header=BB59_6 Depth=1
	s_inst_prefetch 0x2
	s_or_b32 exec_lo, exec_lo, s29
	v_lshrrev_b32_e32 v37, 16, v8
	s_and_b32 s29, s88, exec_lo
.LBB59_295:                             ;   in Loop: Header=BB59_6 Depth=1
	s_or_b32 exec_lo, exec_lo, s33
.LBB59_296:                             ;   in Loop: Header=BB59_6 Depth=1
	s_and_b32 vcc_lo, exec_lo, s31
	s_cbranch_vccz .LBB59_307
; %bb.297:                              ;   in Loop: Header=BB59_6 Depth=1
                                        ; implicit-def: $vgpr37
	s_and_saveexec_b32 s22, s13
	s_cbranch_execz .LBB59_306
; %bb.298:                              ;   in Loop: Header=BB59_6 Depth=1
	v_mov_b32_e32 v8, v7
	v_mov_b32_e32 v2, v0
	s_mov_b32 s26, 0
                                        ; implicit-def: $sgpr30
	s_inst_prefetch 0x1
	s_branch .LBB59_301
	.p2align	6
.LBB59_299:                             ;   in Loop: Header=BB59_301 Depth=2
	s_or_b32 exec_lo, exec_lo, s31
	s_waitcnt lgkmcnt(0)
	s_barrier
	buffer_gl0_inv
	ds_read_b32 v3, v9 offset:3072
	s_mov_b32 s31, -1
	s_waitcnt lgkmcnt(0)
	s_barrier
	buffer_gl0_inv
	v_cmp_eq_u32_sdwa s33, v3, v9 src0_sel:WORD_0 src1_sel:DWORD
	s_and_b32 vcc_lo, exec_lo, s33
	s_mov_b32 s33, -1
	s_cbranch_vccnz .LBB59_304
.LBB59_300:                             ;   in Loop: Header=BB59_301 Depth=2
	s_and_b32 s31, exec_lo, s31
	s_or_b32 s26, s31, s26
	s_andn2_b32 s30, s30, exec_lo
	s_and_b32 s31, s33, exec_lo
	s_or_b32 s30, s30, s31
	s_andn2_b32 exec_lo, exec_lo, s26
	s_cbranch_execz .LBB59_305
.LBB59_301:                             ;   Parent Loop BB59_6 Depth=1
                                        ; =>  This Inner Loop Header: Depth=2
	s_mov_b32 s31, exec_lo
	v_cmpx_gt_u32_e64 s36, v2
	s_cbranch_execz .LBB59_299
; %bb.302:                              ;   in Loop: Header=BB59_301 Depth=2
	v_lshlrev_b64 v[13:14], 1, v[8:9]
	v_add_co_u32 v13, vcc_lo, s50, v13
	v_add_co_ci_u32_e64 v14, null, s51, v14, vcc_lo
	global_load_ushort v3, v[13:14], off
	s_waitcnt vmcnt(0)
	v_add_nc_u32_sdwa v13, sext(v3), v35 dst_sel:DWORD dst_unused:UNUSED_PAD src0_sel:WORD_0 src1_sel:DWORD
	v_and_b32_e32 v13, v13, v36
	v_cmp_eq_u32_e32 vcc_lo, v13, v28
	s_and_b32 exec_lo, exec_lo, vcc_lo
	s_cbranch_execz .LBB59_299
; %bb.303:                              ;   in Loop: Header=BB59_301 Depth=2
	v_perm_b32 v3, v3, 1, 0x5040100
	ds_write_b32 v9, v3 offset:3072
	s_branch .LBB59_299
.LBB59_304:                             ;   in Loop: Header=BB59_301 Depth=2
	v_add_nc_u32_e32 v2, s52, v2
	v_add_nc_u32_e32 v8, s53, v8
	s_mov_b32 s33, 0
	v_cmp_le_u32_e32 vcc_lo, s72, v2
	s_orn2_b32 s31, vcc_lo, exec_lo
	s_branch .LBB59_300
.LBB59_305:                             ;   in Loop: Header=BB59_6 Depth=1
	s_inst_prefetch 0x2
	s_or_b32 exec_lo, exec_lo, s26
	v_lshrrev_b32_e32 v37, 16, v3
	s_andn2_b32 s26, s29, exec_lo
	s_and_b32 s29, s30, exec_lo
	s_or_b32 s29, s26, s29
.LBB59_306:                             ;   in Loop: Header=BB59_6 Depth=1
	s_or_b32 exec_lo, exec_lo, s22
	s_mov_b32 s22, 0
	s_mov_b32 s26, -1
.LBB59_307:                             ;   in Loop: Header=BB59_6 Depth=1
	s_orn2_b32 s29, s29, exec_lo
.LBB59_308:                             ;   in Loop: Header=BB59_6 Depth=1
	s_or_b32 exec_lo, exec_lo, s27
	s_mov_b32 s30, 0
	s_and_saveexec_b32 s27, s29
	s_cbranch_execz .LBB59_397
; %bb.309:                              ;   in Loop: Header=BB59_6 Depth=1
	v_mov_b32_e32 v2, 1
	v_mov_b32_e32 v1, 1
	s_xor_b32 s29, s28, -1
	s_mov_b32 s31, 0
	s_and_saveexec_b32 s28, s29
	s_cbranch_execz .LBB59_318
; %bb.310:                              ;   in Loop: Header=BB59_6 Depth=1
	s_mov_b32 s29, exec_lo
	v_cmpx_ge_u32_e64 s21, v4
	s_xor_b32 s29, exec_lo, s29
	s_cbranch_execz .LBB59_315
; %bb.311:                              ;   in Loop: Header=BB59_6 Depth=1
	ds_read_b32 v1, v9 offset:4096
	s_lshl_b32 s30, 2, s81
	v_or_b32_e32 v36, s18, v36
	v_and_or_b32 v28, v28, s19, s30
	s_waitcnt lgkmcnt(0)
	v_cmp_ne_u32_e32 vcc_lo, 0, v1
	s_cbranch_vccnz .LBB59_315
; %bb.312:                              ;   in Loop: Header=BB59_6 Depth=1
	s_and_saveexec_b32 s30, s3
; %bb.313:                              ;   in Loop: Header=BB59_6 Depth=1
	v_mov_b32_e32 v1, s21
	ds_write_b32 v9, v1 offset:4100
; %bb.314:                              ;   in Loop: Header=BB59_6 Depth=1
	s_or_b32 exec_lo, exec_lo, s30
	s_waitcnt lgkmcnt(0)
	s_barrier
	buffer_gl0_inv
.LBB59_315:                             ;   in Loop: Header=BB59_6 Depth=1
	s_or_saveexec_b32 s29, s29
	v_mov_b32_e32 v1, 5
	s_mov_b32 s30, 0
	s_xor_b32 exec_lo, exec_lo, s29
; %bb.316:                              ;   in Loop: Header=BB59_6 Depth=1
	v_subrev_nc_u32_e32 v4, s21, v4
	v_mov_b32_e32 v1, 0
	s_mov_b32 s30, exec_lo
; %bb.317:                              ;   in Loop: Header=BB59_6 Depth=1
	s_or_b32 exec_lo, exec_lo, s29
	v_mov_b32_e32 v2, v4
	s_and_b32 s31, s30, exec_lo
.LBB59_318:                             ;   in Loop: Header=BB59_6 Depth=1
	s_or_b32 exec_lo, exec_lo, s28
	s_mov_b32 s30, -1
                                        ; implicit-def: $sgpr28
                                        ; implicit-def: $sgpr29
	s_and_saveexec_b32 s21, s31
	s_cbranch_execz .LBB59_396
; %bb.319:                              ;   in Loop: Header=BB59_6 Depth=1
	v_cmp_eq_u32_e32 vcc_lo, 1, v2
	s_cmp_eq_u32 s20, 1
	s_mov_b32 s33, -1
	s_cselect_b32 s28, -1, 0
                                        ; implicit-def: $sgpr29
	s_and_b32 s31, s28, vcc_lo
                                        ; implicit-def: $sgpr28
	s_and_saveexec_b32 s30, s31
	s_cbranch_execz .LBB59_345
; %bb.320:                              ;   in Loop: Header=BB59_6 Depth=1
	ds_read_b32 v3, v9 offset:4096
	s_waitcnt lgkmcnt(0)
	s_barrier
	buffer_gl0_inv
	v_readfirstlane_b32 s34, v3
	s_and_saveexec_b32 s28, s15
; %bb.321:                              ;   in Loop: Header=BB59_6 Depth=1
	ds_write_b16 v21, v9
; %bb.322:                              ;   in Loop: Header=BB59_6 Depth=1
	s_or_b32 exec_lo, exec_lo, s28
	s_lshl_b32 s28, 1, s81
	v_or_b32_e32 v36, s18, v36
	v_and_or_b32 v28, v28, s19, s28
	s_mov_b32 s28, -1
	s_mov_b32 s29, 0
	s_cmp_eq_u32 s34, 0
	s_mov_b32 s33, 0
	s_mov_b32 s88, -1
	s_waitcnt lgkmcnt(0)
	s_barrier
	buffer_gl0_inv
                                        ; implicit-def: $vgpr37
	s_cbranch_scc1 .LBB59_333
; %bb.323:                              ;   in Loop: Header=BB59_6 Depth=1
	s_add_i32 s33, s34, s65
                                        ; implicit-def: $vgpr37
	s_mul_hi_u32 s88, s33, s71
	s_mul_i32 s88, s88, s52
	s_sub_i32 s88, s33, s88
	s_sub_i32 s89, s88, s52
	s_cmp_ge_u32 s88, s52
	s_cselect_b32 s88, s89, s88
	s_sub_i32 s89, s88, s52
	s_cmp_ge_u32 s88, s52
	s_cselect_b32 s88, s89, s88
	s_mov_b32 s89, exec_lo
	s_sub_i32 s90, s33, s88
	s_mov_b32 s88, 0
	s_mov_b32 s33, 0
	v_cmpx_gt_u32_e64 s90, v0
	s_cbranch_execz .LBB59_332
; %bb.324:                              ;   in Loop: Header=BB59_6 Depth=1
	v_mov_b32_e32 v3, v20
	v_mov_b32_e32 v4, v0
                                        ; implicit-def: $sgpr91
	s_inst_prefetch 0x1
	s_branch .LBB59_327
	.p2align	6
.LBB59_325:                             ;   in Loop: Header=BB59_327 Depth=2
	s_or_b32 exec_lo, exec_lo, s92
	s_waitcnt lgkmcnt(0)
	s_barrier
	buffer_gl0_inv
	ds_read_b32 v8, v9 offset:3072
	s_mov_b32 s92, -1
	s_waitcnt lgkmcnt(0)
	s_barrier
	buffer_gl0_inv
	v_cmp_ne_u32_sdwa s93, v8, v9 src0_sel:WORD_0 src1_sel:DWORD
	s_and_b32 vcc_lo, exec_lo, s93
	s_mov_b32 s93, -1
	s_cbranch_vccz .LBB59_330
.LBB59_326:                             ;   in Loop: Header=BB59_327 Depth=2
	s_and_b32 s92, exec_lo, s92
	s_or_b32 s33, s92, s33
	s_andn2_b32 s91, s91, exec_lo
	s_and_b32 s92, s93, exec_lo
	s_or_b32 s91, s91, s92
	s_andn2_b32 exec_lo, exec_lo, s33
	s_cbranch_execz .LBB59_331
.LBB59_327:                             ;   Parent Loop BB59_6 Depth=1
                                        ; =>  This Inner Loop Header: Depth=2
	s_mov_b32 s92, exec_lo
	v_cmpx_gt_u32_e64 s34, v4
	s_cbranch_execz .LBB59_325
; %bb.328:                              ;   in Loop: Header=BB59_327 Depth=2
	ds_read_u16 v8, v3
	s_waitcnt lgkmcnt(0)
	v_add_nc_u32_sdwa v13, sext(v8), v35 dst_sel:DWORD dst_unused:UNUSED_PAD src0_sel:WORD_0 src1_sel:DWORD
	v_and_b32_e32 v13, v13, v36
	v_cmp_eq_u32_e32 vcc_lo, v13, v28
	s_and_b32 exec_lo, exec_lo, vcc_lo
	s_cbranch_execz .LBB59_325
; %bb.329:                              ;   in Loop: Header=BB59_327 Depth=2
	v_perm_b32 v8, v8, 1, 0x5040100
	ds_write_b32 v9, v8 offset:3072
	s_branch .LBB59_325
.LBB59_330:                             ;   in Loop: Header=BB59_327 Depth=2
	v_add_nc_u32_e32 v4, s52, v4
	v_add_nc_u32_e32 v3, s75, v3
	s_mov_b32 s93, 0
	v_cmp_le_u32_e32 vcc_lo, s90, v4
	s_orn2_b32 s92, vcc_lo, exec_lo
	s_branch .LBB59_326
.LBB59_331:                             ;   in Loop: Header=BB59_6 Depth=1
	s_inst_prefetch 0x2
	s_or_b32 exec_lo, exec_lo, s33
	v_lshrrev_b32_e32 v37, 16, v8
	s_and_b32 s33, s91, exec_lo
.LBB59_332:                             ;   in Loop: Header=BB59_6 Depth=1
	s_or_b32 exec_lo, exec_lo, s89
.LBB59_333:                             ;   in Loop: Header=BB59_6 Depth=1
	s_and_b32 vcc_lo, exec_lo, s88
	s_cbranch_vccz .LBB59_344
; %bb.334:                              ;   in Loop: Header=BB59_6 Depth=1
                                        ; implicit-def: $vgpr37
	s_and_saveexec_b32 s28, s13
	s_cbranch_execz .LBB59_343
; %bb.335:                              ;   in Loop: Header=BB59_6 Depth=1
	v_mov_b32_e32 v8, v7
	v_mov_b32_e32 v3, v0
	s_mov_b32 s29, 0
                                        ; implicit-def: $sgpr34
	s_inst_prefetch 0x1
	s_branch .LBB59_338
	.p2align	6
.LBB59_336:                             ;   in Loop: Header=BB59_338 Depth=2
	s_or_b32 exec_lo, exec_lo, s88
	s_waitcnt lgkmcnt(0)
	s_barrier
	buffer_gl0_inv
	ds_read_b32 v4, v9 offset:3072
	s_mov_b32 s88, -1
	s_waitcnt lgkmcnt(0)
	s_barrier
	buffer_gl0_inv
	v_cmp_eq_u32_sdwa s89, v4, v9 src0_sel:WORD_0 src1_sel:DWORD
	s_and_b32 vcc_lo, exec_lo, s89
	s_mov_b32 s89, -1
	s_cbranch_vccnz .LBB59_341
.LBB59_337:                             ;   in Loop: Header=BB59_338 Depth=2
	s_and_b32 s88, exec_lo, s88
	s_or_b32 s29, s88, s29
	s_andn2_b32 s34, s34, exec_lo
	s_and_b32 s88, s89, exec_lo
	s_or_b32 s34, s34, s88
	s_andn2_b32 exec_lo, exec_lo, s29
	s_cbranch_execz .LBB59_342
.LBB59_338:                             ;   Parent Loop BB59_6 Depth=1
                                        ; =>  This Inner Loop Header: Depth=2
	s_mov_b32 s88, exec_lo
	v_cmpx_gt_u32_e64 s36, v3
	s_cbranch_execz .LBB59_336
; %bb.339:                              ;   in Loop: Header=BB59_338 Depth=2
	v_lshlrev_b64 v[13:14], 1, v[8:9]
	v_add_co_u32 v13, vcc_lo, s50, v13
	v_add_co_ci_u32_e64 v14, null, s51, v14, vcc_lo
	global_load_ushort v4, v[13:14], off
	s_waitcnt vmcnt(0)
	v_add_nc_u32_sdwa v13, sext(v4), v35 dst_sel:DWORD dst_unused:UNUSED_PAD src0_sel:WORD_0 src1_sel:DWORD
	v_and_b32_e32 v13, v13, v36
	v_cmp_eq_u32_e32 vcc_lo, v13, v28
	s_and_b32 exec_lo, exec_lo, vcc_lo
	s_cbranch_execz .LBB59_336
; %bb.340:                              ;   in Loop: Header=BB59_338 Depth=2
	v_perm_b32 v4, v4, 1, 0x5040100
	ds_write_b32 v9, v4 offset:3072
	s_branch .LBB59_336
.LBB59_341:                             ;   in Loop: Header=BB59_338 Depth=2
	v_add_nc_u32_e32 v3, s52, v3
	v_add_nc_u32_e32 v8, s53, v8
	s_mov_b32 s89, 0
	v_cmp_le_u32_e32 vcc_lo, s72, v3
	s_orn2_b32 s88, vcc_lo, exec_lo
	s_branch .LBB59_337
.LBB59_342:                             ;   in Loop: Header=BB59_6 Depth=1
	s_inst_prefetch 0x2
	s_or_b32 exec_lo, exec_lo, s29
	v_lshrrev_b32_e32 v37, 16, v4
	s_andn2_b32 s29, s33, exec_lo
	s_and_b32 s33, s34, exec_lo
	s_or_b32 s33, s29, s33
.LBB59_343:                             ;   in Loop: Header=BB59_6 Depth=1
	s_or_b32 exec_lo, exec_lo, s28
	s_mov_b32 s28, 0
	s_mov_b32 s29, -1
.LBB59_344:                             ;   in Loop: Header=BB59_6 Depth=1
	s_orn2_b32 s33, s33, exec_lo
.LBB59_345:                             ;   in Loop: Header=BB59_6 Depth=1
	s_or_b32 exec_lo, exec_lo, s30
	s_mov_b32 s34, 0
	s_and_saveexec_b32 s30, s33
	s_cbranch_execz .LBB59_395
; %bb.346:                              ;   in Loop: Header=BB59_6 Depth=1
	v_mov_b32_e32 v3, 1
	v_mov_b32_e32 v1, 1
	s_xor_b32 s33, s31, -1
	s_mov_b32 s88, 0
	s_and_saveexec_b32 s31, s33
	s_cbranch_execz .LBB59_355
; %bb.347:                              ;   in Loop: Header=BB59_6 Depth=1
	s_mov_b32 s33, exec_lo
	v_cmpx_ge_u32_e64 s20, v2
	s_xor_b32 s33, exec_lo, s33
	s_cbranch_execz .LBB59_352
; %bb.348:                              ;   in Loop: Header=BB59_6 Depth=1
	ds_read_b32 v1, v9 offset:4096
	s_lshl_b32 s34, 1, s81
	v_or_b32_e32 v36, s18, v36
	v_and_or_b32 v28, v28, s19, s34
	s_waitcnt lgkmcnt(0)
	v_cmp_ne_u32_e32 vcc_lo, 0, v1
	s_cbranch_vccnz .LBB59_352
; %bb.349:                              ;   in Loop: Header=BB59_6 Depth=1
	s_and_saveexec_b32 s34, s3
; %bb.350:                              ;   in Loop: Header=BB59_6 Depth=1
	v_mov_b32_e32 v1, s20
	ds_write_b32 v9, v1 offset:4100
; %bb.351:                              ;   in Loop: Header=BB59_6 Depth=1
	s_or_b32 exec_lo, exec_lo, s34
	s_waitcnt lgkmcnt(0)
	s_barrier
	buffer_gl0_inv
.LBB59_352:                             ;   in Loop: Header=BB59_6 Depth=1
	s_or_saveexec_b32 s33, s33
	v_mov_b32_e32 v1, 5
	s_mov_b32 s34, 0
	s_xor_b32 exec_lo, exec_lo, s33
; %bb.353:                              ;   in Loop: Header=BB59_6 Depth=1
	v_subrev_nc_u32_e32 v2, s20, v2
	v_mov_b32_e32 v1, 0
	s_mov_b32 s34, exec_lo
; %bb.354:                              ;   in Loop: Header=BB59_6 Depth=1
	s_or_b32 exec_lo, exec_lo, s33
	v_mov_b32_e32 v3, v2
	s_and_b32 s88, s34, exec_lo
.LBB59_355:                             ;   in Loop: Header=BB59_6 Depth=1
	s_or_b32 exec_lo, exec_lo, s31
	s_mov_b32 s31, -1
                                        ; implicit-def: $sgpr34
                                        ; implicit-def: $sgpr33
	s_and_saveexec_b32 s20, s88
	s_cbranch_execz .LBB59_394
; %bb.356:                              ;   in Loop: Header=BB59_6 Depth=1
	v_cmp_eq_u32_e32 vcc_lo, 1, v3
	s_cmp_eq_u32 s17, 1
	s_mov_b32 s89, -1
	s_cselect_b32 s31, -1, 0
                                        ; implicit-def: $sgpr34
                                        ; implicit-def: $sgpr33
	s_and_b32 s31, s31, vcc_lo
	s_and_saveexec_b32 s88, s31
	s_cbranch_execz .LBB59_382
; %bb.357:                              ;   in Loop: Header=BB59_6 Depth=1
	ds_read_b32 v2, v9 offset:4096
	s_waitcnt lgkmcnt(0)
	s_barrier
	buffer_gl0_inv
	v_readfirstlane_b32 s90, v2
	s_and_saveexec_b32 s33, s15
; %bb.358:                              ;   in Loop: Header=BB59_6 Depth=1
	ds_write_b16 v21, v9
; %bb.359:                              ;   in Loop: Header=BB59_6 Depth=1
	s_or_b32 exec_lo, exec_lo, s33
	v_and_b32_e32 v28, s19, v28
	v_or_b32_e32 v36, s18, v36
	s_mov_b32 s33, -1
	s_mov_b32 s34, 0
	s_cmp_eq_u32 s90, 0
	s_mov_b32 s89, 0
	s_mov_b32 s91, -1
	s_waitcnt lgkmcnt(0)
	s_barrier
	buffer_gl0_inv
                                        ; implicit-def: $vgpr37
	s_cbranch_scc1 .LBB59_370
; %bb.360:                              ;   in Loop: Header=BB59_6 Depth=1
	s_add_i32 s89, s90, s65
                                        ; implicit-def: $vgpr37
	s_mul_hi_u32 s91, s89, s71
	s_mul_i32 s91, s91, s52
	s_sub_i32 s91, s89, s91
	s_sub_i32 s92, s91, s52
	s_cmp_ge_u32 s91, s52
	s_cselect_b32 s91, s92, s91
	s_sub_i32 s92, s91, s52
	s_cmp_ge_u32 s91, s52
	s_cselect_b32 s91, s92, s91
	s_mov_b32 s92, exec_lo
	s_sub_i32 s93, s89, s91
	s_mov_b32 s91, 0
	s_mov_b32 s89, 0
	v_cmpx_gt_u32_e64 s93, v0
	s_cbranch_execz .LBB59_369
; %bb.361:                              ;   in Loop: Header=BB59_6 Depth=1
	v_mov_b32_e32 v2, v20
	v_mov_b32_e32 v4, v0
                                        ; implicit-def: $sgpr94
	s_inst_prefetch 0x1
	s_branch .LBB59_364
	.p2align	6
.LBB59_362:                             ;   in Loop: Header=BB59_364 Depth=2
	s_or_b32 exec_lo, exec_lo, s95
	s_waitcnt lgkmcnt(0)
	s_barrier
	buffer_gl0_inv
	ds_read_b32 v8, v9 offset:3072
	s_mov_b32 s95, -1
	s_waitcnt lgkmcnt(0)
	s_barrier
	buffer_gl0_inv
	v_cmp_ne_u32_sdwa s96, v8, v9 src0_sel:WORD_0 src1_sel:DWORD
	s_and_b32 vcc_lo, exec_lo, s96
	s_mov_b32 s96, -1
	s_cbranch_vccz .LBB59_367
.LBB59_363:                             ;   in Loop: Header=BB59_364 Depth=2
	s_and_b32 s95, exec_lo, s95
	s_or_b32 s89, s95, s89
	s_andn2_b32 s94, s94, exec_lo
	s_and_b32 s95, s96, exec_lo
	s_or_b32 s94, s94, s95
	s_andn2_b32 exec_lo, exec_lo, s89
	s_cbranch_execz .LBB59_368
.LBB59_364:                             ;   Parent Loop BB59_6 Depth=1
                                        ; =>  This Inner Loop Header: Depth=2
	s_mov_b32 s95, exec_lo
	v_cmpx_gt_u32_e64 s90, v4
	s_cbranch_execz .LBB59_362
; %bb.365:                              ;   in Loop: Header=BB59_364 Depth=2
	ds_read_u16 v8, v2
	s_waitcnt lgkmcnt(0)
	v_add_nc_u32_sdwa v13, sext(v8), v35 dst_sel:DWORD dst_unused:UNUSED_PAD src0_sel:WORD_0 src1_sel:DWORD
	v_and_b32_e32 v13, v13, v36
	v_cmp_eq_u32_e32 vcc_lo, v13, v28
	s_and_b32 exec_lo, exec_lo, vcc_lo
	s_cbranch_execz .LBB59_362
; %bb.366:                              ;   in Loop: Header=BB59_364 Depth=2
	v_perm_b32 v8, v8, 1, 0x5040100
	ds_write_b32 v9, v8 offset:3072
	s_branch .LBB59_362
.LBB59_367:                             ;   in Loop: Header=BB59_364 Depth=2
	v_add_nc_u32_e32 v4, s52, v4
	v_add_nc_u32_e32 v2, s75, v2
	s_mov_b32 s96, 0
	v_cmp_le_u32_e32 vcc_lo, s93, v4
	s_orn2_b32 s95, vcc_lo, exec_lo
	s_branch .LBB59_363
.LBB59_368:                             ;   in Loop: Header=BB59_6 Depth=1
	s_inst_prefetch 0x2
	s_or_b32 exec_lo, exec_lo, s89
	v_lshrrev_b32_e32 v37, 16, v8
	s_and_b32 s89, s94, exec_lo
.LBB59_369:                             ;   in Loop: Header=BB59_6 Depth=1
	s_or_b32 exec_lo, exec_lo, s92
.LBB59_370:                             ;   in Loop: Header=BB59_6 Depth=1
	s_and_b32 vcc_lo, exec_lo, s91
	s_cbranch_vccz .LBB59_381
; %bb.371:                              ;   in Loop: Header=BB59_6 Depth=1
                                        ; implicit-def: $vgpr37
	s_and_saveexec_b32 s33, s13
	s_cbranch_execz .LBB59_380
; %bb.372:                              ;   in Loop: Header=BB59_6 Depth=1
	v_mov_b32_e32 v8, v7
	v_mov_b32_e32 v2, v0
	s_mov_b32 s34, 0
                                        ; implicit-def: $sgpr90
	s_inst_prefetch 0x1
	s_branch .LBB59_375
	.p2align	6
.LBB59_373:                             ;   in Loop: Header=BB59_375 Depth=2
	s_or_b32 exec_lo, exec_lo, s91
	s_waitcnt lgkmcnt(0)
	s_barrier
	buffer_gl0_inv
	ds_read_b32 v4, v9 offset:3072
	s_mov_b32 s91, -1
	s_waitcnt lgkmcnt(0)
	s_barrier
	buffer_gl0_inv
	v_cmp_eq_u32_sdwa s92, v4, v9 src0_sel:WORD_0 src1_sel:DWORD
	s_and_b32 vcc_lo, exec_lo, s92
	s_mov_b32 s92, -1
	s_cbranch_vccnz .LBB59_378
.LBB59_374:                             ;   in Loop: Header=BB59_375 Depth=2
	s_and_b32 s91, exec_lo, s91
	s_or_b32 s34, s91, s34
	s_andn2_b32 s90, s90, exec_lo
	s_and_b32 s91, s92, exec_lo
	s_or_b32 s90, s90, s91
	s_andn2_b32 exec_lo, exec_lo, s34
	s_cbranch_execz .LBB59_379
.LBB59_375:                             ;   Parent Loop BB59_6 Depth=1
                                        ; =>  This Inner Loop Header: Depth=2
	s_mov_b32 s91, exec_lo
	v_cmpx_gt_u32_e64 s36, v2
	s_cbranch_execz .LBB59_373
; %bb.376:                              ;   in Loop: Header=BB59_375 Depth=2
	v_lshlrev_b64 v[13:14], 1, v[8:9]
	v_add_co_u32 v13, vcc_lo, s50, v13
	v_add_co_ci_u32_e64 v14, null, s51, v14, vcc_lo
	global_load_ushort v4, v[13:14], off
	s_waitcnt vmcnt(0)
	v_add_nc_u32_sdwa v13, sext(v4), v35 dst_sel:DWORD dst_unused:UNUSED_PAD src0_sel:WORD_0 src1_sel:DWORD
	v_and_b32_e32 v13, v13, v36
	v_cmp_eq_u32_e32 vcc_lo, v13, v28
	s_and_b32 exec_lo, exec_lo, vcc_lo
	s_cbranch_execz .LBB59_373
; %bb.377:                              ;   in Loop: Header=BB59_375 Depth=2
	v_perm_b32 v4, v4, 1, 0x5040100
	ds_write_b32 v9, v4 offset:3072
	s_branch .LBB59_373
.LBB59_378:                             ;   in Loop: Header=BB59_375 Depth=2
	v_add_nc_u32_e32 v2, s52, v2
	v_add_nc_u32_e32 v8, s53, v8
	s_mov_b32 s92, 0
	v_cmp_le_u32_e32 vcc_lo, s72, v2
	s_orn2_b32 s91, vcc_lo, exec_lo
	s_branch .LBB59_374
.LBB59_379:                             ;   in Loop: Header=BB59_6 Depth=1
	s_inst_prefetch 0x2
	s_or_b32 exec_lo, exec_lo, s34
	v_lshrrev_b32_e32 v37, 16, v4
	s_andn2_b32 s34, s89, exec_lo
	s_and_b32 s89, s90, exec_lo
	s_or_b32 s89, s34, s89
.LBB59_380:                             ;   in Loop: Header=BB59_6 Depth=1
	s_or_b32 exec_lo, exec_lo, s33
	s_mov_b32 s33, 0
	s_mov_b32 s34, -1
.LBB59_381:                             ;   in Loop: Header=BB59_6 Depth=1
	s_orn2_b32 s89, s89, exec_lo
.LBB59_382:                             ;   in Loop: Header=BB59_6 Depth=1
	s_or_b32 exec_lo, exec_lo, s88
	s_mov_b32 s90, 0
	s_and_saveexec_b32 s88, s89
	s_cbranch_execz .LBB59_393
; %bb.383:                              ;   in Loop: Header=BB59_6 Depth=1
	v_mov_b32_e32 v1, 1
	v_mov_b32_e32 v2, 1
	s_xor_b32 s89, s31, -1
	s_and_saveexec_b32 s31, s89
	s_cbranch_execz .LBB59_392
; %bb.384:                              ;   in Loop: Header=BB59_6 Depth=1
	s_mov_b32 s89, exec_lo
	v_cmpx_ge_u32_e64 s17, v3
	s_xor_b32 s89, exec_lo, s89
	s_cbranch_execz .LBB59_389
; %bb.385:                              ;   in Loop: Header=BB59_6 Depth=1
	ds_read_b32 v1, v9 offset:4096
	v_and_b32_e32 v28, s19, v28
	v_or_b32_e32 v36, s18, v36
	s_waitcnt lgkmcnt(0)
	v_cmp_ne_u32_e32 vcc_lo, 0, v1
	s_cbranch_vccnz .LBB59_389
; %bb.386:                              ;   in Loop: Header=BB59_6 Depth=1
	s_and_saveexec_b32 s18, s3
; %bb.387:                              ;   in Loop: Header=BB59_6 Depth=1
	v_mov_b32_e32 v1, s17
	ds_write_b32 v9, v1 offset:4100
; %bb.388:                              ;   in Loop: Header=BB59_6 Depth=1
	s_or_b32 exec_lo, exec_lo, s18
	s_waitcnt lgkmcnt(0)
	s_barrier
	buffer_gl0_inv
.LBB59_389:                             ;   in Loop: Header=BB59_6 Depth=1
	s_andn2_saveexec_b32 s18, s89
; %bb.390:                              ;   in Loop: Header=BB59_6 Depth=1
	v_subrev_nc_u32_e32 v3, s17, v3
; %bb.391:                              ;   in Loop: Header=BB59_6 Depth=1
	s_or_b32 exec_lo, exec_lo, s18
	v_mov_b32_e32 v1, 5
	v_mov_b32_e32 v2, v3
.LBB59_392:                             ;   in Loop: Header=BB59_6 Depth=1
	s_or_b32 exec_lo, exec_lo, s31
	v_mov_b32_e32 v3, v2
	s_mov_b32 s90, exec_lo
.LBB59_393:                             ;   in Loop: Header=BB59_6 Depth=1
	s_or_b32 exec_lo, exec_lo, s88
	s_orn2_b32 s31, s90, exec_lo
.LBB59_394:                             ;   in Loop: Header=BB59_6 Depth=1
	s_or_b32 exec_lo, exec_lo, s20
	v_mov_b32_e32 v2, v3
	s_andn2_b32 s17, s29, exec_lo
	s_and_b32 s18, s34, exec_lo
	s_andn2_b32 s19, s28, exec_lo
	s_and_b32 s20, s33, exec_lo
	s_or_b32 s29, s17, s18
	s_or_b32 s28, s19, s20
	s_and_b32 s34, s31, exec_lo
.LBB59_395:                             ;   in Loop: Header=BB59_6 Depth=1
	s_or_b32 exec_lo, exec_lo, s30
	s_orn2_b32 s30, s34, exec_lo
.LBB59_396:                             ;   in Loop: Header=BB59_6 Depth=1
	s_or_b32 exec_lo, exec_lo, s21
	v_mov_b32_e32 v4, v2
	s_andn2_b32 s17, s26, exec_lo
	s_and_b32 s18, s29, exec_lo
	s_andn2_b32 s19, s22, exec_lo
	s_and_b32 s20, s28, exec_lo
	s_or_b32 s26, s17, s18
	s_or_b32 s22, s19, s20
	s_and_b32 s30, s30, exec_lo
.LBB59_397:                             ;   in Loop: Header=BB59_6 Depth=1
	s_or_b32 exec_lo, exec_lo, s27
	s_orn2_b32 s27, s30, exec_lo
.LBB59_398:                             ;   in Loop: Header=BB59_6 Depth=1
	s_or_b32 exec_lo, exec_lo, s6
	s_mov_b32 s6, s24
	s_mov_b32 s17, s23
	s_and_saveexec_b32 s18, s27
; %bb.399:                              ;   in Loop: Header=BB59_6 Depth=1
	v_cmp_ne_u32_e32 vcc_lo, 5, v1
	v_cmp_eq_u32_e64 s6, 5, v1
	s_andn2_b32 s17, s23, exec_lo
	s_andn2_b32 s19, s24, exec_lo
	s_and_b32 s20, vcc_lo, exec_lo
	s_and_b32 s6, s6, exec_lo
	s_or_b32 s17, s17, s20
	s_or_b32 s6, s19, s6
; %bb.400:                              ;   in Loop: Header=BB59_6 Depth=1
	s_or_b32 exec_lo, exec_lo, s18
	s_andn2_b32 s14, s14, exec_lo
	s_and_b32 s18, s26, exec_lo
	s_andn2_b32 s16, s16, exec_lo
	s_and_b32 s19, s22, exec_lo
	s_or_b32 s14, s14, s18
	s_or_b32 s16, s16, s19
	s_andn2_b32 s18, s23, exec_lo
	s_and_b32 s17, s17, exec_lo
	s_andn2_b32 s19, s24, exec_lo
	s_and_b32 s6, s6, exec_lo
	s_or_b32 s23, s18, s17
	s_or_b32 s24, s19, s6
.LBB59_401:                             ;   in Loop: Header=BB59_6 Depth=1
	s_or_b32 exec_lo, exec_lo, s25
	s_mov_b32 s25, 0
	s_mov_b32 s26, 0
	s_and_saveexec_b32 s6, s24
.LBB59_402:                             ;   in Loop: Header=BB59_6 Depth=1
	v_mov_b32_e32 v1, 0
	s_or_b32 s23, s23, exec_lo
.LBB59_403:                             ;   in Loop: Header=BB59_6 Depth=1
	s_or_b32 exec_lo, exec_lo, s6
	s_andn2_b32 s6, s85, exec_lo
	s_and_b32 s14, s14, exec_lo
	s_andn2_b32 s18, s83, exec_lo
	s_and_b32 s16, s16, exec_lo
	v_mov_b32_e32 v38, v4
	s_or_b32 s85, s6, s14
	s_or_b32 s83, s18, s16
	s_andn2_b32 s6, s87, exec_lo
	s_and_b32 s14, s26, exec_lo
	s_andn2_b32 s16, s86, exec_lo
	s_and_b32 s18, s25, exec_lo
	s_mov_b32 s17, -1
	s_andn2_b32 s84, s84, exec_lo
	s_or_b32 s87, s6, s14
	s_or_b32 s86, s16, s18
	s_and_saveexec_b32 s6, s23
	s_xor_b32 s6, exec_lo, s6
	s_cbranch_execz .LBB59_5
; %bb.404:                              ;   in Loop: Header=BB59_6 Depth=1
	s_mov_b32 s14, -1
	s_mov_b32 s16, -1
	s_mov_b32 s17, exec_lo
	v_cmpx_eq_u32_e32 0, v1
	s_cbranch_execz .LBB59_4
; %bb.405:                              ;   in Loop: Header=BB59_6 Depth=1
	s_xor_b32 s77, s77, 1
	s_add_i32 s18, s81, -2
	s_cmp_eq_u32 s81, 0
	s_mov_b32 s81, s18
	s_cselect_b32 s14, -1, 0
	s_xor_b32 s16, exec_lo, -1
	s_orn2_b32 s14, s14, exec_lo
	s_branch .LBB59_4
.LBB59_406:
	s_or_b32 exec_lo, exec_lo, s35
	s_xor_b32 s7, s82, -1
	s_xor_b32 s12, s79, -1
	;; [unrolled: 1-line block ×5, first 2 shown]
	s_mov_b32 s9, 0
	s_and_saveexec_b32 s10, s8
	s_xor_b32 s8, exec_lo, s10
	s_cbranch_execnz .LBB59_411
; %bb.407:
	s_andn2_saveexec_b32 s0, s8
	s_cbranch_execnz .LBB59_430
.LBB59_408:
	s_or_b32 exec_lo, exec_lo, s0
	s_and_saveexec_b32 s0, s9
.LBB59_409:
	; divergent unreachable
.LBB59_410:
	s_endpgm
.LBB59_411:
	s_mov_b32 s10, 0
	s_and_saveexec_b32 s9, s11
	s_xor_b32 s9, exec_lo, s9
	s_cbranch_execz .LBB59_428
; %bb.412:
	s_mov_b32 s11, 0
	s_and_saveexec_b32 s10, s12
	s_xor_b32 s10, exec_lo, s10
	s_cbranch_execz .LBB59_426
; %bb.413:
	;; [unrolled: 5-line block ×3, first 2 shown]
	s_and_saveexec_b32 s7, s6
	s_xor_b32 s6, exec_lo, s7
; %bb.415:
	v_xor_b32_e32 v37, 0xffff8000, v28
; %bb.416:
	s_or_b32 exec_lo, exec_lo, s6
	s_and_saveexec_b32 s6, s3
; %bb.417:
	v_mov_b32_e32 v1, 0
	ds_write_b32 v1, v1 offset:4108
; %bb.418:
	s_or_b32 exec_lo, exec_lo, s6
	v_mov_b32_e32 v7, 0
	s_waitcnt lgkmcnt(0)
	s_barrier
	buffer_gl0_inv
	s_and_saveexec_b32 s3, s1
	s_cbranch_execz .LBB59_420
; %bb.419:
	global_load_ushort v7, v[5:6], off
.LBB59_420:
	s_or_b32 exec_lo, exec_lo, s3
	s_mul_i32 s3, s58, s56
	s_add_i32 s12, s36, 31
	s_sub_i32 s3, s54, s3
	s_andn2_b32 s12, s12, 31
	s_add_i32 s6, s58, 1
	s_sub_i32 s7, s3, s56
	s_cmp_ge_u32 s3, s56
	v_cmp_gt_u32_e32 vcc_lo, s12, v0
	s_cselect_b32 s6, s6, s58
	s_cselect_b32 s3, s7, s3
	s_add_i32 s7, s6, 1
	s_cmp_ge_u32 s3, s56
	s_mul_i32 s3, s57, s55
	s_cselect_b32 s6, s7, s6
	s_sub_i32 s3, s54, s3
	s_mul_i32 s7, s6, s56
	s_mul_i32 s6, s6, s48
	s_sub_i32 s7, s54, s7
	s_add_i32 s13, s57, 1
	s_mul_i32 s7, s7, s49
	s_sub_i32 s14, s3, s55
	s_add_i32 s6, s6, s7
	s_cmp_ge_u32 s3, s55
	s_cselect_b32 s7, s13, s57
	s_clause 0x1
	s_load_dword s13, s[4:5], 0x1c8
	s_load_dword s5, s[4:5], 0x2a8
	s_cselect_b32 s3, s14, s3
	s_add_i32 s14, s7, 1
	s_cmp_ge_u32 s3, s55
	s_cselect_b32 s3, s14, s7
	s_mov_b32 s7, 0
	s_mul_i32 s4, s3, s55
	s_mul_i32 s3, s3, s46
	s_sub_i32 s4, s54, s4
	s_lshl_b64 s[14:15], s[6:7], 1
	s_mul_i32 s4, s4, s47
	s_mov_b32 s17, s7
	s_add_i32 s16, s3, s4
	s_add_u32 s6, s42, s14
	s_addc_u32 s14, s43, s15
	s_lshl_b64 s[16:17], s[16:17], 3
	s_mov_b32 s4, -1
	s_add_u32 s15, s44, s16
	s_addc_u32 s16, s45, s17
	s_mov_b32 s3, 0
	s_and_saveexec_b32 s17, vcc_lo
	s_cbranch_execnz .LBB59_431
; %bb.421:
	s_or_b32 exec_lo, exec_lo, s17
	s_and_saveexec_b32 s2, s4
	s_cbranch_execnz .LBB59_446
.LBB59_422:
	s_or_b32 exec_lo, exec_lo, s2
	s_and_saveexec_b32 s0, s3
	s_xor_b32 s0, exec_lo, s0
	s_cbranch_execnz .LBB59_469
.LBB59_423:
	s_or_b32 exec_lo, exec_lo, s0
	s_and_b32 s12, s7, exec_lo
.LBB59_424:
	s_andn2_saveexec_b32 s0, s11
	s_cbranch_execnz .LBB59_471
.LBB59_425:
	s_or_b32 exec_lo, exec_lo, s0
	s_and_b32 s11, s12, exec_lo
.LBB59_426:
	s_andn2_saveexec_b32 s0, s10
	s_cbranch_execnz .LBB59_470
.LBB59_427:
	s_or_b32 exec_lo, exec_lo, s0
	s_and_b32 s10, s11, exec_lo
.LBB59_428:
	s_andn2_saveexec_b32 s0, s9
	s_cbranch_execnz .LBB59_465
.LBB59_429:
	s_or_b32 exec_lo, exec_lo, s0
	s_and_b32 s9, s10, exec_lo
	s_andn2_saveexec_b32 s0, s8
	s_cbranch_execz .LBB59_408
.LBB59_430:
	s_or_b32 s9, s9, exec_lo
	s_trap 2
	s_or_b32 exec_lo, exec_lo, s0
	s_and_saveexec_b32 s0, s9
	s_cbranch_execnz .LBB59_409
	s_branch .LBB59_410
.LBB59_431:
	v_add_nc_u32_e32 v1, s52, v0
	v_mov_b32_e32 v8, 0x8000
	v_mov_b32_e32 v2, 0
	;; [unrolled: 1-line block ×3, first 2 shown]
	s_mov_b32 s18, 0
	v_mul_lo_u32 v1, s40, v1
	v_add_nc_u32_sdwa v9, sext(v37), v8 dst_sel:DWORD dst_unused:UNUSED_PAD src0_sel:WORD_0 src1_sel:DWORD
                                        ; implicit-def: $sgpr19
                                        ; implicit-def: $vgpr11
	s_branch .LBB59_433
.LBB59_432:                             ;   in Loop: Header=BB59_433 Depth=1
	s_or_b32 exec_lo, exec_lo, s21
	s_xor_b32 s3, s20, -1
	s_and_b32 s4, exec_lo, s4
	v_mov_b32_e32 v7, v12
	s_or_b32 s18, s4, s18
	v_mov_b32_e32 v3, v10
	s_andn2_b32 s4, s19, exec_lo
	s_and_b32 s3, s3, exec_lo
	s_or_b32 s19, s4, s3
	s_andn2_b32 exec_lo, exec_lo, s18
	s_cbranch_execz .LBB59_445
.LBB59_433:                             ; =>This Inner Loop Header: Depth=1
	v_add_nc_u32_e32 v10, s52, v3
	v_mov_b32_e32 v12, 0
	s_mov_b32 s4, exec_lo
	v_cmpx_gt_u32_e64 s36, v10
	s_cbranch_execz .LBB59_435
; %bb.434:                              ;   in Loop: Header=BB59_433 Depth=1
	v_lshlrev_b64 v[12:13], 1, v[1:2]
	v_add_co_u32 v12, s3, s50, v12
	v_add_co_ci_u32_e64 v13, null, s51, v13, s3
	global_load_ushort v12, v[12:13], off
.LBB59_435:                             ;   in Loop: Header=BB59_433 Depth=1
	s_or_b32 exec_lo, exec_lo, s4
	s_waitcnt vmcnt(0)
	v_add_nc_u32_sdwa v4, sext(v7), v8 dst_sel:DWORD dst_unused:UNUSED_PAD src0_sel:WORD_0 src1_sel:DWORD
	v_cmp_gt_u32_e64 s3, v4, v9
	v_cndmask_b32_e64 v13, 0, 1, s3
	v_cmp_lt_u32_e64 s3, v4, v9
	v_cndmask_b32_e64 v4, 0, 1, s3
	v_cmp_gt_u32_e64 s3, s36, v3
	v_cndmask_b32_e64 v4, v4, v13, s2
	v_and_b32_e32 v4, 1, v4
	v_cmp_eq_u32_e64 s4, 1, v4
	s_and_b32 s21, s3, s4
	v_cndmask_b32_e64 v4, 0, 1, s21
	v_cmp_ne_u32_e64 s3, 0, v4
	s_cmp_lg_u32 s3, 0
	s_cselect_b32 s4, -1, 0
	s_and_b32 s4, s0, s4
	s_and_saveexec_b32 s20, s4
	s_cbranch_execz .LBB59_439
; %bb.436:                              ;   in Loop: Header=BB59_433 Depth=1
	s_mov_b32 s24, exec_lo
	s_bcnt1_i32_b32 s22, s3
	v_mbcnt_lo_u32_b32 v4, s24, 0
	s_mov_b32 s23, exec_lo
                                        ; implicit-def: $vgpr11
	v_cmpx_eq_u32_e32 0, v4
	s_cbranch_execz .LBB59_438
; %bb.437:                              ;   in Loop: Header=BB59_433 Depth=1
	s_bcnt1_i32_b32 s4, s24
	s_mul_i32 s4, s22, s4
	s_waitcnt lgkmcnt(0)
	v_mov_b32_e32 v11, s4
	ds_add_rtn_u32 v11, v2, v11 offset:4108
.LBB59_438:                             ;   in Loop: Header=BB59_433 Depth=1
	s_or_b32 exec_lo, exec_lo, s23
	s_waitcnt lgkmcnt(0)
	v_readfirstlane_b32 s4, v11
	v_mad_u32_u24 v11, s22, v4, s4
.LBB59_439:                             ;   in Loop: Header=BB59_433 Depth=1
	s_or_b32 exec_lo, exec_lo, s20
	s_waitcnt lgkmcnt(0)
	ds_bpermute_b32 v11, v2, v11
	s_mov_b32 s4, -1
	s_mov_b32 s22, -1
	s_and_saveexec_b32 s20, s21
	s_cbranch_execz .LBB59_443
; %bb.440:                              ;   in Loop: Header=BB59_433 Depth=1
	v_and_b32_e32 v4, s3, v17
	s_mov_b32 s21, 0
	s_mov_b32 s22, exec_lo
	s_waitcnt lgkmcnt(0)
	v_bcnt_u32_b32 v4, v4, v11
	v_cmpx_gt_u32_e64 s37, v4
; %bb.441:                              ;   in Loop: Header=BB59_433 Depth=1
	v_mul_lo_u32 v13, v4, s13
	v_mul_lo_u32 v15, v4, s5
	v_mov_b32_e32 v14, v2
	v_mov_b32_e32 v16, v2
	;; [unrolled: 1-line block ×3, first 2 shown]
	s_mov_b32 s21, exec_lo
	v_lshlrev_b64 v[13:14], 1, v[13:14]
	v_lshlrev_b64 v[15:16], 3, v[15:16]
	v_add_co_u32 v13, s3, s6, v13
	v_add_co_ci_u32_e64 v14, null, s14, v14, s3
	v_add_co_u32 v15, s3, s15, v15
	v_add_co_ci_u32_e64 v16, null, s16, v16, s3
	global_store_short v[13:14], v7, off
	global_store_dwordx2 v[15:16], v[3:4], off
; %bb.442:                              ;   in Loop: Header=BB59_433 Depth=1
	s_or_b32 exec_lo, exec_lo, s22
	s_orn2_b32 s22, s21, exec_lo
.LBB59_443:                             ;   in Loop: Header=BB59_433 Depth=1
	s_or_b32 exec_lo, exec_lo, s20
	s_mov_b32 s20, -1
	s_and_saveexec_b32 s21, s22
	s_cbranch_execz .LBB59_432
; %bb.444:                              ;   in Loop: Header=BB59_433 Depth=1
	v_cmp_le_u32_e64 s3, s12, v10
	v_add_nc_u32_e32 v1, s53, v1
	s_xor_b32 s20, exec_lo, -1
	s_orn2_b32 s4, s3, exec_lo
	s_branch .LBB59_432
.LBB59_445:
	s_or_b32 exec_lo, exec_lo, s18
	s_mov_b32 s3, exec_lo
	s_orn2_b32 s4, s19, exec_lo
	s_or_b32 exec_lo, exec_lo, s17
	s_and_saveexec_b32 s2, s4
	s_cbranch_execz .LBB59_422
.LBB59_446:
	v_mov_b32_e32 v1, 0
	s_waitcnt vmcnt(0) lgkmcnt(0)
	s_waitcnt_vscnt null, 0x0
	s_barrier
	buffer_gl0_inv
	s_and_saveexec_b32 s4, s1
	s_cbranch_execz .LBB59_448
; %bb.447:
	global_load_ushort v1, v[5:6], off
.LBB59_448:
	s_or_b32 exec_lo, exec_lo, s4
	s_mov_b32 s1, 0
	s_and_saveexec_b32 s4, vcc_lo
	s_cbranch_execz .LBB59_468
; %bb.449:
	v_add_nc_u32_e32 v2, s52, v0
	v_mov_b32_e32 v3, 0
	s_mov_b32 s7, 0
                                        ; implicit-def: $sgpr17
                                        ; implicit-def: $vgpr5
	v_mul_lo_u32 v2, s40, v2
	s_branch .LBB59_452
.LBB59_450:                             ;   in Loop: Header=BB59_452 Depth=1
	s_or_b32 exec_lo, exec_lo, s19
	s_orn2_b32 s20, s21, exec_lo
	s_orn2_b32 s18, s18, exec_lo
.LBB59_451:                             ;   in Loop: Header=BB59_452 Depth=1
	s_or_b32 exec_lo, exec_lo, s1
	s_xor_b32 s1, s20, -1
	s_and_b32 s18, exec_lo, s18
	v_mov_b32_e32 v0, v4
	s_or_b32 s7, s18, s7
	v_mov_b32_e32 v1, v6
	s_andn2_b32 s17, s17, exec_lo
	s_and_b32 s1, s1, exec_lo
	s_or_b32 s17, s17, s1
	s_andn2_b32 exec_lo, exec_lo, s7
	s_cbranch_execz .LBB59_466
.LBB59_452:                             ; =>This Inner Loop Header: Depth=1
	v_add_nc_u32_e32 v4, s52, v0
	v_mov_b32_e32 v6, 0
	s_mov_b32 s1, exec_lo
	v_cmpx_gt_u32_e64 s36, v4
	s_cbranch_execz .LBB59_454
; %bb.453:                              ;   in Loop: Header=BB59_452 Depth=1
	v_lshlrev_b64 v[6:7], 1, v[2:3]
	v_add_co_u32 v6, vcc_lo, s50, v6
	v_add_co_ci_u32_e64 v7, null, s51, v7, vcc_lo
	global_load_ushort v6, v[6:7], off
.LBB59_454:                             ;   in Loop: Header=BB59_452 Depth=1
	s_or_b32 exec_lo, exec_lo, s1
	v_cmp_gt_u32_e32 vcc_lo, s36, v0
	s_waitcnt vmcnt(0)
	v_cmp_eq_u16_e64 s1, v1, v37
	s_and_b32 s19, vcc_lo, s1
	v_cndmask_b32_e64 v1, 0, 1, s19
	v_cmp_ne_u32_e32 vcc_lo, 0, v1
	s_cmp_lg_u32 vcc_lo, 0
	s_cselect_b32 s1, -1, 0
	s_and_b32 s1, s0, s1
	s_and_saveexec_b32 s18, s1
	s_cbranch_execz .LBB59_458
; %bb.455:                              ;   in Loop: Header=BB59_452 Depth=1
	s_mov_b32 s22, exec_lo
	s_bcnt1_i32_b32 s20, vcc_lo
	v_mbcnt_lo_u32_b32 v1, s22, 0
	s_mov_b32 s21, exec_lo
                                        ; implicit-def: $vgpr5
	v_cmpx_eq_u32_e32 0, v1
; %bb.456:                              ;   in Loop: Header=BB59_452 Depth=1
	s_bcnt1_i32_b32 s1, s22
	s_mul_i32 s1, s20, s1
	v_mov_b32_e32 v5, s1
	ds_add_rtn_u32 v5, v3, v5 offset:4108
; %bb.457:                              ;   in Loop: Header=BB59_452 Depth=1
	s_or_b32 exec_lo, exec_lo, s21
	s_waitcnt lgkmcnt(0)
	v_readfirstlane_b32 s1, v5
	v_mad_u32_u24 v5, s20, v1, s1
.LBB59_458:                             ;   in Loop: Header=BB59_452 Depth=1
	s_or_b32 exec_lo, exec_lo, s18
	ds_bpermute_b32 v5, v3, v5
	s_cmp_eq_u32 vcc_lo, 0
	s_mov_b32 s18, -1
	s_cselect_b32 s20, -1, 0
	s_waitcnt lgkmcnt(0)
	v_cmp_gt_u32_e64 s1, s37, v5
	s_or_b32 s21, s20, s1
	s_mov_b32 s20, -1
	s_and_saveexec_b32 s1, s21
	s_cbranch_execz .LBB59_451
; %bb.459:                              ;   in Loop: Header=BB59_452 Depth=1
	v_and_b32_e32 v1, vcc_lo, v17
	v_sub_nc_u32_e32 v7, s37, v5
	s_mov_b32 s21, -1
	v_bcnt_u32_b32 v1, v1, 0
	v_bcnt_u32_b32 v1, 0, v1
	v_cmp_gt_u32_e32 vcc_lo, v7, v1
	s_and_b32 s22, s19, vcc_lo
	s_and_saveexec_b32 s19, s22
	s_cbranch_execz .LBB59_463
; %bb.460:                              ;   in Loop: Header=BB59_452 Depth=1
	v_add_nc_u32_e32 v1, v5, v1
	s_mov_b32 s20, 0
	s_mov_b32 s21, exec_lo
	v_cmpx_gt_u32_e64 s37, v1
; %bb.461:                              ;   in Loop: Header=BB59_452 Depth=1
	v_mul_lo_u32 v7, v1, s13
	v_mul_lo_u32 v9, v1, s5
	v_mov_b32_e32 v8, v3
	v_mov_b32_e32 v10, v3
	;; [unrolled: 1-line block ×3, first 2 shown]
	s_mov_b32 s20, exec_lo
	v_lshlrev_b64 v[7:8], 1, v[7:8]
	v_lshlrev_b64 v[9:10], 3, v[9:10]
	v_add_co_u32 v7, vcc_lo, s6, v7
	v_add_co_ci_u32_e64 v8, null, s14, v8, vcc_lo
	v_add_co_u32 v9, vcc_lo, s15, v9
	v_add_co_ci_u32_e64 v10, null, s16, v10, vcc_lo
	global_store_short v[7:8], v37, off
	global_store_dwordx2 v[9:10], v[0:1], off
; %bb.462:                              ;   in Loop: Header=BB59_452 Depth=1
	s_or_b32 exec_lo, exec_lo, s21
	s_xor_b32 s21, exec_lo, -1
	s_orn2_b32 s20, s20, exec_lo
.LBB59_463:                             ;   in Loop: Header=BB59_452 Depth=1
	s_or_b32 exec_lo, exec_lo, s19
	s_and_saveexec_b32 s19, s20
	s_cbranch_execz .LBB59_450
; %bb.464:                              ;   in Loop: Header=BB59_452 Depth=1
	v_cmp_le_u32_e32 vcc_lo, s12, v4
	v_add_nc_u32_e32 v2, s53, v2
	s_or_b32 s21, s21, exec_lo
	s_orn2_b32 s18, vcc_lo, exec_lo
	s_branch .LBB59_450
.LBB59_465:
	s_or_b32 s10, s10, exec_lo
	s_trap 2
	s_branch .LBB59_429
.LBB59_466:
	s_or_b32 exec_lo, exec_lo, s7
	s_mov_b32 s0, 0
	s_and_saveexec_b32 s1, s17
	s_xor_b32 s1, exec_lo, s1
	s_cbranch_execnz .LBB59_472
.LBB59_467:
	s_or_b32 exec_lo, exec_lo, s1
	s_and_b32 s1, s0, exec_lo
.LBB59_468:
	s_or_b32 exec_lo, exec_lo, s4
	s_and_b32 s7, s1, exec_lo
	s_andn2_b32 s3, s3, exec_lo
	s_or_b32 exec_lo, exec_lo, s2
	s_and_saveexec_b32 s0, s3
	s_xor_b32 s0, exec_lo, s0
	s_cbranch_execz .LBB59_423
.LBB59_469:
	s_or_b32 s7, s7, exec_lo
	s_trap 2
	s_branch .LBB59_423
.LBB59_470:
	s_or_b32 s11, s11, exec_lo
	s_trap 2
	s_branch .LBB59_427
.LBB59_471:
	s_or_b32 s12, s12, exec_lo
	s_trap 2
	s_branch .LBB59_425
.LBB59_472:
	s_mov_b32 s0, exec_lo
	s_trap 2
	s_branch .LBB59_467
	.section	.rodata,"a",@progbits
	.p2align	6, 0x0
	.amdhsa_kernel _ZN2at6native6sbtopk10gatherTopKIsjLi2ELb0EEEvNS_4cuda6detail10TensorInfoIKT_T0_EES8_S8_bS8_S8_NS5_IS6_S8_EES8_NS5_IlS8_EES8_PS6_
		.amdhsa_group_segment_fixed_size 4112
		.amdhsa_private_segment_fixed_size 0
		.amdhsa_kernarg_size 952
		.amdhsa_user_sgpr_count 6
		.amdhsa_user_sgpr_private_segment_buffer 1
		.amdhsa_user_sgpr_dispatch_ptr 0
		.amdhsa_user_sgpr_queue_ptr 0
		.amdhsa_user_sgpr_kernarg_segment_ptr 1
		.amdhsa_user_sgpr_dispatch_id 0
		.amdhsa_user_sgpr_flat_scratch_init 0
		.amdhsa_user_sgpr_private_segment_size 0
		.amdhsa_wavefront_size32 1
		.amdhsa_uses_dynamic_stack 0
		.amdhsa_system_sgpr_private_segment_wavefront_offset 0
		.amdhsa_system_sgpr_workgroup_id_x 1
		.amdhsa_system_sgpr_workgroup_id_y 1
		.amdhsa_system_sgpr_workgroup_id_z 1
		.amdhsa_system_sgpr_workgroup_info 0
		.amdhsa_system_vgpr_workitem_id 0
		.amdhsa_next_free_vgpr 61
		.amdhsa_next_free_sgpr 105
		.amdhsa_reserve_vcc 1
		.amdhsa_reserve_flat_scratch 0
		.amdhsa_float_round_mode_32 0
		.amdhsa_float_round_mode_16_64 0
		.amdhsa_float_denorm_mode_32 3
		.amdhsa_float_denorm_mode_16_64 3
		.amdhsa_dx10_clamp 1
		.amdhsa_ieee_mode 1
		.amdhsa_fp16_overflow 0
		.amdhsa_workgroup_processor_mode 1
		.amdhsa_memory_ordered 1
		.amdhsa_forward_progress 1
		.amdhsa_shared_vgpr_count 0
		.amdhsa_exception_fp_ieee_invalid_op 0
		.amdhsa_exception_fp_denorm_src 0
		.amdhsa_exception_fp_ieee_div_zero 0
		.amdhsa_exception_fp_ieee_overflow 0
		.amdhsa_exception_fp_ieee_underflow 0
		.amdhsa_exception_fp_ieee_inexact 0
		.amdhsa_exception_int_div_zero 0
	.end_amdhsa_kernel
	.section	.text._ZN2at6native6sbtopk10gatherTopKIsjLi2ELb0EEEvNS_4cuda6detail10TensorInfoIKT_T0_EES8_S8_bS8_S8_NS5_IS6_S8_EES8_NS5_IlS8_EES8_PS6_,"axG",@progbits,_ZN2at6native6sbtopk10gatherTopKIsjLi2ELb0EEEvNS_4cuda6detail10TensorInfoIKT_T0_EES8_S8_bS8_S8_NS5_IS6_S8_EES8_NS5_IlS8_EES8_PS6_,comdat
.Lfunc_end59:
	.size	_ZN2at6native6sbtopk10gatherTopKIsjLi2ELb0EEEvNS_4cuda6detail10TensorInfoIKT_T0_EES8_S8_bS8_S8_NS5_IS6_S8_EES8_NS5_IlS8_EES8_PS6_, .Lfunc_end59-_ZN2at6native6sbtopk10gatherTopKIsjLi2ELb0EEEvNS_4cuda6detail10TensorInfoIKT_T0_EES8_S8_bS8_S8_NS5_IS6_S8_EES8_NS5_IlS8_EES8_PS6_
                                        ; -- End function
	.set _ZN2at6native6sbtopk10gatherTopKIsjLi2ELb0EEEvNS_4cuda6detail10TensorInfoIKT_T0_EES8_S8_bS8_S8_NS5_IS6_S8_EES8_NS5_IlS8_EES8_PS6_.num_vgpr, 61
	.set _ZN2at6native6sbtopk10gatherTopKIsjLi2ELb0EEEvNS_4cuda6detail10TensorInfoIKT_T0_EES8_S8_bS8_S8_NS5_IS6_S8_EES8_NS5_IlS8_EES8_PS6_.num_agpr, 0
	.set _ZN2at6native6sbtopk10gatherTopKIsjLi2ELb0EEEvNS_4cuda6detail10TensorInfoIKT_T0_EES8_S8_bS8_S8_NS5_IS6_S8_EES8_NS5_IlS8_EES8_PS6_.numbered_sgpr, 105
	.set _ZN2at6native6sbtopk10gatherTopKIsjLi2ELb0EEEvNS_4cuda6detail10TensorInfoIKT_T0_EES8_S8_bS8_S8_NS5_IS6_S8_EES8_NS5_IlS8_EES8_PS6_.num_named_barrier, 0
	.set _ZN2at6native6sbtopk10gatherTopKIsjLi2ELb0EEEvNS_4cuda6detail10TensorInfoIKT_T0_EES8_S8_bS8_S8_NS5_IS6_S8_EES8_NS5_IlS8_EES8_PS6_.private_seg_size, 0
	.set _ZN2at6native6sbtopk10gatherTopKIsjLi2ELb0EEEvNS_4cuda6detail10TensorInfoIKT_T0_EES8_S8_bS8_S8_NS5_IS6_S8_EES8_NS5_IlS8_EES8_PS6_.uses_vcc, 1
	.set _ZN2at6native6sbtopk10gatherTopKIsjLi2ELb0EEEvNS_4cuda6detail10TensorInfoIKT_T0_EES8_S8_bS8_S8_NS5_IS6_S8_EES8_NS5_IlS8_EES8_PS6_.uses_flat_scratch, 0
	.set _ZN2at6native6sbtopk10gatherTopKIsjLi2ELb0EEEvNS_4cuda6detail10TensorInfoIKT_T0_EES8_S8_bS8_S8_NS5_IS6_S8_EES8_NS5_IlS8_EES8_PS6_.has_dyn_sized_stack, 0
	.set _ZN2at6native6sbtopk10gatherTopKIsjLi2ELb0EEEvNS_4cuda6detail10TensorInfoIKT_T0_EES8_S8_bS8_S8_NS5_IS6_S8_EES8_NS5_IlS8_EES8_PS6_.has_recursion, 0
	.set _ZN2at6native6sbtopk10gatherTopKIsjLi2ELb0EEEvNS_4cuda6detail10TensorInfoIKT_T0_EES8_S8_bS8_S8_NS5_IS6_S8_EES8_NS5_IlS8_EES8_PS6_.has_indirect_call, 0
	.section	.AMDGPU.csdata,"",@progbits
; Kernel info:
; codeLenInByte = 16212
; TotalNumSgprs: 107
; NumVgprs: 61
; ScratchSize: 0
; MemoryBound: 0
; FloatMode: 240
; IeeeMode: 1
; LDSByteSize: 4112 bytes/workgroup (compile time only)
; SGPRBlocks: 0
; VGPRBlocks: 7
; NumSGPRsForWavesPerEU: 107
; NumVGPRsForWavesPerEU: 61
; Occupancy: 16
; WaveLimiterHint : 1
; COMPUTE_PGM_RSRC2:SCRATCH_EN: 0
; COMPUTE_PGM_RSRC2:USER_SGPR: 6
; COMPUTE_PGM_RSRC2:TRAP_HANDLER: 0
; COMPUTE_PGM_RSRC2:TGID_X_EN: 1
; COMPUTE_PGM_RSRC2:TGID_Y_EN: 1
; COMPUTE_PGM_RSRC2:TGID_Z_EN: 1
; COMPUTE_PGM_RSRC2:TIDIG_COMP_CNT: 0
	.section	.text._ZN2at6native6mbtopk23computeBlockDigitCountsIsjjLi3EEEvNS_4cuda6detail10TensorInfoIKT_T0_EEjPjjS8_iijT1_PSB_Ps,"axG",@progbits,_ZN2at6native6mbtopk23computeBlockDigitCountsIsjjLi3EEEvNS_4cuda6detail10TensorInfoIKT_T0_EEjPjjS8_iijT1_PSB_Ps,comdat
	.protected	_ZN2at6native6mbtopk23computeBlockDigitCountsIsjjLi3EEEvNS_4cuda6detail10TensorInfoIKT_T0_EEjPjjS8_iijT1_PSB_Ps ; -- Begin function _ZN2at6native6mbtopk23computeBlockDigitCountsIsjjLi3EEEvNS_4cuda6detail10TensorInfoIKT_T0_EEjPjjS8_iijT1_PSB_Ps
	.globl	_ZN2at6native6mbtopk23computeBlockDigitCountsIsjjLi3EEEvNS_4cuda6detail10TensorInfoIKT_T0_EEjPjjS8_iijT1_PSB_Ps
	.p2align	8
	.type	_ZN2at6native6mbtopk23computeBlockDigitCountsIsjjLi3EEEvNS_4cuda6detail10TensorInfoIKT_T0_EEjPjjS8_iijT1_PSB_Ps,@function
_ZN2at6native6mbtopk23computeBlockDigitCountsIsjjLi3EEEvNS_4cuda6detail10TensorInfoIKT_T0_EEjPjjS8_iijT1_PSB_Ps: ; @_ZN2at6native6mbtopk23computeBlockDigitCountsIsjjLi3EEEvNS_4cuda6detail10TensorInfoIKT_T0_EEjPjjS8_iijT1_PSB_Ps
; %bb.0:
	s_clause 0x2
	s_load_dwordx2 s[10:11], s[4:5], 0xf8
	s_load_dwordx4 s[12:15], s[4:5], 0xe8
	s_load_dwordx2 s[0:1], s[4:5], 0x110
	s_mov_b32 s9, 0
	s_waitcnt lgkmcnt(0)
	v_cvt_f32_u32_e32 v1, s10
	s_sub_i32 s3, 0, s10
	s_mul_i32 s1, s1, s8
	s_add_i32 s1, s1, s7
	v_rcp_iflag_f32_e32 v1, v1
	s_mul_i32 s18, s1, s0
	s_add_i32 s18, s18, s6
	v_mul_f32_e32 v1, 0x4f7ffffe, v1
	v_cvt_u32_f32_e32 v1, v1
	v_readfirstlane_b32 s2, v1
	s_mul_i32 s3, s3, s2
	s_mul_hi_u32 s0, s2, s3
	s_add_i32 s2, s2, s0
	s_mul_hi_u32 s0, s18, s2
	s_mul_i32 s1, s0, s10
	s_add_i32 s2, s0, 1
	s_sub_i32 s1, s18, s1
	s_sub_i32 s3, s1, s10
	s_cmp_ge_u32 s1, s10
	s_cselect_b32 s0, s2, s0
	s_cselect_b32 s1, s3, s1
	s_add_i32 s2, s0, 1
	s_cmp_ge_u32 s1, s10
	s_cselect_b32 s8, s2, s0
	s_cmp_ge_u32 s8, s12
	s_cbranch_scc1 .LBB60_27
; %bb.1:
	s_clause 0x1
	s_load_dwordx2 s[6:7], s[4:5], 0xc
	s_load_dwordx4 s[0:3], s[4:5], 0x100
	s_lshl_b64 s[16:17], s[8:9], 2
	v_cmp_gt_u32_e32 vcc_lo, 0x100, v0
	v_lshlrev_b32_e32 v3, 2, v0
	s_waitcnt lgkmcnt(0)
	v_cvt_f32_u32_e32 v1, s7
	v_cvt_f32_u32_e32 v2, s6
	s_add_u32 s16, s0, s16
	s_addc_u32 s17, s1, s17
	s_sub_i32 s0, 0, s7
	v_rcp_iflag_f32_e32 v1, v1
	v_rcp_iflag_f32_e32 v2, v2
	v_mul_f32_e32 v1, 0x4f7ffffe, v1
	v_cvt_u32_f32_e32 v1, v1
	v_readfirstlane_b32 s9, v1
	v_mul_f32_e32 v1, 0x4f7ffffe, v2
	s_mul_i32 s0, s0, s9
	v_cvt_u32_f32_e32 v1, v1
	s_mul_hi_u32 s0, s9, s0
	s_add_i32 s9, s9, s0
	v_readfirstlane_b32 s19, v1
	s_mul_hi_u32 s0, s8, s9
	s_mul_i32 s1, s0, s7
	s_add_i32 s9, s0, 1
	s_sub_i32 s1, s8, s1
	s_sub_i32 s12, s1, s7
	s_cmp_ge_u32 s1, s7
	s_cselect_b32 s0, s9, s0
	s_cselect_b32 s1, s12, s1
	s_add_i32 s9, s0, 1
	s_cmp_ge_u32 s1, s7
	s_cselect_b32 s0, s9, s0
	s_and_saveexec_b32 s1, vcc_lo
; %bb.2:
	v_mov_b32_e32 v1, 0
	ds_write_b32 v3, v1
; %bb.3:
	s_or_b32 exec_lo, exec_lo, s1
	s_load_dword s9, s[4:5], 0xd8
	s_mul_i32 s1, s8, s10
	s_waitcnt lgkmcnt(0)
	s_sub_i32 s1, s18, s1
	s_barrier
	s_mul_i32 s12, s15, s1
	s_add_i32 s1, s1, 1
	s_lshl_b32 s12, s12, 8
	buffer_gl0_inv
	s_sub_i32 s20, s9, s12
	s_add_u32 s20, s20, 0xff
	s_addc_u32 s21, 0, 0
	s_lshr_b64 s[20:21], s[20:21], 8
	s_cmp_lt_u32 s1, s10
	s_mov_b32 s1, 0
	s_cselect_b32 s10, s15, s20
	s_cmp_lt_i32 s10, 1
	s_cbranch_scc1 .LBB60_25
; %bb.4:
	s_sub_i32 s15, 0, s6
	s_clause 0x1
	s_load_dwordx4 s[20:23], s[4:5], 0x6c
	s_load_dwordx2 s[24:25], s[4:5], 0x0
	s_mul_i32 s15, s15, s19
	s_mul_i32 s7, s0, s7
	s_mul_hi_u32 s15, s19, s15
	s_sub_i32 s7, s8, s7
	s_add_i32 s19, s19, s15
	s_mul_hi_u32 s15, s0, s19
	s_mul_i32 s19, s15, s6
	s_sub_i32 s8, s0, s19
	s_add_i32 s19, s15, 1
	s_waitcnt lgkmcnt(0)
	s_sub_i32 s23, s8, s6
	s_cmp_ge_u32 s8, s6
	s_cselect_b32 s5, s19, s15
	s_cselect_b32 s4, s23, s8
	s_add_i32 s8, s5, 1
	s_cmp_ge_u32 s4, s6
	s_load_dword s4, s[16:17], 0x0
	s_cselect_b32 s5, s8, s5
	s_mul_i32 s7, s7, s22
	s_mul_i32 s6, s5, s6
	;; [unrolled: 1-line block ×3, first 2 shown]
	s_sub_i32 s0, s0, s6
	s_mul_i32 s0, s0, s21
	s_add_i32 s0, s0, s7
	s_add_i32 s0, s0, s5
	s_lshl_b64 s[6:7], s[0:1], 1
	s_add_u32 s5, s24, s6
	s_addc_u32 s6, s25, s7
	s_and_b32 s7, s14, 0xff
	s_cmp_lt_u32 s10, 4
	s_cbranch_scc1 .LBB60_19
; %bb.5:
	v_add_nc_u32_e32 v1, s12, v0
	v_mov_b32_e32 v9, 1
	s_and_b32 s1, s10, 0x7ffffffc
	s_lshl_b32 s8, s13, 10
	s_mov_b32 s14, 0
	v_add_nc_u32_e32 v4, 0x300, v1
	v_add_nc_u32_e32 v2, 0x200, v1
	;; [unrolled: 1-line block ×3, first 2 shown]
	v_mul_lo_u32 v8, s13, v1
	s_mov_b32 s15, 0
	v_mul_lo_u32 v5, s13, v4
	v_mul_lo_u32 v6, s13, v2
	;; [unrolled: 1-line block ×3, first 2 shown]
	v_mov_b32_e32 v2, 0
	s_branch .LBB60_7
.LBB60_6:                               ;   in Loop: Header=BB60_7 Depth=1
	s_or_b32 exec_lo, exec_lo, s16
	v_add_nc_u32_e32 v4, 0x400, v4
	s_add_i32 s15, s15, 4
	s_add_i32 s14, s14, s8
	s_cmp_eq_u32 s1, s15
	s_cbranch_scc1 .LBB60_19
.LBB60_7:                               ; =>This Inner Loop Header: Depth=1
	v_add_nc_u32_e32 v1, 0xfffffd00, v4
	s_mov_b32 s16, exec_lo
	v_cmpx_gt_u32_e64 s9, v1
	s_cbranch_execz .LBB60_10
; %bb.8:                                ;   in Loop: Header=BB60_7 Depth=1
	v_add_nc_u32_e32 v1, s14, v8
	v_lshlrev_b64 v[10:11], 1, v[1:2]
	v_add_co_u32 v10, s0, s5, v10
	v_add_co_ci_u32_e64 v11, null, s6, v11, s0
	global_load_sshort v1, v[10:11], off
	s_waitcnt vmcnt(0)
	v_add_nc_u32_e32 v1, 0x8000, v1
	s_waitcnt lgkmcnt(0)
	v_xor_b32_e32 v10, s4, v1
	v_and_b32_e32 v10, s11, v10
	v_cmp_eq_u32_e64 s0, 0, v10
	s_and_b32 exec_lo, exec_lo, s0
; %bb.9:                                ;   in Loop: Header=BB60_7 Depth=1
	v_bfe_u32 v1, v1, s7, 8
	v_lshlrev_b32_e32 v1, 2, v1
	ds_add_u32 v1, v9
.LBB60_10:                              ;   in Loop: Header=BB60_7 Depth=1
	s_or_b32 exec_lo, exec_lo, s16
	v_add_nc_u32_e32 v1, 0xfffffe00, v4
	s_mov_b32 s16, exec_lo
	v_cmpx_gt_u32_e64 s9, v1
	s_cbranch_execz .LBB60_13
; %bb.11:                               ;   in Loop: Header=BB60_7 Depth=1
	v_add_nc_u32_e32 v1, s14, v7
	v_lshlrev_b64 v[10:11], 1, v[1:2]
	v_add_co_u32 v10, s0, s5, v10
	v_add_co_ci_u32_e64 v11, null, s6, v11, s0
	global_load_sshort v1, v[10:11], off
	s_waitcnt vmcnt(0)
	v_add_nc_u32_e32 v1, 0x8000, v1
	s_waitcnt lgkmcnt(0)
	v_xor_b32_e32 v10, s4, v1
	v_and_b32_e32 v10, s11, v10
	v_cmp_eq_u32_e64 s0, 0, v10
	s_and_b32 exec_lo, exec_lo, s0
; %bb.12:                               ;   in Loop: Header=BB60_7 Depth=1
	v_bfe_u32 v1, v1, s7, 8
	v_lshlrev_b32_e32 v1, 2, v1
	ds_add_u32 v1, v9
.LBB60_13:                              ;   in Loop: Header=BB60_7 Depth=1
	s_or_b32 exec_lo, exec_lo, s16
	v_add_nc_u32_e32 v1, 0xffffff00, v4
	s_mov_b32 s16, exec_lo
	v_cmpx_gt_u32_e64 s9, v1
	s_cbranch_execz .LBB60_16
; %bb.14:                               ;   in Loop: Header=BB60_7 Depth=1
	v_add_nc_u32_e32 v1, s14, v6
	v_lshlrev_b64 v[10:11], 1, v[1:2]
	v_add_co_u32 v10, s0, s5, v10
	v_add_co_ci_u32_e64 v11, null, s6, v11, s0
	global_load_sshort v1, v[10:11], off
	s_waitcnt vmcnt(0)
	v_add_nc_u32_e32 v1, 0x8000, v1
	s_waitcnt lgkmcnt(0)
	v_xor_b32_e32 v10, s4, v1
	v_and_b32_e32 v10, s11, v10
	v_cmp_eq_u32_e64 s0, 0, v10
	s_and_b32 exec_lo, exec_lo, s0
; %bb.15:                               ;   in Loop: Header=BB60_7 Depth=1
	v_bfe_u32 v1, v1, s7, 8
	v_lshlrev_b32_e32 v1, 2, v1
	ds_add_u32 v1, v9
.LBB60_16:                              ;   in Loop: Header=BB60_7 Depth=1
	s_or_b32 exec_lo, exec_lo, s16
	s_mov_b32 s16, exec_lo
	v_cmpx_gt_u32_e64 s9, v4
	s_cbranch_execz .LBB60_6
; %bb.17:                               ;   in Loop: Header=BB60_7 Depth=1
	v_add_nc_u32_e32 v1, s14, v5
	v_lshlrev_b64 v[10:11], 1, v[1:2]
	v_add_co_u32 v10, s0, s5, v10
	v_add_co_ci_u32_e64 v11, null, s6, v11, s0
	global_load_sshort v1, v[10:11], off
	s_waitcnt vmcnt(0)
	v_add_nc_u32_e32 v1, 0x8000, v1
	s_waitcnt lgkmcnt(0)
	v_xor_b32_e32 v10, s4, v1
	v_and_b32_e32 v10, s11, v10
	v_cmp_eq_u32_e64 s0, 0, v10
	s_and_b32 exec_lo, exec_lo, s0
	s_cbranch_execz .LBB60_6
; %bb.18:                               ;   in Loop: Header=BB60_7 Depth=1
	v_bfe_u32 v1, v1, s7, 8
	v_lshlrev_b32_e32 v1, 2, v1
	ds_add_u32 v1, v9
	s_branch .LBB60_6
.LBB60_19:
	s_and_b32 s8, s10, 3
	s_cmp_eq_u32 s8, 0
	s_cbranch_scc1 .LBB60_25
; %bb.20:
	s_lshl_b32 s0, s1, 8
	v_mov_b32_e32 v2, 0
	v_add3_u32 v4, s0, s12, v0
	v_mov_b32_e32 v5, 1
	s_lshl_b32 s1, s13, 8
	v_mul_lo_u32 v1, s13, v4
	s_inst_prefetch 0x1
	s_branch .LBB60_22
	.p2align	6
.LBB60_21:                              ;   in Loop: Header=BB60_22 Depth=1
	s_or_b32 exec_lo, exec_lo, s10
	v_add_nc_u32_e32 v1, s1, v1
	v_add_nc_u32_e32 v4, 0x100, v4
	s_add_i32 s8, s8, -1
	s_cmp_lg_u32 s8, 0
	s_cbranch_scc0 .LBB60_25
.LBB60_22:                              ; =>This Inner Loop Header: Depth=1
	s_mov_b32 s10, exec_lo
	v_cmpx_gt_u32_e64 s9, v4
	s_cbranch_execz .LBB60_21
; %bb.23:                               ;   in Loop: Header=BB60_22 Depth=1
	v_lshlrev_b64 v[6:7], 1, v[1:2]
	v_add_co_u32 v6, s0, s5, v6
	v_add_co_ci_u32_e64 v7, null, s6, v7, s0
	global_load_sshort v6, v[6:7], off
	s_waitcnt vmcnt(0)
	v_add_nc_u32_e32 v6, 0x8000, v6
	s_waitcnt lgkmcnt(0)
	v_xor_b32_e32 v7, s4, v6
	v_and_b32_e32 v7, s11, v7
	v_cmp_eq_u32_e64 s0, 0, v7
	s_and_b32 exec_lo, exec_lo, s0
	s_cbranch_execz .LBB60_21
; %bb.24:                               ;   in Loop: Header=BB60_22 Depth=1
	v_bfe_u32 v6, v6, s7, 8
	v_lshlrev_b32_e32 v6, 2, v6
	ds_add_u32 v6, v5
	s_branch .LBB60_21
.LBB60_25:
	s_inst_prefetch 0x2
	s_waitcnt lgkmcnt(0)
	s_barrier
	buffer_gl0_inv
	s_and_saveexec_b32 s0, vcc_lo
	s_cbranch_execz .LBB60_27
; %bb.26:
	ds_read_b32 v2, v3
	v_lshl_or_b32 v0, s18, 8, v0
	v_mov_b32_e32 v1, 0
	v_lshlrev_b64 v[0:1], 1, v[0:1]
	v_add_co_u32 v0, vcc_lo, s2, v0
	v_add_co_ci_u32_e64 v1, null, s3, v1, vcc_lo
	s_waitcnt lgkmcnt(0)
	global_store_short v[0:1], v2, off
.LBB60_27:
	s_endpgm
	.section	.rodata,"a",@progbits
	.p2align	6, 0x0
	.amdhsa_kernel _ZN2at6native6mbtopk23computeBlockDigitCountsIsjjLi3EEEvNS_4cuda6detail10TensorInfoIKT_T0_EEjPjjS8_iijT1_PSB_Ps
		.amdhsa_group_segment_fixed_size 1024
		.amdhsa_private_segment_fixed_size 0
		.amdhsa_kernarg_size 528
		.amdhsa_user_sgpr_count 6
		.amdhsa_user_sgpr_private_segment_buffer 1
		.amdhsa_user_sgpr_dispatch_ptr 0
		.amdhsa_user_sgpr_queue_ptr 0
		.amdhsa_user_sgpr_kernarg_segment_ptr 1
		.amdhsa_user_sgpr_dispatch_id 0
		.amdhsa_user_sgpr_flat_scratch_init 0
		.amdhsa_user_sgpr_private_segment_size 0
		.amdhsa_wavefront_size32 1
		.amdhsa_uses_dynamic_stack 0
		.amdhsa_system_sgpr_private_segment_wavefront_offset 0
		.amdhsa_system_sgpr_workgroup_id_x 1
		.amdhsa_system_sgpr_workgroup_id_y 1
		.amdhsa_system_sgpr_workgroup_id_z 1
		.amdhsa_system_sgpr_workgroup_info 0
		.amdhsa_system_vgpr_workitem_id 0
		.amdhsa_next_free_vgpr 12
		.amdhsa_next_free_sgpr 26
		.amdhsa_reserve_vcc 1
		.amdhsa_reserve_flat_scratch 0
		.amdhsa_float_round_mode_32 0
		.amdhsa_float_round_mode_16_64 0
		.amdhsa_float_denorm_mode_32 3
		.amdhsa_float_denorm_mode_16_64 3
		.amdhsa_dx10_clamp 1
		.amdhsa_ieee_mode 1
		.amdhsa_fp16_overflow 0
		.amdhsa_workgroup_processor_mode 1
		.amdhsa_memory_ordered 1
		.amdhsa_forward_progress 1
		.amdhsa_shared_vgpr_count 0
		.amdhsa_exception_fp_ieee_invalid_op 0
		.amdhsa_exception_fp_denorm_src 0
		.amdhsa_exception_fp_ieee_div_zero 0
		.amdhsa_exception_fp_ieee_overflow 0
		.amdhsa_exception_fp_ieee_underflow 0
		.amdhsa_exception_fp_ieee_inexact 0
		.amdhsa_exception_int_div_zero 0
	.end_amdhsa_kernel
	.section	.text._ZN2at6native6mbtopk23computeBlockDigitCountsIsjjLi3EEEvNS_4cuda6detail10TensorInfoIKT_T0_EEjPjjS8_iijT1_PSB_Ps,"axG",@progbits,_ZN2at6native6mbtopk23computeBlockDigitCountsIsjjLi3EEEvNS_4cuda6detail10TensorInfoIKT_T0_EEjPjjS8_iijT1_PSB_Ps,comdat
.Lfunc_end60:
	.size	_ZN2at6native6mbtopk23computeBlockDigitCountsIsjjLi3EEEvNS_4cuda6detail10TensorInfoIKT_T0_EEjPjjS8_iijT1_PSB_Ps, .Lfunc_end60-_ZN2at6native6mbtopk23computeBlockDigitCountsIsjjLi3EEEvNS_4cuda6detail10TensorInfoIKT_T0_EEjPjjS8_iijT1_PSB_Ps
                                        ; -- End function
	.set _ZN2at6native6mbtopk23computeBlockDigitCountsIsjjLi3EEEvNS_4cuda6detail10TensorInfoIKT_T0_EEjPjjS8_iijT1_PSB_Ps.num_vgpr, 12
	.set _ZN2at6native6mbtopk23computeBlockDigitCountsIsjjLi3EEEvNS_4cuda6detail10TensorInfoIKT_T0_EEjPjjS8_iijT1_PSB_Ps.num_agpr, 0
	.set _ZN2at6native6mbtopk23computeBlockDigitCountsIsjjLi3EEEvNS_4cuda6detail10TensorInfoIKT_T0_EEjPjjS8_iijT1_PSB_Ps.numbered_sgpr, 26
	.set _ZN2at6native6mbtopk23computeBlockDigitCountsIsjjLi3EEEvNS_4cuda6detail10TensorInfoIKT_T0_EEjPjjS8_iijT1_PSB_Ps.num_named_barrier, 0
	.set _ZN2at6native6mbtopk23computeBlockDigitCountsIsjjLi3EEEvNS_4cuda6detail10TensorInfoIKT_T0_EEjPjjS8_iijT1_PSB_Ps.private_seg_size, 0
	.set _ZN2at6native6mbtopk23computeBlockDigitCountsIsjjLi3EEEvNS_4cuda6detail10TensorInfoIKT_T0_EEjPjjS8_iijT1_PSB_Ps.uses_vcc, 1
	.set _ZN2at6native6mbtopk23computeBlockDigitCountsIsjjLi3EEEvNS_4cuda6detail10TensorInfoIKT_T0_EEjPjjS8_iijT1_PSB_Ps.uses_flat_scratch, 0
	.set _ZN2at6native6mbtopk23computeBlockDigitCountsIsjjLi3EEEvNS_4cuda6detail10TensorInfoIKT_T0_EEjPjjS8_iijT1_PSB_Ps.has_dyn_sized_stack, 0
	.set _ZN2at6native6mbtopk23computeBlockDigitCountsIsjjLi3EEEvNS_4cuda6detail10TensorInfoIKT_T0_EEjPjjS8_iijT1_PSB_Ps.has_recursion, 0
	.set _ZN2at6native6mbtopk23computeBlockDigitCountsIsjjLi3EEEvNS_4cuda6detail10TensorInfoIKT_T0_EEjPjjS8_iijT1_PSB_Ps.has_indirect_call, 0
	.section	.AMDGPU.csdata,"",@progbits
; Kernel info:
; codeLenInByte = 1444
; TotalNumSgprs: 28
; NumVgprs: 12
; ScratchSize: 0
; MemoryBound: 0
; FloatMode: 240
; IeeeMode: 1
; LDSByteSize: 1024 bytes/workgroup (compile time only)
; SGPRBlocks: 0
; VGPRBlocks: 1
; NumSGPRsForWavesPerEU: 28
; NumVGPRsForWavesPerEU: 12
; Occupancy: 16
; WaveLimiterHint : 1
; COMPUTE_PGM_RSRC2:SCRATCH_EN: 0
; COMPUTE_PGM_RSRC2:USER_SGPR: 6
; COMPUTE_PGM_RSRC2:TRAP_HANDLER: 0
; COMPUTE_PGM_RSRC2:TGID_X_EN: 1
; COMPUTE_PGM_RSRC2:TGID_Y_EN: 1
; COMPUTE_PGM_RSRC2:TGID_Z_EN: 1
; COMPUTE_PGM_RSRC2:TIDIG_COMP_CNT: 0
	.section	.text._ZN2at6native6mbtopk10gatherTopKIsjLi3EEEvNS_4cuda6detail10TensorInfoIKT_T0_EES8_S8_bjS8_NS5_IS6_S8_EES8_NS5_IlS8_EES8_jjPS6_PjSD_j,"axG",@progbits,_ZN2at6native6mbtopk10gatherTopKIsjLi3EEEvNS_4cuda6detail10TensorInfoIKT_T0_EES8_S8_bjS8_NS5_IS6_S8_EES8_NS5_IlS8_EES8_jjPS6_PjSD_j,comdat
	.protected	_ZN2at6native6mbtopk10gatherTopKIsjLi3EEEvNS_4cuda6detail10TensorInfoIKT_T0_EES8_S8_bjS8_NS5_IS6_S8_EES8_NS5_IlS8_EES8_jjPS6_PjSD_j ; -- Begin function _ZN2at6native6mbtopk10gatherTopKIsjLi3EEEvNS_4cuda6detail10TensorInfoIKT_T0_EES8_S8_bjS8_NS5_IS6_S8_EES8_NS5_IlS8_EES8_jjPS6_PjSD_j
	.globl	_ZN2at6native6mbtopk10gatherTopKIsjLi3EEEvNS_4cuda6detail10TensorInfoIKT_T0_EES8_S8_bjS8_NS5_IS6_S8_EES8_NS5_IlS8_EES8_jjPS6_PjSD_j
	.p2align	8
	.type	_ZN2at6native6mbtopk10gatherTopKIsjLi3EEEvNS_4cuda6detail10TensorInfoIKT_T0_EES8_S8_bjS8_NS5_IS6_S8_EES8_NS5_IlS8_EES8_jjPS6_PjSD_j,@function
_ZN2at6native6mbtopk10gatherTopKIsjLi3EEEvNS_4cuda6detail10TensorInfoIKT_T0_EES8_S8_bjS8_NS5_IS6_S8_EES8_NS5_IlS8_EES8_jjPS6_PjSD_j: ; @_ZN2at6native6mbtopk10gatherTopKIsjLi3EEEvNS_4cuda6detail10TensorInfoIKT_T0_EES8_S8_bjS8_NS5_IS6_S8_EES8_NS5_IlS8_EES8_jjPS6_PjSD_j
; %bb.0:
	s_clause 0x1
	s_load_dwordx2 s[0:1], s[4:5], 0x2d8
	s_load_dword s2, s[4:5], 0x2d0
	s_waitcnt lgkmcnt(0)
	s_mul_i32 s1, s1, s8
	s_add_i32 s1, s1, s7
	s_mul_i32 s0, s1, s0
	s_add_i32 s0, s0, s6
	s_cmp_ge_u32 s0, s2
	s_cbranch_scc1 .LBB61_40
; %bb.1:
	s_clause 0x3
	s_load_dwordx8 s[8:15], s[4:5], 0x2a8
	s_load_dwordx2 s[36:37], s[4:5], 0xc
	s_load_dwordx2 s[34:35], s[4:5], 0xfc
	;; [unrolled: 1-line block ×3, first 2 shown]
	s_mov_b32 s39, 0
	s_load_dwordx2 s[2:3], s[4:5], 0x1d0
	s_waitcnt lgkmcnt(0)
	v_cvt_f32_u32_e32 v1, s10
	v_cvt_f32_u32_e32 v2, s37
	s_sub_i32 s1, 0, s10
	v_cvt_f32_u32_e32 v4, s35
	v_cvt_f32_u32_e32 v3, s36
	v_rcp_iflag_f32_e32 v1, v1
	v_rcp_iflag_f32_e32 v2, v2
	v_cvt_f32_u32_e32 v5, s34
	v_rcp_iflag_f32_e32 v4, v4
	v_rcp_iflag_f32_e32 v3, v3
	;; [unrolled: 3-line block ×3, first 2 shown]
	v_mul_f32_e32 v1, 0x4f7ffffe, v1
	v_mul_f32_e32 v2, 0x4f7ffffe, v2
	;; [unrolled: 1-line block ×3, first 2 shown]
	v_cvt_u32_f32_e32 v1, v1
	v_cvt_u32_f32_e32 v2, v2
	;; [unrolled: 1-line block ×3, first 2 shown]
	v_readfirstlane_b32 s11, v1
	v_readfirstlane_b32 s18, v2
	v_mul_f32_e32 v2, 0x4f7ffffe, v4
	v_mul_f32_e32 v4, 0x4f7ffffe, v5
	;; [unrolled: 1-line block ×3, first 2 shown]
	s_mul_i32 s1, s1, s11
	v_cvt_f32_u32_e32 v1, s6
	s_mul_hi_u32 s1, s11, s1
	v_cvt_u32_f32_e32 v2, v2
	s_add_i32 s11, s11, s1
	s_mul_hi_u32 s1, s0, s11
	v_rcp_iflag_f32_e32 v1, v1
	s_mul_i32 s11, s1, s10
	s_add_i32 s16, s1, 1
	s_sub_i32 s11, s0, s11
	s_sub_i32 s17, s11, s10
	s_cmp_ge_u32 s11, s10
	s_cselect_b32 s1, s16, s1
	s_cselect_b32 s11, s17, s11
	s_add_i32 s16, s1, 1
	s_cmp_ge_u32 s11, s10
	v_mul_f32_e32 v1, 0x4f7ffffe, v1
	s_cselect_b32 s38, s16, s1
	s_sub_i32 s1, 0, s37
	s_mul_i32 s28, s38, s10
	s_mul_i32 s1, s1, s18
	s_sub_i32 s11, s0, s28
	s_mul_hi_u32 s1, s18, s1
	v_cvt_u32_f32_e32 v1, v1
	s_add_i32 s18, s18, s1
	s_mul_hi_u32 s1, s38, s18
	v_readfirstlane_b32 s18, v2
	s_mul_i32 s16, s1, s37
	v_cvt_u32_f32_e32 v2, v4
	s_sub_i32 s0, s38, s16
	s_add_i32 s16, s1, 1
	s_sub_i32 s17, s0, s37
	s_cmp_ge_u32 s0, s37
	s_cselect_b32 s1, s16, s1
	s_cselect_b32 s0, s17, s0
	s_add_i32 s16, s1, 1
	s_cmp_ge_u32 s0, s37
	s_cselect_b32 s49, s16, s1
	s_sub_i32 s0, 0, s35
	v_readfirstlane_b32 s1, v3
	s_mul_i32 s0, s0, s18
	s_sub_i32 s16, 0, s36
	s_mul_hi_u32 s0, s18, s0
	v_cvt_u32_f32_e32 v3, v5
	s_add_i32 s18, s18, s0
	s_mul_i32 s16, s16, s1
	s_mul_hi_u32 s0, s38, s18
	s_mul_hi_u32 s16, s1, s16
	s_mul_i32 s17, s0, s35
	s_add_i32 s29, s1, s16
	s_sub_i32 s1, s38, s17
	s_add_i32 s16, s0, 1
	s_sub_i32 s17, s1, s35
	s_cmp_ge_u32 s1, s35
	v_readfirstlane_b32 s18, v3
	s_cselect_b32 s0, s16, s0
	s_cselect_b32 s1, s17, s1
	s_add_i32 s16, s0, 1
	s_cmp_ge_u32 s1, s35
	v_readfirstlane_b32 s1, v2
	s_cselect_b32 s48, s16, s0
	s_sub_i32 s0, 0, s7
	s_sub_i32 s16, 0, s34
	s_mul_i32 s0, s0, s18
	s_mul_i32 s16, s16, s1
	s_mul_hi_u32 s0, s18, s0
	s_mul_hi_u32 s16, s1, s16
	s_add_i32 s18, s18, s0
	s_add_i32 s30, s1, s16
	s_mul_hi_u32 s0, s38, s18
	v_readfirstlane_b32 s18, v1
	s_mul_i32 s17, s0, s7
	s_add_i32 s16, s0, 1
	s_sub_i32 s1, s38, s17
	v_mov_b32_e32 v1, 0
	s_sub_i32 s17, s1, s7
	s_cmp_ge_u32 s1, s7
	s_cselect_b32 s0, s16, s0
	s_cselect_b32 s1, s17, s1
	s_add_i32 s16, s0, 1
	s_cmp_ge_u32 s1, s7
	s_cselect_b32 s33, s16, s0
	s_sub_i32 s0, 0, s6
	s_mul_i32 s0, s0, s18
	s_mul_hi_u32 s16, s18, s0
	s_lshl_b64 s[0:1], s[38:39], 1
	s_add_i32 s31, s18, s16
	s_add_u32 s0, s12, s0
	s_addc_u32 s1, s13, s1
	global_load_ushort v6, v1, s[0:1]
	s_clause 0x4
	s_load_dwordx4 s[20:23], s[4:5], 0x15c
	s_load_dwordx2 s[42:43], s[4:5], 0x0
	s_load_dwordx4 s[16:19], s[4:5], 0x23c
	s_load_dwordx2 s[40:41], s[4:5], 0xf0
	s_load_dwordx4 s[24:27], s[4:5], 0x6c
	v_cmp_ne_u32_e64 s0, 0, v0
	v_cmp_eq_u32_e64 s1, 0, v0
	s_waitcnt lgkmcnt(0)
	s_mul_hi_u32 s27, s49, s29
	s_mul_hi_u32 s23, s48, s30
	s_mul_hi_u32 s19, s33, s31
	s_and_saveexec_b32 s50, s1
	s_cbranch_execz .LBB61_17
; %bb.2:
	s_load_dwordx2 s[12:13], s[4:5], 0x2c8
	s_mov_b32 s29, s39
	s_lshl_b64 s[44:45], s[28:29], 2
	s_add_u32 s28, s14, s44
	s_addc_u32 s29, s15, s45
	s_waitcnt lgkmcnt(0)
	s_add_u32 s30, s12, s44
	s_addc_u32 s31, s13, s45
	s_cmp_lt_u32 s10, 4
	s_cbranch_scc1 .LBB61_14
; %bb.3:
	s_mov_b32 s51, s39
	s_mov_b32 s52, s39
	;; [unrolled: 1-line block ×3, first 2 shown]
.LBB61_4:                               ; =>This Inner Loop Header: Depth=1
	s_add_u32 s28, s14, s44
	s_addc_u32 s29, s15, s45
	s_add_u32 s46, s12, s44
	s_load_dwordx4 s[28:31], s[28:29], 0x0
	s_addc_u32 s47, s13, s45
	s_cmp_ge_u32 s53, s11
	s_cbranch_scc0 .LBB61_11
; %bb.5:                                ;   in Loop: Header=BB61_4 Depth=1
	s_add_i32 s54, s53, 1
	s_cmp_ge_u32 s54, s11
	s_cbranch_scc0 .LBB61_12
.LBB61_6:                               ;   in Loop: Header=BB61_4 Depth=1
	s_add_i32 s54, s54, 1
	s_cmp_ge_u32 s54, s11
	s_cbranch_scc0 .LBB61_13
.LBB61_7:                               ;   in Loop: Header=BB61_4 Depth=1
	s_add_i32 s54, s54, 1
	s_cmp_ge_u32 s54, s11
	s_cbranch_scc1 .LBB61_9
.LBB61_8:                               ;   in Loop: Header=BB61_4 Depth=1
	s_load_dword s46, s[46:47], 0xc
	s_waitcnt lgkmcnt(0)
	s_add_i32 s39, s39, s31
	s_add_i32 s51, s46, s51
.LBB61_9:                               ;   in Loop: Header=BB61_4 Depth=1
	s_waitcnt lgkmcnt(0)
	s_add_i32 s28, s28, s52
	s_add_i32 s28, s28, s29
	;; [unrolled: 1-line block ×4, first 2 shown]
	s_add_u32 s14, s14, 16
	s_addc_u32 s15, s15, 0
	s_add_u32 s12, s12, 16
	s_addc_u32 s13, s13, 0
	s_add_i32 s47, s54, 4
	s_add_u32 s30, s12, s44
	s_addc_u32 s31, s13, s45
	s_add_u32 s28, s14, s44
	s_addc_u32 s29, s15, s45
	s_add_i32 s46, s54, 1
	s_cmp_ge_u32 s47, s10
	s_cbranch_scc1 .LBB61_15
; %bb.10:                               ;   in Loop: Header=BB61_4 Depth=1
	s_mov_b32 s53, s46
	s_branch .LBB61_4
.LBB61_11:                              ;   in Loop: Header=BB61_4 Depth=1
	s_load_dword s54, s[46:47], 0x0
	s_waitcnt lgkmcnt(0)
	s_add_i32 s39, s28, s39
	s_add_i32 s51, s54, s51
	;; [unrolled: 1-line block ×3, first 2 shown]
	s_cmp_ge_u32 s54, s11
	s_cbranch_scc1 .LBB61_6
.LBB61_12:                              ;   in Loop: Header=BB61_4 Depth=1
	s_load_dword s55, s[46:47], 0x4
	s_waitcnt lgkmcnt(0)
	s_add_i32 s39, s39, s29
	s_add_i32 s51, s55, s51
	;; [unrolled: 1-line block ×3, first 2 shown]
	s_cmp_ge_u32 s54, s11
	s_cbranch_scc1 .LBB61_7
.LBB61_13:                              ;   in Loop: Header=BB61_4 Depth=1
	s_load_dword s55, s[46:47], 0x8
	s_waitcnt lgkmcnt(0)
	s_add_i32 s39, s39, s30
	s_add_i32 s51, s55, s51
	s_add_i32 s54, s54, 1
	s_cmp_ge_u32 s54, s11
	s_cbranch_scc0 .LBB61_8
	s_branch .LBB61_9
.LBB61_14:
	s_mov_b32 s51, 0
	s_mov_b32 s52, 0
	s_mov_b32 s12, 0
	s_cmp_ge_u32 s12, s10
	s_cbranch_scc0 .LBB61_38
	s_branch .LBB61_16
.LBB61_15:
	s_add_i32 s12, s53, 4
	s_cmp_ge_u32 s12, s10
	s_cbranch_scc0 .LBB61_38
.LBB61_16:
	v_mov_b32_e32 v1, s51
	v_mov_b32_e32 v2, s52
	v_mov_b32_e32 v3, s39
	v_mov_b32_e32 v4, 0
	ds_write_b96 v4, v[1:3] offset:1056
.LBB61_17:
	s_or_b32 exec_lo, exec_lo, s50
	s_load_dwordx4 s[12:15], s[4:5], 0xd8
	s_waitcnt lgkmcnt(0)
	s_mul_i32 s15, s9, s11
	s_add_i32 s11, s11, 1
	s_lshl_b32 s28, s15, 8
	s_waitcnt vmcnt(0)
	s_barrier
	buffer_gl0_inv
	s_sub_i32 s15, s12, s28
	s_add_u32 s30, s15, 0xff
	s_addc_u32 s31, 0, 0
	s_lshr_b64 s[30:31], s[30:31], 8
	s_cmp_lt_u32 s11, s10
	s_mov_b32 s11, 0
	s_cselect_b32 s9, s9, s30
	s_cmp_eq_u32 s9, 0
	s_cbranch_scc1 .LBB61_40
; %bb.18:
	s_mul_i32 s15, s27, s36
	s_mul_i32 s10, s49, s37
	s_sub_i32 s15, s49, s15
	s_sub_i32 s10, s38, s10
	s_add_i32 s29, s27, 1
	s_sub_i32 s30, s15, s36
	s_cmp_ge_u32 s15, s36
	s_mul_i32 s10, s10, s26
	s_cselect_b32 s27, s29, s27
	s_cselect_b32 s15, s30, s15
	s_add_i32 s29, s27, 1
	s_cmp_ge_u32 s15, s36
	s_mul_i32 s15, s48, s35
	s_cselect_b32 s27, s29, s27
	s_mul_i32 s29, s23, s34
	s_mul_i32 s30, s27, s36
	;; [unrolled: 1-line block ×3, first 2 shown]
	s_sub_i32 s26, s49, s30
	s_sub_i32 s24, s48, s29
	s_mul_i32 s25, s26, s25
	s_sub_i32 s15, s38, s15
	s_add_i32 s10, s25, s10
	s_add_i32 s25, s23, 1
	;; [unrolled: 1-line block ×3, first 2 shown]
	s_sub_i32 s26, s24, s34
	s_cmp_ge_u32 s24, s34
	s_mul_i32 s15, s15, s22
	s_cselect_b32 s23, s25, s23
	s_cselect_b32 s24, s26, s24
	s_add_i32 s25, s23, 1
	s_cmp_ge_u32 s24, s34
	s_mul_i32 s7, s33, s7
	s_cselect_b32 s23, s25, s23
	s_mul_i32 s25, s19, s6
	s_mul_i32 s24, s23, s34
	;; [unrolled: 1-line block ×3, first 2 shown]
	s_sub_i32 s24, s48, s24
	s_sub_i32 s7, s38, s7
	s_mul_i32 s21, s24, s21
	v_mov_b32_e32 v5, 0
	s_add_i32 s15, s21, s15
	s_add_i32 s21, s19, 1
	;; [unrolled: 1-line block ×3, first 2 shown]
	s_sub_i32 s15, s33, s25
	s_mul_i32 s7, s7, s18
	s_sub_i32 s22, s15, s6
	s_cmp_ge_u32 s15, s6
	ds_read_b96 v[1:3], v5 offset:1056
	s_cselect_b32 s19, s21, s19
	s_cselect_b32 s15, s22, s15
	s_add_i32 s21, s19, 1
	s_cmp_ge_u32 s15, s6
	v_lshrrev_b32_e32 v4, 3, v0
	s_cselect_b32 s15, s21, s19
	s_mov_b32 s21, s11
	s_mul_i32 s6, s15, s6
	s_mul_i32 s15, s15, s16
	s_sub_i32 s6, s33, s6
	v_add_nc_u32_e32 v12, -1, v0
	s_mul_i32 s6, s6, s17
	v_and_b32_e32 v4, 28, v4
	s_add_i32 s16, s6, s7
	s_lshl_b64 s[6:7], s[10:11], 1
	s_add_i32 s16, s16, s15
	s_add_u32 s6, s42, s6
	s_addc_u32 s7, s43, s7
	s_lshl_b64 s[18:19], s[20:21], 1
	v_lshrrev_b32_e32 v11, 3, v12
	s_add_u32 s10, s40, s18
	s_clause 0x1
	s_load_dword s18, s[4:5], 0xe8
	s_load_dword s4, s[4:5], 0x1c8
	s_waitcnt lgkmcnt(0)
	v_add_nc_u32_e32 v9, v1, v2
	v_lshl_add_u32 v10, v0, 2, v4
	v_and_b32_e32 v4, 0x1ffffffc, v11
	v_add_nc_u32_e32 v1, s28, v0
	s_mov_b32 s17, s11
	s_addc_u32 s11, s41, s19
	s_lshl_b64 s[16:17], s[16:17], 3
	v_mov_b32_e32 v7, 0x8000
	v_and_b32_e32 v2, 0xfc, v0
	v_lshlrev_b32_e32 v13, 5, v0
	v_mbcnt_lo_u32_b32 v11, -1, 0
	s_add_u32 s15, s2, s16
	v_cmp_gt_u32_e64 s2, 32, v0
	v_lshl_add_u32 v0, v12, 2, v4
	s_addc_u32 s16, s3, s17
	v_add_nc_u32_sdwa v8, sext(v6), v7 dst_sel:DWORD dst_unused:UNUSED_PAD src0_sel:WORD_0 src1_sel:DWORD
	v_add_nc_u32_e32 v12, v2, v13
	v_and_b32_e32 v13, 15, v11
	v_mul_lo_u32 v4, s18, v1
	v_bfe_i32 v14, v11, 4, 1
	v_add_nc_u32_e32 v15, -1, v11
	s_bitcmp1_b32 s14, 0
                                        ; implicit-def: $vgpr16
	s_cselect_b32 s3, -1, 0
	s_lshl_b32 s5, s18, 8
	s_branch .LBB61_21
.LBB61_19:                              ;   in Loop: Header=BB61_21 Depth=1
	s_or_b32 exec_lo, exec_lo, s14
	v_add_nc_u32_e32 v9, v19, v9
.LBB61_20:                              ;   in Loop: Header=BB61_21 Depth=1
	v_add_nc_u32_e32 v3, v18, v3
	v_add_nc_u32_e32 v4, s5, v4
	;; [unrolled: 1-line block ×3, first 2 shown]
	s_add_i32 s9, s9, -1
	s_cmp_lg_u32 s9, 0
	s_cbranch_scc0 .LBB61_40
.LBB61_21:                              ; =>This Inner Loop Header: Depth=1
	v_mov_b32_e32 v2, 0
	v_mov_b32_e32 v17, 0
	s_mov_b32 s14, exec_lo
	v_cmpx_gt_u32_e64 s12, v1
	s_cbranch_execz .LBB61_23
; %bb.22:                               ;   in Loop: Header=BB61_21 Depth=1
	v_lshlrev_b64 v[16:17], 1, v[4:5]
	v_add_co_u32 v16, vcc_lo, s6, v16
	v_add_co_ci_u32_e64 v17, null, s7, v17, vcc_lo
	global_load_ushort v16, v[16:17], off
	s_waitcnt vmcnt(0)
	v_add_nc_u32_sdwa v2, sext(v16), v7 dst_sel:DWORD dst_unused:UNUSED_PAD src0_sel:WORD_0 src1_sel:DWORD
	v_cmp_gt_u32_e32 vcc_lo, v2, v8
	v_cndmask_b32_e64 v17, 0, 1, vcc_lo
	v_cmp_lt_u32_e32 vcc_lo, v2, v8
	v_cndmask_b32_e64 v2, 0, 1, vcc_lo
	v_cmp_eq_u16_e32 vcc_lo, v16, v6
	v_cndmask_b32_e64 v2, v2, v17, s3
	v_cndmask_b32_e64 v17, 0, 1, vcc_lo
	v_and_b32_e32 v2, 1, v2
.LBB61_23:                              ;   in Loop: Header=BB61_21 Depth=1
	s_or_b32 exec_lo, exec_lo, s14
	ds_write_b32 v10, v2
	s_waitcnt lgkmcnt(0)
	s_barrier
	buffer_gl0_inv
	s_and_saveexec_b32 s14, s2
	s_cbranch_execz .LBB61_25
; %bb.24:                               ;   in Loop: Header=BB61_21 Depth=1
	ds_read2_b32 v[18:19], v12 offset1:1
	ds_read2_b32 v[20:21], v12 offset0:2 offset1:3
	ds_read2_b32 v[22:23], v12 offset0:4 offset1:5
	;; [unrolled: 1-line block ×3, first 2 shown]
	v_cmp_ne_u32_e32 vcc_lo, 0, v13
	; wave barrier
	s_waitcnt lgkmcnt(3)
	v_add_nc_u32_e32 v19, v19, v18
	s_waitcnt lgkmcnt(2)
	v_add3_u32 v19, v19, v20, v21
	s_waitcnt lgkmcnt(1)
	v_add3_u32 v19, v19, v22, v23
	;; [unrolled: 2-line block ×3, first 2 shown]
	v_mov_b32_dpp v20, v19 row_shr:1 row_mask:0xf bank_mask:0xf
	v_cndmask_b32_e32 v20, 0, v20, vcc_lo
	v_cmp_lt_u32_e32 vcc_lo, 1, v13
	v_add_nc_u32_e32 v19, v20, v19
	v_mov_b32_dpp v20, v19 row_shr:2 row_mask:0xf bank_mask:0xf
	v_cndmask_b32_e32 v20, 0, v20, vcc_lo
	v_cmp_lt_u32_e32 vcc_lo, 3, v13
	v_add_nc_u32_e32 v19, v19, v20
	;; [unrolled: 4-line block ×3, first 2 shown]
	v_mov_b32_dpp v20, v19 row_shr:8 row_mask:0xf bank_mask:0xf
	v_cndmask_b32_e32 v20, 0, v20, vcc_lo
	v_cmp_gt_i32_e32 vcc_lo, 0, v15
	v_add_nc_u32_e32 v19, v19, v20
	v_cndmask_b32_e32 v21, v15, v11, vcc_lo
	ds_swizzle_b32 v20, v19 offset:swizzle(BROADCAST,32,15)
	v_lshlrev_b32_e32 v21, 2, v21
	s_waitcnt lgkmcnt(0)
	v_and_b32_e32 v20, v14, v20
	v_add_nc_u32_e32 v19, v19, v20
	ds_bpermute_b32 v19, v21, v19
	s_waitcnt lgkmcnt(0)
	v_add_nc_u32_e32 v18, v19, v18
	v_cndmask_b32_e64 v24, v18, v2, s1
	ds_write_b32 v12, v24
	; wave barrier
	ds_read2_b32 v[18:19], v12 offset0:1 offset1:2
	ds_read2_b32 v[20:21], v12 offset0:3 offset1:4
	;; [unrolled: 1-line block ×3, first 2 shown]
	ds_read_b32 v25, v12 offset:28
	s_waitcnt lgkmcnt(3)
	v_add_nc_u32_e32 v18, v18, v24
	v_add_nc_u32_e32 v19, v19, v18
	s_waitcnt lgkmcnt(2)
	v_add_nc_u32_e32 v20, v20, v19
	v_add_nc_u32_e32 v21, v21, v20
	;; [unrolled: 3-line block ×3, first 2 shown]
	s_waitcnt lgkmcnt(0)
	v_add_nc_u32_e32 v24, v25, v23
	ds_write2_b32 v12, v18, v19 offset0:1 offset1:2
	ds_write2_b32 v12, v20, v21 offset0:3 offset1:4
	;; [unrolled: 1-line block ×3, first 2 shown]
	ds_write_b32 v12, v24 offset:28
.LBB61_25:                              ;   in Loop: Header=BB61_21 Depth=1
	s_or_b32 exec_lo, exec_lo, s14
	v_mov_b32_e32 v19, 0
	s_waitcnt lgkmcnt(0)
	s_barrier
	buffer_gl0_inv
	s_and_saveexec_b32 s14, s0
; %bb.26:                               ;   in Loop: Header=BB61_21 Depth=1
	ds_read_b32 v19, v0
; %bb.27:                               ;   in Loop: Header=BB61_21 Depth=1
	s_or_b32 exec_lo, exec_lo, s14
	ds_read_b32 v18, v5 offset:1048
	s_mov_b32 s14, exec_lo
	s_waitcnt lgkmcnt(0)
	s_barrier
	buffer_gl0_inv
	v_cmpx_ne_u32_e32 0, v2
	s_cbranch_execz .LBB61_29
; %bb.28:                               ;   in Loop: Header=BB61_21 Depth=1
	v_add_nc_u32_e32 v2, v19, v3
	v_mov_b32_e32 v20, v5
	v_mov_b32_e32 v22, v5
	v_mul_lo_u32 v19, v2, s4
	v_mul_lo_u32 v21, v2, s8
	v_mov_b32_e32 v2, v5
	v_lshlrev_b64 v[19:20], 1, v[19:20]
	v_lshlrev_b64 v[21:22], 3, v[21:22]
	v_add_co_u32 v19, vcc_lo, s10, v19
	v_add_co_ci_u32_e64 v20, null, s11, v20, vcc_lo
	v_add_co_u32 v21, vcc_lo, s15, v21
	v_add_co_ci_u32_e64 v22, null, s16, v22, vcc_lo
	global_store_short v[19:20], v16, off
	global_store_dwordx2 v[21:22], v[1:2], off
.LBB61_29:                              ;   in Loop: Header=BB61_21 Depth=1
	s_or_b32 exec_lo, exec_lo, s14
	v_cmp_le_u32_e32 vcc_lo, s13, v9
	s_cbranch_vccnz .LBB61_20
; %bb.30:                               ;   in Loop: Header=BB61_21 Depth=1
	ds_write_b32 v10, v17
	s_waitcnt lgkmcnt(0)
	s_waitcnt_vscnt null, 0x0
	s_barrier
	buffer_gl0_inv
	s_and_saveexec_b32 s14, s2
	s_cbranch_execz .LBB61_32
; %bb.31:                               ;   in Loop: Header=BB61_21 Depth=1
	ds_read2_b32 v[19:20], v12 offset1:1
	ds_read2_b32 v[21:22], v12 offset0:2 offset1:3
	ds_read2_b32 v[23:24], v12 offset0:4 offset1:5
	;; [unrolled: 1-line block ×3, first 2 shown]
	v_cmp_ne_u32_e32 vcc_lo, 0, v13
	; wave barrier
	s_waitcnt lgkmcnt(3)
	v_add_nc_u32_e32 v2, v20, v19
	s_waitcnt lgkmcnt(2)
	v_add3_u32 v2, v2, v21, v22
	s_waitcnt lgkmcnt(1)
	v_add3_u32 v2, v2, v23, v24
	;; [unrolled: 2-line block ×3, first 2 shown]
	v_mov_b32_dpp v20, v2 row_shr:1 row_mask:0xf bank_mask:0xf
	v_cndmask_b32_e32 v20, 0, v20, vcc_lo
	v_cmp_lt_u32_e32 vcc_lo, 1, v13
	v_add_nc_u32_e32 v2, v20, v2
	v_mov_b32_dpp v20, v2 row_shr:2 row_mask:0xf bank_mask:0xf
	v_cndmask_b32_e32 v20, 0, v20, vcc_lo
	v_cmp_lt_u32_e32 vcc_lo, 3, v13
	v_add_nc_u32_e32 v2, v2, v20
	;; [unrolled: 4-line block ×3, first 2 shown]
	v_mov_b32_dpp v20, v2 row_shr:8 row_mask:0xf bank_mask:0xf
	v_cndmask_b32_e32 v20, 0, v20, vcc_lo
	v_cmp_gt_i32_e32 vcc_lo, 0, v15
	v_add_nc_u32_e32 v2, v2, v20
	v_cndmask_b32_e32 v21, v15, v11, vcc_lo
	ds_swizzle_b32 v20, v2 offset:swizzle(BROADCAST,32,15)
	v_lshlrev_b32_e32 v21, 2, v21
	s_waitcnt lgkmcnt(0)
	v_and_b32_e32 v20, v14, v20
	v_add_nc_u32_e32 v2, v2, v20
	ds_bpermute_b32 v2, v21, v2
	s_waitcnt lgkmcnt(0)
	v_add_nc_u32_e32 v2, v2, v19
	v_cndmask_b32_e64 v2, v2, v17, s1
	ds_write_b32 v12, v2
	; wave barrier
	ds_read2_b32 v[19:20], v12 offset0:1 offset1:2
	ds_read2_b32 v[21:22], v12 offset0:3 offset1:4
	;; [unrolled: 1-line block ×3, first 2 shown]
	ds_read_b32 v25, v12 offset:28
	s_waitcnt lgkmcnt(3)
	v_add_nc_u32_e32 v2, v19, v2
	v_add_nc_u32_e32 v19, v20, v2
	s_waitcnt lgkmcnt(2)
	v_add_nc_u32_e32 v20, v21, v19
	v_add_nc_u32_e32 v21, v22, v20
	;; [unrolled: 3-line block ×3, first 2 shown]
	s_waitcnt lgkmcnt(0)
	v_add_nc_u32_e32 v24, v25, v23
	ds_write2_b32 v12, v2, v19 offset0:1 offset1:2
	ds_write2_b32 v12, v20, v21 offset0:3 offset1:4
	;; [unrolled: 1-line block ×3, first 2 shown]
	ds_write_b32 v12, v24 offset:28
.LBB61_32:                              ;   in Loop: Header=BB61_21 Depth=1
	s_or_b32 exec_lo, exec_lo, s14
	v_mov_b32_e32 v2, 0
	s_waitcnt lgkmcnt(0)
	s_barrier
	buffer_gl0_inv
	s_and_saveexec_b32 s14, s0
; %bb.33:                               ;   in Loop: Header=BB61_21 Depth=1
	ds_read_b32 v2, v0
; %bb.34:                               ;   in Loop: Header=BB61_21 Depth=1
	s_or_b32 exec_lo, exec_lo, s14
	ds_read_b32 v19, v5 offset:1048
	s_mov_b32 s14, exec_lo
	s_waitcnt lgkmcnt(0)
	s_barrier
	buffer_gl0_inv
	v_cmpx_ne_u32_e32 0, v17
	s_cbranch_execz .LBB61_19
; %bb.35:                               ;   in Loop: Header=BB61_21 Depth=1
	v_add_nc_u32_e32 v2, v2, v9
	v_cmp_gt_u32_e32 vcc_lo, s13, v2
	s_and_b32 exec_lo, exec_lo, vcc_lo
	s_cbranch_execz .LBB61_19
; %bb.36:                               ;   in Loop: Header=BB61_21 Depth=1
	v_mul_lo_u32 v20, v2, s4
	v_mul_lo_u32 v22, v2, s8
	v_mov_b32_e32 v21, v5
	v_mov_b32_e32 v23, v5
	;; [unrolled: 1-line block ×3, first 2 shown]
	v_lshlrev_b64 v[20:21], 1, v[20:21]
	v_lshlrev_b64 v[22:23], 3, v[22:23]
	v_add_co_u32 v20, vcc_lo, s10, v20
	v_add_co_ci_u32_e64 v21, null, s11, v21, vcc_lo
	v_add_co_u32 v22, vcc_lo, s15, v22
	v_add_co_ci_u32_e64 v23, null, s16, v23, vcc_lo
	global_store_short v[20:21], v16, off
	global_store_dwordx2 v[22:23], v[1:2], off
	s_branch .LBB61_19
	.p2align	6
.LBB61_37:                              ;   in Loop: Header=BB61_38 Depth=1
	s_add_u32 s28, s28, 4
	s_addc_u32 s29, s29, 0
	s_waitcnt lgkmcnt(0)
	s_add_i32 s52, s13, s52
	s_add_u32 s30, s30, 4
	s_addc_u32 s31, s31, 0
	s_add_i32 s12, s12, 1
	s_cmp_lt_u32 s12, s10
	s_cbranch_scc0 .LBB61_16
.LBB61_38:                              ; =>This Inner Loop Header: Depth=1
	s_load_dword s13, s[28:29], 0x0
	s_cmp_ge_u32 s12, s11
	s_cbranch_scc1 .LBB61_37
; %bb.39:                               ;   in Loop: Header=BB61_38 Depth=1
	s_load_dword s14, s[30:31], 0x0
	s_waitcnt lgkmcnt(0)
	s_add_i32 s39, s13, s39
	s_add_i32 s51, s14, s51
	s_branch .LBB61_37
.LBB61_40:
	s_endpgm
	.section	.rodata,"a",@progbits
	.p2align	6, 0x0
	.amdhsa_kernel _ZN2at6native6mbtopk10gatherTopKIsjLi3EEEvNS_4cuda6detail10TensorInfoIKT_T0_EES8_S8_bjS8_NS5_IS6_S8_EES8_NS5_IlS8_EES8_jjPS6_PjSD_j
		.amdhsa_group_segment_fixed_size 1068
		.amdhsa_private_segment_fixed_size 0
		.amdhsa_kernarg_size 984
		.amdhsa_user_sgpr_count 6
		.amdhsa_user_sgpr_private_segment_buffer 1
		.amdhsa_user_sgpr_dispatch_ptr 0
		.amdhsa_user_sgpr_queue_ptr 0
		.amdhsa_user_sgpr_kernarg_segment_ptr 1
		.amdhsa_user_sgpr_dispatch_id 0
		.amdhsa_user_sgpr_flat_scratch_init 0
		.amdhsa_user_sgpr_private_segment_size 0
		.amdhsa_wavefront_size32 1
		.amdhsa_uses_dynamic_stack 0
		.amdhsa_system_sgpr_private_segment_wavefront_offset 0
		.amdhsa_system_sgpr_workgroup_id_x 1
		.amdhsa_system_sgpr_workgroup_id_y 1
		.amdhsa_system_sgpr_workgroup_id_z 1
		.amdhsa_system_sgpr_workgroup_info 0
		.amdhsa_system_vgpr_workitem_id 0
		.amdhsa_next_free_vgpr 27
		.amdhsa_next_free_sgpr 56
		.amdhsa_reserve_vcc 1
		.amdhsa_reserve_flat_scratch 0
		.amdhsa_float_round_mode_32 0
		.amdhsa_float_round_mode_16_64 0
		.amdhsa_float_denorm_mode_32 3
		.amdhsa_float_denorm_mode_16_64 3
		.amdhsa_dx10_clamp 1
		.amdhsa_ieee_mode 1
		.amdhsa_fp16_overflow 0
		.amdhsa_workgroup_processor_mode 1
		.amdhsa_memory_ordered 1
		.amdhsa_forward_progress 1
		.amdhsa_shared_vgpr_count 0
		.amdhsa_exception_fp_ieee_invalid_op 0
		.amdhsa_exception_fp_denorm_src 0
		.amdhsa_exception_fp_ieee_div_zero 0
		.amdhsa_exception_fp_ieee_overflow 0
		.amdhsa_exception_fp_ieee_underflow 0
		.amdhsa_exception_fp_ieee_inexact 0
		.amdhsa_exception_int_div_zero 0
	.end_amdhsa_kernel
	.section	.text._ZN2at6native6mbtopk10gatherTopKIsjLi3EEEvNS_4cuda6detail10TensorInfoIKT_T0_EES8_S8_bjS8_NS5_IS6_S8_EES8_NS5_IlS8_EES8_jjPS6_PjSD_j,"axG",@progbits,_ZN2at6native6mbtopk10gatherTopKIsjLi3EEEvNS_4cuda6detail10TensorInfoIKT_T0_EES8_S8_bjS8_NS5_IS6_S8_EES8_NS5_IlS8_EES8_jjPS6_PjSD_j,comdat
.Lfunc_end61:
	.size	_ZN2at6native6mbtopk10gatherTopKIsjLi3EEEvNS_4cuda6detail10TensorInfoIKT_T0_EES8_S8_bjS8_NS5_IS6_S8_EES8_NS5_IlS8_EES8_jjPS6_PjSD_j, .Lfunc_end61-_ZN2at6native6mbtopk10gatherTopKIsjLi3EEEvNS_4cuda6detail10TensorInfoIKT_T0_EES8_S8_bjS8_NS5_IS6_S8_EES8_NS5_IlS8_EES8_jjPS6_PjSD_j
                                        ; -- End function
	.set _ZN2at6native6mbtopk10gatherTopKIsjLi3EEEvNS_4cuda6detail10TensorInfoIKT_T0_EES8_S8_bjS8_NS5_IS6_S8_EES8_NS5_IlS8_EES8_jjPS6_PjSD_j.num_vgpr, 27
	.set _ZN2at6native6mbtopk10gatherTopKIsjLi3EEEvNS_4cuda6detail10TensorInfoIKT_T0_EES8_S8_bjS8_NS5_IS6_S8_EES8_NS5_IlS8_EES8_jjPS6_PjSD_j.num_agpr, 0
	.set _ZN2at6native6mbtopk10gatherTopKIsjLi3EEEvNS_4cuda6detail10TensorInfoIKT_T0_EES8_S8_bjS8_NS5_IS6_S8_EES8_NS5_IlS8_EES8_jjPS6_PjSD_j.numbered_sgpr, 56
	.set _ZN2at6native6mbtopk10gatherTopKIsjLi3EEEvNS_4cuda6detail10TensorInfoIKT_T0_EES8_S8_bjS8_NS5_IS6_S8_EES8_NS5_IlS8_EES8_jjPS6_PjSD_j.num_named_barrier, 0
	.set _ZN2at6native6mbtopk10gatherTopKIsjLi3EEEvNS_4cuda6detail10TensorInfoIKT_T0_EES8_S8_bjS8_NS5_IS6_S8_EES8_NS5_IlS8_EES8_jjPS6_PjSD_j.private_seg_size, 0
	.set _ZN2at6native6mbtopk10gatherTopKIsjLi3EEEvNS_4cuda6detail10TensorInfoIKT_T0_EES8_S8_bjS8_NS5_IS6_S8_EES8_NS5_IlS8_EES8_jjPS6_PjSD_j.uses_vcc, 1
	.set _ZN2at6native6mbtopk10gatherTopKIsjLi3EEEvNS_4cuda6detail10TensorInfoIKT_T0_EES8_S8_bjS8_NS5_IS6_S8_EES8_NS5_IlS8_EES8_jjPS6_PjSD_j.uses_flat_scratch, 0
	.set _ZN2at6native6mbtopk10gatherTopKIsjLi3EEEvNS_4cuda6detail10TensorInfoIKT_T0_EES8_S8_bjS8_NS5_IS6_S8_EES8_NS5_IlS8_EES8_jjPS6_PjSD_j.has_dyn_sized_stack, 0
	.set _ZN2at6native6mbtopk10gatherTopKIsjLi3EEEvNS_4cuda6detail10TensorInfoIKT_T0_EES8_S8_bjS8_NS5_IS6_S8_EES8_NS5_IlS8_EES8_jjPS6_PjSD_j.has_recursion, 0
	.set _ZN2at6native6mbtopk10gatherTopKIsjLi3EEEvNS_4cuda6detail10TensorInfoIKT_T0_EES8_S8_bjS8_NS5_IS6_S8_EES8_NS5_IlS8_EES8_jjPS6_PjSD_j.has_indirect_call, 0
	.section	.AMDGPU.csdata,"",@progbits
; Kernel info:
; codeLenInByte = 2960
; TotalNumSgprs: 58
; NumVgprs: 27
; ScratchSize: 0
; MemoryBound: 0
; FloatMode: 240
; IeeeMode: 1
; LDSByteSize: 1068 bytes/workgroup (compile time only)
; SGPRBlocks: 0
; VGPRBlocks: 3
; NumSGPRsForWavesPerEU: 58
; NumVGPRsForWavesPerEU: 27
; Occupancy: 16
; WaveLimiterHint : 1
; COMPUTE_PGM_RSRC2:SCRATCH_EN: 0
; COMPUTE_PGM_RSRC2:USER_SGPR: 6
; COMPUTE_PGM_RSRC2:TRAP_HANDLER: 0
; COMPUTE_PGM_RSRC2:TGID_X_EN: 1
; COMPUTE_PGM_RSRC2:TGID_Y_EN: 1
; COMPUTE_PGM_RSRC2:TGID_Z_EN: 1
; COMPUTE_PGM_RSRC2:TIDIG_COMP_CNT: 0
	.section	.text._ZN2at6native6sbtopk10gatherTopKIsjLi3ELb0EEEvNS_4cuda6detail10TensorInfoIKT_T0_EES8_S8_bS8_S8_NS5_IS6_S8_EES8_NS5_IlS8_EES8_PS6_,"axG",@progbits,_ZN2at6native6sbtopk10gatherTopKIsjLi3ELb0EEEvNS_4cuda6detail10TensorInfoIKT_T0_EES8_S8_bS8_S8_NS5_IS6_S8_EES8_NS5_IlS8_EES8_PS6_,comdat
	.protected	_ZN2at6native6sbtopk10gatherTopKIsjLi3ELb0EEEvNS_4cuda6detail10TensorInfoIKT_T0_EES8_S8_bS8_S8_NS5_IS6_S8_EES8_NS5_IlS8_EES8_PS6_ ; -- Begin function _ZN2at6native6sbtopk10gatherTopKIsjLi3ELb0EEEvNS_4cuda6detail10TensorInfoIKT_T0_EES8_S8_bS8_S8_NS5_IS6_S8_EES8_NS5_IlS8_EES8_PS6_
	.globl	_ZN2at6native6sbtopk10gatherTopKIsjLi3ELb0EEEvNS_4cuda6detail10TensorInfoIKT_T0_EES8_S8_bS8_S8_NS5_IS6_S8_EES8_NS5_IlS8_EES8_PS6_
	.p2align	8
	.type	_ZN2at6native6sbtopk10gatherTopKIsjLi3ELb0EEEvNS_4cuda6detail10TensorInfoIKT_T0_EES8_S8_bS8_S8_NS5_IS6_S8_EES8_NS5_IlS8_EES8_PS6_,@function
_ZN2at6native6sbtopk10gatherTopKIsjLi3ELb0EEEvNS_4cuda6detail10TensorInfoIKT_T0_EES8_S8_bS8_S8_NS5_IS6_S8_EES8_NS5_IlS8_EES8_PS6_: ; @_ZN2at6native6sbtopk10gatherTopKIsjLi3ELb0EEEvNS_4cuda6detail10TensorInfoIKT_T0_EES8_S8_bS8_S8_NS5_IS6_S8_EES8_NS5_IlS8_EES8_PS6_
; %bb.0:
	s_clause 0x1
	s_load_dwordx2 s[12:13], s[4:5], 0x2b8
	s_load_dwordx4 s[36:39], s[4:5], 0xd8
	s_add_u32 s10, s4, 0x2b8
	s_addc_u32 s11, s5, 0
	s_waitcnt lgkmcnt(0)
	s_mul_i32 s0, s13, s8
	s_add_i32 s0, s0, s7
	s_mul_i32 s60, s0, s12
	s_add_i32 s60, s60, s6
	s_cmp_ge_u32 s60, s39
	s_cbranch_scc1 .LBB62_410
; %bb.1:
	s_clause 0x6
	s_load_dwordx2 s[14:15], s[4:5], 0xc
	s_load_dwordx2 s[56:57], s[4:5], 0xfc
	;; [unrolled: 1-line block ×4, first 2 shown]
	s_load_dwordx4 s[40:43], s[4:5], 0x23c
	s_load_dwordx2 s[0:1], s[4:5], 0x1d0
	; meta instruction
	s_load_dwordx2 s[52:53], s[4:5], 0xf0
	s_mov_b32 s35, 0
	s_waitcnt lgkmcnt(0)
	v_cvt_f32_u32_e32 v1, s15
	v_cvt_f32_u32_e32 v3, s57
	;; [unrolled: 1-line block ×3, first 2 shown]
	v_writelane_b32 v61, s0, 0
	v_cvt_f32_u32_e32 v5, s55
	v_rcp_iflag_f32_e32 v1, v1
	v_rcp_iflag_f32_e32 v3, v3
	;; [unrolled: 1-line block ×3, first 2 shown]
	v_writelane_b32 v61, s1, 1
	s_clause 0x1
	s_load_dword s48, s[4:5], 0xe8
	s_load_dwordx4 s[0:3], s[4:5], 0x6c
	s_waitcnt lgkmcnt(0)
	s_sub_i32 s3, 0, s15
	v_rcp_iflag_f32_e32 v5, v5
	v_cvt_f32_u32_e32 v4, s56
	v_cvt_f32_u32_e32 v6, s54
	v_mul_f32_e32 v1, 0x4f7ffffe, v1
	v_mul_f32_e32 v3, 0x4f7ffffe, v3
	;; [unrolled: 1-line block ×3, first 2 shown]
	v_rcp_iflag_f32_e32 v4, v4
	v_cvt_u32_f32_e32 v1, v1
	v_cvt_u32_f32_e32 v3, v3
	;; [unrolled: 1-line block ×3, first 2 shown]
	v_mul_f32_e32 v5, 0x4f7ffffe, v5
	v_readfirstlane_b32 s7, v1
	v_readfirstlane_b32 s17, v3
	v_rcp_iflag_f32_e32 v1, v6
	v_mul_f32_e32 v4, 0x4f7ffffe, v4
	s_mul_i32 s3, s3, s7
	s_mul_hi_u32 s3, s7, s3
	v_cvt_u32_f32_e32 v3, v4
	s_add_i32 s7, s7, s3
	s_mul_hi_u32 s3, s60, s7
	v_mul_f32_e32 v1, 0x4f7ffffe, v1
	s_mul_i32 s7, s3, s15
	s_add_i32 s13, s3, 1
	s_sub_i32 s7, s60, s7
	v_cvt_u32_f32_e32 v1, v1
	s_sub_i32 s16, s7, s15
	s_cmp_ge_u32 s7, s15
	s_cselect_b32 s3, s13, s3
	s_cselect_b32 s7, s16, s7
	s_add_i32 s13, s3, 1
	s_cmp_ge_u32 s7, s15
	v_readfirstlane_b32 s20, v1
	s_cselect_b32 s7, s13, s3
	s_sub_i32 s3, 0, s57
	v_readfirstlane_b32 s13, v2
	s_mul_i32 s3, s3, s17
	s_sub_i32 s16, 0, s14
	s_mul_hi_u32 s3, s17, s3
	v_cvt_u32_f32_e32 v2, v5
	s_add_i32 s17, s17, s3
	s_mul_i32 s16, s16, s13
	s_mul_hi_u32 s3, s60, s17
	s_mul_hi_u32 s16, s13, s16
	s_mul_i32 s17, s3, s57
	s_add_i32 s13, s13, s16
	s_sub_i32 s16, s60, s17
	s_add_i32 s17, s3, 1
	s_sub_i32 s18, s16, s57
	s_cmp_ge_u32 s16, s57
	v_readfirstlane_b32 s19, v2
	s_cselect_b32 s3, s17, s3
	s_cselect_b32 s16, s18, s16
	s_add_i32 s17, s3, 1
	s_cmp_ge_u32 s16, s57
	v_readfirstlane_b32 s16, v3
	s_cselect_b32 s61, s17, s3
	s_sub_i32 s3, 0, s55
	s_sub_i32 s17, 0, s56
	s_mul_i32 s3, s3, s19
	s_mul_i32 s17, s17, s16
	s_mul_hi_u32 s3, s19, s3
	s_mul_hi_u32 s17, s16, s17
	s_add_i32 s19, s19, s3
	s_add_i32 s16, s16, s17
	s_mul_hi_u32 s3, s60, s19
	s_mul_hi_u32 s13, s7, s13
	s_mul_i32 s18, s3, s55
	s_mul_hi_u32 s64, s61, s16
	s_sub_i32 s17, s60, s18
	s_add_i32 s18, s3, 1
	s_sub_i32 s19, s17, s55
	s_cmp_ge_u32 s17, s55
	s_cselect_b32 s3, s18, s3
	s_cselect_b32 s17, s19, s17
	s_add_i32 s18, s3, 1
	s_cmp_ge_u32 s17, s55
	s_cselect_b32 s62, s18, s3
	s_sub_i32 s3, 0, s54
	s_mul_i32 s3, s3, s20
	s_mul_hi_u32 s17, s20, s3
	v_cmp_eq_u32_e64 s3, 0, v0
	s_add_i32 s20, s20, s17
	s_mul_hi_u32 s63, s62, s20
	s_and_saveexec_b32 s16, s3
	s_cbranch_execz .LBB62_3
; %bb.2:
	v_mov_b32_e32 v1, 0
	v_mov_b32_e32 v2, s36
	;; [unrolled: 1-line block ×3, first 2 shown]
	ds_write_b96 v1, v[1:3] offset:4096
.LBB62_3:
	s_or_b32 exec_lo, exec_lo, s16
	s_mul_i32 s16, s13, s14
	s_mul_i32 s15, s7, s15
	s_sub_i32 s16, s7, s16
	s_sub_i32 s15, s60, s15
	s_add_i32 s17, s13, 1
	s_sub_i32 s18, s16, s14
	s_cmp_ge_u32 s16, s14
	s_waitcnt lgkmcnt(0)
	s_cselect_b32 s13, s17, s13
	s_cselect_b32 s16, s18, s16
	s_add_i32 s17, s13, 1
	s_cmp_ge_u32 s16, s14
	s_barrier
	buffer_gl0_inv
	s_load_dword s16, s[10:11], 0xc
	s_cselect_b32 s13, s17, s13
	s_mul_i32 s15, s15, s2
	s_mul_i32 s14, s13, s14
	;; [unrolled: 1-line block ×3, first 2 shown]
	s_sub_i32 s7, s7, s14
	v_mov_b32_e32 v8, 0
	s_mul_i32 s1, s7, s1
	v_mul_lo_u32 v9, s48, v0
	s_add_i32 s0, s1, s15
	v_mbcnt_lo_u32_b32 v18, -1, 0
	s_add_i32 s34, s0, s13
	v_mov_b32_e32 v10, v8
	s_lshl_b64 s[0:1], s[34:35], 1
	v_cmp_gt_u32_e32 vcc_lo, 32, v0
	s_add_u32 s43, s8, s0
	s_addc_u32 s47, s9, s1
	s_bitcmp1_b32 s38, 0
	v_lshlrev_b64 v[1:2], 1, v[9:10]
	s_cselect_b32 s2, -1, 0
	s_waitcnt lgkmcnt(0)
	s_and_b32 s58, s16, 0xffff
	v_cmp_gt_i32_e64 s0, 4, v18
	s_lshl_b32 s66, s58, 2
	s_bfe_u32 s1, s58, 0x80008
	v_cvt_f32_u32_e32 v3, s66
	s_xor_b32 s65, s2, -1
	s_and_b32 s68, vcc_lo, s0
	v_add_co_u32 v5, vcc_lo, s43, v1
	v_add_co_ci_u32_e64 v6, null, s47, v2, vcc_lo
	v_lshlrev_b64 v[1:2], v18, -1
	v_rcp_iflag_f32_e32 v2, v3
	s_lshl_b32 s67, s1, 3
	s_bfe_u32 s7, s16, 0xb0005
	s_cmpk_gt_u32 s36, 0x600
	v_add_nc_u32_e32 v3, 2, v0
	s_cselect_b32 s69, -1, 0
	s_cmp_gt_u32 s58, 31
	v_cvt_f32_u32_e32 v7, s58
	s_cselect_b32 s70, -1, 0
	s_add_i32 s71, s58, -1
	v_mul_f32_e32 v2, 0x4f7ffffe, v2
	s_add_i32 s13, s71, s36
	s_cmp_lt_u32 s6, s12
	v_max_u32_e32 v3, s36, v3
	s_cselect_b32 s6, 12, 18
	v_cvt_u32_f32_e32 v2, v2
	s_add_u32 s38, s10, s6
	s_addc_u32 s39, s11, 0
	s_add_i32 s7, s7, -1
	s_bfe_u32 s72, s58, 0x30005
	s_and_b32 s6, s7, 0xffff
	v_xad_u32 v3, v0, -1, v3
	s_cmp_gt_u32 s6, 6
	v_readfirstlane_b32 s6, v2
	s_cselect_b32 s73, -1, 0
	s_cmp_lg_u32 s72, 0
	v_not_b32_e32 v17, v1
	s_cselect_b32 s74, -1, 0
	s_sub_i32 s7, 0, s66
	v_lshrrev_b32_e32 v1, 1, v0
	s_mul_i32 s7, s7, s6
	v_add_nc_u32_e32 v4, -2, v3
	s_mul_hi_u32 s7, s6, s7
	v_rcp_iflag_f32_e32 v7, v7
	s_add_i32 s75, s6, s7
	s_movk_i32 s8, 0x1f0
	s_mul_hi_u32 s6, s36, s75
	v_lshrrev_b32_e32 v2, 1, v4
	s_mul_i32 s6, s6, s66
	v_and_or_b32 v22, v1, s8, 0xc00
	s_sub_i32 s6, s36, s6
	v_lshlrev_b32_e32 v19, 2, v0
	s_sub_i32 s8, s6, s66
	s_cmp_ge_u32 s6, s66
	v_add_nc_u32_e32 v1, 1, v2
	s_cselect_b32 s6, s8, s6
	v_mul_f32_e32 v2, 0x4f7ffffe, v7
	s_sub_i32 s8, s6, s66
	s_cmp_ge_u32 s6, s66
	v_and_b32_e32 v12, 7, v1
	s_cselect_b32 s6, s8, s6
	v_cvt_u32_f32_e32 v2, v2
	s_sub_i32 s76, s36, s6
	s_sub_i32 s8, 0, s58
	v_add_nc_u32_e32 v25, s76, v0
	v_and_b32_e32 v26, -8, v1
	v_readfirstlane_b32 s9, v2
	v_and_b32_e32 v23, -2, v3
	v_cmp_lt_u32_e64 s7, 31, v3
	v_mul_lo_u32 v7, v25, s48
	v_lshlrev_b32_e32 v20, 1, v0
	s_mul_i32 s8, s8, s9
	v_cmp_ne_u32_e64 s10, v3, v23
	s_mul_hi_u32 s8, s9, s8
	v_or_b32_e32 v3, 3, v19
	s_add_i32 s77, s9, s8
	s_mov_b32 s49, s48
	v_lshlrev_b64 v[1:2], 1, v[7:8]
	s_mul_hi_u32 s9, s13, s77
	v_lshlrev_b32_e32 v27, 2, v12
	s_mul_i32 s9, s9, s58
	v_mul_lo_u32 v30, s48, v3
	s_sub_i32 s11, s13, s9
	v_add_co_u32 v10, vcc_lo, s43, v1
	v_add3_u32 v1, s58, s36, v0
	s_sub_i32 s12, s11, s58
	s_cmp_ge_u32 s11, s58
	v_add_co_ci_u32_e64 v11, null, s47, v2, vcc_lo
	s_cselect_b32 s12, s12, s11
	v_or_b32_e32 v2, 2, v19
	v_subrev_nc_u32_e32 v1, s6, v1
	s_sub_i32 s14, s12, s58
	s_cmp_ge_u32 s12, s58
	v_cmp_ne_u32_e64 s9, 0, v12
	s_cselect_b32 s14, s14, s12
	v_mad_u64_u32 v[12:13], null, s48, v19, s[48:49]
	v_mul_lo_u32 v29, s48, v2
	v_mul_lo_u32 v32, s48, v1
	s_sub_i32 s78, s13, s14
	v_cmp_eq_u32_e64 s0, 0, v18
	v_cmp_gt_u32_e64 s1, s36, v0
	v_cmp_gt_u32_e64 s15, 2, v0
	v_add_nc_u32_e32 v21, 0xc00, v20
	v_add_nc_u32_e32 v24, v0, v23
	v_cmp_lt_u32_e64 s8, 13, v4
	v_cmp_gt_u32_e64 s11, s76, v19
	v_cmp_gt_u32_e64 s12, s36, v25
	;; [unrolled: 1-line block ×3, first 2 shown]
	v_lshlrev_b32_e32 v31, 2, v9
	v_lshlrev_b32_e32 v33, 3, v0
	v_lshl_or_b32 v34, v18, 2, 0xc00
	v_mov_b32_e32 v38, s37
	v_mov_b32_e32 v35, 0x8000
	;; [unrolled: 1-line block ×5, first 2 shown]
	s_mul_i32 s59, s48, s58
	s_lshl_b32 s80, s58, 3
	s_lshl_b32 s79, s59, 2
	;; [unrolled: 1-line block ×3, first 2 shown]
	s_mov_b32 s87, 14
	s_mov_b32 s83, 0
                                        ; implicit-def: $sgpr82
                                        ; implicit-def: $sgpr86
                                        ; implicit-def: $sgpr85
                                        ; implicit-def: $sgpr88
                                        ; implicit-def: $sgpr84
                                        ; implicit-def: $sgpr92
                                        ; implicit-def: $sgpr93
                                        ; implicit-def: $sgpr89
                                        ; implicit-def: $sgpr91
                                        ; implicit-def: $sgpr90
	s_branch .LBB62_6
.LBB62_4:                               ;   in Loop: Header=BB62_6 Depth=1
	s_or_b32 exec_lo, exec_lo, s17
	v_mov_b32_e32 v38, v4
	s_andn2_b32 s17, s90, exec_lo
	s_and_b32 s16, s16, exec_lo
	s_andn2_b32 s91, s91, exec_lo
	s_or_b32 s90, s17, s16
	s_andn2_b32 s89, s89, exec_lo
	s_andn2_b32 s93, s93, exec_lo
	s_andn2_b32 s92, s92, exec_lo
	s_orn2_b32 s17, s14, exec_lo
.LBB62_5:                               ;   in Loop: Header=BB62_6 Depth=1
	s_or_b32 exec_lo, exec_lo, s6
	s_and_b32 s6, exec_lo, s17
	s_or_b32 s35, s6, s35
	s_andn2_b32 s6, s84, exec_lo
	s_and_b32 s14, s90, exec_lo
	s_andn2_b32 s16, s88, exec_lo
	s_or_b32 s84, s6, s14
	s_and_b32 s6, s91, exec_lo
	s_andn2_b32 s14, s85, exec_lo
	s_and_b32 s17, s89, exec_lo
	s_or_b32 s88, s16, s6
	s_or_b32 s85, s14, s17
	s_andn2_b32 s6, s86, exec_lo
	s_and_b32 s14, s93, exec_lo
	s_andn2_b32 s16, s82, exec_lo
	s_and_b32 s17, s92, exec_lo
	s_or_b32 s86, s6, s14
	s_or_b32 s82, s16, s17
	s_andn2_b32 exec_lo, exec_lo, s35
	s_cbranch_execz .LBB62_406
.LBB62_6:                               ; =>This Loop Header: Depth=1
                                        ;     Child Loop BB62_11 Depth 2
                                        ;     Child Loop BB62_32 Depth 2
	;; [unrolled: 1-line block ×26, first 2 shown]
	ds_read_b64 v[1:2], v8 offset:4096
	s_waitcnt lgkmcnt(0)
	v_readfirstlane_b32 s94, v1
	s_cmp_lg_u32 s94, 0
	s_cbranch_scc1 .LBB62_51
; %bb.7:                                ;   in Loop: Header=BB62_6 Depth=1
	s_and_b32 vcc_lo, exec_lo, s69
	s_cbranch_vccz .LBB62_19
; %bb.8:                                ;   in Loop: Header=BB62_6 Depth=1
	v_cmp_gt_u32_e32 vcc_lo, 0x601, v2
	s_mov_b32 s16, 0
	s_mov_b32 s6, 0
	s_cbranch_vccz .LBB62_20
; %bb.9:                                ;   in Loop: Header=BB62_6 Depth=1
	global_load_ushort v1, v8, s[38:39]
	global_load_ushort v3, v[5:6], off
	v_mov_b32_e32 v4, v0
	s_mov_b32 s17, 0
	s_waitcnt vmcnt(1)
	v_add_nc_u32_e32 v2, v0, v1
	v_mul_lo_u32 v7, s48, v2
	v_mul_lo_u32 v2, s48, v1
	s_branch .LBB62_11
.LBB62_10:                              ;   in Loop: Header=BB62_11 Depth=2
	s_or_b32 exec_lo, exec_lo, s14
	v_add_nc_u32_e32 v7, v7, v2
	v_mov_b32_e32 v3, v13
	s_andn2_b32 exec_lo, exec_lo, s17
	s_cbranch_execz .LBB62_26
.LBB62_11:                              ;   Parent Loop BB62_6 Depth=1
                                        ; =>  This Inner Loop Header: Depth=2
	v_add_nc_u32_e32 v4, v4, v1
	s_waitcnt lgkmcnt(0)
	v_mov_b32_e32 v14, 0
	v_mov_b32_e32 v13, 0
	s_mov_b32 s14, exec_lo
	v_cmp_le_u32_e32 vcc_lo, s36, v4
	v_cmpx_gt_u32_e64 s36, v4
	s_cbranch_execz .LBB62_13
; %bb.12:                               ;   in Loop: Header=BB62_11 Depth=2
	v_lshlrev_b64 v[15:16], 1, v[7:8]
	v_add_co_u32 v15, s6, s43, v15
	v_add_co_ci_u32_e64 v16, null, s47, v16, s6
	global_load_ushort v13, v[15:16], off
.LBB62_13:                              ;   in Loop: Header=BB62_11 Depth=2
	s_or_b32 exec_lo, exec_lo, s14
	s_waitcnt vmcnt(0)
	v_add_nc_u32_sdwa v15, sext(v3), v35 dst_sel:DWORD dst_unused:UNUSED_PAD src0_sel:WORD_0 src1_sel:DWORD
	v_and_b32_e32 v15, v15, v36
	v_cmp_eq_u32_e64 s6, v15, v28
	s_cmp_lg_u32 s6, 0
	s_cselect_b32 s14, -1, 0
	s_and_b32 s14, s0, s14
	s_and_saveexec_b32 s18, s14
	s_cbranch_execz .LBB62_17
; %bb.14:                               ;   in Loop: Header=BB62_11 Depth=2
	s_mov_b32 s21, exec_lo
	s_bcnt1_i32_b32 s19, s6
	v_mbcnt_lo_u32_b32 v14, s21, 0
	s_mov_b32 s20, exec_lo
                                        ; implicit-def: $vgpr15
	v_cmpx_eq_u32_e32 0, v14
; %bb.15:                               ;   in Loop: Header=BB62_11 Depth=2
	s_bcnt1_i32_b32 s14, s21
	s_mul_i32 s14, s19, s14
	v_mov_b32_e32 v15, s14
	ds_add_rtn_u32 v15, v8, v15 offset:4104
; %bb.16:                               ;   in Loop: Header=BB62_11 Depth=2
	s_or_b32 exec_lo, exec_lo, s20
	s_waitcnt lgkmcnt(0)
	v_readfirstlane_b32 s14, v15
	v_mad_u32_u24 v14, s19, v14, s14
.LBB62_17:                              ;   in Loop: Header=BB62_11 Depth=2
	s_or_b32 exec_lo, exec_lo, s18
	ds_bpermute_b32 v14, v8, v14
	s_and_b32 s14, exec_lo, vcc_lo
	s_or_b32 s17, s14, s17
	s_and_saveexec_b32 s14, s6
	s_cbranch_execz .LBB62_10
; %bb.18:                               ;   in Loop: Header=BB62_11 Depth=2
	v_and_b32_e32 v15, s6, v17
	v_bcnt_u32_b32 v15, v15, 0
	v_lshlrev_b32_e32 v15, 1, v15
	s_waitcnt lgkmcnt(0)
	v_lshl_add_u32 v14, v14, 1, v15
	ds_write_b16 v14, v3
	s_branch .LBB62_10
.LBB62_19:                              ;   in Loop: Header=BB62_6 Depth=1
	s_mov_b32 s16, -1
	s_mov_b32 s6, 0
.LBB62_20:                              ;   in Loop: Header=BB62_6 Depth=1
	s_and_b32 vcc_lo, exec_lo, s16
	s_cbranch_vccz .LBB62_49
.LBB62_21:                              ;   in Loop: Header=BB62_6 Depth=1
	s_and_saveexec_b32 s14, s1
	s_cbranch_execz .LBB62_46
; %bb.22:                               ;   in Loop: Header=BB62_6 Depth=1
	global_load_ushort v1, v8, s[38:39]
	global_load_ushort v39, v[5:6], off
	v_mov_b32_e32 v2, v0
	s_mov_b32 s16, exec_lo
	s_waitcnt vmcnt(1)
	v_add_nc_u32_e32 v13, v0, v1
	v_readfirstlane_b32 s17, v1
	v_cmpx_gt_u32_e64 s36, v13
	s_cbranch_execz .LBB62_45
; %bb.23:                               ;   in Loop: Header=BB62_6 Depth=1
	s_mov_b32 s6, 0
	s_mul_i32 s18, s48, s17
                                        ; implicit-def: $vgpr2
                                        ; implicit-def: $vgpr4
                                        ; implicit-def: $vgpr1
                                        ; implicit-def: $vgpr3
	s_and_saveexec_b32 s19, s7
	s_xor_b32 s19, exec_lo, s19
	s_cbranch_execnz .LBB62_29
; %bb.24:                               ;   in Loop: Header=BB62_6 Depth=1
	s_andn2_saveexec_b32 s19, s19
	s_cbranch_execnz .LBB62_40
.LBB62_25:                              ;   in Loop: Header=BB62_6 Depth=1
	s_or_b32 exec_lo, exec_lo, s19
	s_and_saveexec_b32 s18, s6
	s_cbranch_execnz .LBB62_41
	s_branch .LBB62_44
.LBB62_26:                              ;   in Loop: Header=BB62_6 Depth=1
	s_or_b32 exec_lo, exec_lo, s17
	s_waitcnt lgkmcnt(0)
	s_barrier
	buffer_gl0_inv
	s_and_saveexec_b32 s6, s3
	s_cbranch_execz .LBB62_28
; %bb.27:                               ;   in Loop: Header=BB62_6 Depth=1
	ds_read_b32 v1, v8 offset:4104
	s_waitcnt lgkmcnt(0)
	ds_write_b32 v8, v1 offset:4096
.LBB62_28:                              ;   in Loop: Header=BB62_6 Depth=1
	s_or_b32 exec_lo, exec_lo, s6
	s_waitcnt lgkmcnt(0)
	s_mov_b32 s6, -1
	s_barrier
	s_and_b32 vcc_lo, exec_lo, s16
	s_cbranch_vccnz .LBB62_21
	s_branch .LBB62_49
.LBB62_29:                              ;   in Loop: Header=BB62_6 Depth=1
	v_cvt_f32_u32_e32 v1, s17
	v_add_nc_u32_e32 v2, s17, v13
	s_sub_i32 s6, 0, s17
	s_not_b32 s20, s18
	v_rcp_iflag_f32_e32 v1, v1
	v_max_u32_e32 v2, s36, v2
	v_sub_nc_u32_e32 v2, v2, v0
	v_mul_f32_e32 v1, 0x4f7ffffe, v1
	v_cvt_u32_f32_e32 v1, v1
	v_mul_lo_u32 v3, s6, v1
	s_lshl_b32 s6, s17, 1
	v_cmp_ne_u32_e32 vcc_lo, s6, v2
	v_cndmask_b32_e64 v4, 0, 1, vcc_lo
	v_mul_hi_u32 v3, v1, v3
	v_or_b32_e32 v4, s6, v4
	v_add_nc_u32_e32 v1, v1, v3
	v_sub_nc_u32_e32 v2, v2, v4
	v_mul_hi_u32 v1, v2, v1
	v_mul_lo_u32 v3, v1, s17
	v_sub_nc_u32_e32 v2, v2, v3
	v_add_nc_u32_e32 v3, 1, v1
	v_subrev_nc_u32_e32 v4, s17, v2
	v_cmp_le_u32_e64 s6, s17, v2
	v_cndmask_b32_e64 v1, v1, v3, s6
	v_cndmask_b32_e64 v2, v2, v4, s6
	v_add_nc_u32_e32 v3, 1, v1
	v_cmp_le_u32_e64 s6, s17, v2
	v_mul_lo_u32 v2, s48, v13
	v_cndmask_b32_e64 v1, v1, v3, s6
	s_abs_i32 s6, s18
	v_add_co_ci_u32_e64 v1, null, 0, v1, vcc_lo
	v_mul_hi_u32 v3, s6, v1
	v_mul_lo_u32 v1, s6, v1
	s_ashr_i32 s6, s20, 31
	s_cmp_eq_u32 s17, 1
	v_xor_b32_e32 v2, s6, v2
	s_cselect_b32 s20, -1, 0
	v_cmp_eq_u32_e32 vcc_lo, 0, v3
	v_cmp_le_u32_e64 s6, v1, v2
	v_mov_b32_e32 v1, v0
                                        ; implicit-def: $vgpr2
	s_and_b32 s20, vcc_lo, s20
	s_and_b32 s21, s20, s6
	s_mov_b32 s20, -1
	s_and_saveexec_b32 s6, s21
	s_cbranch_execz .LBB62_39
; %bb.30:                               ;   in Loop: Header=BB62_6 Depth=1
	v_add_nc_u32_e32 v14, 1, v13
	s_waitcnt vmcnt(0)
	v_lshlrev_b32_e32 v1, 16, v39
	v_mov_b32_e32 v7, 0
                                        ; implicit-def: $vgpr39
	v_mov_b32_e32 v16, v14
	v_mov_b32_e32 v15, v13
	s_and_saveexec_b32 s20, s8
	s_cbranch_execz .LBB62_34
; %bb.31:                               ;   in Loop: Header=BB62_6 Depth=1
	v_mov_b32_e32 v16, v14
	v_mov_b32_e32 v40, v26
	;; [unrolled: 1-line block ×4, first 2 shown]
	s_mov_b32 s21, 0
	s_mov_b32 s22, 0
.LBB62_32:                              ;   Parent Loop BB62_6 Depth=1
                                        ; =>  This Inner Loop Header: Depth=2
	v_add_nc_u32_e32 v4, 2, v16
	v_mul_lo_u32 v7, v15, s48
	v_add_nc_u32_e32 v14, 4, v16
	v_mul_lo_u32 v2, v16, s49
	;; [unrolled: 2-line block ×3, first 2 shown]
	v_mov_b32_e32 v3, v8
	v_add_nc_u32_e32 v48, 8, v16
	v_mul_lo_u32 v44, v14, s49
	v_mov_b32_e32 v43, v8
	v_add_nc_u32_e32 v50, 10, v16
	v_mul_lo_u32 v46, v39, s49
	v_lshlrev_b64 v[52:53], 1, v[7:8]
	v_mov_b32_e32 v45, v8
	v_mul_lo_u32 v48, v48, s49
	v_lshlrev_b64 v[2:3], 1, v[2:3]
	v_mov_b32_e32 v47, v8
	;; [unrolled: 3-line block ×3, first 2 shown]
	v_lshlrev_b64 v[44:45], 1, v[44:45]
	v_add_co_u32 v52, vcc_lo, s43, v52
	v_mov_b32_e32 v51, v8
	v_lshlrev_b64 v[46:47], 1, v[46:47]
	v_add_co_ci_u32_e64 v53, null, s47, v53, vcc_lo
	v_add_co_u32 v2, vcc_lo, s43, v2
	v_lshlrev_b64 v[48:49], 1, v[48:49]
	v_add_co_ci_u32_e64 v3, null, s47, v3, vcc_lo
	v_add_co_u32 v42, vcc_lo, s43, v42
	;; [unrolled: 3-line block ×3, first 2 shown]
	v_add_co_ci_u32_e64 v45, null, s47, v45, vcc_lo
	v_add_co_u32 v46, vcc_lo, s43, v46
	v_lshrrev_b32_e32 v1, 16, v1
	v_add_co_ci_u32_e64 v47, null, s47, v47, vcc_lo
	v_add_co_u32 v48, vcc_lo, s43, v48
	v_add_co_ci_u32_e64 v49, null, s47, v49, vcc_lo
	v_add_co_u32 v50, vcc_lo, s43, v50
	v_add_co_ci_u32_e64 v51, null, s47, v51, vcc_lo
	s_clause 0x6
	global_load_short_d16_hi v1, v[52:53], off
	global_load_ushort v2, v[2:3], off
	global_load_ushort v3, v[42:43], off
	;; [unrolled: 1-line block ×6, first 2 shown]
	v_add_nc_u32_e32 v7, 2, v15
	v_add_nc_u32_e32 v45, 12, v16
	;; [unrolled: 1-line block ×4, first 2 shown]
	v_mov_b32_e32 v46, v8
	v_mul_lo_u32 v7, v7, s48
	v_mul_lo_u32 v45, v45, s49
	v_mul_lo_u32 v47, v47, s49
	v_mov_b32_e32 v48, v8
	v_add_nc_u32_e32 v39, 6, v15
	v_add_nc_u32_e32 v53, 8, v15
	;; [unrolled: 1-line block ×4, first 2 shown]
	v_lshlrev_b64 v[49:50], 1, v[7:8]
	v_mul_lo_u32 v7, v14, s48
	v_lshlrev_b64 v[45:46], 1, v[45:46]
	v_lshlrev_b64 v[47:48], 1, v[47:48]
	v_add_nc_u32_e32 v59, 14, v15
	v_add_nc_u32_e32 v40, -8, v40
	s_add_i32 s22, s22, 16
	v_add_nc_u32_e32 v16, 16, v16
	v_add_co_u32 v45, vcc_lo, s43, v45
	v_lshlrev_b64 v[51:52], 1, v[7:8]
	v_mul_lo_u32 v7, v39, s48
	v_add_co_ci_u32_e64 v46, null, s47, v46, vcc_lo
	v_add_co_u32 v47, vcc_lo, s43, v47
	v_add_co_ci_u32_e64 v48, null, s47, v48, vcc_lo
	v_add_co_u32 v49, vcc_lo, s43, v49
	v_add_co_ci_u32_e64 v50, null, s47, v50, vcc_lo
	global_load_ushort v14, v[45:46], off
	v_add_co_u32 v45, vcc_lo, s43, v51
	v_add_co_ci_u32_e64 v46, null, s47, v52, vcc_lo
	v_lshlrev_b64 v[51:52], 1, v[7:8]
	v_mul_lo_u32 v7, v53, s48
	v_add_nc_u32_e32 v15, 16, v15
	v_add_co_u32 v51, vcc_lo, s43, v51
	v_add_co_ci_u32_e64 v52, null, s47, v52, vcc_lo
	v_lshlrev_b64 v[53:54], 1, v[7:8]
	v_mul_lo_u32 v7, v55, s48
	v_add_co_u32 v53, vcc_lo, s43, v53
	v_add_co_ci_u32_e64 v54, null, s47, v54, vcc_lo
	v_lshlrev_b64 v[55:56], 1, v[7:8]
	v_mul_lo_u32 v7, v57, s48
	;; [unrolled: 4-line block ×3, first 2 shown]
	v_add_co_u32 v57, vcc_lo, s43, v57
	v_add_co_ci_u32_e64 v58, null, s47, v58, vcc_lo
	v_lshlrev_b64 v[59:60], 1, v[7:8]
	v_mov_b32_e32 v7, s22
	v_add_co_u32 v59, vcc_lo, s43, v59
	v_add_co_ci_u32_e64 v60, null, s47, v60, vcc_lo
	v_cmp_eq_u32_e32 vcc_lo, 0, v40
	s_clause 0x7
	global_load_short_d16_hi v2, v[49:50], off
	global_load_short_d16_hi v3, v[45:46], off
	;; [unrolled: 1-line block ×3, first 2 shown]
	global_load_ushort v46, v[59:60], off
	global_load_short_d16_hi v42, v[53:54], off
	global_load_short_d16_hi v43, v[55:56], off
	;; [unrolled: 1-line block ×3, first 2 shown]
	global_load_ushort v39, v[47:48], off
	s_or_b32 s21, vcc_lo, s21
	s_waitcnt vmcnt(5)
	ds_write_b128 v41, v[1:4]
	s_waitcnt vmcnt(4)
	v_perm_b32 v45, v46, v14, 0x5040100
	s_waitcnt vmcnt(0)
	v_perm_b32 v1, v39, v46, 0x5040100
	ds_write_b128 v41, v[42:45] offset:16
	v_add_nc_u32_e32 v41, 32, v41
	s_andn2_b32 exec_lo, exec_lo, s21
	s_cbranch_execnz .LBB62_32
; %bb.33:                               ;   in Loop: Header=BB62_6 Depth=1
	s_or_b32 exec_lo, exec_lo, s21
.LBB62_34:                              ;   in Loop: Header=BB62_6 Depth=1
	s_or_b32 exec_lo, exec_lo, s20
	s_and_saveexec_b32 s20, s9
	s_cbranch_execz .LBB62_38
; %bb.35:                               ;   in Loop: Header=BB62_6 Depth=1
	v_lshl_add_u32 v2, v7, 1, v20
	v_mov_b32_e32 v3, v27
	s_mov_b32 s21, 0
	s_inst_prefetch 0x1
	.p2align	6
.LBB62_36:                              ;   Parent Loop BB62_6 Depth=1
                                        ; =>  This Inner Loop Header: Depth=2
	v_mul_lo_u32 v7, v15, s48
	v_mul_lo_u32 v39, v16, s49
	v_mov_b32_e32 v40, v8
	v_add_nc_u32_e32 v3, -4, v3
	v_add_nc_u32_e32 v16, 2, v16
	v_add_nc_u32_e32 v15, 2, v15
	v_lshlrev_b64 v[41:42], 1, v[7:8]
	v_lshlrev_b64 v[39:40], 1, v[39:40]
	v_add_co_u32 v41, vcc_lo, s43, v41
	v_add_co_ci_u32_e64 v42, null, s47, v42, vcc_lo
	v_add_co_u32 v39, vcc_lo, s43, v39
	v_add_co_ci_u32_e64 v40, null, s47, v40, vcc_lo
	s_clause 0x1
	global_load_ushort v4, v[41:42], off
	global_load_ushort v39, v[39:40], off
	v_cmp_eq_u32_e32 vcc_lo, 0, v3
	s_or_b32 s21, vcc_lo, s21
	s_waitcnt vmcnt(1)
	v_alignbit_b32 v1, v4, v1, 16
	s_waitcnt vmcnt(0)
	v_perm_b32 v4, v39, v4, 0x5040100
	ds_write_b32 v2, v1
	v_add_nc_u32_e32 v2, 4, v2
	v_mov_b32_e32 v1, v4
	s_andn2_b32 exec_lo, exec_lo, s21
	s_cbranch_execnz .LBB62_36
; %bb.37:                               ;   in Loop: Header=BB62_6 Depth=1
	s_inst_prefetch 0x2
	s_or_b32 exec_lo, exec_lo, s21
.LBB62_38:                              ;   in Loop: Header=BB62_6 Depth=1
	s_or_b32 exec_lo, exec_lo, s20
	v_add_nc_u32_e32 v13, v13, v23
	v_mov_b32_e32 v1, v24
	s_orn2_b32 s20, s10, exec_lo
	v_add_nc_u32_e32 v2, -1, v13
.LBB62_39:                              ;   in Loop: Header=BB62_6 Depth=1
	s_or_b32 exec_lo, exec_lo, s6
	v_mov_b32_e32 v3, s18
	s_waitcnt vmcnt(0)
	v_mov_b32_e32 v4, v39
	s_and_b32 s6, s20, exec_lo
	s_andn2_saveexec_b32 s19, s19
	s_cbranch_execz .LBB62_25
.LBB62_40:                              ;   in Loop: Header=BB62_6 Depth=1
	v_mov_b32_e32 v3, s18
	s_waitcnt vmcnt(0)
	v_mov_b32_e32 v4, v39
	v_mov_b32_e32 v1, v0
	s_or_b32 s6, s6, exec_lo
	s_or_b32 exec_lo, exec_lo, s19
	s_and_saveexec_b32 s18, s6
	s_cbranch_execz .LBB62_44
.LBB62_41:                              ;   in Loop: Header=BB62_6 Depth=1
	v_mul_lo_u32 v7, s48, v13
	s_mov_b32 s19, 0
	s_sub_i32 s6, 0, s17
	.p2align	6
.LBB62_42:                              ;   Parent Loop BB62_6 Depth=1
                                        ; =>  This Inner Loop Header: Depth=2
	v_lshlrev_b64 v[14:15], 1, v[7:8]
	v_mov_b32_e32 v2, v13
	v_lshlrev_b32_e32 v1, 1, v1
	v_add_nc_u32_e32 v7, v7, v3
	v_add_nc_u32_e32 v13, s17, v2
	v_add_co_u32 v14, vcc_lo, s43, v14
	v_add_co_ci_u32_e64 v15, null, s47, v15, vcc_lo
	v_cmp_le_u32_e32 vcc_lo, s36, v13
	ds_write_b16 v1, v4
	v_mov_b32_e32 v1, v2
	global_load_ushort v39, v[14:15], off
	s_or_b32 s19, vcc_lo, s19
	s_waitcnt vmcnt(0)
	v_mov_b32_e32 v4, v39
	s_andn2_b32 exec_lo, exec_lo, s19
	s_cbranch_execnz .LBB62_42
; %bb.43:                               ;   in Loop: Header=BB62_6 Depth=1
	s_or_b32 exec_lo, exec_lo, s19
	v_add_nc_u32_e32 v2, s6, v13
.LBB62_44:                              ;   in Loop: Header=BB62_6 Depth=1
	s_or_b32 exec_lo, exec_lo, s18
.LBB62_45:                              ;   in Loop: Header=BB62_6 Depth=1
	s_or_b32 exec_lo, exec_lo, s16
	v_lshlrev_b32_e32 v1, 1, v2
	s_waitcnt vmcnt(0)
	ds_write_b16 v1, v39
.LBB62_46:                              ;   in Loop: Header=BB62_6 Depth=1
	s_or_b32 exec_lo, exec_lo, s14
	s_waitcnt lgkmcnt(0)
	s_barrier
	buffer_gl0_inv
	s_and_saveexec_b32 s6, s3
; %bb.47:                               ;   in Loop: Header=BB62_6 Depth=1
	v_mov_b32_e32 v1, s36
	ds_write_b32 v8, v1 offset:4096
; %bb.48:                               ;   in Loop: Header=BB62_6 Depth=1
	s_or_b32 exec_lo, exec_lo, s6
	s_mov_b32 s6, -1
	s_waitcnt lgkmcnt(0)
	s_barrier
.LBB62_49:                              ;   in Loop: Header=BB62_6 Depth=1
	s_and_b32 vcc_lo, exec_lo, s6
	s_mov_b32 s94, 0
	s_cbranch_vccz .LBB62_51
; %bb.50:                               ;   in Loop: Header=BB62_6 Depth=1
	buffer_gl0_inv
	ds_read_b32 v1, v8 offset:4096
	s_waitcnt lgkmcnt(0)
	v_readfirstlane_b32 s94, v1
.LBB62_51:                              ;   in Loop: Header=BB62_6 Depth=1
	s_cmp_lt_i32 s94, 1
	s_mov_b32 s6, -1
                                        ; implicit-def: $vgpr1
	s_cbranch_scc1 .LBB62_61
; %bb.52:                               ;   in Loop: Header=BB62_6 Depth=1
	s_and_b32 vcc_lo, exec_lo, s6
	s_cbranch_vccnz .LBB62_72
.LBB62_53:                              ;   in Loop: Header=BB62_6 Depth=1
	s_lshl_b32 s6, s83, 7
	s_and_saveexec_b32 s14, s0
.LBB62_54:                              ;   in Loop: Header=BB62_6 Depth=1
	v_lshl_add_u32 v7, s6, 2, v22
	ds_write_b128 v7, v[1:4]
.LBB62_55:                              ;   in Loop: Header=BB62_6 Depth=1
	s_or_b32 exec_lo, exec_lo, s14
	s_waitcnt lgkmcnt(0)
	s_barrier
	buffer_gl0_inv
	s_and_saveexec_b32 s14, s68
	s_cbranch_execz .LBB62_85
; %bb.56:                               ;   in Loop: Header=BB62_6 Depth=1
	v_mov_b32_e32 v1, 0
	s_andn2_b32 vcc_lo, exec_lo, s70
	s_cbranch_vccnz .LBB62_84
; %bb.57:                               ;   in Loop: Header=BB62_6 Depth=1
	s_andn2_b32 vcc_lo, exec_lo, s73
	s_cbranch_vccnz .LBB62_81
; %bb.58:                               ;   in Loop: Header=BB62_6 Depth=1
	v_lshl_add_u32 v2, s83, 9, v34
	v_mov_b32_e32 v1, 0
	s_mov_b32 s16, 0
	.p2align	6
.LBB62_59:                              ;   Parent Loop BB62_6 Depth=1
                                        ; =>  This Inner Loop Header: Depth=2
	ds_read2_b32 v[3:4], v2 offset1:4
	ds_read2_b32 v[13:14], v2 offset0:8 offset1:12
	ds_read2_b32 v[15:16], v2 offset0:16 offset1:20
	;; [unrolled: 1-line block ×3, first 2 shown]
	v_add_nc_u32_e32 v2, 0x80, v2
	s_add_i32 s16, s16, 8
	s_cmp_eq_u32 s67, s16
	s_waitcnt lgkmcnt(3)
	v_add3_u32 v1, v3, v1, v4
	s_waitcnt lgkmcnt(2)
	v_add3_u32 v1, v13, v1, v14
	;; [unrolled: 2-line block ×4, first 2 shown]
	s_cbranch_scc0 .LBB62_59
; %bb.60:                               ;   in Loop: Header=BB62_6 Depth=1
	s_mov_b32 s16, s67
	s_andn2_b32 vcc_lo, exec_lo, s74
	s_cbranch_vccz .LBB62_82
	s_branch .LBB62_84
.LBB62_61:                              ;   in Loop: Header=BB62_6 Depth=1
	v_mov_b32_e32 v1, 0
	v_mov_b32_e32 v2, 0
	;; [unrolled: 1-line block ×4, first 2 shown]
	s_and_saveexec_b32 s25, s11
	s_cbranch_execz .LBB62_65
; %bb.62:                               ;   in Loop: Header=BB62_6 Depth=1
	v_mov_b32_e32 v13, v19
	s_mov_b32 s26, 0
	s_mov_b32 s27, 0
	;; [unrolled: 1-line block ×6, first 2 shown]
.LBB62_63:                              ;   Parent Loop BB62_6 Depth=1
                                        ; =>  This Inner Loop Header: Depth=2
	v_add_nc_u32_e32 v7, s27, v31
	v_add_nc_u32_e32 v13, s66, v13
	v_lshlrev_b64 v[1:2], 1, v[7:8]
	v_add_nc_u32_e32 v7, s27, v12
	v_lshlrev_b64 v[3:4], 1, v[7:8]
	v_add_nc_u32_e32 v7, s27, v29
	v_add_co_u32 v1, vcc_lo, s43, v1
	v_add_co_ci_u32_e64 v2, null, s47, v2, vcc_lo
	v_lshlrev_b64 v[14:15], 1, v[7:8]
	v_add_nc_u32_e32 v7, s27, v30
	s_add_i32 s27, s27, s79
	global_load_sshort v16, v[1:2], off
	v_add_co_u32 v1, vcc_lo, s43, v3
	v_add_co_ci_u32_e64 v2, null, s47, v4, vcc_lo
	v_add_co_u32 v14, vcc_lo, s43, v14
	v_add_co_ci_u32_e64 v15, null, s47, v15, vcc_lo
	v_lshlrev_b64 v[3:4], 1, v[7:8]
	s_clause 0x1
	global_load_sshort v7, v[1:2], off
	global_load_sshort v14, v[14:15], off
	v_add_co_u32 v1, vcc_lo, s43, v3
	v_add_co_ci_u32_e64 v2, null, s47, v4, vcc_lo
	v_cmp_le_u32_e32 vcc_lo, s76, v13
	global_load_sshort v1, v[1:2], off
	s_waitcnt vmcnt(3)
	v_add_nc_u32_e32 v2, 0x8000, v16
	v_and_b32_e32 v3, v2, v36
	v_bfe_u32 v2, v2, s87, 2
	s_waitcnt vmcnt(2)
	v_add_nc_u32_e32 v4, 0x8000, v7
	v_cmp_eq_u32_e64 s6, v3, v28
	v_cmp_eq_u32_e64 s14, 0, v2
	s_waitcnt vmcnt(1)
	v_add_nc_u32_e32 v7, 0x8000, v14
	v_cmp_eq_u32_e64 s16, 1, v2
	v_and_b32_e32 v3, v4, v36
	v_bfe_u32 v4, v4, s87, 2
	v_cmp_eq_u32_e64 s17, 2, v2
	s_and_b32 s14, s6, s14
	v_cmp_eq_u32_e64 s18, 3, v2
	v_cmp_eq_u32_e64 s19, v3, v28
	v_and_b32_e32 v2, v7, v36
	v_bfe_u32 v3, v7, s87, 2
	v_cmp_eq_u32_e64 s20, 0, v4
	v_cndmask_b32_e64 v7, 0, 1, s14
	v_cmp_eq_u32_e64 s14, 1, v4
	s_and_b32 s16, s6, s16
	s_and_b32 s17, s6, s17
	v_cndmask_b32_e64 v14, 0, 1, s16
	v_cmp_eq_u32_e64 s16, 2, v4
	s_waitcnt vmcnt(0)
	v_add_nc_u32_e32 v1, 0x8000, v1
	v_cndmask_b32_e64 v15, 0, 1, s17
	s_and_b32 s6, s6, s18
	s_and_b32 s20, s19, s20
	;; [unrolled: 1-line block ×3, first 2 shown]
	v_cmp_eq_u32_e64 s17, 3, v4
	v_cndmask_b32_e64 v4, 0, 1, s6
	v_cmp_eq_u32_e64 s6, v2, v28
	v_cmp_eq_u32_e64 s18, 0, v3
	v_cmp_ne_u32_e64 s21, 0, v7
	v_cndmask_b32_e64 v7, 0, 1, s20
	v_cmp_eq_u32_e64 s20, 1, v3
	v_cmp_ne_u32_e64 s22, 0, v14
	v_cndmask_b32_e64 v14, 0, 1, s14
	v_cmp_eq_u32_e64 s14, 2, v3
	s_and_b32 s16, s19, s16
	v_and_b32_e32 v2, v1, v36
	v_bfe_u32 v1, v1, s87, 2
	v_cmp_ne_u32_e64 s23, 0, v15
	v_cndmask_b32_e64 v15, 0, 1, s16
	v_cmp_eq_u32_e64 s16, 3, v3
	s_and_b32 s17, s19, s17
	s_and_b32 s18, s6, s18
	;; [unrolled: 1-line block ×4, first 2 shown]
	v_cmp_ne_u32_e64 s24, 0, v4
	v_cndmask_b32_e64 v3, 0, 1, s17
	v_cmp_eq_u32_e64 s17, v2, v28
	v_cmp_eq_u32_e64 s19, 0, v1
	s_bcnt1_i32_b32 s33, s21
	v_cmp_ne_u32_e64 s21, 0, v7
	v_cndmask_b32_e64 v2, 0, 1, s18
	v_cmp_eq_u32_e64 s18, 1, v1
	v_cndmask_b32_e64 v4, 0, 1, s20
	v_cmp_eq_u32_e64 s20, 2, v1
	;; [unrolled: 2-line block ×3, first 2 shown]
	s_and_b32 s6, s6, s16
	s_bcnt1_i32_b32 s45, s24
	v_cndmask_b32_e64 v1, 0, 1, s6
	v_cmp_ne_u32_e64 s24, 0, v3
	s_and_b32 s16, s17, s19
	s_and_b32 s18, s17, s18
	;; [unrolled: 1-line block ×4, first 2 shown]
	v_cmp_ne_u32_e64 s6, 0, v2
	v_cndmask_b32_e64 v2, 0, 1, s16
	v_cmp_ne_u32_e64 s16, 0, v4
	v_cndmask_b32_e64 v3, 0, 1, s18
	v_cndmask_b32_e64 v4, 0, 1, s19
	v_cmp_ne_u32_e64 s19, 0, v1
	v_cndmask_b32_e64 v1, 0, 1, s14
	s_bcnt1_i32_b32 s34, s22
	v_cmp_ne_u32_e64 s22, 0, v14
	s_bcnt1_i32_b32 s44, s23
	v_cmp_ne_u32_e64 s23, 0, v15
	s_add_i32 s28, s45, s28
	v_cmp_ne_u32_e64 s18, 0, v7
	s_bcnt1_i32_b32 s20, s24
	s_bcnt1_i32_b32 s24, s6
	s_add_i32 s20, s28, s20
	v_cmp_ne_u32_e64 s6, 0, v2
	s_bcnt1_i32_b32 s28, s16
	v_cmp_ne_u32_e64 s14, 0, v3
	v_cmp_ne_u32_e64 s16, 0, v4
	;; [unrolled: 1-line block ×3, first 2 shown]
	s_add_i32 s31, s33, s31
	s_add_i32 s30, s34, s30
	;; [unrolled: 1-line block ×3, first 2 shown]
	s_bcnt1_i32_b32 s21, s21
	s_bcnt1_i32_b32 s22, s22
	s_bcnt1_i32_b32 s23, s23
	s_add_i32 s21, s31, s21
	s_add_i32 s22, s30, s22
	;; [unrolled: 1-line block ×3, first 2 shown]
	s_bcnt1_i32_b32 s18, s18
	s_bcnt1_i32_b32 s19, s19
	s_add_i32 s21, s21, s24
	s_add_i32 s22, s22, s28
	;; [unrolled: 1-line block ×4, first 2 shown]
	s_bcnt1_i32_b32 s6, s6
	s_bcnt1_i32_b32 s14, s14
	;; [unrolled: 1-line block ×4, first 2 shown]
	s_add_i32 s31, s21, s6
	s_add_i32 s30, s22, s14
	;; [unrolled: 1-line block ×4, first 2 shown]
	v_mov_b32_e32 v1, s31
	v_mov_b32_e32 v2, s30
	;; [unrolled: 1-line block ×4, first 2 shown]
	s_or_b32 s26, vcc_lo, s26
	s_andn2_b32 exec_lo, exec_lo, s26
	s_cbranch_execnz .LBB62_63
; %bb.64:                               ;   in Loop: Header=BB62_6 Depth=1
	s_or_b32 exec_lo, exec_lo, s26
.LBB62_65:                              ;   in Loop: Header=BB62_6 Depth=1
	s_or_b32 exec_lo, exec_lo, s25
	s_and_saveexec_b32 s18, s12
	s_cbranch_execz .LBB62_71
; %bb.66:                               ;   in Loop: Header=BB62_6 Depth=1
	global_load_ushort v15, v[10:11], off
	v_mov_b32_e32 v7, v32
	v_mov_b32_e32 v13, v25
	s_mov_b32 s19, 0
	s_branch .LBB62_68
.LBB62_67:                              ;   in Loop: Header=BB62_68 Depth=2
	s_or_b32 exec_lo, exec_lo, s14
	s_waitcnt vmcnt(0)
	v_add_nc_u32_sdwa v15, sext(v15), v35 dst_sel:DWORD dst_unused:UNUSED_PAD src0_sel:WORD_0 src1_sel:DWORD
	s_and_b32 s14, exec_lo, vcc_lo
	v_add_nc_u32_e32 v7, s59, v7
	s_or_b32 s19, s14, s19
	v_and_b32_e32 v16, v15, v36
	v_bfe_u32 v15, v15, s87, 2
	v_cmp_eq_u32_e32 vcc_lo, v16, v28
	v_cmp_eq_u32_e64 s6, 0, v15
	v_cmp_eq_u32_e64 s14, 1, v15
	;; [unrolled: 1-line block ×4, first 2 shown]
	s_and_b32 s6, vcc_lo, s6
	v_cndmask_b32_e64 v15, 0, 1, s6
	s_and_b32 s6, vcc_lo, s14
	v_cndmask_b32_e64 v16, 0, 1, s6
	s_and_b32 s6, vcc_lo, s16
	v_cndmask_b32_e64 v39, 0, 1, s6
	s_and_b32 s6, vcc_lo, s17
	v_cmp_ne_u32_e32 vcc_lo, 0, v15
	v_cndmask_b32_e64 v40, 0, 1, s6
	v_cmp_ne_u32_e64 s6, 0, v16
	v_cmp_ne_u32_e64 s14, 0, v39
	v_mov_b32_e32 v15, v14
	s_bcnt1_i32_b32 s17, vcc_lo
	v_cmp_ne_u32_e64 s16, 0, v40
	s_bcnt1_i32_b32 s6, s6
	s_bcnt1_i32_b32 s14, s14
	v_add_nc_u32_e32 v1, s17, v1
	v_add_nc_u32_e32 v2, s6, v2
	s_bcnt1_i32_b32 s16, s16
	v_add_nc_u32_e32 v3, s14, v3
	v_add_nc_u32_e32 v4, s16, v4
	s_andn2_b32 exec_lo, exec_lo, s19
	s_cbranch_execz .LBB62_70
.LBB62_68:                              ;   Parent Loop BB62_6 Depth=1
                                        ; =>  This Inner Loop Header: Depth=2
	v_add_nc_u32_e32 v13, s58, v13
	v_mov_b32_e32 v14, 0
	s_mov_b32 s14, exec_lo
	v_cmp_le_u32_e32 vcc_lo, s36, v13
	v_cmpx_gt_u32_e64 s36, v13
	s_cbranch_execz .LBB62_67
; %bb.69:                               ;   in Loop: Header=BB62_68 Depth=2
	v_lshlrev_b64 v[39:40], 1, v[7:8]
	v_add_co_u32 v39, s6, s43, v39
	v_add_co_ci_u32_e64 v40, null, s47, v40, s6
	global_load_ushort v14, v[39:40], off
	s_branch .LBB62_67
.LBB62_70:                              ;   in Loop: Header=BB62_6 Depth=1
	s_or_b32 exec_lo, exec_lo, s19
.LBB62_71:                              ;   in Loop: Header=BB62_6 Depth=1
	s_or_b32 exec_lo, exec_lo, s18
	s_branch .LBB62_53
.LBB62_72:                              ;   in Loop: Header=BB62_6 Depth=1
	s_mul_hi_u32 s6, s94, s75
	v_mov_b32_e32 v1, 0
	s_mul_i32 s6, s6, s66
	v_mov_b32_e32 v2, 0
	s_sub_i32 s6, s94, s6
	v_mov_b32_e32 v3, 0
	s_sub_i32 s14, s6, s66
	s_cmp_ge_u32 s6, s66
	v_mov_b32_e32 v4, 0
	s_cselect_b32 s6, s14, s6
	s_mov_b32 s96, exec_lo
	s_sub_i32 s14, s6, s66
	s_cmp_ge_u32 s6, s66
	s_cselect_b32 s6, s14, s6
	s_sub_i32 s95, s94, s6
	v_cmpx_gt_u32_e64 s95, v19
	s_cbranch_execz .LBB62_76
; %bb.73:                               ;   in Loop: Header=BB62_6 Depth=1
	v_mov_b32_e32 v7, v33
	v_mov_b32_e32 v13, v19
	s_mov_b32 s97, 0
	s_mov_b32 s98, 0
	;; [unrolled: 1-line block ×4, first 2 shown]
	s_mov_b32 vcc_hi, 0
.LBB62_74:                              ;   Parent Loop BB62_6 Depth=1
                                        ; =>  This Inner Loop Header: Depth=2
	ds_read_b64 v[1:2], v7
	v_add_nc_u32_e32 v13, s66, v13
	v_add_nc_u32_e32 v7, s80, v7
	v_cmp_le_u32_e32 vcc_lo, s95, v13
	s_waitcnt lgkmcnt(0)
	v_add_nc_u32_sdwa v3, sext(v1), v35 dst_sel:DWORD dst_unused:UNUSED_PAD src0_sel:WORD_0 src1_sel:DWORD
	v_add_nc_u32_sdwa v1, sext(v1), v35 dst_sel:DWORD dst_unused:UNUSED_PAD src0_sel:WORD_1 src1_sel:DWORD
	v_add_nc_u32_sdwa v4, sext(v2), v35 dst_sel:DWORD dst_unused:UNUSED_PAD src0_sel:WORD_0 src1_sel:DWORD
	v_add_nc_u32_sdwa v2, sext(v2), v35 dst_sel:DWORD dst_unused:UNUSED_PAD src0_sel:WORD_1 src1_sel:DWORD
	v_and_b32_e32 v14, v3, v36
	v_bfe_u32 v3, v3, s87, 2
	v_and_b32_e32 v15, v1, v36
	v_bfe_u32 v1, v1, s87, 2
	;; [unrolled: 2-line block ×3, first 2 shown]
	v_cmp_eq_u32_e64 s6, v14, v28
	v_cmp_eq_u32_e64 s18, 0, v3
	v_and_b32_e32 v39, v2, v36
	v_bfe_u32 v2, v2, s87, 2
	v_cmp_eq_u32_e64 s14, v15, v28
	v_cmp_eq_u32_e64 s19, 0, v1
	;; [unrolled: 1-line block ×4, first 2 shown]
	s_and_b32 s18, s6, s18
	v_cmp_eq_u32_e64 s17, v39, v28
	v_cmp_eq_u32_e64 s21, 0, v2
	;; [unrolled: 1-line block ×5, first 2 shown]
	v_cndmask_b32_e64 v1, 0, 1, s18
	s_and_b32 s18, s14, s19
	v_cmp_eq_u32_e64 s22, 1, v3
	v_cmp_eq_u32_e64 s25, 1, v2
	;; [unrolled: 1-line block ×4, first 2 shown]
	v_cndmask_b32_e64 v2, 0, 1, s18
	s_and_b32 s18, s16, s20
	v_cmp_eq_u32_e64 s26, 2, v3
	v_cmp_eq_u32_e64 s30, 3, v3
	v_cndmask_b32_e64 v3, 0, 1, s18
	s_and_b32 s18, s17, s21
	v_cmp_eq_u32_e64 s24, 1, v4
	v_cmp_eq_u32_e64 s28, 2, v4
	;; [unrolled: 1-line block ×3, first 2 shown]
	v_cndmask_b32_e64 v4, 0, 1, s18
	s_and_b32 s18, s6, s22
	v_cndmask_b32_e64 v14, 0, 1, s18
	s_and_b32 s18, s14, s23
	;; [unrolled: 2-line block ×4, first 2 shown]
	v_cmp_ne_u32_e64 s19, 0, v15
	v_cndmask_b32_e64 v39, 0, 1, s18
	s_and_b32 s18, s6, s26
	s_and_b32 s6, s6, s30
	v_cndmask_b32_e64 v40, 0, 1, s18
	s_and_b32 s18, s14, s27
	v_cndmask_b32_e64 v44, 0, 1, s6
	;; [unrolled: 2-line block ×7, first 2 shown]
	v_cndmask_b32_e64 v47, 0, 1, s6
	v_cmp_ne_u32_e64 s6, 0, v1
	v_cmp_ne_u32_e64 s18, 0, v14
	v_cmp_ne_u32_e64 s22, 0, v40
	v_cmp_ne_u32_e64 s26, 0, v44
	v_cmp_ne_u32_e64 s14, 0, v2
	v_cmp_ne_u32_e64 s23, 0, v41
	v_cmp_ne_u32_e64 s27, 0, v45
	v_cmp_ne_u32_e64 s16, 0, v3
	v_cmp_ne_u32_e64 s20, 0, v16
	v_cmp_ne_u32_e64 s24, 0, v42
	v_cmp_ne_u32_e64 s28, 0, v46
	s_bcnt1_i32_b32 s6, s6
	s_bcnt1_i32_b32 s18, s18
	;; [unrolled: 1-line block ×4, first 2 shown]
	v_cmp_ne_u32_e64 s17, 0, v4
	v_cmp_ne_u32_e64 s21, 0, v39
	;; [unrolled: 1-line block ×4, first 2 shown]
	s_bcnt1_i32_b32 s14, s14
	s_bcnt1_i32_b32 s19, s19
	;; [unrolled: 1-line block ×4, first 2 shown]
	s_add_i32 s6, s6, vcc_hi
	s_add_i32 s18, s18, s104
	s_add_i32 s22, s22, s99
	;; [unrolled: 1-line block ×3, first 2 shown]
	s_bcnt1_i32_b32 s16, s16
	s_bcnt1_i32_b32 s20, s20
	;; [unrolled: 1-line block ×4, first 2 shown]
	s_add_i32 s6, s6, s14
	s_add_i32 s14, s18, s19
	;; [unrolled: 1-line block ×4, first 2 shown]
	s_bcnt1_i32_b32 s17, s17
	s_bcnt1_i32_b32 s21, s21
	s_bcnt1_i32_b32 s25, s25
	s_bcnt1_i32_b32 s29, s29
	s_add_i32 s6, s6, s16
	s_add_i32 s14, s14, s20
	;; [unrolled: 1-line block ×4, first 2 shown]
	s_add_i32 vcc_hi, s6, s17
	s_add_i32 s104, s14, s21
	s_add_i32 s99, s16, s25
	;; [unrolled: 1-line block ×3, first 2 shown]
	v_mov_b32_e32 v1, vcc_hi
	v_mov_b32_e32 v2, s104
	v_mov_b32_e32 v3, s99
	;; [unrolled: 1-line block ×3, first 2 shown]
	s_or_b32 s97, vcc_lo, s97
	s_andn2_b32 exec_lo, exec_lo, s97
	s_cbranch_execnz .LBB62_74
; %bb.75:                               ;   in Loop: Header=BB62_6 Depth=1
	s_or_b32 exec_lo, exec_lo, s97
.LBB62_76:                              ;   in Loop: Header=BB62_6 Depth=1
	s_or_b32 exec_lo, exec_lo, s96
	v_add_nc_u32_e32 v7, s95, v0
	s_mov_b32 s19, exec_lo
	v_cmpx_gt_u32_e64 s94, v7
	s_cbranch_execz .LBB62_80
; %bb.77:                               ;   in Loop: Header=BB62_6 Depth=1
	v_lshlrev_b32_e32 v13, 1, v7
	s_mov_b32 s20, 0
.LBB62_78:                              ;   Parent Loop BB62_6 Depth=1
                                        ; =>  This Inner Loop Header: Depth=2
	ds_read_i16 v14, v13
	v_add_nc_u32_e32 v7, s58, v7
	v_add_nc_u32_e32 v13, s81, v13
	v_cmp_le_u32_e32 vcc_lo, s94, v7
	s_waitcnt lgkmcnt(0)
	v_add_nc_u32_e32 v14, 0x8000, v14
	v_and_b32_e32 v15, v14, v36
	v_bfe_u32 v14, v14, s87, 2
	v_cmp_eq_u32_e64 s6, v15, v28
	v_cmp_eq_u32_e64 s14, 0, v14
	;; [unrolled: 1-line block ×5, first 2 shown]
	s_and_b32 s14, s6, s14
	v_cndmask_b32_e64 v14, 0, 1, s14
	s_and_b32 s14, s6, s16
	v_cndmask_b32_e64 v15, 0, 1, s14
	s_and_b32 s14, s6, s17
	s_and_b32 s6, s6, s18
	v_cndmask_b32_e64 v16, 0, 1, s14
	v_cndmask_b32_e64 v39, 0, 1, s6
	v_cmp_ne_u32_e64 s6, 0, v14
	v_cmp_ne_u32_e64 s14, 0, v15
	v_cmp_ne_u32_e64 s16, 0, v16
	v_cmp_ne_u32_e64 s17, 0, v39
	s_bcnt1_i32_b32 s6, s6
	s_bcnt1_i32_b32 s14, s14
	v_add_nc_u32_e32 v1, s6, v1
	s_bcnt1_i32_b32 s16, s16
	s_bcnt1_i32_b32 s17, s17
	v_add_nc_u32_e32 v2, s14, v2
	v_add_nc_u32_e32 v3, s16, v3
	;; [unrolled: 1-line block ×3, first 2 shown]
	s_or_b32 s20, vcc_lo, s20
	s_andn2_b32 exec_lo, exec_lo, s20
	s_cbranch_execnz .LBB62_78
; %bb.79:                               ;   in Loop: Header=BB62_6 Depth=1
	s_or_b32 exec_lo, exec_lo, s20
.LBB62_80:                              ;   in Loop: Header=BB62_6 Depth=1
	s_or_b32 exec_lo, exec_lo, s19
	s_lshl_b32 s6, s83, 7
	s_and_saveexec_b32 s14, s0
	s_cbranch_execnz .LBB62_54
	s_branch .LBB62_55
.LBB62_81:                              ;   in Loop: Header=BB62_6 Depth=1
	v_mov_b32_e32 v1, 0
	s_mov_b32 s16, 0
	s_andn2_b32 vcc_lo, exec_lo, s74
	s_cbranch_vccnz .LBB62_84
.LBB62_82:                              ;   in Loop: Header=BB62_6 Depth=1
	s_lshl_b32 s17, s83, 9
	s_lshl_b32 s16, s16, 4
	v_add3_u32 v2, s17, s16, v34
	s_mov_b32 s16, s72
.LBB62_83:                              ;   Parent Loop BB62_6 Depth=1
                                        ; =>  This Inner Loop Header: Depth=2
	ds_read_b32 v3, v2
	v_add_nc_u32_e32 v2, 16, v2
	s_add_i32 s16, s16, -1
	s_cmp_lg_u32 s16, 0
	s_waitcnt lgkmcnt(0)
	v_add_nc_u32_e32 v1, v3, v1
	s_cbranch_scc1 .LBB62_83
.LBB62_84:                              ;   in Loop: Header=BB62_6 Depth=1
	v_add_lshl_u32 v2, s6, v18, 2
	ds_write_b32 v2, v1 offset:3072
.LBB62_85:                              ;   in Loop: Header=BB62_6 Depth=1
	s_or_b32 exec_lo, exec_lo, s14
	s_lshl_b32 s6, s6, 2
	s_waitcnt lgkmcnt(0)
	v_mov_b32_e32 v1, s6
	s_barrier
	buffer_gl0_inv
	v_cmp_eq_u32_e64 s14, 1, v38
	s_lshl_b32 s18, 3, s87
	ds_read_b128 v[1:4], v1 offset:3072
	s_mov_b32 s27, -1
	s_not_b32 s19, s18
	s_mov_b32 s16, 0
	s_andn2_b32 vcc_lo, exec_lo, s65
	s_mov_b32 s24, 0
	s_mov_b32 s23, 0
                                        ; implicit-def: $sgpr25
                                        ; implicit-def: $sgpr26
                                        ; implicit-def: $vgpr7
	s_waitcnt lgkmcnt(0)
	v_readfirstlane_b32 s17, v1
	v_readfirstlane_b32 s20, v2
	;; [unrolled: 1-line block ×4, first 2 shown]
                                        ; implicit-def: $vgpr4
                                        ; implicit-def: $vgpr1
                                        ; implicit-def: $vgpr2
                                        ; implicit-def: $vgpr3
	s_cbranch_vccnz .LBB62_243
; %bb.86:                               ;   in Loop: Header=BB62_6 Depth=1
	s_cmp_eq_u32 s17, 1
	v_mov_b32_e32 v2, v28
	v_mov_b32_e32 v3, v36
	;; [unrolled: 1-line block ×3, first 2 shown]
	s_cselect_b32 s6, -1, 0
	s_mov_b32 s29, -1
	s_and_b32 s6, s6, s14
                                        ; implicit-def: $sgpr26
                                        ; implicit-def: $sgpr25
	s_and_saveexec_b32 s23, s6
	s_cbranch_execz .LBB62_112
; %bb.87:                               ;   in Loop: Header=BB62_6 Depth=1
	ds_read_b32 v1, v8 offset:4096
	s_waitcnt lgkmcnt(0)
	s_barrier
	buffer_gl0_inv
	v_readfirstlane_b32 s27, v1
	s_and_saveexec_b32 s24, s15
; %bb.88:                               ;   in Loop: Header=BB62_6 Depth=1
	ds_write_b16 v21, v8
; %bb.89:                               ;   in Loop: Header=BB62_6 Depth=1
	s_or_b32 exec_lo, exec_lo, s24
	v_and_b32_e32 v2, s19, v28
	v_or_b32_e32 v3, s18, v36
	s_mov_b32 s25, -1
	s_mov_b32 s26, 0
	s_cmp_eq_u32 s27, 0
	s_mov_b32 s24, 0
	s_mov_b32 s28, -1
	s_waitcnt lgkmcnt(0)
	s_barrier
	buffer_gl0_inv
                                        ; implicit-def: $vgpr7
	s_cbranch_scc1 .LBB62_100
; %bb.90:                               ;   in Loop: Header=BB62_6 Depth=1
	s_add_i32 s24, s27, s71
                                        ; implicit-def: $vgpr7
	s_mul_hi_u32 s28, s24, s77
	s_mul_i32 s28, s28, s58
	s_sub_i32 s28, s24, s28
	s_sub_i32 s29, s28, s58
	s_cmp_ge_u32 s28, s58
	s_cselect_b32 s28, s29, s28
	s_sub_i32 s29, s28, s58
	s_cmp_ge_u32 s28, s58
	s_cselect_b32 s28, s29, s28
	s_mov_b32 s29, exec_lo
	s_sub_i32 s30, s24, s28
	s_mov_b32 s28, 0
	s_mov_b32 s24, 0
	v_cmpx_gt_u32_e64 s30, v0
	s_cbranch_execz .LBB62_99
; %bb.91:                               ;   in Loop: Header=BB62_6 Depth=1
	v_mov_b32_e32 v1, v20
	v_mov_b32_e32 v4, v0
                                        ; implicit-def: $sgpr31
	s_inst_prefetch 0x1
	s_branch .LBB62_94
	.p2align	6
.LBB62_92:                              ;   in Loop: Header=BB62_94 Depth=2
	s_or_b32 exec_lo, exec_lo, s33
	s_waitcnt lgkmcnt(0)
	s_barrier
	buffer_gl0_inv
	ds_read_b32 v7, v8 offset:3072
	s_mov_b32 s33, -1
	s_waitcnt lgkmcnt(0)
	s_barrier
	buffer_gl0_inv
	v_cmp_ne_u32_sdwa s34, v7, v8 src0_sel:WORD_0 src1_sel:DWORD
	s_and_b32 vcc_lo, exec_lo, s34
	s_mov_b32 s34, -1
	s_cbranch_vccz .LBB62_97
.LBB62_93:                              ;   in Loop: Header=BB62_94 Depth=2
	s_and_b32 s33, exec_lo, s33
	s_or_b32 s24, s33, s24
	s_andn2_b32 s31, s31, exec_lo
	s_and_b32 s33, s34, exec_lo
	s_or_b32 s31, s31, s33
	s_andn2_b32 exec_lo, exec_lo, s24
	s_cbranch_execz .LBB62_98
.LBB62_94:                              ;   Parent Loop BB62_6 Depth=1
                                        ; =>  This Inner Loop Header: Depth=2
	s_mov_b32 s33, exec_lo
	v_cmpx_gt_u32_e64 s27, v4
	s_cbranch_execz .LBB62_92
; %bb.95:                               ;   in Loop: Header=BB62_94 Depth=2
	ds_read_u16 v7, v1
	s_waitcnt lgkmcnt(0)
	v_add_nc_u32_sdwa v13, sext(v7), v35 dst_sel:DWORD dst_unused:UNUSED_PAD src0_sel:WORD_0 src1_sel:DWORD
	v_and_b32_e32 v13, v13, v3
	v_cmp_eq_u32_e32 vcc_lo, v13, v2
	s_and_b32 exec_lo, exec_lo, vcc_lo
	s_cbranch_execz .LBB62_92
; %bb.96:                               ;   in Loop: Header=BB62_94 Depth=2
	v_perm_b32 v7, v7, 1, 0x5040100
	ds_write_b32 v8, v7 offset:3072
	s_branch .LBB62_92
.LBB62_97:                              ;   in Loop: Header=BB62_94 Depth=2
	v_add_nc_u32_e32 v4, s58, v4
	v_add_nc_u32_e32 v1, s81, v1
	s_mov_b32 s34, 0
	v_cmp_le_u32_e32 vcc_lo, s30, v4
	s_orn2_b32 s33, vcc_lo, exec_lo
	s_branch .LBB62_93
.LBB62_98:                              ;   in Loop: Header=BB62_6 Depth=1
	s_inst_prefetch 0x2
	s_or_b32 exec_lo, exec_lo, s24
	v_lshrrev_b32_e32 v7, 16, v7
	s_and_b32 s24, s31, exec_lo
.LBB62_99:                              ;   in Loop: Header=BB62_6 Depth=1
	s_or_b32 exec_lo, exec_lo, s29
.LBB62_100:                             ;   in Loop: Header=BB62_6 Depth=1
	s_and_b32 vcc_lo, exec_lo, s28
	s_cbranch_vccz .LBB62_111
; %bb.101:                              ;   in Loop: Header=BB62_6 Depth=1
                                        ; implicit-def: $vgpr7
	s_and_saveexec_b32 s25, s13
	s_cbranch_execz .LBB62_110
; %bb.102:                              ;   in Loop: Header=BB62_6 Depth=1
	v_mov_b32_e32 v7, v9
	v_mov_b32_e32 v1, v0
	s_mov_b32 s26, 0
                                        ; implicit-def: $sgpr27
	s_inst_prefetch 0x1
	s_branch .LBB62_105
	.p2align	6
.LBB62_103:                             ;   in Loop: Header=BB62_105 Depth=2
	s_or_b32 exec_lo, exec_lo, s28
	s_waitcnt lgkmcnt(0)
	s_barrier
	buffer_gl0_inv
	ds_read_b32 v4, v8 offset:3072
	s_mov_b32 s28, -1
	s_waitcnt lgkmcnt(0)
	s_barrier
	buffer_gl0_inv
	v_cmp_ne_u32_sdwa s29, v4, v8 src0_sel:WORD_0 src1_sel:DWORD
	s_and_b32 vcc_lo, exec_lo, s29
	s_mov_b32 s29, -1
	s_cbranch_vccz .LBB62_108
.LBB62_104:                             ;   in Loop: Header=BB62_105 Depth=2
	s_and_b32 s28, exec_lo, s28
	s_or_b32 s26, s28, s26
	s_andn2_b32 s27, s27, exec_lo
	s_and_b32 s28, s29, exec_lo
	s_or_b32 s27, s27, s28
	s_andn2_b32 exec_lo, exec_lo, s26
	s_cbranch_execz .LBB62_109
.LBB62_105:                             ;   Parent Loop BB62_6 Depth=1
                                        ; =>  This Inner Loop Header: Depth=2
	s_mov_b32 s28, exec_lo
	v_cmpx_gt_u32_e64 s36, v1
	s_cbranch_execz .LBB62_103
; %bb.106:                              ;   in Loop: Header=BB62_105 Depth=2
	v_lshlrev_b64 v[13:14], 1, v[7:8]
	v_add_co_u32 v13, vcc_lo, s43, v13
	v_add_co_ci_u32_e64 v14, null, s47, v14, vcc_lo
	global_load_ushort v4, v[13:14], off
	s_waitcnt vmcnt(0)
	v_add_nc_u32_sdwa v13, sext(v4), v35 dst_sel:DWORD dst_unused:UNUSED_PAD src0_sel:WORD_0 src1_sel:DWORD
	v_and_b32_e32 v13, v13, v3
	v_cmp_eq_u32_e32 vcc_lo, v13, v2
	s_and_b32 exec_lo, exec_lo, vcc_lo
	s_cbranch_execz .LBB62_103
; %bb.107:                              ;   in Loop: Header=BB62_105 Depth=2
	v_perm_b32 v4, v4, 1, 0x5040100
	ds_write_b32 v8, v4 offset:3072
	s_branch .LBB62_103
.LBB62_108:                             ;   in Loop: Header=BB62_105 Depth=2
	v_add_nc_u32_e32 v1, s58, v1
	v_add_nc_u32_e32 v7, s59, v7
	s_mov_b32 s29, 0
	v_cmp_le_u32_e32 vcc_lo, s78, v1
	s_orn2_b32 s28, vcc_lo, exec_lo
	s_branch .LBB62_104
.LBB62_109:                             ;   in Loop: Header=BB62_6 Depth=1
	s_inst_prefetch 0x2
	s_or_b32 exec_lo, exec_lo, s26
	v_lshrrev_b32_e32 v7, 16, v4
	s_andn2_b32 s24, s24, exec_lo
	s_and_b32 s26, s27, exec_lo
	s_or_b32 s24, s24, s26
.LBB62_110:                             ;   in Loop: Header=BB62_6 Depth=1
	s_or_b32 exec_lo, exec_lo, s25
	s_mov_b32 s25, 0
	s_mov_b32 s26, -1
.LBB62_111:                             ;   in Loop: Header=BB62_6 Depth=1
	s_orn2_b32 s29, s24, exec_lo
.LBB62_112:                             ;   in Loop: Header=BB62_6 Depth=1
	s_or_b32 exec_lo, exec_lo, s23
	s_mov_b32 s27, 0
	s_mov_b32 s24, 0
	;; [unrolled: 1-line block ×3, first 2 shown]
                                        ; implicit-def: $vgpr4
                                        ; implicit-def: $vgpr1
	s_and_saveexec_b32 s28, s29
	s_cbranch_execz .LBB62_242
; %bb.113:                              ;   in Loop: Header=BB62_6 Depth=1
	v_mov_b32_e32 v4, 1
	v_mov_b32_e32 v1, 1
	s_xor_b32 s23, s6, -1
	s_mov_b32 s30, 0
	s_and_saveexec_b32 s6, s23
	s_cbranch_execz .LBB62_122
; %bb.114:                              ;   in Loop: Header=BB62_6 Depth=1
	s_mov_b32 s23, exec_lo
	v_cmpx_ge_u32_e64 s17, v38
	s_xor_b32 s23, exec_lo, s23
	s_cbranch_execz .LBB62_119
; %bb.115:                              ;   in Loop: Header=BB62_6 Depth=1
	ds_read_b32 v1, v8 offset:4096
	v_and_b32_e32 v2, s19, v2
	v_or_b32_e32 v3, s18, v3
	s_waitcnt lgkmcnt(0)
	v_cmp_ne_u32_e32 vcc_lo, 0, v1
	s_cbranch_vccnz .LBB62_119
; %bb.116:                              ;   in Loop: Header=BB62_6 Depth=1
	s_and_saveexec_b32 s24, s3
; %bb.117:                              ;   in Loop: Header=BB62_6 Depth=1
	v_mov_b32_e32 v1, s17
	ds_write_b32 v8, v1 offset:4100
; %bb.118:                              ;   in Loop: Header=BB62_6 Depth=1
	s_or_b32 exec_lo, exec_lo, s24
	s_waitcnt lgkmcnt(0)
	s_barrier
	buffer_gl0_inv
.LBB62_119:                             ;   in Loop: Header=BB62_6 Depth=1
	s_or_saveexec_b32 s23, s23
	v_mov_b32_e32 v1, 8
	v_mov_b32_e32 v4, v38
	s_mov_b32 s24, 0
	s_xor_b32 exec_lo, exec_lo, s23
; %bb.120:                              ;   in Loop: Header=BB62_6 Depth=1
	v_subrev_nc_u32_e32 v4, s17, v38
	v_mov_b32_e32 v1, 0
	s_mov_b32 s24, exec_lo
; %bb.121:                              ;   in Loop: Header=BB62_6 Depth=1
	s_or_b32 exec_lo, exec_lo, s23
	s_and_b32 s30, s24, exec_lo
.LBB62_122:                             ;   in Loop: Header=BB62_6 Depth=1
	s_or_b32 exec_lo, exec_lo, s6
	s_mov_b32 s29, -1
                                        ; implicit-def: $sgpr23
                                        ; implicit-def: $sgpr24
	s_and_saveexec_b32 s6, s30
	s_xor_b32 s6, exec_lo, s6
	s_cbranch_execz .LBB62_239
; %bb.123:                              ;   in Loop: Header=BB62_6 Depth=1
	v_cmp_eq_u32_e32 vcc_lo, 1, v4
	s_cmp_eq_u32 s20, 1
	s_mov_b32 s31, -1
	s_cselect_b32 s23, -1, 0
                                        ; implicit-def: $sgpr24
	s_and_b32 s30, s23, vcc_lo
                                        ; implicit-def: $sgpr23
	s_and_saveexec_b32 s29, s30
	s_cbranch_execz .LBB62_149
; %bb.124:                              ;   in Loop: Header=BB62_6 Depth=1
	ds_read_b32 v7, v8 offset:4096
	s_waitcnt lgkmcnt(0)
	s_barrier
	buffer_gl0_inv
	v_readfirstlane_b32 s33, v7
	s_and_saveexec_b32 s23, s15
; %bb.125:                              ;   in Loop: Header=BB62_6 Depth=1
	ds_write_b16 v21, v8
; %bb.126:                              ;   in Loop: Header=BB62_6 Depth=1
	s_or_b32 exec_lo, exec_lo, s23
	s_lshl_b32 s23, 1, s87
	v_or_b32_e32 v3, s18, v3
	v_and_or_b32 v2, v2, s19, s23
	s_mov_b32 s23, -1
	s_mov_b32 s24, 0
	s_cmp_eq_u32 s33, 0
	s_mov_b32 s31, 0
	s_mov_b32 s34, -1
	s_waitcnt lgkmcnt(0)
	s_barrier
	buffer_gl0_inv
                                        ; implicit-def: $vgpr7
	s_cbranch_scc1 .LBB62_137
; %bb.127:                              ;   in Loop: Header=BB62_6 Depth=1
	s_add_i32 s31, s33, s71
	s_mov_b32 s94, exec_lo
	s_mul_hi_u32 s34, s31, s77
                                        ; implicit-def: $vgpr7
	s_mul_i32 s34, s34, s58
	s_sub_i32 s34, s31, s34
	s_sub_i32 s44, s34, s58
	s_cmp_ge_u32 s34, s58
	s_cselect_b32 s34, s44, s34
	s_sub_i32 s44, s34, s58
	s_cmp_ge_u32 s34, s58
	s_cselect_b32 s34, s44, s34
	s_sub_i32 s44, s31, s34
	s_mov_b32 s34, 0
	s_mov_b32 s31, 0
	v_cmpx_gt_u32_e64 s44, v0
	s_cbranch_execz .LBB62_136
; %bb.128:                              ;   in Loop: Header=BB62_6 Depth=1
	v_mov_b32_e32 v7, v20
	v_mov_b32_e32 v13, v0
                                        ; implicit-def: $sgpr45
	s_inst_prefetch 0x1
	s_branch .LBB62_131
	.p2align	6
.LBB62_129:                             ;   in Loop: Header=BB62_131 Depth=2
	s_or_b32 exec_lo, exec_lo, s46
	s_waitcnt lgkmcnt(0)
	s_barrier
	buffer_gl0_inv
	ds_read_b32 v14, v8 offset:3072
	s_mov_b32 s46, -1
	s_waitcnt lgkmcnt(0)
	s_barrier
	buffer_gl0_inv
	v_cmp_ne_u32_sdwa s50, v14, v8 src0_sel:WORD_0 src1_sel:DWORD
	s_and_b32 vcc_lo, exec_lo, s50
	s_mov_b32 s50, -1
	s_cbranch_vccz .LBB62_134
.LBB62_130:                             ;   in Loop: Header=BB62_131 Depth=2
	s_and_b32 s46, exec_lo, s46
	s_or_b32 s31, s46, s31
	s_andn2_b32 s45, s45, exec_lo
	s_and_b32 s46, s50, exec_lo
	s_or_b32 s45, s45, s46
	s_andn2_b32 exec_lo, exec_lo, s31
	s_cbranch_execz .LBB62_135
.LBB62_131:                             ;   Parent Loop BB62_6 Depth=1
                                        ; =>  This Inner Loop Header: Depth=2
	s_mov_b32 s46, exec_lo
	v_cmpx_gt_u32_e64 s33, v13
	s_cbranch_execz .LBB62_129
; %bb.132:                              ;   in Loop: Header=BB62_131 Depth=2
	ds_read_u16 v14, v7
	s_waitcnt lgkmcnt(0)
	v_add_nc_u32_sdwa v15, sext(v14), v35 dst_sel:DWORD dst_unused:UNUSED_PAD src0_sel:WORD_0 src1_sel:DWORD
	v_and_b32_e32 v15, v15, v3
	v_cmp_eq_u32_e32 vcc_lo, v15, v2
	s_and_b32 exec_lo, exec_lo, vcc_lo
	s_cbranch_execz .LBB62_129
; %bb.133:                              ;   in Loop: Header=BB62_131 Depth=2
	v_perm_b32 v14, v14, 1, 0x5040100
	ds_write_b32 v8, v14 offset:3072
	s_branch .LBB62_129
.LBB62_134:                             ;   in Loop: Header=BB62_131 Depth=2
	v_add_nc_u32_e32 v13, s58, v13
	v_add_nc_u32_e32 v7, s81, v7
	s_mov_b32 s50, 0
	v_cmp_le_u32_e32 vcc_lo, s44, v13
	s_orn2_b32 s46, vcc_lo, exec_lo
	s_branch .LBB62_130
.LBB62_135:                             ;   in Loop: Header=BB62_6 Depth=1
	s_inst_prefetch 0x2
	s_or_b32 exec_lo, exec_lo, s31
	v_lshrrev_b32_e32 v7, 16, v14
	s_and_b32 s31, s45, exec_lo
.LBB62_136:                             ;   in Loop: Header=BB62_6 Depth=1
	s_or_b32 exec_lo, exec_lo, s94
.LBB62_137:                             ;   in Loop: Header=BB62_6 Depth=1
	s_and_b32 vcc_lo, exec_lo, s34
	s_cbranch_vccz .LBB62_148
; %bb.138:                              ;   in Loop: Header=BB62_6 Depth=1
                                        ; implicit-def: $vgpr7
	s_and_saveexec_b32 s23, s13
	s_cbranch_execz .LBB62_147
; %bb.139:                              ;   in Loop: Header=BB62_6 Depth=1
	v_mov_b32_e32 v7, v9
	v_mov_b32_e32 v13, v0
	s_mov_b32 s24, 0
                                        ; implicit-def: $sgpr33
	s_inst_prefetch 0x1
	s_branch .LBB62_142
	.p2align	6
.LBB62_140:                             ;   in Loop: Header=BB62_142 Depth=2
	s_or_b32 exec_lo, exec_lo, s34
	s_waitcnt lgkmcnt(0)
	s_barrier
	buffer_gl0_inv
	ds_read_b32 v14, v8 offset:3072
	s_mov_b32 s34, -1
	s_waitcnt lgkmcnt(0)
	s_barrier
	buffer_gl0_inv
	v_cmp_eq_u32_sdwa s44, v14, v8 src0_sel:WORD_0 src1_sel:DWORD
	s_and_b32 vcc_lo, exec_lo, s44
	s_mov_b32 s44, -1
	s_cbranch_vccnz .LBB62_145
.LBB62_141:                             ;   in Loop: Header=BB62_142 Depth=2
	s_and_b32 s34, exec_lo, s34
	s_or_b32 s24, s34, s24
	s_andn2_b32 s33, s33, exec_lo
	s_and_b32 s34, s44, exec_lo
	s_or_b32 s33, s33, s34
	s_andn2_b32 exec_lo, exec_lo, s24
	s_cbranch_execz .LBB62_146
.LBB62_142:                             ;   Parent Loop BB62_6 Depth=1
                                        ; =>  This Inner Loop Header: Depth=2
	s_mov_b32 s34, exec_lo
	v_cmpx_gt_u32_e64 s36, v13
	s_cbranch_execz .LBB62_140
; %bb.143:                              ;   in Loop: Header=BB62_142 Depth=2
	v_lshlrev_b64 v[14:15], 1, v[7:8]
	v_add_co_u32 v14, vcc_lo, s43, v14
	v_add_co_ci_u32_e64 v15, null, s47, v15, vcc_lo
	global_load_ushort v14, v[14:15], off
	s_waitcnt vmcnt(0)
	v_add_nc_u32_sdwa v15, sext(v14), v35 dst_sel:DWORD dst_unused:UNUSED_PAD src0_sel:WORD_0 src1_sel:DWORD
	v_and_b32_e32 v15, v15, v3
	v_cmp_eq_u32_e32 vcc_lo, v15, v2
	s_and_b32 exec_lo, exec_lo, vcc_lo
	s_cbranch_execz .LBB62_140
; %bb.144:                              ;   in Loop: Header=BB62_142 Depth=2
	v_perm_b32 v14, v14, 1, 0x5040100
	ds_write_b32 v8, v14 offset:3072
	s_branch .LBB62_140
.LBB62_145:                             ;   in Loop: Header=BB62_142 Depth=2
	v_add_nc_u32_e32 v13, s58, v13
	v_add_nc_u32_e32 v7, s59, v7
	s_mov_b32 s44, 0
	v_cmp_le_u32_e32 vcc_lo, s78, v13
	s_orn2_b32 s34, vcc_lo, exec_lo
	s_branch .LBB62_141
.LBB62_146:                             ;   in Loop: Header=BB62_6 Depth=1
	s_inst_prefetch 0x2
	s_or_b32 exec_lo, exec_lo, s24
	v_lshrrev_b32_e32 v7, 16, v14
	s_andn2_b32 s24, s31, exec_lo
	s_and_b32 s31, s33, exec_lo
	s_or_b32 s31, s24, s31
.LBB62_147:                             ;   in Loop: Header=BB62_6 Depth=1
	s_or_b32 exec_lo, exec_lo, s23
	s_mov_b32 s23, 0
	s_mov_b32 s24, -1
.LBB62_148:                             ;   in Loop: Header=BB62_6 Depth=1
	s_orn2_b32 s31, s31, exec_lo
.LBB62_149:                             ;   in Loop: Header=BB62_6 Depth=1
	s_or_b32 exec_lo, exec_lo, s29
	s_mov_b32 s33, 0
	s_and_saveexec_b32 s29, s31
	s_cbranch_execz .LBB62_238
; %bb.150:                              ;   in Loop: Header=BB62_6 Depth=1
	v_mov_b32_e32 v13, 1
	v_mov_b32_e32 v1, 1
	s_xor_b32 s31, s30, -1
	s_mov_b32 s44, 0
	s_and_saveexec_b32 s30, s31
	s_cbranch_execz .LBB62_159
; %bb.151:                              ;   in Loop: Header=BB62_6 Depth=1
	s_mov_b32 s31, exec_lo
	v_cmpx_ge_u32_e64 s20, v4
	s_xor_b32 s31, exec_lo, s31
	s_cbranch_execz .LBB62_156
; %bb.152:                              ;   in Loop: Header=BB62_6 Depth=1
	ds_read_b32 v1, v8 offset:4096
	s_lshl_b32 s33, 1, s87
	v_or_b32_e32 v3, s18, v3
	v_and_or_b32 v2, v2, s19, s33
	s_waitcnt lgkmcnt(0)
	v_cmp_ne_u32_e32 vcc_lo, 0, v1
	s_cbranch_vccnz .LBB62_156
; %bb.153:                              ;   in Loop: Header=BB62_6 Depth=1
	s_and_saveexec_b32 s33, s3
; %bb.154:                              ;   in Loop: Header=BB62_6 Depth=1
	v_mov_b32_e32 v1, s20
	ds_write_b32 v8, v1 offset:4100
; %bb.155:                              ;   in Loop: Header=BB62_6 Depth=1
	s_or_b32 exec_lo, exec_lo, s33
	s_waitcnt lgkmcnt(0)
	s_barrier
	buffer_gl0_inv
.LBB62_156:                             ;   in Loop: Header=BB62_6 Depth=1
	s_or_saveexec_b32 s31, s31
	v_mov_b32_e32 v1, 8
	s_mov_b32 s33, 0
	s_xor_b32 exec_lo, exec_lo, s31
; %bb.157:                              ;   in Loop: Header=BB62_6 Depth=1
	v_subrev_nc_u32_e32 v4, s20, v4
	v_mov_b32_e32 v1, 0
	s_mov_b32 s33, exec_lo
; %bb.158:                              ;   in Loop: Header=BB62_6 Depth=1
	s_or_b32 exec_lo, exec_lo, s31
	v_mov_b32_e32 v13, v4
	s_and_b32 s44, s33, exec_lo
.LBB62_159:                             ;   in Loop: Header=BB62_6 Depth=1
	s_or_b32 exec_lo, exec_lo, s30
	s_mov_b32 s34, -1
                                        ; implicit-def: $sgpr31
                                        ; implicit-def: $sgpr33
	s_and_saveexec_b32 s30, s44
	s_cbranch_execz .LBB62_237
; %bb.160:                              ;   in Loop: Header=BB62_6 Depth=1
	v_cmp_eq_u32_e32 vcc_lo, 1, v13
	s_cmp_eq_u32 s21, 1
	s_mov_b32 s44, -1
	s_cselect_b32 s31, -1, 0
                                        ; implicit-def: $sgpr33
	s_and_b32 s94, s31, vcc_lo
                                        ; implicit-def: $sgpr31
	s_and_saveexec_b32 s34, s94
	s_cbranch_execz .LBB62_186
; %bb.161:                              ;   in Loop: Header=BB62_6 Depth=1
	ds_read_b32 v4, v8 offset:4096
	s_waitcnt lgkmcnt(0)
	s_barrier
	buffer_gl0_inv
	v_readfirstlane_b32 s96, v4
	s_and_saveexec_b32 s31, s15
; %bb.162:                              ;   in Loop: Header=BB62_6 Depth=1
	ds_write_b16 v21, v8
; %bb.163:                              ;   in Loop: Header=BB62_6 Depth=1
	s_or_b32 exec_lo, exec_lo, s31
	s_lshl_b32 s31, 2, s87
	v_or_b32_e32 v3, s18, v3
	v_and_or_b32 v2, v2, s19, s31
	s_mov_b32 s31, -1
	s_mov_b32 s33, 0
	s_cmp_eq_u32 s96, 0
	s_mov_b32 s95, 0
	s_mov_b32 s97, -1
	s_waitcnt lgkmcnt(0)
	s_barrier
	buffer_gl0_inv
                                        ; implicit-def: $vgpr7
	s_cbranch_scc1 .LBB62_174
; %bb.164:                              ;   in Loop: Header=BB62_6 Depth=1
	s_add_i32 s44, s96, s71
	s_mov_b32 s97, 0
	s_mul_hi_u32 s45, s44, s77
	s_mov_b32 s98, exec_lo
	s_mul_i32 s45, s45, s58
                                        ; implicit-def: $vgpr7
	s_sub_i32 s45, s44, s45
	s_sub_i32 s46, s45, s58
	s_cmp_ge_u32 s45, s58
	s_cselect_b32 s45, s46, s45
	s_sub_i32 s46, s45, s58
	s_cmp_ge_u32 s45, s58
	s_cselect_b32 s45, s46, s45
	s_sub_i32 s44, s44, s45
	v_cmpx_gt_u32_e64 s44, v0
	s_cbranch_execz .LBB62_173
; %bb.165:                              ;   in Loop: Header=BB62_6 Depth=1
	v_mov_b32_e32 v4, v20
	v_mov_b32_e32 v7, v0
	s_mov_b32 s45, 0
                                        ; implicit-def: $sgpr46
	s_inst_prefetch 0x1
	s_branch .LBB62_168
	.p2align	6
.LBB62_166:                             ;   in Loop: Header=BB62_168 Depth=2
	s_or_b32 exec_lo, exec_lo, s95
	s_waitcnt lgkmcnt(0)
	s_barrier
	buffer_gl0_inv
	ds_read_b32 v14, v8 offset:3072
	s_mov_b32 s50, -1
	s_waitcnt lgkmcnt(0)
	s_barrier
	buffer_gl0_inv
	v_cmp_ne_u32_sdwa s51, v14, v8 src0_sel:WORD_0 src1_sel:DWORD
	s_and_b32 vcc_lo, exec_lo, s51
	s_mov_b32 s51, -1
	s_cbranch_vccz .LBB62_171
.LBB62_167:                             ;   in Loop: Header=BB62_168 Depth=2
	s_and_b32 s50, exec_lo, s50
	s_or_b32 s45, s50, s45
	s_andn2_b32 s46, s46, exec_lo
	s_and_b32 s50, s51, exec_lo
	s_or_b32 s46, s46, s50
	s_andn2_b32 exec_lo, exec_lo, s45
	s_cbranch_execz .LBB62_172
.LBB62_168:                             ;   Parent Loop BB62_6 Depth=1
                                        ; =>  This Inner Loop Header: Depth=2
	s_mov_b32 s95, exec_lo
	v_cmpx_gt_u32_e64 s96, v7
	s_cbranch_execz .LBB62_166
; %bb.169:                              ;   in Loop: Header=BB62_168 Depth=2
	ds_read_u16 v14, v4
	s_waitcnt lgkmcnt(0)
	v_add_nc_u32_sdwa v15, sext(v14), v35 dst_sel:DWORD dst_unused:UNUSED_PAD src0_sel:WORD_0 src1_sel:DWORD
	v_and_b32_e32 v15, v15, v3
	v_cmp_eq_u32_e32 vcc_lo, v15, v2
	s_and_b32 exec_lo, exec_lo, vcc_lo
	s_cbranch_execz .LBB62_166
; %bb.170:                              ;   in Loop: Header=BB62_168 Depth=2
	v_perm_b32 v14, v14, 1, 0x5040100
	ds_write_b32 v8, v14 offset:3072
	s_branch .LBB62_166
.LBB62_171:                             ;   in Loop: Header=BB62_168 Depth=2
	v_add_nc_u32_e32 v7, s58, v7
	v_add_nc_u32_e32 v4, s81, v4
	s_mov_b32 s51, 0
	v_cmp_le_u32_e32 vcc_lo, s44, v7
	s_orn2_b32 s50, vcc_lo, exec_lo
	s_branch .LBB62_167
.LBB62_172:                             ;   in Loop: Header=BB62_6 Depth=1
	s_inst_prefetch 0x2
	s_or_b32 exec_lo, exec_lo, s45
	v_lshrrev_b32_e32 v7, 16, v14
	s_and_b32 s95, s46, exec_lo
.LBB62_173:                             ;   in Loop: Header=BB62_6 Depth=1
	s_or_b32 exec_lo, exec_lo, s98
.LBB62_174:                             ;   in Loop: Header=BB62_6 Depth=1
	s_and_b32 vcc_lo, exec_lo, s97
	s_cbranch_vccz .LBB62_185
; %bb.175:                              ;   in Loop: Header=BB62_6 Depth=1
                                        ; implicit-def: $vgpr7
	s_and_saveexec_b32 s31, s13
	s_cbranch_execz .LBB62_184
; %bb.176:                              ;   in Loop: Header=BB62_6 Depth=1
	v_mov_b32_e32 v7, v9
	v_mov_b32_e32 v4, v0
	s_mov_b32 s33, 0
                                        ; implicit-def: $sgpr44
	s_inst_prefetch 0x1
	s_branch .LBB62_179
	.p2align	6
.LBB62_177:                             ;   in Loop: Header=BB62_179 Depth=2
	s_or_b32 exec_lo, exec_lo, s45
	s_waitcnt lgkmcnt(0)
	s_barrier
	buffer_gl0_inv
	ds_read_b32 v14, v8 offset:3072
	s_mov_b32 s45, -1
	s_waitcnt lgkmcnt(0)
	s_barrier
	buffer_gl0_inv
	v_cmp_eq_u32_sdwa s46, v14, v8 src0_sel:WORD_0 src1_sel:DWORD
	s_and_b32 vcc_lo, exec_lo, s46
	s_mov_b32 s46, -1
	s_cbranch_vccnz .LBB62_182
.LBB62_178:                             ;   in Loop: Header=BB62_179 Depth=2
	s_and_b32 s45, exec_lo, s45
	s_or_b32 s33, s45, s33
	s_andn2_b32 s44, s44, exec_lo
	s_and_b32 s45, s46, exec_lo
	s_or_b32 s44, s44, s45
	s_andn2_b32 exec_lo, exec_lo, s33
	s_cbranch_execz .LBB62_183
.LBB62_179:                             ;   Parent Loop BB62_6 Depth=1
                                        ; =>  This Inner Loop Header: Depth=2
	s_mov_b32 s45, exec_lo
	v_cmpx_gt_u32_e64 s36, v4
	s_cbranch_execz .LBB62_177
; %bb.180:                              ;   in Loop: Header=BB62_179 Depth=2
	v_lshlrev_b64 v[14:15], 1, v[7:8]
	v_add_co_u32 v14, vcc_lo, s43, v14
	v_add_co_ci_u32_e64 v15, null, s47, v15, vcc_lo
	global_load_ushort v14, v[14:15], off
	s_waitcnt vmcnt(0)
	v_add_nc_u32_sdwa v15, sext(v14), v35 dst_sel:DWORD dst_unused:UNUSED_PAD src0_sel:WORD_0 src1_sel:DWORD
	v_and_b32_e32 v15, v15, v3
	v_cmp_eq_u32_e32 vcc_lo, v15, v2
	s_and_b32 exec_lo, exec_lo, vcc_lo
	s_cbranch_execz .LBB62_177
; %bb.181:                              ;   in Loop: Header=BB62_179 Depth=2
	v_perm_b32 v14, v14, 1, 0x5040100
	ds_write_b32 v8, v14 offset:3072
	s_branch .LBB62_177
.LBB62_182:                             ;   in Loop: Header=BB62_179 Depth=2
	v_add_nc_u32_e32 v4, s58, v4
	v_add_nc_u32_e32 v7, s59, v7
	s_mov_b32 s46, 0
	v_cmp_le_u32_e32 vcc_lo, s78, v4
	s_orn2_b32 s45, vcc_lo, exec_lo
	s_branch .LBB62_178
.LBB62_183:                             ;   in Loop: Header=BB62_6 Depth=1
	s_inst_prefetch 0x2
	s_or_b32 exec_lo, exec_lo, s33
	v_lshrrev_b32_e32 v7, 16, v14
	s_andn2_b32 s33, s95, exec_lo
	s_and_b32 s44, s44, exec_lo
	s_or_b32 s95, s33, s44
.LBB62_184:                             ;   in Loop: Header=BB62_6 Depth=1
	s_or_b32 exec_lo, exec_lo, s31
	s_mov_b32 s31, 0
	s_mov_b32 s33, -1
.LBB62_185:                             ;   in Loop: Header=BB62_6 Depth=1
	s_orn2_b32 s44, s95, exec_lo
.LBB62_186:                             ;   in Loop: Header=BB62_6 Depth=1
	s_or_b32 exec_lo, exec_lo, s34
	s_mov_b32 s45, 0
	s_and_saveexec_b32 s34, s44
	s_cbranch_execz .LBB62_236
; %bb.187:                              ;   in Loop: Header=BB62_6 Depth=1
	v_mov_b32_e32 v4, 1
	v_mov_b32_e32 v1, 1
	s_xor_b32 s44, s94, -1
	s_and_saveexec_b32 s94, s44
	s_cbranch_execz .LBB62_196
; %bb.188:                              ;   in Loop: Header=BB62_6 Depth=1
	s_mov_b32 s44, exec_lo
	v_cmpx_ge_u32_e64 s21, v13
	s_xor_b32 s44, exec_lo, s44
	s_cbranch_execz .LBB62_193
; %bb.189:                              ;   in Loop: Header=BB62_6 Depth=1
	ds_read_b32 v1, v8 offset:4096
	s_lshl_b32 s45, 2, s87
	v_or_b32_e32 v3, s18, v3
	v_and_or_b32 v2, v2, s19, s45
	s_waitcnt lgkmcnt(0)
	v_cmp_ne_u32_e32 vcc_lo, 0, v1
	s_cbranch_vccnz .LBB62_193
; %bb.190:                              ;   in Loop: Header=BB62_6 Depth=1
	s_and_saveexec_b32 s45, s3
; %bb.191:                              ;   in Loop: Header=BB62_6 Depth=1
	v_mov_b32_e32 v1, s21
	ds_write_b32 v8, v1 offset:4100
; %bb.192:                              ;   in Loop: Header=BB62_6 Depth=1
	s_or_b32 exec_lo, exec_lo, s45
	s_waitcnt lgkmcnt(0)
	s_barrier
	buffer_gl0_inv
.LBB62_193:                             ;   in Loop: Header=BB62_6 Depth=1
	s_or_saveexec_b32 s44, s44
	v_mov_b32_e32 v1, 8
	s_mov_b32 s45, 0
	s_xor_b32 exec_lo, exec_lo, s44
; %bb.194:                              ;   in Loop: Header=BB62_6 Depth=1
	v_subrev_nc_u32_e32 v13, s21, v13
	v_mov_b32_e32 v1, 0
	s_mov_b32 s45, exec_lo
; %bb.195:                              ;   in Loop: Header=BB62_6 Depth=1
	s_or_b32 exec_lo, exec_lo, s44
	v_mov_b32_e32 v4, v13
	s_and_b32 s45, s45, exec_lo
.LBB62_196:                             ;   in Loop: Header=BB62_6 Depth=1
	s_or_b32 exec_lo, exec_lo, s94
	s_mov_b32 s44, -1
                                        ; implicit-def: $sgpr97
                                        ; implicit-def: $sgpr96
	s_and_saveexec_b32 s94, s45
	s_cbranch_execz .LBB62_235
; %bb.197:                              ;   in Loop: Header=BB62_6 Depth=1
	v_cmp_eq_u32_e32 vcc_lo, 1, v4
	s_cmp_eq_u32 s22, 1
                                        ; implicit-def: $sgpr97
                                        ; implicit-def: $sgpr96
	s_cselect_b32 s44, -1, 0
	s_and_b32 s95, s44, vcc_lo
	s_mov_b32 s44, -1
	s_and_saveexec_b32 s98, s95
	s_cbranch_execz .LBB62_223
; %bb.198:                              ;   in Loop: Header=BB62_6 Depth=1
	ds_read_b32 v7, v8 offset:4096
	s_waitcnt lgkmcnt(0)
	s_barrier
	buffer_gl0_inv
	v_readfirstlane_b32 s104, v7
	s_and_saveexec_b32 s44, s15
; %bb.199:                              ;   in Loop: Header=BB62_6 Depth=1
	ds_write_b16 v21, v8
; %bb.200:                              ;   in Loop: Header=BB62_6 Depth=1
	s_or_b32 exec_lo, exec_lo, s44
	v_or_b32_e32 v2, s18, v2
	v_or_b32_e32 v3, s18, v3
	s_mov_b32 s96, -1
	s_mov_b32 s97, 0
	s_cmp_eq_u32 s104, 0
	s_mov_b32 s99, 0
	s_mov_b32 vcc_hi, -1
	s_waitcnt lgkmcnt(0)
	s_barrier
	buffer_gl0_inv
                                        ; implicit-def: $vgpr7
	s_cbranch_scc1 .LBB62_211
; %bb.201:                              ;   in Loop: Header=BB62_6 Depth=1
	s_add_i32 s44, s104, s71
	s_mov_b32 vcc_hi, 0
	s_mul_hi_u32 s45, s44, s77
                                        ; implicit-def: $vgpr7
	s_mul_i32 s45, s45, s58
	s_sub_i32 s45, s44, s45
	s_sub_i32 s46, s45, s58
	s_cmp_ge_u32 s45, s58
	s_cselect_b32 s45, s46, s45
	s_sub_i32 s46, s45, s58
	s_cmp_ge_u32 s45, s58
	s_cselect_b32 s45, s46, s45
	s_sub_i32 s45, s44, s45
	s_mov_b32 s44, exec_lo
	v_cmpx_gt_u32_e64 s45, v0
	s_cbranch_execz .LBB62_210
; %bb.202:                              ;   in Loop: Header=BB62_6 Depth=1
	v_mov_b32_e32 v7, v20
	v_mov_b32_e32 v13, v0
	s_mov_b32 s46, 0
                                        ; implicit-def: $sgpr99
	s_inst_prefetch 0x1
	s_branch .LBB62_205
	.p2align	6
.LBB62_203:                             ;   in Loop: Header=BB62_205 Depth=2
	s_or_b32 exec_lo, exec_lo, s50
	s_waitcnt lgkmcnt(0)
	s_barrier
	buffer_gl0_inv
	ds_read_b32 v14, v8 offset:3072
	s_mov_b32 s50, -1
	s_waitcnt lgkmcnt(0)
	s_barrier
	buffer_gl0_inv
	v_cmp_ne_u32_sdwa s51, v14, v8 src0_sel:WORD_0 src1_sel:DWORD
	s_and_b32 vcc_lo, exec_lo, s51
	s_mov_b32 s51, -1
	s_cbranch_vccz .LBB62_208
.LBB62_204:                             ;   in Loop: Header=BB62_205 Depth=2
	s_and_b32 s50, exec_lo, s50
	s_or_b32 s46, s50, s46
	s_andn2_b32 s50, s99, exec_lo
	s_and_b32 s51, s51, exec_lo
	s_or_b32 s99, s50, s51
	s_andn2_b32 exec_lo, exec_lo, s46
	s_cbranch_execz .LBB62_209
.LBB62_205:                             ;   Parent Loop BB62_6 Depth=1
                                        ; =>  This Inner Loop Header: Depth=2
	s_mov_b32 s50, exec_lo
	v_cmpx_gt_u32_e64 s104, v13
	s_cbranch_execz .LBB62_203
; %bb.206:                              ;   in Loop: Header=BB62_205 Depth=2
	ds_read_u16 v14, v7
	s_waitcnt lgkmcnt(0)
	v_add_nc_u32_sdwa v15, sext(v14), v35 dst_sel:DWORD dst_unused:UNUSED_PAD src0_sel:WORD_0 src1_sel:DWORD
	v_and_b32_e32 v15, v15, v3
	v_cmp_eq_u32_e32 vcc_lo, v15, v2
	s_and_b32 exec_lo, exec_lo, vcc_lo
	s_cbranch_execz .LBB62_203
; %bb.207:                              ;   in Loop: Header=BB62_205 Depth=2
	v_perm_b32 v14, v14, 1, 0x5040100
	ds_write_b32 v8, v14 offset:3072
	s_branch .LBB62_203
.LBB62_208:                             ;   in Loop: Header=BB62_205 Depth=2
	v_add_nc_u32_e32 v13, s58, v13
	v_add_nc_u32_e32 v7, s81, v7
	s_mov_b32 s51, 0
	v_cmp_le_u32_e32 vcc_lo, s45, v13
	s_orn2_b32 s50, vcc_lo, exec_lo
	s_branch .LBB62_204
.LBB62_209:                             ;   in Loop: Header=BB62_6 Depth=1
	s_inst_prefetch 0x2
	s_or_b32 exec_lo, exec_lo, s46
	v_lshrrev_b32_e32 v7, 16, v14
	s_and_b32 s99, s99, exec_lo
.LBB62_210:                             ;   in Loop: Header=BB62_6 Depth=1
	s_or_b32 exec_lo, exec_lo, s44
.LBB62_211:                             ;   in Loop: Header=BB62_6 Depth=1
	s_and_b32 vcc_lo, exec_lo, vcc_hi
	s_cbranch_vccz .LBB62_222
; %bb.212:                              ;   in Loop: Header=BB62_6 Depth=1
                                        ; implicit-def: $vgpr7
	s_and_saveexec_b32 s96, s13
	s_cbranch_execz .LBB62_221
; %bb.213:                              ;   in Loop: Header=BB62_6 Depth=1
	v_mov_b32_e32 v7, v9
	v_mov_b32_e32 v13, v0
	s_mov_b32 s44, 0
                                        ; implicit-def: $sgpr45
	s_inst_prefetch 0x1
	s_branch .LBB62_216
	.p2align	6
.LBB62_214:                             ;   in Loop: Header=BB62_216 Depth=2
	s_or_b32 exec_lo, exec_lo, s46
	s_waitcnt lgkmcnt(0)
	s_barrier
	buffer_gl0_inv
	ds_read_b32 v14, v8 offset:3072
	s_mov_b32 s46, -1
	s_waitcnt lgkmcnt(0)
	s_barrier
	buffer_gl0_inv
	v_cmp_eq_u32_sdwa s50, v14, v8 src0_sel:WORD_0 src1_sel:DWORD
	s_and_b32 vcc_lo, exec_lo, s50
	s_mov_b32 s50, -1
	s_cbranch_vccnz .LBB62_219
.LBB62_215:                             ;   in Loop: Header=BB62_216 Depth=2
	s_and_b32 s46, exec_lo, s46
	s_or_b32 s44, s46, s44
	s_andn2_b32 s45, s45, exec_lo
	s_and_b32 s46, s50, exec_lo
	s_or_b32 s45, s45, s46
	s_andn2_b32 exec_lo, exec_lo, s44
	s_cbranch_execz .LBB62_220
.LBB62_216:                             ;   Parent Loop BB62_6 Depth=1
                                        ; =>  This Inner Loop Header: Depth=2
	s_mov_b32 s46, exec_lo
	v_cmpx_gt_u32_e64 s36, v13
	s_cbranch_execz .LBB62_214
; %bb.217:                              ;   in Loop: Header=BB62_216 Depth=2
	v_lshlrev_b64 v[14:15], 1, v[7:8]
	v_add_co_u32 v14, vcc_lo, s43, v14
	v_add_co_ci_u32_e64 v15, null, s47, v15, vcc_lo
	global_load_ushort v14, v[14:15], off
	s_waitcnt vmcnt(0)
	v_add_nc_u32_sdwa v15, sext(v14), v35 dst_sel:DWORD dst_unused:UNUSED_PAD src0_sel:WORD_0 src1_sel:DWORD
	v_and_b32_e32 v15, v15, v3
	v_cmp_eq_u32_e32 vcc_lo, v15, v2
	s_and_b32 exec_lo, exec_lo, vcc_lo
	s_cbranch_execz .LBB62_214
; %bb.218:                              ;   in Loop: Header=BB62_216 Depth=2
	v_perm_b32 v14, v14, 1, 0x5040100
	ds_write_b32 v8, v14 offset:3072
	s_branch .LBB62_214
.LBB62_219:                             ;   in Loop: Header=BB62_216 Depth=2
	v_add_nc_u32_e32 v13, s58, v13
	v_add_nc_u32_e32 v7, s59, v7
	s_mov_b32 s50, 0
	v_cmp_le_u32_e32 vcc_lo, s78, v13
	s_orn2_b32 s46, vcc_lo, exec_lo
	s_branch .LBB62_215
.LBB62_220:                             ;   in Loop: Header=BB62_6 Depth=1
	s_inst_prefetch 0x2
	s_or_b32 exec_lo, exec_lo, s44
	v_lshrrev_b32_e32 v7, 16, v14
	s_andn2_b32 s44, s99, exec_lo
	s_and_b32 s45, s45, exec_lo
	s_or_b32 s99, s44, s45
.LBB62_221:                             ;   in Loop: Header=BB62_6 Depth=1
	s_or_b32 exec_lo, exec_lo, s96
	s_mov_b32 s96, 0
	s_mov_b32 s97, -1
.LBB62_222:                             ;   in Loop: Header=BB62_6 Depth=1
	s_orn2_b32 s44, s99, exec_lo
.LBB62_223:                             ;   in Loop: Header=BB62_6 Depth=1
	s_or_b32 exec_lo, exec_lo, s98
	s_mov_b32 s45, 0
	s_and_saveexec_b32 s98, s44
	s_cbranch_execz .LBB62_234
; %bb.224:                              ;   in Loop: Header=BB62_6 Depth=1
	v_mov_b32_e32 v1, 1
	v_mov_b32_e32 v13, 1
	s_xor_b32 s45, s95, -1
	s_and_saveexec_b32 s44, s45
	s_cbranch_execz .LBB62_233
; %bb.225:                              ;   in Loop: Header=BB62_6 Depth=1
	s_mov_b32 s45, exec_lo
	v_cmpx_ge_u32_e64 s22, v4
	s_xor_b32 s45, exec_lo, s45
	s_cbranch_execz .LBB62_230
; %bb.226:                              ;   in Loop: Header=BB62_6 Depth=1
	ds_read_b32 v1, v8 offset:4096
	v_or_b32_e32 v2, s18, v2
	v_or_b32_e32 v3, s18, v3
	s_waitcnt lgkmcnt(0)
	v_cmp_ne_u32_e32 vcc_lo, 0, v1
	s_cbranch_vccnz .LBB62_230
; %bb.227:                              ;   in Loop: Header=BB62_6 Depth=1
	s_and_saveexec_b32 s46, s3
; %bb.228:                              ;   in Loop: Header=BB62_6 Depth=1
	v_mov_b32_e32 v1, s22
	ds_write_b32 v8, v1 offset:4100
; %bb.229:                              ;   in Loop: Header=BB62_6 Depth=1
	s_or_b32 exec_lo, exec_lo, s46
	s_waitcnt lgkmcnt(0)
	s_barrier
	buffer_gl0_inv
.LBB62_230:                             ;   in Loop: Header=BB62_6 Depth=1
	s_andn2_saveexec_b32 s45, s45
; %bb.231:                              ;   in Loop: Header=BB62_6 Depth=1
	v_subrev_nc_u32_e32 v4, s22, v4
; %bb.232:                              ;   in Loop: Header=BB62_6 Depth=1
	s_or_b32 exec_lo, exec_lo, s45
	v_mov_b32_e32 v1, 8
	v_mov_b32_e32 v13, v4
.LBB62_233:                             ;   in Loop: Header=BB62_6 Depth=1
	s_or_b32 exec_lo, exec_lo, s44
	v_mov_b32_e32 v4, v13
	s_mov_b32 s45, exec_lo
.LBB62_234:                             ;   in Loop: Header=BB62_6 Depth=1
	s_or_b32 exec_lo, exec_lo, s98
	s_orn2_b32 s44, s45, exec_lo
.LBB62_235:                             ;   in Loop: Header=BB62_6 Depth=1
	s_or_b32 exec_lo, exec_lo, s94
	v_mov_b32_e32 v13, v4
	s_andn2_b32 s33, s33, exec_lo
	s_and_b32 s45, s97, exec_lo
	s_andn2_b32 s31, s31, exec_lo
	s_and_b32 s46, s96, exec_lo
	s_or_b32 s33, s33, s45
	s_or_b32 s31, s31, s46
	s_and_b32 s45, s44, exec_lo
.LBB62_236:                             ;   in Loop: Header=BB62_6 Depth=1
	s_or_b32 exec_lo, exec_lo, s34
	s_orn2_b32 s34, s45, exec_lo
.LBB62_237:                             ;   in Loop: Header=BB62_6 Depth=1
	s_or_b32 exec_lo, exec_lo, s30
	v_mov_b32_e32 v4, v13
	s_andn2_b32 s24, s24, exec_lo
	s_and_b32 s30, s33, exec_lo
	s_andn2_b32 s23, s23, exec_lo
	s_and_b32 s31, s31, exec_lo
	s_or_b32 s24, s24, s30
	s_or_b32 s23, s23, s31
	s_and_b32 s33, s34, exec_lo
.LBB62_238:                             ;   in Loop: Header=BB62_6 Depth=1
	s_or_b32 exec_lo, exec_lo, s29
	s_orn2_b32 s29, s33, exec_lo
.LBB62_239:                             ;   in Loop: Header=BB62_6 Depth=1
	s_or_b32 exec_lo, exec_lo, s6
	s_mov_b32 s6, 0
	s_mov_b32 s30, 0
	s_and_saveexec_b32 s31, s29
	s_xor_b32 s29, exec_lo, s31
; %bb.240:                              ;   in Loop: Header=BB62_6 Depth=1
	v_cmp_ne_u32_e32 vcc_lo, 8, v1
	v_cmp_eq_u32_e64 s6, 8, v1
	s_and_b32 s30, vcc_lo, exec_lo
	s_and_b32 s6, s6, exec_lo
; %bb.241:                              ;   in Loop: Header=BB62_6 Depth=1
	s_or_b32 exec_lo, exec_lo, s29
	s_andn2_b32 s26, s26, exec_lo
	s_and_b32 s24, s24, exec_lo
	s_andn2_b32 s25, s25, exec_lo
	s_and_b32 s23, s23, exec_lo
	s_or_b32 s26, s26, s24
	s_or_b32 s25, s25, s23
	s_and_b32 s23, s30, exec_lo
	s_and_b32 s24, s6, exec_lo
.LBB62_242:                             ;   in Loop: Header=BB62_6 Depth=1
	s_or_b32 exec_lo, exec_lo, s28
.LBB62_243:                             ;   in Loop: Header=BB62_6 Depth=1
	s_and_b32 vcc_lo, exec_lo, s27
	s_cbranch_vccz .LBB62_256
; %bb.244:                              ;   in Loop: Header=BB62_6 Depth=1
	s_cmp_eq_u32 s22, 1
	s_mov_b32 s26, -1
	s_cselect_b32 s6, -1, 0
                                        ; implicit-def: $sgpr16
	s_and_b32 s6, s6, s14
                                        ; implicit-def: $sgpr14
	s_and_saveexec_b32 s25, s6
	s_cbranch_execz .LBB62_271
; %bb.245:                              ;   in Loop: Header=BB62_6 Depth=1
	ds_read_b32 v1, v8 offset:4096
	s_waitcnt lgkmcnt(0)
	s_barrier
	buffer_gl0_inv
	v_readfirstlane_b32 s27, v1
	s_and_saveexec_b32 s14, s15
; %bb.246:                              ;   in Loop: Header=BB62_6 Depth=1
	ds_write_b16 v21, v8
; %bb.247:                              ;   in Loop: Header=BB62_6 Depth=1
	s_or_b32 exec_lo, exec_lo, s14
	v_or_b32_e32 v28, s18, v28
	v_or_b32_e32 v36, s18, v36
	s_mov_b32 s16, -1
	s_mov_b32 s14, 0
	s_cmp_eq_u32 s27, 0
	s_mov_b32 s26, 0
	s_mov_b32 s28, -1
	s_waitcnt lgkmcnt(0)
	s_barrier
	buffer_gl0_inv
                                        ; implicit-def: $vgpr37
	s_cbranch_scc1 .LBB62_259
; %bb.248:                              ;   in Loop: Header=BB62_6 Depth=1
	s_add_i32 s26, s27, s71
                                        ; implicit-def: $vgpr37
	s_mul_hi_u32 s28, s26, s77
	s_mul_i32 s28, s28, s58
	s_sub_i32 s28, s26, s28
	s_sub_i32 s29, s28, s58
	s_cmp_ge_u32 s28, s58
	s_cselect_b32 s28, s29, s28
	s_sub_i32 s29, s28, s58
	s_cmp_ge_u32 s28, s58
	s_cselect_b32 s28, s29, s28
	s_mov_b32 s29, exec_lo
	s_sub_i32 s30, s26, s28
	s_mov_b32 s28, 0
	s_mov_b32 s26, 0
	v_cmpx_gt_u32_e64 s30, v0
	s_cbranch_execz .LBB62_258
; %bb.249:                              ;   in Loop: Header=BB62_6 Depth=1
	v_mov_b32_e32 v1, v20
	v_mov_b32_e32 v2, v0
                                        ; implicit-def: $sgpr31
	s_inst_prefetch 0x1
	s_branch .LBB62_252
	.p2align	6
.LBB62_250:                             ;   in Loop: Header=BB62_252 Depth=2
	s_or_b32 exec_lo, exec_lo, s33
	s_waitcnt lgkmcnt(0)
	s_barrier
	buffer_gl0_inv
	ds_read_b32 v3, v8 offset:3072
	s_mov_b32 s33, -1
	s_waitcnt lgkmcnt(0)
	s_barrier
	buffer_gl0_inv
	v_cmp_ne_u32_sdwa s34, v3, v8 src0_sel:WORD_0 src1_sel:DWORD
	s_and_b32 vcc_lo, exec_lo, s34
	s_mov_b32 s34, -1
	s_cbranch_vccz .LBB62_255
.LBB62_251:                             ;   in Loop: Header=BB62_252 Depth=2
	s_and_b32 s33, exec_lo, s33
	s_or_b32 s26, s33, s26
	s_andn2_b32 s31, s31, exec_lo
	s_and_b32 s33, s34, exec_lo
	s_or_b32 s31, s31, s33
	s_andn2_b32 exec_lo, exec_lo, s26
	s_cbranch_execz .LBB62_257
.LBB62_252:                             ;   Parent Loop BB62_6 Depth=1
                                        ; =>  This Inner Loop Header: Depth=2
	s_mov_b32 s33, exec_lo
	v_cmpx_gt_u32_e64 s27, v2
	s_cbranch_execz .LBB62_250
; %bb.253:                              ;   in Loop: Header=BB62_252 Depth=2
	ds_read_u16 v3, v1
	s_waitcnt lgkmcnt(0)
	v_add_nc_u32_sdwa v4, sext(v3), v35 dst_sel:DWORD dst_unused:UNUSED_PAD src0_sel:WORD_0 src1_sel:DWORD
	v_and_b32_e32 v4, v4, v36
	v_cmp_eq_u32_e32 vcc_lo, v4, v28
	s_and_b32 exec_lo, exec_lo, vcc_lo
	s_cbranch_execz .LBB62_250
; %bb.254:                              ;   in Loop: Header=BB62_252 Depth=2
	v_perm_b32 v3, v3, 1, 0x5040100
	ds_write_b32 v8, v3 offset:3072
	s_branch .LBB62_250
.LBB62_255:                             ;   in Loop: Header=BB62_252 Depth=2
	v_add_nc_u32_e32 v2, s58, v2
	v_add_nc_u32_e32 v1, s81, v1
	s_mov_b32 s34, 0
	v_cmp_le_u32_e32 vcc_lo, s30, v2
	s_orn2_b32 s33, vcc_lo, exec_lo
	s_branch .LBB62_251
.LBB62_256:                             ;   in Loop: Header=BB62_6 Depth=1
	v_mov_b32_e32 v28, v2
	v_mov_b32_e32 v36, v3
	;; [unrolled: 1-line block ×3, first 2 shown]
	s_mov_b32 s14, 0
	s_and_saveexec_b32 s6, s24
	s_cbranch_execnz .LBB62_402
	s_branch .LBB62_403
.LBB62_257:                             ;   in Loop: Header=BB62_6 Depth=1
	s_inst_prefetch 0x2
	s_or_b32 exec_lo, exec_lo, s26
	v_lshrrev_b32_e32 v37, 16, v3
	s_and_b32 s26, s31, exec_lo
.LBB62_258:                             ;   in Loop: Header=BB62_6 Depth=1
	s_or_b32 exec_lo, exec_lo, s29
.LBB62_259:                             ;   in Loop: Header=BB62_6 Depth=1
	s_and_b32 vcc_lo, exec_lo, s28
	s_cbranch_vccz .LBB62_270
; %bb.260:                              ;   in Loop: Header=BB62_6 Depth=1
                                        ; implicit-def: $vgpr37
	s_and_saveexec_b32 s14, s13
	s_cbranch_execz .LBB62_269
; %bb.261:                              ;   in Loop: Header=BB62_6 Depth=1
	v_mov_b32_e32 v7, v9
	v_mov_b32_e32 v1, v0
	s_mov_b32 s16, 0
                                        ; implicit-def: $sgpr27
	s_inst_prefetch 0x1
	s_branch .LBB62_264
	.p2align	6
.LBB62_262:                             ;   in Loop: Header=BB62_264 Depth=2
	s_or_b32 exec_lo, exec_lo, s28
	s_waitcnt lgkmcnt(0)
	s_barrier
	buffer_gl0_inv
	ds_read_b32 v2, v8 offset:3072
	s_mov_b32 s28, -1
	s_waitcnt lgkmcnt(0)
	s_barrier
	buffer_gl0_inv
	v_cmp_ne_u32_sdwa s29, v2, v8 src0_sel:WORD_0 src1_sel:DWORD
	s_and_b32 vcc_lo, exec_lo, s29
	s_mov_b32 s29, -1
	s_cbranch_vccz .LBB62_267
.LBB62_263:                             ;   in Loop: Header=BB62_264 Depth=2
	s_and_b32 s28, exec_lo, s28
	s_or_b32 s16, s28, s16
	s_andn2_b32 s27, s27, exec_lo
	s_and_b32 s28, s29, exec_lo
	s_or_b32 s27, s27, s28
	s_andn2_b32 exec_lo, exec_lo, s16
	s_cbranch_execz .LBB62_268
.LBB62_264:                             ;   Parent Loop BB62_6 Depth=1
                                        ; =>  This Inner Loop Header: Depth=2
	s_mov_b32 s28, exec_lo
	v_cmpx_gt_u32_e64 s36, v1
	s_cbranch_execz .LBB62_262
; %bb.265:                              ;   in Loop: Header=BB62_264 Depth=2
	v_lshlrev_b64 v[2:3], 1, v[7:8]
	v_add_co_u32 v2, vcc_lo, s43, v2
	v_add_co_ci_u32_e64 v3, null, s47, v3, vcc_lo
	global_load_ushort v2, v[2:3], off
	s_waitcnt vmcnt(0)
	v_add_nc_u32_sdwa v3, sext(v2), v35 dst_sel:DWORD dst_unused:UNUSED_PAD src0_sel:WORD_0 src1_sel:DWORD
	v_and_b32_e32 v3, v3, v36
	v_cmp_eq_u32_e32 vcc_lo, v3, v28
	s_and_b32 exec_lo, exec_lo, vcc_lo
	s_cbranch_execz .LBB62_262
; %bb.266:                              ;   in Loop: Header=BB62_264 Depth=2
	v_perm_b32 v2, v2, 1, 0x5040100
	ds_write_b32 v8, v2 offset:3072
	s_branch .LBB62_262
.LBB62_267:                             ;   in Loop: Header=BB62_264 Depth=2
	v_add_nc_u32_e32 v1, s58, v1
	v_add_nc_u32_e32 v7, s59, v7
	s_mov_b32 s29, 0
	v_cmp_le_u32_e32 vcc_lo, s78, v1
	s_orn2_b32 s28, vcc_lo, exec_lo
	s_branch .LBB62_263
.LBB62_268:                             ;   in Loop: Header=BB62_6 Depth=1
	s_inst_prefetch 0x2
	s_or_b32 exec_lo, exec_lo, s16
	v_lshrrev_b32_e32 v37, 16, v2
	s_andn2_b32 s16, s26, exec_lo
	s_and_b32 s26, s27, exec_lo
	s_or_b32 s26, s16, s26
.LBB62_269:                             ;   in Loop: Header=BB62_6 Depth=1
	s_or_b32 exec_lo, exec_lo, s14
	s_mov_b32 s16, 0
	s_mov_b32 s14, -1
.LBB62_270:                             ;   in Loop: Header=BB62_6 Depth=1
	s_orn2_b32 s26, s26, exec_lo
.LBB62_271:                             ;   in Loop: Header=BB62_6 Depth=1
	s_or_b32 exec_lo, exec_lo, s25
                                        ; implicit-def: $vgpr4
                                        ; implicit-def: $vgpr1
	s_and_saveexec_b32 s25, s26
	s_cbranch_execz .LBB62_401
; %bb.272:                              ;   in Loop: Header=BB62_6 Depth=1
	v_mov_b32_e32 v4, 1
	v_mov_b32_e32 v1, 1
	s_xor_b32 s26, s6, -1
	s_mov_b32 s28, 0
	s_and_saveexec_b32 s6, s26
	s_cbranch_execz .LBB62_281
; %bb.273:                              ;   in Loop: Header=BB62_6 Depth=1
	s_mov_b32 s26, exec_lo
	v_cmpx_ge_u32_e64 s22, v38
	s_xor_b32 s26, exec_lo, s26
	s_cbranch_execz .LBB62_278
; %bb.274:                              ;   in Loop: Header=BB62_6 Depth=1
	ds_read_b32 v1, v8 offset:4096
	v_or_b32_e32 v28, s18, v28
	v_or_b32_e32 v36, s18, v36
	s_waitcnt lgkmcnt(0)
	v_cmp_ne_u32_e32 vcc_lo, 0, v1
	s_cbranch_vccnz .LBB62_278
; %bb.275:                              ;   in Loop: Header=BB62_6 Depth=1
	s_and_saveexec_b32 s27, s3
; %bb.276:                              ;   in Loop: Header=BB62_6 Depth=1
	v_mov_b32_e32 v1, s22
	ds_write_b32 v8, v1 offset:4100
; %bb.277:                              ;   in Loop: Header=BB62_6 Depth=1
	s_or_b32 exec_lo, exec_lo, s27
	s_waitcnt lgkmcnt(0)
	s_barrier
	buffer_gl0_inv
.LBB62_278:                             ;   in Loop: Header=BB62_6 Depth=1
	s_or_saveexec_b32 s26, s26
	v_mov_b32_e32 v1, 5
	s_mov_b32 s27, 0
	s_xor_b32 exec_lo, exec_lo, s26
; %bb.279:                              ;   in Loop: Header=BB62_6 Depth=1
	v_subrev_nc_u32_e32 v38, s22, v38
	v_mov_b32_e32 v1, 0
	s_mov_b32 s27, exec_lo
; %bb.280:                              ;   in Loop: Header=BB62_6 Depth=1
	s_or_b32 exec_lo, exec_lo, s26
	v_mov_b32_e32 v4, v38
	s_and_b32 s28, s27, exec_lo
.LBB62_281:                             ;   in Loop: Header=BB62_6 Depth=1
	s_or_b32 exec_lo, exec_lo, s6
	s_mov_b32 s27, -1
                                        ; implicit-def: $sgpr22
                                        ; implicit-def: $sgpr26
	s_and_saveexec_b32 s6, s28
	s_xor_b32 s6, exec_lo, s6
	s_cbranch_execz .LBB62_398
; %bb.282:                              ;   in Loop: Header=BB62_6 Depth=1
	v_cmp_eq_u32_e32 vcc_lo, 1, v4
	s_cmp_eq_u32 s21, 1
	s_mov_b32 s29, -1
	s_cselect_b32 s22, -1, 0
                                        ; implicit-def: $sgpr26
	s_and_b32 s28, s22, vcc_lo
                                        ; implicit-def: $sgpr22
	s_and_saveexec_b32 s27, s28
	s_cbranch_execz .LBB62_308
; %bb.283:                              ;   in Loop: Header=BB62_6 Depth=1
	ds_read_b32 v2, v8 offset:4096
	s_waitcnt lgkmcnt(0)
	s_barrier
	buffer_gl0_inv
	v_readfirstlane_b32 s30, v2
	s_and_saveexec_b32 s22, s15
; %bb.284:                              ;   in Loop: Header=BB62_6 Depth=1
	ds_write_b16 v21, v8
; %bb.285:                              ;   in Loop: Header=BB62_6 Depth=1
	s_or_b32 exec_lo, exec_lo, s22
	s_lshl_b32 s22, 2, s87
	v_or_b32_e32 v36, s18, v36
	v_and_or_b32 v28, v28, s19, s22
	s_mov_b32 s22, -1
	s_mov_b32 s26, 0
	s_cmp_eq_u32 s30, 0
	s_mov_b32 s29, 0
	s_mov_b32 s31, -1
	s_waitcnt lgkmcnt(0)
	s_barrier
	buffer_gl0_inv
                                        ; implicit-def: $vgpr37
	s_cbranch_scc1 .LBB62_296
; %bb.286:                              ;   in Loop: Header=BB62_6 Depth=1
	s_add_i32 s29, s30, s71
                                        ; implicit-def: $vgpr37
	s_mul_hi_u32 s31, s29, s77
	s_mul_i32 s31, s31, s58
	s_sub_i32 s31, s29, s31
	s_sub_i32 s33, s31, s58
	s_cmp_ge_u32 s31, s58
	s_cselect_b32 s31, s33, s31
	s_sub_i32 s33, s31, s58
	s_cmp_ge_u32 s31, s58
	s_cselect_b32 s31, s33, s31
	s_mov_b32 s33, exec_lo
	s_sub_i32 s34, s29, s31
	s_mov_b32 s31, 0
	s_mov_b32 s29, 0
	v_cmpx_gt_u32_e64 s34, v0
	s_cbranch_execz .LBB62_295
; %bb.287:                              ;   in Loop: Header=BB62_6 Depth=1
	v_mov_b32_e32 v2, v20
	v_mov_b32_e32 v3, v0
                                        ; implicit-def: $sgpr44
	s_inst_prefetch 0x1
	s_branch .LBB62_290
	.p2align	6
.LBB62_288:                             ;   in Loop: Header=BB62_290 Depth=2
	s_or_b32 exec_lo, exec_lo, s45
	s_waitcnt lgkmcnt(0)
	s_barrier
	buffer_gl0_inv
	ds_read_b32 v7, v8 offset:3072
	s_mov_b32 s45, -1
	s_waitcnt lgkmcnt(0)
	s_barrier
	buffer_gl0_inv
	v_cmp_ne_u32_sdwa s46, v7, v8 src0_sel:WORD_0 src1_sel:DWORD
	s_and_b32 vcc_lo, exec_lo, s46
	s_mov_b32 s46, -1
	s_cbranch_vccz .LBB62_293
.LBB62_289:                             ;   in Loop: Header=BB62_290 Depth=2
	s_and_b32 s45, exec_lo, s45
	s_or_b32 s29, s45, s29
	s_andn2_b32 s44, s44, exec_lo
	s_and_b32 s45, s46, exec_lo
	s_or_b32 s44, s44, s45
	s_andn2_b32 exec_lo, exec_lo, s29
	s_cbranch_execz .LBB62_294
.LBB62_290:                             ;   Parent Loop BB62_6 Depth=1
                                        ; =>  This Inner Loop Header: Depth=2
	s_mov_b32 s45, exec_lo
	v_cmpx_gt_u32_e64 s30, v3
	s_cbranch_execz .LBB62_288
; %bb.291:                              ;   in Loop: Header=BB62_290 Depth=2
	ds_read_u16 v7, v2
	s_waitcnt lgkmcnt(0)
	v_add_nc_u32_sdwa v13, sext(v7), v35 dst_sel:DWORD dst_unused:UNUSED_PAD src0_sel:WORD_0 src1_sel:DWORD
	v_and_b32_e32 v13, v13, v36
	v_cmp_eq_u32_e32 vcc_lo, v13, v28
	s_and_b32 exec_lo, exec_lo, vcc_lo
	s_cbranch_execz .LBB62_288
; %bb.292:                              ;   in Loop: Header=BB62_290 Depth=2
	v_perm_b32 v7, v7, 1, 0x5040100
	ds_write_b32 v8, v7 offset:3072
	s_branch .LBB62_288
.LBB62_293:                             ;   in Loop: Header=BB62_290 Depth=2
	v_add_nc_u32_e32 v3, s58, v3
	v_add_nc_u32_e32 v2, s81, v2
	s_mov_b32 s46, 0
	v_cmp_le_u32_e32 vcc_lo, s34, v3
	s_orn2_b32 s45, vcc_lo, exec_lo
	s_branch .LBB62_289
.LBB62_294:                             ;   in Loop: Header=BB62_6 Depth=1
	s_inst_prefetch 0x2
	s_or_b32 exec_lo, exec_lo, s29
	v_lshrrev_b32_e32 v37, 16, v7
	s_and_b32 s29, s44, exec_lo
.LBB62_295:                             ;   in Loop: Header=BB62_6 Depth=1
	s_or_b32 exec_lo, exec_lo, s33
.LBB62_296:                             ;   in Loop: Header=BB62_6 Depth=1
	s_and_b32 vcc_lo, exec_lo, s31
	s_cbranch_vccz .LBB62_307
; %bb.297:                              ;   in Loop: Header=BB62_6 Depth=1
                                        ; implicit-def: $vgpr37
	s_and_saveexec_b32 s22, s13
	s_cbranch_execz .LBB62_306
; %bb.298:                              ;   in Loop: Header=BB62_6 Depth=1
	v_mov_b32_e32 v7, v9
	v_mov_b32_e32 v2, v0
	s_mov_b32 s26, 0
                                        ; implicit-def: $sgpr30
	s_inst_prefetch 0x1
	s_branch .LBB62_301
	.p2align	6
.LBB62_299:                             ;   in Loop: Header=BB62_301 Depth=2
	s_or_b32 exec_lo, exec_lo, s31
	s_waitcnt lgkmcnt(0)
	s_barrier
	buffer_gl0_inv
	ds_read_b32 v3, v8 offset:3072
	s_mov_b32 s31, -1
	s_waitcnt lgkmcnt(0)
	s_barrier
	buffer_gl0_inv
	v_cmp_eq_u32_sdwa s33, v3, v8 src0_sel:WORD_0 src1_sel:DWORD
	s_and_b32 vcc_lo, exec_lo, s33
	s_mov_b32 s33, -1
	s_cbranch_vccnz .LBB62_304
.LBB62_300:                             ;   in Loop: Header=BB62_301 Depth=2
	s_and_b32 s31, exec_lo, s31
	s_or_b32 s26, s31, s26
	s_andn2_b32 s30, s30, exec_lo
	s_and_b32 s31, s33, exec_lo
	s_or_b32 s30, s30, s31
	s_andn2_b32 exec_lo, exec_lo, s26
	s_cbranch_execz .LBB62_305
.LBB62_301:                             ;   Parent Loop BB62_6 Depth=1
                                        ; =>  This Inner Loop Header: Depth=2
	s_mov_b32 s31, exec_lo
	v_cmpx_gt_u32_e64 s36, v2
	s_cbranch_execz .LBB62_299
; %bb.302:                              ;   in Loop: Header=BB62_301 Depth=2
	v_lshlrev_b64 v[13:14], 1, v[7:8]
	v_add_co_u32 v13, vcc_lo, s43, v13
	v_add_co_ci_u32_e64 v14, null, s47, v14, vcc_lo
	global_load_ushort v3, v[13:14], off
	s_waitcnt vmcnt(0)
	v_add_nc_u32_sdwa v13, sext(v3), v35 dst_sel:DWORD dst_unused:UNUSED_PAD src0_sel:WORD_0 src1_sel:DWORD
	v_and_b32_e32 v13, v13, v36
	v_cmp_eq_u32_e32 vcc_lo, v13, v28
	s_and_b32 exec_lo, exec_lo, vcc_lo
	s_cbranch_execz .LBB62_299
; %bb.303:                              ;   in Loop: Header=BB62_301 Depth=2
	v_perm_b32 v3, v3, 1, 0x5040100
	ds_write_b32 v8, v3 offset:3072
	s_branch .LBB62_299
.LBB62_304:                             ;   in Loop: Header=BB62_301 Depth=2
	v_add_nc_u32_e32 v2, s58, v2
	v_add_nc_u32_e32 v7, s59, v7
	s_mov_b32 s33, 0
	v_cmp_le_u32_e32 vcc_lo, s78, v2
	s_orn2_b32 s31, vcc_lo, exec_lo
	s_branch .LBB62_300
.LBB62_305:                             ;   in Loop: Header=BB62_6 Depth=1
	s_inst_prefetch 0x2
	s_or_b32 exec_lo, exec_lo, s26
	v_lshrrev_b32_e32 v37, 16, v3
	s_andn2_b32 s26, s29, exec_lo
	s_and_b32 s29, s30, exec_lo
	s_or_b32 s29, s26, s29
.LBB62_306:                             ;   in Loop: Header=BB62_6 Depth=1
	s_or_b32 exec_lo, exec_lo, s22
	s_mov_b32 s22, 0
	s_mov_b32 s26, -1
.LBB62_307:                             ;   in Loop: Header=BB62_6 Depth=1
	s_orn2_b32 s29, s29, exec_lo
.LBB62_308:                             ;   in Loop: Header=BB62_6 Depth=1
	s_or_b32 exec_lo, exec_lo, s27
	s_mov_b32 s30, 0
	s_and_saveexec_b32 s27, s29
	s_cbranch_execz .LBB62_397
; %bb.309:                              ;   in Loop: Header=BB62_6 Depth=1
	v_mov_b32_e32 v2, 1
	v_mov_b32_e32 v1, 1
	s_xor_b32 s29, s28, -1
	s_mov_b32 s31, 0
	s_and_saveexec_b32 s28, s29
	s_cbranch_execz .LBB62_318
; %bb.310:                              ;   in Loop: Header=BB62_6 Depth=1
	s_mov_b32 s29, exec_lo
	v_cmpx_ge_u32_e64 s21, v4
	s_xor_b32 s29, exec_lo, s29
	s_cbranch_execz .LBB62_315
; %bb.311:                              ;   in Loop: Header=BB62_6 Depth=1
	ds_read_b32 v1, v8 offset:4096
	s_lshl_b32 s30, 2, s87
	v_or_b32_e32 v36, s18, v36
	v_and_or_b32 v28, v28, s19, s30
	s_waitcnt lgkmcnt(0)
	v_cmp_ne_u32_e32 vcc_lo, 0, v1
	s_cbranch_vccnz .LBB62_315
; %bb.312:                              ;   in Loop: Header=BB62_6 Depth=1
	s_and_saveexec_b32 s30, s3
; %bb.313:                              ;   in Loop: Header=BB62_6 Depth=1
	v_mov_b32_e32 v1, s21
	ds_write_b32 v8, v1 offset:4100
; %bb.314:                              ;   in Loop: Header=BB62_6 Depth=1
	s_or_b32 exec_lo, exec_lo, s30
	s_waitcnt lgkmcnt(0)
	s_barrier
	buffer_gl0_inv
.LBB62_315:                             ;   in Loop: Header=BB62_6 Depth=1
	s_or_saveexec_b32 s29, s29
	v_mov_b32_e32 v1, 5
	s_mov_b32 s30, 0
	s_xor_b32 exec_lo, exec_lo, s29
; %bb.316:                              ;   in Loop: Header=BB62_6 Depth=1
	v_subrev_nc_u32_e32 v4, s21, v4
	v_mov_b32_e32 v1, 0
	s_mov_b32 s30, exec_lo
; %bb.317:                              ;   in Loop: Header=BB62_6 Depth=1
	s_or_b32 exec_lo, exec_lo, s29
	v_mov_b32_e32 v2, v4
	s_and_b32 s31, s30, exec_lo
.LBB62_318:                             ;   in Loop: Header=BB62_6 Depth=1
	s_or_b32 exec_lo, exec_lo, s28
	s_mov_b32 s30, -1
                                        ; implicit-def: $sgpr28
                                        ; implicit-def: $sgpr29
	s_and_saveexec_b32 s21, s31
	s_cbranch_execz .LBB62_396
; %bb.319:                              ;   in Loop: Header=BB62_6 Depth=1
	v_cmp_eq_u32_e32 vcc_lo, 1, v2
	s_cmp_eq_u32 s20, 1
	s_mov_b32 s33, -1
	s_cselect_b32 s28, -1, 0
                                        ; implicit-def: $sgpr29
	s_and_b32 s31, s28, vcc_lo
                                        ; implicit-def: $sgpr28
	s_and_saveexec_b32 s30, s31
	s_cbranch_execz .LBB62_345
; %bb.320:                              ;   in Loop: Header=BB62_6 Depth=1
	ds_read_b32 v3, v8 offset:4096
	s_waitcnt lgkmcnt(0)
	s_barrier
	buffer_gl0_inv
	v_readfirstlane_b32 s34, v3
	s_and_saveexec_b32 s28, s15
; %bb.321:                              ;   in Loop: Header=BB62_6 Depth=1
	ds_write_b16 v21, v8
; %bb.322:                              ;   in Loop: Header=BB62_6 Depth=1
	s_or_b32 exec_lo, exec_lo, s28
	s_lshl_b32 s28, 1, s87
	v_or_b32_e32 v36, s18, v36
	v_and_or_b32 v28, v28, s19, s28
	s_mov_b32 s28, -1
	s_mov_b32 s29, 0
	s_cmp_eq_u32 s34, 0
	s_mov_b32 s33, 0
	s_mov_b32 s94, -1
	s_waitcnt lgkmcnt(0)
	s_barrier
	buffer_gl0_inv
                                        ; implicit-def: $vgpr37
	s_cbranch_scc1 .LBB62_333
; %bb.323:                              ;   in Loop: Header=BB62_6 Depth=1
	s_add_i32 s33, s34, s71
	s_mov_b32 s94, 0
	s_mul_hi_u32 s44, s33, s77
	s_mov_b32 s95, exec_lo
	s_mul_i32 s44, s44, s58
                                        ; implicit-def: $vgpr37
	s_sub_i32 s44, s33, s44
	s_sub_i32 s45, s44, s58
	s_cmp_ge_u32 s44, s58
	s_cselect_b32 s44, s45, s44
	s_sub_i32 s45, s44, s58
	s_cmp_ge_u32 s44, s58
	s_cselect_b32 s44, s45, s44
	s_sub_i32 s44, s33, s44
	s_mov_b32 s33, 0
	v_cmpx_gt_u32_e64 s44, v0
	s_cbranch_execz .LBB62_332
; %bb.324:                              ;   in Loop: Header=BB62_6 Depth=1
	v_mov_b32_e32 v3, v20
	v_mov_b32_e32 v4, v0
                                        ; implicit-def: $sgpr45
	s_inst_prefetch 0x1
	s_branch .LBB62_327
	.p2align	6
.LBB62_325:                             ;   in Loop: Header=BB62_327 Depth=2
	s_or_b32 exec_lo, exec_lo, s46
	s_waitcnt lgkmcnt(0)
	s_barrier
	buffer_gl0_inv
	ds_read_b32 v7, v8 offset:3072
	s_mov_b32 s46, -1
	s_waitcnt lgkmcnt(0)
	s_barrier
	buffer_gl0_inv
	v_cmp_ne_u32_sdwa s50, v7, v8 src0_sel:WORD_0 src1_sel:DWORD
	s_and_b32 vcc_lo, exec_lo, s50
	s_mov_b32 s50, -1
	s_cbranch_vccz .LBB62_330
.LBB62_326:                             ;   in Loop: Header=BB62_327 Depth=2
	s_and_b32 s46, exec_lo, s46
	s_or_b32 s33, s46, s33
	s_andn2_b32 s45, s45, exec_lo
	s_and_b32 s46, s50, exec_lo
	s_or_b32 s45, s45, s46
	s_andn2_b32 exec_lo, exec_lo, s33
	s_cbranch_execz .LBB62_331
.LBB62_327:                             ;   Parent Loop BB62_6 Depth=1
                                        ; =>  This Inner Loop Header: Depth=2
	s_mov_b32 s46, exec_lo
	v_cmpx_gt_u32_e64 s34, v4
	s_cbranch_execz .LBB62_325
; %bb.328:                              ;   in Loop: Header=BB62_327 Depth=2
	ds_read_u16 v7, v3
	s_waitcnt lgkmcnt(0)
	v_add_nc_u32_sdwa v13, sext(v7), v35 dst_sel:DWORD dst_unused:UNUSED_PAD src0_sel:WORD_0 src1_sel:DWORD
	v_and_b32_e32 v13, v13, v36
	v_cmp_eq_u32_e32 vcc_lo, v13, v28
	s_and_b32 exec_lo, exec_lo, vcc_lo
	s_cbranch_execz .LBB62_325
; %bb.329:                              ;   in Loop: Header=BB62_327 Depth=2
	v_perm_b32 v7, v7, 1, 0x5040100
	ds_write_b32 v8, v7 offset:3072
	s_branch .LBB62_325
.LBB62_330:                             ;   in Loop: Header=BB62_327 Depth=2
	v_add_nc_u32_e32 v4, s58, v4
	v_add_nc_u32_e32 v3, s81, v3
	s_mov_b32 s50, 0
	v_cmp_le_u32_e32 vcc_lo, s44, v4
	s_orn2_b32 s46, vcc_lo, exec_lo
	s_branch .LBB62_326
.LBB62_331:                             ;   in Loop: Header=BB62_6 Depth=1
	s_inst_prefetch 0x2
	s_or_b32 exec_lo, exec_lo, s33
	v_lshrrev_b32_e32 v37, 16, v7
	s_and_b32 s33, s45, exec_lo
.LBB62_332:                             ;   in Loop: Header=BB62_6 Depth=1
	s_or_b32 exec_lo, exec_lo, s95
.LBB62_333:                             ;   in Loop: Header=BB62_6 Depth=1
	s_and_b32 vcc_lo, exec_lo, s94
	s_cbranch_vccz .LBB62_344
; %bb.334:                              ;   in Loop: Header=BB62_6 Depth=1
                                        ; implicit-def: $vgpr37
	s_and_saveexec_b32 s28, s13
	s_cbranch_execz .LBB62_343
; %bb.335:                              ;   in Loop: Header=BB62_6 Depth=1
	v_mov_b32_e32 v7, v9
	v_mov_b32_e32 v3, v0
	s_mov_b32 s29, 0
                                        ; implicit-def: $sgpr34
	s_inst_prefetch 0x1
	s_branch .LBB62_338
	.p2align	6
.LBB62_336:                             ;   in Loop: Header=BB62_338 Depth=2
	s_or_b32 exec_lo, exec_lo, s44
	s_waitcnt lgkmcnt(0)
	s_barrier
	buffer_gl0_inv
	ds_read_b32 v4, v8 offset:3072
	s_mov_b32 s44, -1
	s_waitcnt lgkmcnt(0)
	s_barrier
	buffer_gl0_inv
	v_cmp_eq_u32_sdwa s45, v4, v8 src0_sel:WORD_0 src1_sel:DWORD
	s_and_b32 vcc_lo, exec_lo, s45
	s_mov_b32 s45, -1
	s_cbranch_vccnz .LBB62_341
.LBB62_337:                             ;   in Loop: Header=BB62_338 Depth=2
	s_and_b32 s44, exec_lo, s44
	s_or_b32 s29, s44, s29
	s_andn2_b32 s34, s34, exec_lo
	s_and_b32 s44, s45, exec_lo
	s_or_b32 s34, s34, s44
	s_andn2_b32 exec_lo, exec_lo, s29
	s_cbranch_execz .LBB62_342
.LBB62_338:                             ;   Parent Loop BB62_6 Depth=1
                                        ; =>  This Inner Loop Header: Depth=2
	s_mov_b32 s44, exec_lo
	v_cmpx_gt_u32_e64 s36, v3
	s_cbranch_execz .LBB62_336
; %bb.339:                              ;   in Loop: Header=BB62_338 Depth=2
	v_lshlrev_b64 v[13:14], 1, v[7:8]
	v_add_co_u32 v13, vcc_lo, s43, v13
	v_add_co_ci_u32_e64 v14, null, s47, v14, vcc_lo
	global_load_ushort v4, v[13:14], off
	s_waitcnt vmcnt(0)
	v_add_nc_u32_sdwa v13, sext(v4), v35 dst_sel:DWORD dst_unused:UNUSED_PAD src0_sel:WORD_0 src1_sel:DWORD
	v_and_b32_e32 v13, v13, v36
	v_cmp_eq_u32_e32 vcc_lo, v13, v28
	s_and_b32 exec_lo, exec_lo, vcc_lo
	s_cbranch_execz .LBB62_336
; %bb.340:                              ;   in Loop: Header=BB62_338 Depth=2
	v_perm_b32 v4, v4, 1, 0x5040100
	ds_write_b32 v8, v4 offset:3072
	s_branch .LBB62_336
.LBB62_341:                             ;   in Loop: Header=BB62_338 Depth=2
	v_add_nc_u32_e32 v3, s58, v3
	v_add_nc_u32_e32 v7, s59, v7
	s_mov_b32 s45, 0
	v_cmp_le_u32_e32 vcc_lo, s78, v3
	s_orn2_b32 s44, vcc_lo, exec_lo
	s_branch .LBB62_337
.LBB62_342:                             ;   in Loop: Header=BB62_6 Depth=1
	s_inst_prefetch 0x2
	s_or_b32 exec_lo, exec_lo, s29
	v_lshrrev_b32_e32 v37, 16, v4
	s_andn2_b32 s29, s33, exec_lo
	s_and_b32 s33, s34, exec_lo
	s_or_b32 s33, s29, s33
.LBB62_343:                             ;   in Loop: Header=BB62_6 Depth=1
	s_or_b32 exec_lo, exec_lo, s28
	s_mov_b32 s28, 0
	s_mov_b32 s29, -1
.LBB62_344:                             ;   in Loop: Header=BB62_6 Depth=1
	s_orn2_b32 s33, s33, exec_lo
.LBB62_345:                             ;   in Loop: Header=BB62_6 Depth=1
	s_or_b32 exec_lo, exec_lo, s30
	s_mov_b32 s34, 0
	s_and_saveexec_b32 s30, s33
	s_cbranch_execz .LBB62_395
; %bb.346:                              ;   in Loop: Header=BB62_6 Depth=1
	v_mov_b32_e32 v3, 1
	v_mov_b32_e32 v1, 1
	s_xor_b32 s33, s31, -1
	s_mov_b32 s44, 0
	s_and_saveexec_b32 s31, s33
	s_cbranch_execz .LBB62_355
; %bb.347:                              ;   in Loop: Header=BB62_6 Depth=1
	s_mov_b32 s33, exec_lo
	v_cmpx_ge_u32_e64 s20, v2
	s_xor_b32 s33, exec_lo, s33
	s_cbranch_execz .LBB62_352
; %bb.348:                              ;   in Loop: Header=BB62_6 Depth=1
	ds_read_b32 v1, v8 offset:4096
	s_lshl_b32 s34, 1, s87
	v_or_b32_e32 v36, s18, v36
	v_and_or_b32 v28, v28, s19, s34
	s_waitcnt lgkmcnt(0)
	v_cmp_ne_u32_e32 vcc_lo, 0, v1
	s_cbranch_vccnz .LBB62_352
; %bb.349:                              ;   in Loop: Header=BB62_6 Depth=1
	s_and_saveexec_b32 s34, s3
; %bb.350:                              ;   in Loop: Header=BB62_6 Depth=1
	v_mov_b32_e32 v1, s20
	ds_write_b32 v8, v1 offset:4100
; %bb.351:                              ;   in Loop: Header=BB62_6 Depth=1
	s_or_b32 exec_lo, exec_lo, s34
	s_waitcnt lgkmcnt(0)
	s_barrier
	buffer_gl0_inv
.LBB62_352:                             ;   in Loop: Header=BB62_6 Depth=1
	s_or_saveexec_b32 s33, s33
	v_mov_b32_e32 v1, 5
	s_mov_b32 s34, 0
	s_xor_b32 exec_lo, exec_lo, s33
; %bb.353:                              ;   in Loop: Header=BB62_6 Depth=1
	v_subrev_nc_u32_e32 v2, s20, v2
	v_mov_b32_e32 v1, 0
	s_mov_b32 s34, exec_lo
; %bb.354:                              ;   in Loop: Header=BB62_6 Depth=1
	s_or_b32 exec_lo, exec_lo, s33
	v_mov_b32_e32 v3, v2
	s_and_b32 s44, s34, exec_lo
.LBB62_355:                             ;   in Loop: Header=BB62_6 Depth=1
	s_or_b32 exec_lo, exec_lo, s31
	s_mov_b32 s31, -1
                                        ; implicit-def: $sgpr34
                                        ; implicit-def: $sgpr33
	s_and_saveexec_b32 s20, s44
	s_cbranch_execz .LBB62_394
; %bb.356:                              ;   in Loop: Header=BB62_6 Depth=1
	v_cmp_eq_u32_e32 vcc_lo, 1, v3
	s_cmp_eq_u32 s17, 1
	s_mov_b32 s44, -1
	s_cselect_b32 s31, -1, 0
                                        ; implicit-def: $sgpr34
                                        ; implicit-def: $sgpr33
	s_and_b32 s31, s31, vcc_lo
	s_and_saveexec_b32 s94, s31
	s_cbranch_execz .LBB62_382
; %bb.357:                              ;   in Loop: Header=BB62_6 Depth=1
	ds_read_b32 v2, v8 offset:4096
	s_waitcnt lgkmcnt(0)
	s_barrier
	buffer_gl0_inv
	v_readfirstlane_b32 s96, v2
	s_and_saveexec_b32 s33, s15
; %bb.358:                              ;   in Loop: Header=BB62_6 Depth=1
	ds_write_b16 v21, v8
; %bb.359:                              ;   in Loop: Header=BB62_6 Depth=1
	s_or_b32 exec_lo, exec_lo, s33
	v_and_b32_e32 v28, s19, v28
	v_or_b32_e32 v36, s18, v36
	s_mov_b32 s33, -1
	s_mov_b32 s34, 0
	s_cmp_eq_u32 s96, 0
	s_mov_b32 s95, 0
	s_mov_b32 s97, -1
	s_waitcnt lgkmcnt(0)
	s_barrier
	buffer_gl0_inv
                                        ; implicit-def: $vgpr37
	s_cbranch_scc1 .LBB62_370
; %bb.360:                              ;   in Loop: Header=BB62_6 Depth=1
	s_add_i32 s44, s96, s71
	s_mov_b32 s97, 0
	s_mul_hi_u32 s45, s44, s77
	s_mov_b32 s98, exec_lo
	s_mul_i32 s45, s45, s58
                                        ; implicit-def: $vgpr37
	s_sub_i32 s45, s44, s45
	s_sub_i32 s46, s45, s58
	s_cmp_ge_u32 s45, s58
	s_cselect_b32 s45, s46, s45
	s_sub_i32 s46, s45, s58
	s_cmp_ge_u32 s45, s58
	s_cselect_b32 s45, s46, s45
	s_sub_i32 s44, s44, s45
	v_cmpx_gt_u32_e64 s44, v0
	s_cbranch_execz .LBB62_369
; %bb.361:                              ;   in Loop: Header=BB62_6 Depth=1
	v_mov_b32_e32 v2, v20
	v_mov_b32_e32 v4, v0
	s_mov_b32 s45, 0
                                        ; implicit-def: $sgpr46
	s_inst_prefetch 0x1
	s_branch .LBB62_364
	.p2align	6
.LBB62_362:                             ;   in Loop: Header=BB62_364 Depth=2
	s_or_b32 exec_lo, exec_lo, s95
	s_waitcnt lgkmcnt(0)
	s_barrier
	buffer_gl0_inv
	ds_read_b32 v7, v8 offset:3072
	s_mov_b32 s50, -1
	s_waitcnt lgkmcnt(0)
	s_barrier
	buffer_gl0_inv
	v_cmp_ne_u32_sdwa s51, v7, v8 src0_sel:WORD_0 src1_sel:DWORD
	s_and_b32 vcc_lo, exec_lo, s51
	s_mov_b32 s51, -1
	s_cbranch_vccz .LBB62_367
.LBB62_363:                             ;   in Loop: Header=BB62_364 Depth=2
	s_and_b32 s50, exec_lo, s50
	s_or_b32 s45, s50, s45
	s_andn2_b32 s46, s46, exec_lo
	s_and_b32 s50, s51, exec_lo
	s_or_b32 s46, s46, s50
	s_andn2_b32 exec_lo, exec_lo, s45
	s_cbranch_execz .LBB62_368
.LBB62_364:                             ;   Parent Loop BB62_6 Depth=1
                                        ; =>  This Inner Loop Header: Depth=2
	s_mov_b32 s95, exec_lo
	v_cmpx_gt_u32_e64 s96, v4
	s_cbranch_execz .LBB62_362
; %bb.365:                              ;   in Loop: Header=BB62_364 Depth=2
	ds_read_u16 v7, v2
	s_waitcnt lgkmcnt(0)
	v_add_nc_u32_sdwa v13, sext(v7), v35 dst_sel:DWORD dst_unused:UNUSED_PAD src0_sel:WORD_0 src1_sel:DWORD
	v_and_b32_e32 v13, v13, v36
	v_cmp_eq_u32_e32 vcc_lo, v13, v28
	s_and_b32 exec_lo, exec_lo, vcc_lo
	s_cbranch_execz .LBB62_362
; %bb.366:                              ;   in Loop: Header=BB62_364 Depth=2
	v_perm_b32 v7, v7, 1, 0x5040100
	ds_write_b32 v8, v7 offset:3072
	s_branch .LBB62_362
.LBB62_367:                             ;   in Loop: Header=BB62_364 Depth=2
	v_add_nc_u32_e32 v4, s58, v4
	v_add_nc_u32_e32 v2, s81, v2
	s_mov_b32 s51, 0
	v_cmp_le_u32_e32 vcc_lo, s44, v4
	s_orn2_b32 s50, vcc_lo, exec_lo
	s_branch .LBB62_363
.LBB62_368:                             ;   in Loop: Header=BB62_6 Depth=1
	s_inst_prefetch 0x2
	s_or_b32 exec_lo, exec_lo, s45
	v_lshrrev_b32_e32 v37, 16, v7
	s_and_b32 s95, s46, exec_lo
.LBB62_369:                             ;   in Loop: Header=BB62_6 Depth=1
	s_or_b32 exec_lo, exec_lo, s98
.LBB62_370:                             ;   in Loop: Header=BB62_6 Depth=1
	s_and_b32 vcc_lo, exec_lo, s97
	s_cbranch_vccz .LBB62_381
; %bb.371:                              ;   in Loop: Header=BB62_6 Depth=1
                                        ; implicit-def: $vgpr37
	s_and_saveexec_b32 s33, s13
	s_cbranch_execz .LBB62_380
; %bb.372:                              ;   in Loop: Header=BB62_6 Depth=1
	v_mov_b32_e32 v7, v9
	v_mov_b32_e32 v2, v0
	s_mov_b32 s34, 0
                                        ; implicit-def: $sgpr44
	s_inst_prefetch 0x1
	s_branch .LBB62_375
	.p2align	6
.LBB62_373:                             ;   in Loop: Header=BB62_375 Depth=2
	s_or_b32 exec_lo, exec_lo, s45
	s_waitcnt lgkmcnt(0)
	s_barrier
	buffer_gl0_inv
	ds_read_b32 v4, v8 offset:3072
	s_mov_b32 s45, -1
	s_waitcnt lgkmcnt(0)
	s_barrier
	buffer_gl0_inv
	v_cmp_eq_u32_sdwa s46, v4, v8 src0_sel:WORD_0 src1_sel:DWORD
	s_and_b32 vcc_lo, exec_lo, s46
	s_mov_b32 s46, -1
	s_cbranch_vccnz .LBB62_378
.LBB62_374:                             ;   in Loop: Header=BB62_375 Depth=2
	s_and_b32 s45, exec_lo, s45
	s_or_b32 s34, s45, s34
	s_andn2_b32 s44, s44, exec_lo
	s_and_b32 s45, s46, exec_lo
	s_or_b32 s44, s44, s45
	s_andn2_b32 exec_lo, exec_lo, s34
	s_cbranch_execz .LBB62_379
.LBB62_375:                             ;   Parent Loop BB62_6 Depth=1
                                        ; =>  This Inner Loop Header: Depth=2
	s_mov_b32 s45, exec_lo
	v_cmpx_gt_u32_e64 s36, v2
	s_cbranch_execz .LBB62_373
; %bb.376:                              ;   in Loop: Header=BB62_375 Depth=2
	v_lshlrev_b64 v[13:14], 1, v[7:8]
	v_add_co_u32 v13, vcc_lo, s43, v13
	v_add_co_ci_u32_e64 v14, null, s47, v14, vcc_lo
	global_load_ushort v4, v[13:14], off
	s_waitcnt vmcnt(0)
	v_add_nc_u32_sdwa v13, sext(v4), v35 dst_sel:DWORD dst_unused:UNUSED_PAD src0_sel:WORD_0 src1_sel:DWORD
	v_and_b32_e32 v13, v13, v36
	v_cmp_eq_u32_e32 vcc_lo, v13, v28
	s_and_b32 exec_lo, exec_lo, vcc_lo
	s_cbranch_execz .LBB62_373
; %bb.377:                              ;   in Loop: Header=BB62_375 Depth=2
	v_perm_b32 v4, v4, 1, 0x5040100
	ds_write_b32 v8, v4 offset:3072
	s_branch .LBB62_373
.LBB62_378:                             ;   in Loop: Header=BB62_375 Depth=2
	v_add_nc_u32_e32 v2, s58, v2
	v_add_nc_u32_e32 v7, s59, v7
	s_mov_b32 s46, 0
	v_cmp_le_u32_e32 vcc_lo, s78, v2
	s_orn2_b32 s45, vcc_lo, exec_lo
	s_branch .LBB62_374
.LBB62_379:                             ;   in Loop: Header=BB62_6 Depth=1
	s_inst_prefetch 0x2
	s_or_b32 exec_lo, exec_lo, s34
	v_lshrrev_b32_e32 v37, 16, v4
	s_andn2_b32 s34, s95, exec_lo
	s_and_b32 s44, s44, exec_lo
	s_or_b32 s95, s34, s44
.LBB62_380:                             ;   in Loop: Header=BB62_6 Depth=1
	s_or_b32 exec_lo, exec_lo, s33
	s_mov_b32 s33, 0
	s_mov_b32 s34, -1
.LBB62_381:                             ;   in Loop: Header=BB62_6 Depth=1
	s_orn2_b32 s44, s95, exec_lo
.LBB62_382:                             ;   in Loop: Header=BB62_6 Depth=1
	s_or_b32 exec_lo, exec_lo, s94
	s_mov_b32 s45, 0
	s_and_saveexec_b32 s94, s44
	s_cbranch_execz .LBB62_393
; %bb.383:                              ;   in Loop: Header=BB62_6 Depth=1
	v_mov_b32_e32 v1, 1
	v_mov_b32_e32 v2, 1
	s_xor_b32 s44, s31, -1
	s_and_saveexec_b32 s31, s44
	s_cbranch_execz .LBB62_392
; %bb.384:                              ;   in Loop: Header=BB62_6 Depth=1
	s_mov_b32 s44, exec_lo
	v_cmpx_ge_u32_e64 s17, v3
	s_xor_b32 s44, exec_lo, s44
	s_cbranch_execz .LBB62_389
; %bb.385:                              ;   in Loop: Header=BB62_6 Depth=1
	ds_read_b32 v1, v8 offset:4096
	v_and_b32_e32 v28, s19, v28
	v_or_b32_e32 v36, s18, v36
	s_waitcnt lgkmcnt(0)
	v_cmp_ne_u32_e32 vcc_lo, 0, v1
	s_cbranch_vccnz .LBB62_389
; %bb.386:                              ;   in Loop: Header=BB62_6 Depth=1
	s_and_saveexec_b32 s18, s3
; %bb.387:                              ;   in Loop: Header=BB62_6 Depth=1
	v_mov_b32_e32 v1, s17
	ds_write_b32 v8, v1 offset:4100
; %bb.388:                              ;   in Loop: Header=BB62_6 Depth=1
	s_or_b32 exec_lo, exec_lo, s18
	s_waitcnt lgkmcnt(0)
	s_barrier
	buffer_gl0_inv
.LBB62_389:                             ;   in Loop: Header=BB62_6 Depth=1
	s_andn2_saveexec_b32 s18, s44
; %bb.390:                              ;   in Loop: Header=BB62_6 Depth=1
	v_subrev_nc_u32_e32 v3, s17, v3
; %bb.391:                              ;   in Loop: Header=BB62_6 Depth=1
	s_or_b32 exec_lo, exec_lo, s18
	v_mov_b32_e32 v1, 5
	v_mov_b32_e32 v2, v3
.LBB62_392:                             ;   in Loop: Header=BB62_6 Depth=1
	s_or_b32 exec_lo, exec_lo, s31
	v_mov_b32_e32 v3, v2
	s_mov_b32 s45, exec_lo
.LBB62_393:                             ;   in Loop: Header=BB62_6 Depth=1
	s_or_b32 exec_lo, exec_lo, s94
	s_orn2_b32 s31, s45, exec_lo
.LBB62_394:                             ;   in Loop: Header=BB62_6 Depth=1
	s_or_b32 exec_lo, exec_lo, s20
	v_mov_b32_e32 v2, v3
	s_andn2_b32 s17, s29, exec_lo
	s_and_b32 s18, s34, exec_lo
	s_andn2_b32 s19, s28, exec_lo
	s_and_b32 s20, s33, exec_lo
	s_or_b32 s29, s17, s18
	s_or_b32 s28, s19, s20
	s_and_b32 s34, s31, exec_lo
.LBB62_395:                             ;   in Loop: Header=BB62_6 Depth=1
	s_or_b32 exec_lo, exec_lo, s30
	s_orn2_b32 s30, s34, exec_lo
.LBB62_396:                             ;   in Loop: Header=BB62_6 Depth=1
	s_or_b32 exec_lo, exec_lo, s21
	v_mov_b32_e32 v4, v2
	s_andn2_b32 s17, s26, exec_lo
	s_and_b32 s18, s29, exec_lo
	s_andn2_b32 s19, s22, exec_lo
	s_and_b32 s20, s28, exec_lo
	s_or_b32 s26, s17, s18
	s_or_b32 s22, s19, s20
	s_and_b32 s30, s30, exec_lo
.LBB62_397:                             ;   in Loop: Header=BB62_6 Depth=1
	s_or_b32 exec_lo, exec_lo, s27
	s_orn2_b32 s27, s30, exec_lo
.LBB62_398:                             ;   in Loop: Header=BB62_6 Depth=1
	s_or_b32 exec_lo, exec_lo, s6
	s_mov_b32 s6, s24
	s_mov_b32 s17, s23
	s_and_saveexec_b32 s18, s27
; %bb.399:                              ;   in Loop: Header=BB62_6 Depth=1
	v_cmp_ne_u32_e32 vcc_lo, 5, v1
	v_cmp_eq_u32_e64 s6, 5, v1
	s_andn2_b32 s17, s23, exec_lo
	s_andn2_b32 s19, s24, exec_lo
	s_and_b32 s20, vcc_lo, exec_lo
	s_and_b32 s6, s6, exec_lo
	s_or_b32 s17, s17, s20
	s_or_b32 s6, s19, s6
; %bb.400:                              ;   in Loop: Header=BB62_6 Depth=1
	s_or_b32 exec_lo, exec_lo, s18
	s_andn2_b32 s14, s14, exec_lo
	s_and_b32 s18, s26, exec_lo
	s_andn2_b32 s16, s16, exec_lo
	s_and_b32 s19, s22, exec_lo
	s_or_b32 s14, s14, s18
	s_or_b32 s16, s16, s19
	s_andn2_b32 s18, s23, exec_lo
	s_and_b32 s17, s17, exec_lo
	s_andn2_b32 s19, s24, exec_lo
	s_and_b32 s6, s6, exec_lo
	s_or_b32 s23, s18, s17
	s_or_b32 s24, s19, s6
.LBB62_401:                             ;   in Loop: Header=BB62_6 Depth=1
	s_or_b32 exec_lo, exec_lo, s25
	s_mov_b32 s25, 0
	s_mov_b32 s26, 0
	s_and_saveexec_b32 s6, s24
.LBB62_402:                             ;   in Loop: Header=BB62_6 Depth=1
	v_mov_b32_e32 v1, 0
	s_or_b32 s23, s23, exec_lo
.LBB62_403:                             ;   in Loop: Header=BB62_6 Depth=1
	s_or_b32 exec_lo, exec_lo, s6
	s_andn2_b32 s6, s91, exec_lo
	s_and_b32 s14, s14, exec_lo
	s_andn2_b32 s18, s89, exec_lo
	s_and_b32 s16, s16, exec_lo
	v_mov_b32_e32 v38, v4
	s_or_b32 s91, s6, s14
	s_or_b32 s89, s18, s16
	s_andn2_b32 s6, s93, exec_lo
	s_and_b32 s14, s26, exec_lo
	s_andn2_b32 s16, s92, exec_lo
	s_and_b32 s18, s25, exec_lo
	s_mov_b32 s17, -1
	s_andn2_b32 s90, s90, exec_lo
	s_or_b32 s93, s6, s14
	s_or_b32 s92, s16, s18
	s_and_saveexec_b32 s6, s23
	s_xor_b32 s6, exec_lo, s6
	s_cbranch_execz .LBB62_5
; %bb.404:                              ;   in Loop: Header=BB62_6 Depth=1
	s_mov_b32 s14, -1
	s_mov_b32 s16, -1
	s_mov_b32 s17, exec_lo
	v_cmpx_eq_u32_e32 0, v1
	s_cbranch_execz .LBB62_4
; %bb.405:                              ;   in Loop: Header=BB62_6 Depth=1
	s_xor_b32 s83, s83, 1
	s_add_i32 s18, s87, -2
	s_cmp_eq_u32 s87, 0
	s_mov_b32 s87, s18
	s_cselect_b32 s14, -1, 0
	s_xor_b32 s16, exec_lo, -1
	s_orn2_b32 s14, s14, exec_lo
	s_branch .LBB62_4
.LBB62_406:
	s_or_b32 exec_lo, exec_lo, s35
	s_xor_b32 s7, s88, -1
	s_xor_b32 s12, s85, -1
	;; [unrolled: 1-line block ×5, first 2 shown]
	s_mov_b32 s9, 0
	s_and_saveexec_b32 s10, s8
	s_xor_b32 s8, exec_lo, s10
	s_cbranch_execnz .LBB62_411
; %bb.407:
	s_andn2_saveexec_b32 s0, s8
	s_cbranch_execnz .LBB62_430
.LBB62_408:
	s_or_b32 exec_lo, exec_lo, s0
	s_and_saveexec_b32 s0, s9
.LBB62_409:
	; divergent unreachable
.LBB62_410:
	s_endpgm
.LBB62_411:
	s_mov_b32 s10, 0
	s_and_saveexec_b32 s9, s11
	s_xor_b32 s9, exec_lo, s9
	s_cbranch_execz .LBB62_428
; %bb.412:
	s_mov_b32 s11, 0
	s_and_saveexec_b32 s10, s12
	s_xor_b32 s10, exec_lo, s10
	s_cbranch_execz .LBB62_426
; %bb.413:
	;; [unrolled: 5-line block ×3, first 2 shown]
	s_and_saveexec_b32 s7, s6
	s_xor_b32 s6, exec_lo, s7
; %bb.415:
	v_xor_b32_e32 v37, 0xffff8000, v28
; %bb.416:
	s_or_b32 exec_lo, exec_lo, s6
	s_and_saveexec_b32 s6, s3
; %bb.417:
	v_mov_b32_e32 v1, 0
	ds_write_b32 v1, v1 offset:4108
; %bb.418:
	s_or_b32 exec_lo, exec_lo, s6
	v_mov_b32_e32 v7, 0
	s_waitcnt lgkmcnt(0)
	s_barrier
	buffer_gl0_inv
	s_and_saveexec_b32 s3, s1
	s_cbranch_execz .LBB62_420
; %bb.419:
	global_load_ushort v7, v[5:6], off
.LBB62_420:
	s_or_b32 exec_lo, exec_lo, s3
	s_load_dwordx4 s[16:19], s[4:5], 0x15c
	s_mul_i32 s6, s64, s56
	s_add_i32 s12, s36, 31
	s_mul_i32 s3, s61, s57
	s_sub_i32 s6, s61, s6
	s_andn2_b32 s12, s12, 31
	s_sub_i32 s3, s60, s3
	s_add_i32 s7, s64, 1
	s_sub_i32 s13, s6, s56
	s_cmp_ge_u32 s6, s56
	v_cmp_gt_u32_e32 vcc_lo, s12, v0
	s_cselect_b32 s7, s7, s64
	s_cselect_b32 s6, s13, s6
	s_add_i32 s13, s7, 1
	s_cmp_ge_u32 s6, s56
	s_cselect_b32 s6, s13, s7
	s_mul_i32 s13, s62, s55
	s_mul_i32 s7, s6, s56
	s_sub_i32 s7, s61, s7
	s_waitcnt lgkmcnt(0)
	s_mul_i32 s3, s3, s18
	s_mul_i32 s7, s7, s17
	;; [unrolled: 1-line block ×3, first 2 shown]
	s_add_i32 s3, s7, s3
	s_mul_i32 s7, s63, s54
	s_add_i32 s6, s3, s6
	s_sub_i32 s7, s62, s7
	s_sub_i32 s3, s60, s13
	s_add_i32 s13, s63, 1
	s_sub_i32 s14, s7, s54
	s_cmp_ge_u32 s7, s54
	s_mul_i32 s3, s3, s42
	s_cselect_b32 s13, s13, s63
	s_cselect_b32 s7, s14, s7
	s_add_i32 s14, s13, 1
	s_cmp_ge_u32 s7, s54
	v_readlane_b32 s18, v61, 0
	s_cselect_b32 s14, s14, s13
	s_clause 0x1
	s_load_dword s13, s[4:5], 0x1c8
	s_load_dword s5, s[4:5], 0x2a8
	s_mul_i32 s7, s14, s54
	v_readlane_b32 s19, v61, 1
	s_sub_i32 s7, s62, s7
	s_mul_i32 s4, s7, s41
	s_mov_b32 s7, 0
	s_add_i32 s3, s4, s3
	s_mul_i32 s4, s14, s40
	s_lshl_b64 s[14:15], s[6:7], 1
	s_add_i32 s16, s3, s4
	s_mov_b32 s17, s7
	s_add_u32 s6, s52, s14
	s_addc_u32 s14, s53, s15
	s_lshl_b64 s[16:17], s[16:17], 3
	s_mov_b32 s4, -1
	s_add_u32 s15, s18, s16
	s_addc_u32 s16, s19, s17
	s_mov_b32 s3, 0
	s_and_saveexec_b32 s17, vcc_lo
	s_cbranch_execnz .LBB62_431
; %bb.421:
	s_or_b32 exec_lo, exec_lo, s17
	s_and_saveexec_b32 s2, s4
	s_cbranch_execnz .LBB62_446
.LBB62_422:
	s_or_b32 exec_lo, exec_lo, s2
	s_and_saveexec_b32 s0, s3
	s_xor_b32 s0, exec_lo, s0
	s_cbranch_execnz .LBB62_469
.LBB62_423:
	s_or_b32 exec_lo, exec_lo, s0
	s_and_b32 s12, s7, exec_lo
.LBB62_424:
	s_andn2_saveexec_b32 s0, s11
	s_cbranch_execnz .LBB62_471
.LBB62_425:
	s_or_b32 exec_lo, exec_lo, s0
	s_and_b32 s11, s12, exec_lo
.LBB62_426:
	s_andn2_saveexec_b32 s0, s10
	s_cbranch_execnz .LBB62_470
.LBB62_427:
	s_or_b32 exec_lo, exec_lo, s0
	s_and_b32 s10, s11, exec_lo
.LBB62_428:
	s_andn2_saveexec_b32 s0, s9
	s_cbranch_execnz .LBB62_465
.LBB62_429:
	s_or_b32 exec_lo, exec_lo, s0
	s_and_b32 s9, s10, exec_lo
	s_andn2_saveexec_b32 s0, s8
	s_cbranch_execz .LBB62_408
.LBB62_430:
	s_or_b32 s9, s9, exec_lo
	s_trap 2
	s_or_b32 exec_lo, exec_lo, s0
	s_and_saveexec_b32 s0, s9
	s_cbranch_execnz .LBB62_409
	s_branch .LBB62_410
.LBB62_431:
	v_add_nc_u32_e32 v1, s58, v0
	v_mov_b32_e32 v8, 0x8000
	v_mov_b32_e32 v2, 0
	;; [unrolled: 1-line block ×3, first 2 shown]
	s_mov_b32 s18, 0
	v_mul_lo_u32 v1, s48, v1
	v_add_nc_u32_sdwa v9, sext(v37), v8 dst_sel:DWORD dst_unused:UNUSED_PAD src0_sel:WORD_0 src1_sel:DWORD
                                        ; implicit-def: $sgpr19
                                        ; implicit-def: $vgpr11
	s_branch .LBB62_433
.LBB62_432:                             ;   in Loop: Header=BB62_433 Depth=1
	s_or_b32 exec_lo, exec_lo, s21
	s_xor_b32 s3, s20, -1
	s_and_b32 s4, exec_lo, s4
	v_mov_b32_e32 v7, v12
	s_or_b32 s18, s4, s18
	v_mov_b32_e32 v3, v10
	s_andn2_b32 s4, s19, exec_lo
	s_and_b32 s3, s3, exec_lo
	s_or_b32 s19, s4, s3
	s_andn2_b32 exec_lo, exec_lo, s18
	s_cbranch_execz .LBB62_445
.LBB62_433:                             ; =>This Inner Loop Header: Depth=1
	v_add_nc_u32_e32 v10, s58, v3
	v_mov_b32_e32 v12, 0
	s_mov_b32 s4, exec_lo
	v_cmpx_gt_u32_e64 s36, v10
	s_cbranch_execz .LBB62_435
; %bb.434:                              ;   in Loop: Header=BB62_433 Depth=1
	v_lshlrev_b64 v[12:13], 1, v[1:2]
	v_add_co_u32 v12, s3, s43, v12
	v_add_co_ci_u32_e64 v13, null, s47, v13, s3
	global_load_ushort v12, v[12:13], off
.LBB62_435:                             ;   in Loop: Header=BB62_433 Depth=1
	s_or_b32 exec_lo, exec_lo, s4
	s_waitcnt vmcnt(0)
	v_add_nc_u32_sdwa v4, sext(v7), v8 dst_sel:DWORD dst_unused:UNUSED_PAD src0_sel:WORD_0 src1_sel:DWORD
	v_cmp_gt_u32_e64 s3, v4, v9
	v_cndmask_b32_e64 v13, 0, 1, s3
	v_cmp_lt_u32_e64 s3, v4, v9
	v_cndmask_b32_e64 v4, 0, 1, s3
	v_cmp_gt_u32_e64 s3, s36, v3
	v_cndmask_b32_e64 v4, v4, v13, s2
	v_and_b32_e32 v4, 1, v4
	v_cmp_eq_u32_e64 s4, 1, v4
	s_and_b32 s21, s3, s4
	v_cndmask_b32_e64 v4, 0, 1, s21
	v_cmp_ne_u32_e64 s3, 0, v4
	s_cmp_lg_u32 s3, 0
	s_cselect_b32 s4, -1, 0
	s_and_b32 s4, s0, s4
	s_and_saveexec_b32 s20, s4
	s_cbranch_execz .LBB62_439
; %bb.436:                              ;   in Loop: Header=BB62_433 Depth=1
	s_mov_b32 s24, exec_lo
	s_bcnt1_i32_b32 s22, s3
	v_mbcnt_lo_u32_b32 v4, s24, 0
	s_mov_b32 s23, exec_lo
                                        ; implicit-def: $vgpr11
	v_cmpx_eq_u32_e32 0, v4
	s_cbranch_execz .LBB62_438
; %bb.437:                              ;   in Loop: Header=BB62_433 Depth=1
	s_bcnt1_i32_b32 s4, s24
	s_mul_i32 s4, s22, s4
	s_waitcnt lgkmcnt(0)
	v_mov_b32_e32 v11, s4
	ds_add_rtn_u32 v11, v2, v11 offset:4108
.LBB62_438:                             ;   in Loop: Header=BB62_433 Depth=1
	s_or_b32 exec_lo, exec_lo, s23
	s_waitcnt lgkmcnt(0)
	v_readfirstlane_b32 s4, v11
	v_mad_u32_u24 v11, s22, v4, s4
.LBB62_439:                             ;   in Loop: Header=BB62_433 Depth=1
	s_or_b32 exec_lo, exec_lo, s20
	s_waitcnt lgkmcnt(0)
	ds_bpermute_b32 v11, v2, v11
	s_mov_b32 s4, -1
	s_mov_b32 s22, -1
	s_and_saveexec_b32 s20, s21
	s_cbranch_execz .LBB62_443
; %bb.440:                              ;   in Loop: Header=BB62_433 Depth=1
	v_and_b32_e32 v4, s3, v17
	s_mov_b32 s21, 0
	s_mov_b32 s22, exec_lo
	s_waitcnt lgkmcnt(0)
	v_bcnt_u32_b32 v4, v4, v11
	v_cmpx_gt_u32_e64 s37, v4
; %bb.441:                              ;   in Loop: Header=BB62_433 Depth=1
	v_mul_lo_u32 v13, v4, s13
	v_mul_lo_u32 v15, v4, s5
	v_mov_b32_e32 v14, v2
	v_mov_b32_e32 v16, v2
	;; [unrolled: 1-line block ×3, first 2 shown]
	s_mov_b32 s21, exec_lo
	v_lshlrev_b64 v[13:14], 1, v[13:14]
	v_lshlrev_b64 v[15:16], 3, v[15:16]
	v_add_co_u32 v13, s3, s6, v13
	v_add_co_ci_u32_e64 v14, null, s14, v14, s3
	v_add_co_u32 v15, s3, s15, v15
	v_add_co_ci_u32_e64 v16, null, s16, v16, s3
	global_store_short v[13:14], v7, off
	global_store_dwordx2 v[15:16], v[3:4], off
; %bb.442:                              ;   in Loop: Header=BB62_433 Depth=1
	s_or_b32 exec_lo, exec_lo, s22
	s_orn2_b32 s22, s21, exec_lo
.LBB62_443:                             ;   in Loop: Header=BB62_433 Depth=1
	s_or_b32 exec_lo, exec_lo, s20
	s_mov_b32 s20, -1
	s_and_saveexec_b32 s21, s22
	s_cbranch_execz .LBB62_432
; %bb.444:                              ;   in Loop: Header=BB62_433 Depth=1
	v_cmp_le_u32_e64 s3, s12, v10
	v_add_nc_u32_e32 v1, s59, v1
	s_xor_b32 s20, exec_lo, -1
	s_orn2_b32 s4, s3, exec_lo
	s_branch .LBB62_432
.LBB62_445:
	s_or_b32 exec_lo, exec_lo, s18
	s_mov_b32 s3, exec_lo
	s_orn2_b32 s4, s19, exec_lo
	s_or_b32 exec_lo, exec_lo, s17
	s_and_saveexec_b32 s2, s4
	s_cbranch_execz .LBB62_422
.LBB62_446:
	v_mov_b32_e32 v1, 0
	s_waitcnt vmcnt(0) lgkmcnt(0)
	s_waitcnt_vscnt null, 0x0
	s_barrier
	buffer_gl0_inv
	s_and_saveexec_b32 s4, s1
	s_cbranch_execz .LBB62_448
; %bb.447:
	global_load_ushort v1, v[5:6], off
.LBB62_448:
	s_or_b32 exec_lo, exec_lo, s4
	s_mov_b32 s1, 0
	s_and_saveexec_b32 s4, vcc_lo
	s_cbranch_execz .LBB62_468
; %bb.449:
	v_add_nc_u32_e32 v2, s58, v0
	v_mov_b32_e32 v3, 0
	s_mov_b32 s7, 0
                                        ; implicit-def: $sgpr17
                                        ; implicit-def: $vgpr5
	v_mul_lo_u32 v2, s48, v2
	s_branch .LBB62_452
.LBB62_450:                             ;   in Loop: Header=BB62_452 Depth=1
	s_or_b32 exec_lo, exec_lo, s19
	s_orn2_b32 s20, s21, exec_lo
	s_orn2_b32 s18, s18, exec_lo
.LBB62_451:                             ;   in Loop: Header=BB62_452 Depth=1
	s_or_b32 exec_lo, exec_lo, s1
	s_xor_b32 s1, s20, -1
	s_and_b32 s18, exec_lo, s18
	v_mov_b32_e32 v0, v4
	s_or_b32 s7, s18, s7
	v_mov_b32_e32 v1, v6
	s_andn2_b32 s17, s17, exec_lo
	s_and_b32 s1, s1, exec_lo
	s_or_b32 s17, s17, s1
	s_andn2_b32 exec_lo, exec_lo, s7
	s_cbranch_execz .LBB62_466
.LBB62_452:                             ; =>This Inner Loop Header: Depth=1
	v_add_nc_u32_e32 v4, s58, v0
	v_mov_b32_e32 v6, 0
	s_mov_b32 s1, exec_lo
	v_cmpx_gt_u32_e64 s36, v4
	s_cbranch_execz .LBB62_454
; %bb.453:                              ;   in Loop: Header=BB62_452 Depth=1
	v_lshlrev_b64 v[6:7], 1, v[2:3]
	v_add_co_u32 v6, vcc_lo, s43, v6
	v_add_co_ci_u32_e64 v7, null, s47, v7, vcc_lo
	global_load_ushort v6, v[6:7], off
.LBB62_454:                             ;   in Loop: Header=BB62_452 Depth=1
	s_or_b32 exec_lo, exec_lo, s1
	v_cmp_gt_u32_e32 vcc_lo, s36, v0
	s_waitcnt vmcnt(0)
	v_cmp_eq_u16_e64 s1, v1, v37
	s_and_b32 s19, vcc_lo, s1
	v_cndmask_b32_e64 v1, 0, 1, s19
	v_cmp_ne_u32_e32 vcc_lo, 0, v1
	s_cmp_lg_u32 vcc_lo, 0
	s_cselect_b32 s1, -1, 0
	s_and_b32 s1, s0, s1
	s_and_saveexec_b32 s18, s1
	s_cbranch_execz .LBB62_458
; %bb.455:                              ;   in Loop: Header=BB62_452 Depth=1
	s_mov_b32 s22, exec_lo
	s_bcnt1_i32_b32 s20, vcc_lo
	v_mbcnt_lo_u32_b32 v1, s22, 0
	s_mov_b32 s21, exec_lo
                                        ; implicit-def: $vgpr5
	v_cmpx_eq_u32_e32 0, v1
; %bb.456:                              ;   in Loop: Header=BB62_452 Depth=1
	s_bcnt1_i32_b32 s1, s22
	s_mul_i32 s1, s20, s1
	v_mov_b32_e32 v5, s1
	ds_add_rtn_u32 v5, v3, v5 offset:4108
; %bb.457:                              ;   in Loop: Header=BB62_452 Depth=1
	s_or_b32 exec_lo, exec_lo, s21
	s_waitcnt lgkmcnt(0)
	v_readfirstlane_b32 s1, v5
	v_mad_u32_u24 v5, s20, v1, s1
.LBB62_458:                             ;   in Loop: Header=BB62_452 Depth=1
	s_or_b32 exec_lo, exec_lo, s18
	ds_bpermute_b32 v5, v3, v5
	s_cmp_eq_u32 vcc_lo, 0
	s_mov_b32 s18, -1
	s_cselect_b32 s20, -1, 0
	s_waitcnt lgkmcnt(0)
	v_cmp_gt_u32_e64 s1, s37, v5
	s_or_b32 s21, s20, s1
	s_mov_b32 s20, -1
	s_and_saveexec_b32 s1, s21
	s_cbranch_execz .LBB62_451
; %bb.459:                              ;   in Loop: Header=BB62_452 Depth=1
	v_and_b32_e32 v1, vcc_lo, v17
	v_sub_nc_u32_e32 v7, s37, v5
	s_mov_b32 s21, -1
	v_bcnt_u32_b32 v1, v1, 0
	v_bcnt_u32_b32 v1, 0, v1
	v_cmp_gt_u32_e32 vcc_lo, v7, v1
	s_and_b32 s22, s19, vcc_lo
	s_and_saveexec_b32 s19, s22
	s_cbranch_execz .LBB62_463
; %bb.460:                              ;   in Loop: Header=BB62_452 Depth=1
	v_add_nc_u32_e32 v1, v5, v1
	s_mov_b32 s20, 0
	s_mov_b32 s21, exec_lo
	v_cmpx_gt_u32_e64 s37, v1
; %bb.461:                              ;   in Loop: Header=BB62_452 Depth=1
	v_mul_lo_u32 v7, v1, s13
	v_mul_lo_u32 v9, v1, s5
	v_mov_b32_e32 v8, v3
	v_mov_b32_e32 v10, v3
	;; [unrolled: 1-line block ×3, first 2 shown]
	s_mov_b32 s20, exec_lo
	v_lshlrev_b64 v[7:8], 1, v[7:8]
	v_lshlrev_b64 v[9:10], 3, v[9:10]
	v_add_co_u32 v7, vcc_lo, s6, v7
	v_add_co_ci_u32_e64 v8, null, s14, v8, vcc_lo
	v_add_co_u32 v9, vcc_lo, s15, v9
	v_add_co_ci_u32_e64 v10, null, s16, v10, vcc_lo
	global_store_short v[7:8], v37, off
	global_store_dwordx2 v[9:10], v[0:1], off
; %bb.462:                              ;   in Loop: Header=BB62_452 Depth=1
	s_or_b32 exec_lo, exec_lo, s21
	s_xor_b32 s21, exec_lo, -1
	s_orn2_b32 s20, s20, exec_lo
.LBB62_463:                             ;   in Loop: Header=BB62_452 Depth=1
	s_or_b32 exec_lo, exec_lo, s19
	s_and_saveexec_b32 s19, s20
	s_cbranch_execz .LBB62_450
; %bb.464:                              ;   in Loop: Header=BB62_452 Depth=1
	v_cmp_le_u32_e32 vcc_lo, s12, v4
	v_add_nc_u32_e32 v2, s59, v2
	s_or_b32 s21, s21, exec_lo
	s_orn2_b32 s18, vcc_lo, exec_lo
	s_branch .LBB62_450
.LBB62_465:
	s_or_b32 s10, s10, exec_lo
	s_trap 2
	s_branch .LBB62_429
.LBB62_466:
	s_or_b32 exec_lo, exec_lo, s7
	s_mov_b32 s0, 0
	s_and_saveexec_b32 s1, s17
	s_xor_b32 s1, exec_lo, s1
	s_cbranch_execnz .LBB62_472
.LBB62_467:
	s_or_b32 exec_lo, exec_lo, s1
	s_and_b32 s1, s0, exec_lo
.LBB62_468:
	s_or_b32 exec_lo, exec_lo, s4
	s_and_b32 s7, s1, exec_lo
	s_andn2_b32 s3, s3, exec_lo
	s_or_b32 exec_lo, exec_lo, s2
	s_and_saveexec_b32 s0, s3
	s_xor_b32 s0, exec_lo, s0
	s_cbranch_execz .LBB62_423
.LBB62_469:
	s_or_b32 s7, s7, exec_lo
	s_trap 2
	s_branch .LBB62_423
.LBB62_470:
	s_or_b32 s11, s11, exec_lo
	s_trap 2
	s_branch .LBB62_427
.LBB62_471:
	s_or_b32 s12, s12, exec_lo
	s_trap 2
	s_branch .LBB62_425
.LBB62_472:
	s_mov_b32 s0, exec_lo
	s_trap 2
	s_branch .LBB62_467
	.section	.rodata,"a",@progbits
	.p2align	6, 0x0
	.amdhsa_kernel _ZN2at6native6sbtopk10gatherTopKIsjLi3ELb0EEEvNS_4cuda6detail10TensorInfoIKT_T0_EES8_S8_bS8_S8_NS5_IS6_S8_EES8_NS5_IlS8_EES8_PS6_
		.amdhsa_group_segment_fixed_size 4112
		.amdhsa_private_segment_fixed_size 0
		.amdhsa_kernarg_size 952
		.amdhsa_user_sgpr_count 6
		.amdhsa_user_sgpr_private_segment_buffer 1
		.amdhsa_user_sgpr_dispatch_ptr 0
		.amdhsa_user_sgpr_queue_ptr 0
		.amdhsa_user_sgpr_kernarg_segment_ptr 1
		.amdhsa_user_sgpr_dispatch_id 0
		.amdhsa_user_sgpr_flat_scratch_init 0
		.amdhsa_user_sgpr_private_segment_size 0
		.amdhsa_wavefront_size32 1
		.amdhsa_uses_dynamic_stack 0
		.amdhsa_system_sgpr_private_segment_wavefront_offset 0
		.amdhsa_system_sgpr_workgroup_id_x 1
		.amdhsa_system_sgpr_workgroup_id_y 1
		.amdhsa_system_sgpr_workgroup_id_z 1
		.amdhsa_system_sgpr_workgroup_info 0
		.amdhsa_system_vgpr_workitem_id 0
		.amdhsa_next_free_vgpr 62
		.amdhsa_next_free_sgpr 105
		.amdhsa_reserve_vcc 1
		.amdhsa_reserve_flat_scratch 0
		.amdhsa_float_round_mode_32 0
		.amdhsa_float_round_mode_16_64 0
		.amdhsa_float_denorm_mode_32 3
		.amdhsa_float_denorm_mode_16_64 3
		.amdhsa_dx10_clamp 1
		.amdhsa_ieee_mode 1
		.amdhsa_fp16_overflow 0
		.amdhsa_workgroup_processor_mode 1
		.amdhsa_memory_ordered 1
		.amdhsa_forward_progress 1
		.amdhsa_shared_vgpr_count 0
		.amdhsa_exception_fp_ieee_invalid_op 0
		.amdhsa_exception_fp_denorm_src 0
		.amdhsa_exception_fp_ieee_div_zero 0
		.amdhsa_exception_fp_ieee_overflow 0
		.amdhsa_exception_fp_ieee_underflow 0
		.amdhsa_exception_fp_ieee_inexact 0
		.amdhsa_exception_int_div_zero 0
	.end_amdhsa_kernel
	.section	.text._ZN2at6native6sbtopk10gatherTopKIsjLi3ELb0EEEvNS_4cuda6detail10TensorInfoIKT_T0_EES8_S8_bS8_S8_NS5_IS6_S8_EES8_NS5_IlS8_EES8_PS6_,"axG",@progbits,_ZN2at6native6sbtopk10gatherTopKIsjLi3ELb0EEEvNS_4cuda6detail10TensorInfoIKT_T0_EES8_S8_bS8_S8_NS5_IS6_S8_EES8_NS5_IlS8_EES8_PS6_,comdat
.Lfunc_end62:
	.size	_ZN2at6native6sbtopk10gatherTopKIsjLi3ELb0EEEvNS_4cuda6detail10TensorInfoIKT_T0_EES8_S8_bS8_S8_NS5_IS6_S8_EES8_NS5_IlS8_EES8_PS6_, .Lfunc_end62-_ZN2at6native6sbtopk10gatherTopKIsjLi3ELb0EEEvNS_4cuda6detail10TensorInfoIKT_T0_EES8_S8_bS8_S8_NS5_IS6_S8_EES8_NS5_IlS8_EES8_PS6_
                                        ; -- End function
	.set _ZN2at6native6sbtopk10gatherTopKIsjLi3ELb0EEEvNS_4cuda6detail10TensorInfoIKT_T0_EES8_S8_bS8_S8_NS5_IS6_S8_EES8_NS5_IlS8_EES8_PS6_.num_vgpr, 62
	.set _ZN2at6native6sbtopk10gatherTopKIsjLi3ELb0EEEvNS_4cuda6detail10TensorInfoIKT_T0_EES8_S8_bS8_S8_NS5_IS6_S8_EES8_NS5_IlS8_EES8_PS6_.num_agpr, 0
	.set _ZN2at6native6sbtopk10gatherTopKIsjLi3ELb0EEEvNS_4cuda6detail10TensorInfoIKT_T0_EES8_S8_bS8_S8_NS5_IS6_S8_EES8_NS5_IlS8_EES8_PS6_.numbered_sgpr, 105
	.set _ZN2at6native6sbtopk10gatherTopKIsjLi3ELb0EEEvNS_4cuda6detail10TensorInfoIKT_T0_EES8_S8_bS8_S8_NS5_IS6_S8_EES8_NS5_IlS8_EES8_PS6_.num_named_barrier, 0
	.set _ZN2at6native6sbtopk10gatherTopKIsjLi3ELb0EEEvNS_4cuda6detail10TensorInfoIKT_T0_EES8_S8_bS8_S8_NS5_IS6_S8_EES8_NS5_IlS8_EES8_PS6_.private_seg_size, 0
	.set _ZN2at6native6sbtopk10gatherTopKIsjLi3ELb0EEEvNS_4cuda6detail10TensorInfoIKT_T0_EES8_S8_bS8_S8_NS5_IS6_S8_EES8_NS5_IlS8_EES8_PS6_.uses_vcc, 1
	.set _ZN2at6native6sbtopk10gatherTopKIsjLi3ELb0EEEvNS_4cuda6detail10TensorInfoIKT_T0_EES8_S8_bS8_S8_NS5_IS6_S8_EES8_NS5_IlS8_EES8_PS6_.uses_flat_scratch, 0
	.set _ZN2at6native6sbtopk10gatherTopKIsjLi3ELb0EEEvNS_4cuda6detail10TensorInfoIKT_T0_EES8_S8_bS8_S8_NS5_IS6_S8_EES8_NS5_IlS8_EES8_PS6_.has_dyn_sized_stack, 0
	.set _ZN2at6native6sbtopk10gatherTopKIsjLi3ELb0EEEvNS_4cuda6detail10TensorInfoIKT_T0_EES8_S8_bS8_S8_NS5_IS6_S8_EES8_NS5_IlS8_EES8_PS6_.has_recursion, 0
	.set _ZN2at6native6sbtopk10gatherTopKIsjLi3ELb0EEEvNS_4cuda6detail10TensorInfoIKT_T0_EES8_S8_bS8_S8_NS5_IS6_S8_EES8_NS5_IlS8_EES8_PS6_.has_indirect_call, 0
	.section	.AMDGPU.csdata,"",@progbits
; Kernel info:
; codeLenInByte = 16528
; TotalNumSgprs: 107
; NumVgprs: 62
; ScratchSize: 0
; MemoryBound: 0
; FloatMode: 240
; IeeeMode: 1
; LDSByteSize: 4112 bytes/workgroup (compile time only)
; SGPRBlocks: 0
; VGPRBlocks: 7
; NumSGPRsForWavesPerEU: 107
; NumVGPRsForWavesPerEU: 62
; Occupancy: 16
; WaveLimiterHint : 1
; COMPUTE_PGM_RSRC2:SCRATCH_EN: 0
; COMPUTE_PGM_RSRC2:USER_SGPR: 6
; COMPUTE_PGM_RSRC2:TRAP_HANDLER: 0
; COMPUTE_PGM_RSRC2:TGID_X_EN: 1
; COMPUTE_PGM_RSRC2:TGID_Y_EN: 1
; COMPUTE_PGM_RSRC2:TGID_Z_EN: 1
; COMPUTE_PGM_RSRC2:TIDIG_COMP_CNT: 0
	.section	.text._ZN2at6native6mbtopk23computeBlockDigitCountsIsjjLin1EEEvNS_4cuda6detail10TensorInfoIKT_T0_EEjPjjS8_iijT1_PSB_Ps,"axG",@progbits,_ZN2at6native6mbtopk23computeBlockDigitCountsIsjjLin1EEEvNS_4cuda6detail10TensorInfoIKT_T0_EEjPjjS8_iijT1_PSB_Ps,comdat
	.protected	_ZN2at6native6mbtopk23computeBlockDigitCountsIsjjLin1EEEvNS_4cuda6detail10TensorInfoIKT_T0_EEjPjjS8_iijT1_PSB_Ps ; -- Begin function _ZN2at6native6mbtopk23computeBlockDigitCountsIsjjLin1EEEvNS_4cuda6detail10TensorInfoIKT_T0_EEjPjjS8_iijT1_PSB_Ps
	.globl	_ZN2at6native6mbtopk23computeBlockDigitCountsIsjjLin1EEEvNS_4cuda6detail10TensorInfoIKT_T0_EEjPjjS8_iijT1_PSB_Ps
	.p2align	8
	.type	_ZN2at6native6mbtopk23computeBlockDigitCountsIsjjLin1EEEvNS_4cuda6detail10TensorInfoIKT_T0_EEjPjjS8_iijT1_PSB_Ps,@function
_ZN2at6native6mbtopk23computeBlockDigitCountsIsjjLin1EEEvNS_4cuda6detail10TensorInfoIKT_T0_EEjPjjS8_iijT1_PSB_Ps: ; @_ZN2at6native6mbtopk23computeBlockDigitCountsIsjjLin1EEEvNS_4cuda6detail10TensorInfoIKT_T0_EEjPjjS8_iijT1_PSB_Ps
; %bb.0:
	s_clause 0x2
	s_load_dwordx2 s[10:11], s[4:5], 0xf8
	s_load_dwordx4 s[12:15], s[4:5], 0xe8
	s_load_dwordx2 s[0:1], s[4:5], 0x110
	s_waitcnt lgkmcnt(0)
	v_cvt_f32_u32_e32 v1, s10
	s_sub_i32 s3, 0, s10
	s_mul_i32 s1, s1, s8
	s_add_i32 s1, s1, s7
	v_rcp_iflag_f32_e32 v1, v1
	s_mul_i32 s16, s1, s0
	s_mov_b32 s7, 0
	s_add_i32 s16, s16, s6
	v_mul_f32_e32 v1, 0x4f7ffffe, v1
	v_cvt_u32_f32_e32 v1, v1
	v_readfirstlane_b32 s2, v1
	s_mul_i32 s3, s3, s2
	s_mul_hi_u32 s0, s2, s3
	s_add_i32 s2, s2, s0
	s_mul_hi_u32 s0, s16, s2
	s_mul_i32 s1, s0, s10
	s_add_i32 s2, s0, 1
	s_sub_i32 s1, s16, s1
	s_sub_i32 s3, s1, s10
	s_cmp_ge_u32 s1, s10
	s_cselect_b32 s0, s2, s0
	s_cselect_b32 s1, s3, s1
	s_add_i32 s2, s0, 1
	s_cmp_ge_u32 s1, s10
	s_cselect_b32 s6, s2, s0
	s_cmp_ge_u32 s6, s12
	s_cbranch_scc1 .LBB63_30
; %bb.1:
	s_clause 0x1
	s_load_dwordx4 s[0:3], s[4:5], 0x100
	s_load_dword s8, s[4:5], 0xd0
	s_lshl_b64 s[18:19], s[6:7], 2
	s_mov_b32 s17, s6
	s_waitcnt lgkmcnt(0)
	s_add_u32 s0, s0, s18
	s_addc_u32 s1, s1, s19
	s_cmp_lt_i32 s8, 2
	s_cbranch_scc1 .LBB63_4
; %bb.2:
	s_add_i32 s18, s8, -1
	s_mov_b32 s19, 0
	s_add_i32 s12, s8, 1
	s_lshl_b64 s[20:21], s[18:19], 2
	s_mov_b32 s17, s6
	s_add_u32 s7, s4, s20
	s_addc_u32 s9, s5, s21
	s_add_u32 s8, s7, 8
	s_addc_u32 s9, s9, 0
	s_mov_b32 s7, s19
	s_inst_prefetch 0x1
	.p2align	6
.LBB63_3:                               ; =>This Inner Loop Header: Depth=1
	s_clause 0x1
	s_load_dword s18, s[8:9], 0x0
	s_load_dword s19, s[8:9], 0x64
	s_mov_b32 s22, s17
	s_waitcnt lgkmcnt(0)
	v_cvt_f32_u32_e32 v1, s18
	s_sub_i32 s21, 0, s18
	v_rcp_iflag_f32_e32 v1, v1
	v_mul_f32_e32 v1, 0x4f7ffffe, v1
	v_cvt_u32_f32_e32 v1, v1
	v_readfirstlane_b32 s20, v1
	s_mul_i32 s21, s21, s20
	s_mul_hi_u32 s21, s20, s21
	s_add_i32 s20, s20, s21
	s_mul_hi_u32 s17, s17, s20
	s_mul_i32 s20, s17, s18
	s_add_i32 s21, s17, 1
	s_sub_i32 s20, s22, s20
	s_sub_i32 s23, s20, s18
	s_cmp_ge_u32 s20, s18
	s_cselect_b32 s17, s21, s17
	s_cselect_b32 s20, s23, s20
	s_add_i32 s21, s17, 1
	s_cmp_ge_u32 s20, s18
	s_cselect_b32 s17, s21, s17
	s_add_i32 s12, s12, -1
	s_mul_i32 s18, s17, s18
	s_sub_i32 s18, s22, s18
	s_mul_i32 s18, s19, s18
	s_add_i32 s7, s18, s7
	s_add_u32 s8, s8, -4
	s_addc_u32 s9, s9, -1
	s_cmp_gt_u32 s12, 2
	s_cbranch_scc1 .LBB63_3
.LBB63_4:
	s_inst_prefetch 0x2
	s_load_dword s8, s[0:1], 0x0
	v_cmp_gt_u32_e32 vcc_lo, 0x100, v0
	v_lshlrev_b32_e32 v3, 2, v0
	s_and_saveexec_b32 s0, vcc_lo
; %bb.5:
	v_mov_b32_e32 v1, 0
	ds_write_b32 v3, v1
; %bb.6:
	s_or_b32 exec_lo, exec_lo, s0
	s_load_dword s9, s[4:5], 0xd8
	s_mul_i32 s0, s6, s10
	s_waitcnt lgkmcnt(0)
	s_sub_i32 s0, s16, s0
	s_barrier
	s_mul_i32 s1, s15, s0
	s_add_i32 s6, s0, 1
	s_lshl_b32 s12, s1, 8
	buffer_gl0_inv
	s_sub_i32 s1, s9, s12
	s_add_u32 s0, s1, 0xff
	s_addc_u32 s1, 0, 0
	s_lshr_b64 s[0:1], s[0:1], 8
	s_cmp_lt_u32 s6, s10
	s_mov_b32 s1, 0
	s_cselect_b32 s10, s15, s0
	s_cmp_lt_i32 s10, 1
	s_cbranch_scc1 .LBB63_28
; %bb.7:
	s_clause 0x1
	s_load_dword s0, s[4:5], 0x6c
	s_load_dwordx2 s[4:5], s[4:5], 0x0
	s_waitcnt lgkmcnt(0)
	s_mul_i32 s0, s0, s17
	s_add_i32 s0, s0, s7
	s_lshl_b64 s[6:7], s[0:1], 1
	s_add_u32 s4, s4, s6
	s_addc_u32 s5, s5, s7
	s_and_b32 s6, s14, 0xff
	s_cmp_lt_u32 s10, 4
	s_cbranch_scc1 .LBB63_22
; %bb.8:
	v_add_nc_u32_e32 v1, s12, v0
	v_mov_b32_e32 v9, 1
	s_and_b32 s1, s10, 0x7ffffffc
	s_lshl_b32 s7, s13, 10
	s_mov_b32 s14, 0
	v_add_nc_u32_e32 v4, 0x300, v1
	v_add_nc_u32_e32 v2, 0x200, v1
	;; [unrolled: 1-line block ×3, first 2 shown]
	v_mul_lo_u32 v8, s13, v1
	s_mov_b32 s15, 0
	v_mul_lo_u32 v5, s13, v4
	v_mul_lo_u32 v6, s13, v2
	;; [unrolled: 1-line block ×3, first 2 shown]
	v_mov_b32_e32 v2, 0
	s_branch .LBB63_10
.LBB63_9:                               ;   in Loop: Header=BB63_10 Depth=1
	s_or_b32 exec_lo, exec_lo, s17
	v_add_nc_u32_e32 v4, 0x400, v4
	s_add_i32 s15, s15, 4
	s_add_i32 s14, s14, s7
	s_cmp_eq_u32 s1, s15
	s_cbranch_scc1 .LBB63_22
.LBB63_10:                              ; =>This Inner Loop Header: Depth=1
	v_add_nc_u32_e32 v1, 0xfffffd00, v4
	s_mov_b32 s17, exec_lo
	v_cmpx_gt_u32_e64 s9, v1
	s_cbranch_execz .LBB63_13
; %bb.11:                               ;   in Loop: Header=BB63_10 Depth=1
	v_add_nc_u32_e32 v1, s14, v8
	v_lshlrev_b64 v[10:11], 1, v[1:2]
	v_add_co_u32 v10, s0, s4, v10
	v_add_co_ci_u32_e64 v11, null, s5, v11, s0
	global_load_sshort v1, v[10:11], off
	s_waitcnt vmcnt(0)
	v_add_nc_u32_e32 v1, 0x8000, v1
	v_xor_b32_e32 v10, s8, v1
	v_and_b32_e32 v10, s11, v10
	v_cmp_eq_u32_e64 s0, 0, v10
	s_and_b32 exec_lo, exec_lo, s0
; %bb.12:                               ;   in Loop: Header=BB63_10 Depth=1
	v_bfe_u32 v1, v1, s6, 8
	v_lshlrev_b32_e32 v1, 2, v1
	ds_add_u32 v1, v9
.LBB63_13:                              ;   in Loop: Header=BB63_10 Depth=1
	s_or_b32 exec_lo, exec_lo, s17
	v_add_nc_u32_e32 v1, 0xfffffe00, v4
	s_mov_b32 s17, exec_lo
	v_cmpx_gt_u32_e64 s9, v1
	s_cbranch_execz .LBB63_16
; %bb.14:                               ;   in Loop: Header=BB63_10 Depth=1
	v_add_nc_u32_e32 v1, s14, v7
	v_lshlrev_b64 v[10:11], 1, v[1:2]
	v_add_co_u32 v10, s0, s4, v10
	v_add_co_ci_u32_e64 v11, null, s5, v11, s0
	global_load_sshort v1, v[10:11], off
	s_waitcnt vmcnt(0)
	v_add_nc_u32_e32 v1, 0x8000, v1
	v_xor_b32_e32 v10, s8, v1
	v_and_b32_e32 v10, s11, v10
	v_cmp_eq_u32_e64 s0, 0, v10
	s_and_b32 exec_lo, exec_lo, s0
; %bb.15:                               ;   in Loop: Header=BB63_10 Depth=1
	v_bfe_u32 v1, v1, s6, 8
	v_lshlrev_b32_e32 v1, 2, v1
	ds_add_u32 v1, v9
.LBB63_16:                              ;   in Loop: Header=BB63_10 Depth=1
	s_or_b32 exec_lo, exec_lo, s17
	;; [unrolled: 22-line block ×3, first 2 shown]
	s_mov_b32 s17, exec_lo
	v_cmpx_gt_u32_e64 s9, v4
	s_cbranch_execz .LBB63_9
; %bb.20:                               ;   in Loop: Header=BB63_10 Depth=1
	v_add_nc_u32_e32 v1, s14, v5
	v_lshlrev_b64 v[10:11], 1, v[1:2]
	v_add_co_u32 v10, s0, s4, v10
	v_add_co_ci_u32_e64 v11, null, s5, v11, s0
	global_load_sshort v1, v[10:11], off
	s_waitcnt vmcnt(0)
	v_add_nc_u32_e32 v1, 0x8000, v1
	v_xor_b32_e32 v10, s8, v1
	v_and_b32_e32 v10, s11, v10
	v_cmp_eq_u32_e64 s0, 0, v10
	s_and_b32 exec_lo, exec_lo, s0
	s_cbranch_execz .LBB63_9
; %bb.21:                               ;   in Loop: Header=BB63_10 Depth=1
	v_bfe_u32 v1, v1, s6, 8
	v_lshlrev_b32_e32 v1, 2, v1
	ds_add_u32 v1, v9
	s_branch .LBB63_9
.LBB63_22:
	s_and_b32 s7, s10, 3
	s_cmp_eq_u32 s7, 0
	s_cbranch_scc1 .LBB63_28
; %bb.23:
	s_lshl_b32 s0, s1, 8
	v_mov_b32_e32 v2, 0
	v_add3_u32 v4, s0, s12, v0
	v_mov_b32_e32 v5, 1
	s_lshl_b32 s1, s13, 8
	v_mul_lo_u32 v1, s13, v4
	s_inst_prefetch 0x1
	s_branch .LBB63_25
	.p2align	6
.LBB63_24:                              ;   in Loop: Header=BB63_25 Depth=1
	s_or_b32 exec_lo, exec_lo, s10
	v_add_nc_u32_e32 v1, s1, v1
	v_add_nc_u32_e32 v4, 0x100, v4
	s_add_i32 s7, s7, -1
	s_cmp_lg_u32 s7, 0
	s_cbranch_scc0 .LBB63_28
.LBB63_25:                              ; =>This Inner Loop Header: Depth=1
	s_mov_b32 s10, exec_lo
	v_cmpx_gt_u32_e64 s9, v4
	s_cbranch_execz .LBB63_24
; %bb.26:                               ;   in Loop: Header=BB63_25 Depth=1
	v_lshlrev_b64 v[6:7], 1, v[1:2]
	v_add_co_u32 v6, s0, s4, v6
	v_add_co_ci_u32_e64 v7, null, s5, v7, s0
	global_load_sshort v6, v[6:7], off
	s_waitcnt vmcnt(0)
	v_add_nc_u32_e32 v6, 0x8000, v6
	v_xor_b32_e32 v7, s8, v6
	v_and_b32_e32 v7, s11, v7
	v_cmp_eq_u32_e64 s0, 0, v7
	s_and_b32 exec_lo, exec_lo, s0
	s_cbranch_execz .LBB63_24
; %bb.27:                               ;   in Loop: Header=BB63_25 Depth=1
	v_bfe_u32 v6, v6, s6, 8
	v_lshlrev_b32_e32 v6, 2, v6
	ds_add_u32 v6, v5
	s_branch .LBB63_24
.LBB63_28:
	s_inst_prefetch 0x2
	s_waitcnt lgkmcnt(0)
	s_barrier
	buffer_gl0_inv
	s_and_saveexec_b32 s0, vcc_lo
	s_cbranch_execz .LBB63_30
; %bb.29:
	ds_read_b32 v2, v3
	v_lshl_or_b32 v0, s16, 8, v0
	v_mov_b32_e32 v1, 0
	v_lshlrev_b64 v[0:1], 1, v[0:1]
	v_add_co_u32 v0, vcc_lo, s2, v0
	v_add_co_ci_u32_e64 v1, null, s3, v1, vcc_lo
	s_waitcnt lgkmcnt(0)
	global_store_short v[0:1], v2, off
.LBB63_30:
	s_endpgm
	.section	.rodata,"a",@progbits
	.p2align	6, 0x0
	.amdhsa_kernel _ZN2at6native6mbtopk23computeBlockDigitCountsIsjjLin1EEEvNS_4cuda6detail10TensorInfoIKT_T0_EEjPjjS8_iijT1_PSB_Ps
		.amdhsa_group_segment_fixed_size 1024
		.amdhsa_private_segment_fixed_size 0
		.amdhsa_kernarg_size 528
		.amdhsa_user_sgpr_count 6
		.amdhsa_user_sgpr_private_segment_buffer 1
		.amdhsa_user_sgpr_dispatch_ptr 0
		.amdhsa_user_sgpr_queue_ptr 0
		.amdhsa_user_sgpr_kernarg_segment_ptr 1
		.amdhsa_user_sgpr_dispatch_id 0
		.amdhsa_user_sgpr_flat_scratch_init 0
		.amdhsa_user_sgpr_private_segment_size 0
		.amdhsa_wavefront_size32 1
		.amdhsa_uses_dynamic_stack 0
		.amdhsa_system_sgpr_private_segment_wavefront_offset 0
		.amdhsa_system_sgpr_workgroup_id_x 1
		.amdhsa_system_sgpr_workgroup_id_y 1
		.amdhsa_system_sgpr_workgroup_id_z 1
		.amdhsa_system_sgpr_workgroup_info 0
		.amdhsa_system_vgpr_workitem_id 0
		.amdhsa_next_free_vgpr 12
		.amdhsa_next_free_sgpr 24
		.amdhsa_reserve_vcc 1
		.amdhsa_reserve_flat_scratch 0
		.amdhsa_float_round_mode_32 0
		.amdhsa_float_round_mode_16_64 0
		.amdhsa_float_denorm_mode_32 3
		.amdhsa_float_denorm_mode_16_64 3
		.amdhsa_dx10_clamp 1
		.amdhsa_ieee_mode 1
		.amdhsa_fp16_overflow 0
		.amdhsa_workgroup_processor_mode 1
		.amdhsa_memory_ordered 1
		.amdhsa_forward_progress 1
		.amdhsa_shared_vgpr_count 0
		.amdhsa_exception_fp_ieee_invalid_op 0
		.amdhsa_exception_fp_denorm_src 0
		.amdhsa_exception_fp_ieee_div_zero 0
		.amdhsa_exception_fp_ieee_overflow 0
		.amdhsa_exception_fp_ieee_underflow 0
		.amdhsa_exception_fp_ieee_inexact 0
		.amdhsa_exception_int_div_zero 0
	.end_amdhsa_kernel
	.section	.text._ZN2at6native6mbtopk23computeBlockDigitCountsIsjjLin1EEEvNS_4cuda6detail10TensorInfoIKT_T0_EEjPjjS8_iijT1_PSB_Ps,"axG",@progbits,_ZN2at6native6mbtopk23computeBlockDigitCountsIsjjLin1EEEvNS_4cuda6detail10TensorInfoIKT_T0_EEjPjjS8_iijT1_PSB_Ps,comdat
.Lfunc_end63:
	.size	_ZN2at6native6mbtopk23computeBlockDigitCountsIsjjLin1EEEvNS_4cuda6detail10TensorInfoIKT_T0_EEjPjjS8_iijT1_PSB_Ps, .Lfunc_end63-_ZN2at6native6mbtopk23computeBlockDigitCountsIsjjLin1EEEvNS_4cuda6detail10TensorInfoIKT_T0_EEjPjjS8_iijT1_PSB_Ps
                                        ; -- End function
	.set _ZN2at6native6mbtopk23computeBlockDigitCountsIsjjLin1EEEvNS_4cuda6detail10TensorInfoIKT_T0_EEjPjjS8_iijT1_PSB_Ps.num_vgpr, 12
	.set _ZN2at6native6mbtopk23computeBlockDigitCountsIsjjLin1EEEvNS_4cuda6detail10TensorInfoIKT_T0_EEjPjjS8_iijT1_PSB_Ps.num_agpr, 0
	.set _ZN2at6native6mbtopk23computeBlockDigitCountsIsjjLin1EEEvNS_4cuda6detail10TensorInfoIKT_T0_EEjPjjS8_iijT1_PSB_Ps.numbered_sgpr, 24
	.set _ZN2at6native6mbtopk23computeBlockDigitCountsIsjjLin1EEEvNS_4cuda6detail10TensorInfoIKT_T0_EEjPjjS8_iijT1_PSB_Ps.num_named_barrier, 0
	.set _ZN2at6native6mbtopk23computeBlockDigitCountsIsjjLin1EEEvNS_4cuda6detail10TensorInfoIKT_T0_EEjPjjS8_iijT1_PSB_Ps.private_seg_size, 0
	.set _ZN2at6native6mbtopk23computeBlockDigitCountsIsjjLin1EEEvNS_4cuda6detail10TensorInfoIKT_T0_EEjPjjS8_iijT1_PSB_Ps.uses_vcc, 1
	.set _ZN2at6native6mbtopk23computeBlockDigitCountsIsjjLin1EEEvNS_4cuda6detail10TensorInfoIKT_T0_EEjPjjS8_iijT1_PSB_Ps.uses_flat_scratch, 0
	.set _ZN2at6native6mbtopk23computeBlockDigitCountsIsjjLin1EEEvNS_4cuda6detail10TensorInfoIKT_T0_EEjPjjS8_iijT1_PSB_Ps.has_dyn_sized_stack, 0
	.set _ZN2at6native6mbtopk23computeBlockDigitCountsIsjjLin1EEEvNS_4cuda6detail10TensorInfoIKT_T0_EEjPjjS8_iijT1_PSB_Ps.has_recursion, 0
	.set _ZN2at6native6mbtopk23computeBlockDigitCountsIsjjLin1EEEvNS_4cuda6detail10TensorInfoIKT_T0_EEjPjjS8_iijT1_PSB_Ps.has_indirect_call, 0
	.section	.AMDGPU.csdata,"",@progbits
; Kernel info:
; codeLenInByte = 1504
; TotalNumSgprs: 26
; NumVgprs: 12
; ScratchSize: 0
; MemoryBound: 0
; FloatMode: 240
; IeeeMode: 1
; LDSByteSize: 1024 bytes/workgroup (compile time only)
; SGPRBlocks: 0
; VGPRBlocks: 1
; NumSGPRsForWavesPerEU: 26
; NumVGPRsForWavesPerEU: 12
; Occupancy: 16
; WaveLimiterHint : 1
; COMPUTE_PGM_RSRC2:SCRATCH_EN: 0
; COMPUTE_PGM_RSRC2:USER_SGPR: 6
; COMPUTE_PGM_RSRC2:TRAP_HANDLER: 0
; COMPUTE_PGM_RSRC2:TGID_X_EN: 1
; COMPUTE_PGM_RSRC2:TGID_Y_EN: 1
; COMPUTE_PGM_RSRC2:TGID_Z_EN: 1
; COMPUTE_PGM_RSRC2:TIDIG_COMP_CNT: 0
	.section	.text._ZN2at6native6mbtopk10gatherTopKIsjLin1EEEvNS_4cuda6detail10TensorInfoIKT_T0_EES8_S8_bjS8_NS5_IS6_S8_EES8_NS5_IlS8_EES8_jjPS6_PjSD_j,"axG",@progbits,_ZN2at6native6mbtopk10gatherTopKIsjLin1EEEvNS_4cuda6detail10TensorInfoIKT_T0_EES8_S8_bjS8_NS5_IS6_S8_EES8_NS5_IlS8_EES8_jjPS6_PjSD_j,comdat
	.protected	_ZN2at6native6mbtopk10gatherTopKIsjLin1EEEvNS_4cuda6detail10TensorInfoIKT_T0_EES8_S8_bjS8_NS5_IS6_S8_EES8_NS5_IlS8_EES8_jjPS6_PjSD_j ; -- Begin function _ZN2at6native6mbtopk10gatherTopKIsjLin1EEEvNS_4cuda6detail10TensorInfoIKT_T0_EES8_S8_bjS8_NS5_IS6_S8_EES8_NS5_IlS8_EES8_jjPS6_PjSD_j
	.globl	_ZN2at6native6mbtopk10gatherTopKIsjLin1EEEvNS_4cuda6detail10TensorInfoIKT_T0_EES8_S8_bjS8_NS5_IS6_S8_EES8_NS5_IlS8_EES8_jjPS6_PjSD_j
	.p2align	8
	.type	_ZN2at6native6mbtopk10gatherTopKIsjLin1EEEvNS_4cuda6detail10TensorInfoIKT_T0_EES8_S8_bjS8_NS5_IS6_S8_EES8_NS5_IlS8_EES8_jjPS6_PjSD_j,@function
_ZN2at6native6mbtopk10gatherTopKIsjLin1EEEvNS_4cuda6detail10TensorInfoIKT_T0_EES8_S8_bjS8_NS5_IS6_S8_EES8_NS5_IlS8_EES8_jjPS6_PjSD_j: ; @_ZN2at6native6mbtopk10gatherTopKIsjLin1EEEvNS_4cuda6detail10TensorInfoIKT_T0_EES8_S8_bjS8_NS5_IS6_S8_EES8_NS5_IlS8_EES8_jjPS6_PjSD_j
; %bb.0:
	s_clause 0x1
	s_load_dwordx2 s[0:1], s[4:5], 0x2d8
	s_load_dword s2, s[4:5], 0x2d0
	s_waitcnt lgkmcnt(0)
	s_mul_i32 s1, s1, s8
	s_add_i32 s1, s1, s7
	s_mul_i32 s13, s1, s0
	s_add_i32 s13, s13, s6
	s_cmp_ge_u32 s13, s2
	s_cbranch_scc1 .LBB64_49
; %bb.1:
	s_clause 0x1
	s_load_dwordx4 s[8:11], s[4:5], 0x2a8
	s_load_dword s0, s[4:5], 0xd0
	s_mov_b32 s7, 0
	s_waitcnt lgkmcnt(0)
	v_cvt_f32_u32_e32 v1, s10
	s_sub_i32 s2, 0, s10
	v_rcp_iflag_f32_e32 v1, v1
	v_mul_f32_e32 v1, 0x4f7ffffe, v1
	v_cvt_u32_f32_e32 v1, v1
	v_readfirstlane_b32 s1, v1
	s_mul_i32 s2, s2, s1
	s_mul_hi_u32 s2, s1, s2
	s_add_i32 s1, s1, s2
	s_mul_hi_u32 s1, s13, s1
	s_mul_i32 s2, s1, s10
	s_add_i32 s3, s1, 1
	s_sub_i32 s2, s13, s2
	s_sub_i32 s6, s2, s10
	s_cmp_ge_u32 s2, s10
	s_cselect_b32 s1, s3, s1
	s_cselect_b32 s2, s6, s2
	s_add_i32 s3, s1, 1
	s_cmp_ge_u32 s2, s10
	s_cselect_b32 s16, s3, s1
	s_cmp_lt_i32 s0, 2
	s_mov_b32 s6, s16
	s_cbranch_scc1 .LBB64_4
; %bb.2:
	s_add_i32 s6, s0, -1
	s_add_i32 s2, s0, 1
	s_lshl_b64 s[14:15], s[6:7], 2
	s_mov_b32 s6, s16
	s_add_u32 s0, s4, s14
	s_addc_u32 s1, s5, s15
	s_add_u32 s0, s0, 8
	s_addc_u32 s1, s1, 0
	s_inst_prefetch 0x1
	.p2align	6
.LBB64_3:                               ; =>This Inner Loop Header: Depth=1
	s_clause 0x1
	s_load_dword s3, s[0:1], 0x0
	s_load_dword s11, s[0:1], 0x64
	s_mov_b32 s15, s6
	s_waitcnt lgkmcnt(0)
	v_cvt_f32_u32_e32 v1, s3
	s_sub_i32 s14, 0, s3
	v_rcp_iflag_f32_e32 v1, v1
	v_mul_f32_e32 v1, 0x4f7ffffe, v1
	v_cvt_u32_f32_e32 v1, v1
	v_readfirstlane_b32 s12, v1
	s_mul_i32 s14, s14, s12
	s_mul_hi_u32 s14, s12, s14
	s_add_i32 s12, s12, s14
	s_mul_hi_u32 s6, s6, s12
	s_mul_i32 s12, s6, s3
	s_add_i32 s14, s6, 1
	s_sub_i32 s12, s15, s12
	s_sub_i32 s17, s12, s3
	s_cmp_ge_u32 s12, s3
	s_cselect_b32 s6, s14, s6
	s_cselect_b32 s12, s17, s12
	s_add_i32 s14, s6, 1
	s_cmp_ge_u32 s12, s3
	s_cselect_b32 s6, s14, s6
	s_add_i32 s2, s2, -1
	s_mul_i32 s3, s6, s3
	s_sub_i32 s3, s15, s3
	s_mul_i32 s3, s11, s3
	s_add_i32 s7, s3, s7
	s_add_u32 s0, s0, -4
	s_addc_u32 s1, s1, -1
	s_cmp_gt_u32 s2, 2
	s_cbranch_scc1 .LBB64_3
.LBB64_4:
	s_inst_prefetch 0x2
	s_load_dword s2, s[4:5], 0x1c0
	s_add_u32 s0, s4, 0xf0
	s_addc_u32 s1, s5, 0
	s_mov_b32 s19, 0
	s_mov_b32 s11, s16
	s_waitcnt lgkmcnt(0)
	s_cmp_lt_i32 s2, 2
	s_cbranch_scc1 .LBB64_7
; %bb.5:
	s_add_i32 s18, s2, -1
	s_add_i32 s12, s2, 1
	s_lshl_b64 s[14:15], s[18:19], 2
	s_mov_b32 s11, s16
	s_add_u32 s2, s0, s14
	s_addc_u32 s3, s1, s15
	s_add_u32 s2, s2, 8
	s_addc_u32 s3, s3, 0
	s_inst_prefetch 0x1
	.p2align	6
.LBB64_6:                               ; =>This Inner Loop Header: Depth=1
	s_clause 0x1
	s_load_dword s14, s[2:3], 0x0
	s_load_dword s15, s[2:3], 0x64
	s_mov_b32 s20, s11
	s_waitcnt lgkmcnt(0)
	v_cvt_f32_u32_e32 v1, s14
	s_sub_i32 s18, 0, s14
	v_rcp_iflag_f32_e32 v1, v1
	v_mul_f32_e32 v1, 0x4f7ffffe, v1
	v_cvt_u32_f32_e32 v1, v1
	v_readfirstlane_b32 s17, v1
	s_mul_i32 s18, s18, s17
	s_mul_hi_u32 s18, s17, s18
	s_add_i32 s17, s17, s18
	s_mul_hi_u32 s11, s11, s17
	s_mul_i32 s17, s11, s14
	s_add_i32 s18, s11, 1
	s_sub_i32 s17, s20, s17
	s_sub_i32 s21, s17, s14
	s_cmp_ge_u32 s17, s14
	s_cselect_b32 s11, s18, s11
	s_cselect_b32 s17, s21, s17
	s_add_i32 s18, s11, 1
	s_cmp_ge_u32 s17, s14
	s_cselect_b32 s11, s18, s11
	s_add_i32 s12, s12, -1
	s_mul_i32 s14, s11, s14
	s_sub_i32 s14, s20, s14
	s_mul_i32 s14, s15, s14
	s_add_i32 s19, s14, s19
	s_add_u32 s2, s2, -4
	s_addc_u32 s3, s3, -1
	s_cmp_gt_u32 s12, 2
	s_cbranch_scc1 .LBB64_6
.LBB64_7:
	s_inst_prefetch 0x2
	s_clause 0x1
	s_load_dword s18, s[4:5], 0x6c
	s_load_dword s2, s[4:5], 0x2a0
	s_add_u32 s3, s4, 0x1d0
	s_addc_u32 s14, s5, 0
	s_mov_b32 s21, 0
	s_mov_b32 s20, s16
	s_waitcnt lgkmcnt(0)
	s_cmp_lt_i32 s2, 2
	s_cbranch_scc1 .LBB64_10
; %bb.8:
	s_add_i32 s20, s2, -1
	s_add_i32 s12, s2, 1
	s_lshl_b64 s[22:23], s[20:21], 2
	s_mov_b32 s20, s16
	s_add_u32 s2, s3, s22
	s_addc_u32 s3, s14, s23
	s_add_u32 s2, s2, 8
	s_addc_u32 s3, s3, 0
	s_inst_prefetch 0x1
	.p2align	6
.LBB64_9:                               ; =>This Inner Loop Header: Depth=1
	s_clause 0x1
	s_load_dword s14, s[2:3], 0x0
	s_load_dword s15, s[2:3], 0x64
	s_mov_b32 s23, s20
	s_waitcnt lgkmcnt(0)
	v_cvt_f32_u32_e32 v1, s14
	s_sub_i32 s22, 0, s14
	v_rcp_iflag_f32_e32 v1, v1
	v_mul_f32_e32 v1, 0x4f7ffffe, v1
	v_cvt_u32_f32_e32 v1, v1
	v_readfirstlane_b32 s17, v1
	s_mul_i32 s22, s22, s17
	s_mul_hi_u32 s22, s17, s22
	s_add_i32 s17, s17, s22
	s_mul_hi_u32 s17, s20, s17
	s_mul_i32 s20, s17, s14
	s_add_i32 s22, s17, 1
	s_sub_i32 s20, s23, s20
	s_sub_i32 s24, s20, s14
	s_cmp_ge_u32 s20, s14
	s_cselect_b32 s17, s22, s17
	s_cselect_b32 s20, s24, s20
	s_add_i32 s22, s17, 1
	s_cmp_ge_u32 s20, s14
	s_cselect_b32 s20, s22, s17
	s_add_i32 s12, s12, -1
	s_mul_i32 s14, s20, s14
	s_sub_i32 s14, s23, s14
	s_mul_i32 s14, s15, s14
	s_add_i32 s21, s14, s21
	s_add_u32 s2, s2, -4
	s_addc_u32 s3, s3, -1
	s_cmp_gt_u32 s12, 2
	s_cbranch_scc1 .LBB64_9
.LBB64_10:
	s_inst_prefetch 0x2
	s_clause 0x1
	s_load_dword s33, s[0:1], 0x6c
	s_load_dwordx4 s[0:3], s[4:5], 0x2b8
	s_mov_b32 s17, 0
	s_mul_i32 s12, s16, s10
	s_lshl_b64 s[14:15], s[16:17], 1
	v_mov_b32_e32 v1, 0
	s_sub_i32 s16, s13, s12
	s_waitcnt lgkmcnt(0)
	s_add_u32 s0, s0, s14
	s_addc_u32 s1, s1, s15
	global_load_ushort v6, v1, s[0:1]
	s_clause 0x2
	s_load_dwordx2 s[26:27], s[4:5], 0x0
	s_load_dwordx2 s[24:25], s[4:5], 0xf0
	;; [unrolled: 1-line block ×3, first 2 shown]
	v_cmp_ne_u32_e64 s0, 0, v0
	v_cmp_eq_u32_e64 s1, 0, v0
	s_and_saveexec_b32 s36, s1
	s_cbranch_execz .LBB64_26
; %bb.11:
	s_load_dwordx2 s[28:29], s[4:5], 0x2c8
	s_mov_b32 s13, s17
	s_mov_b32 s37, 0
	s_lshl_b64 s[30:31], s[12:13], 2
	s_mov_b32 s38, 0
	s_add_u32 s12, s2, s30
	s_addc_u32 s13, s3, s31
	s_waitcnt lgkmcnt(0)
	s_add_u32 s14, s28, s30
	s_addc_u32 s15, s29, s31
	s_cmp_lt_u32 s10, 4
	s_cbranch_scc1 .LBB64_23
; %bb.12:
	s_mov_b32 s39, 0
.LBB64_13:                              ; =>This Inner Loop Header: Depth=1
	s_add_u32 s12, s2, s30
	s_addc_u32 s13, s3, s31
	s_add_u32 s34, s28, s30
	s_load_dwordx4 s[12:15], s[12:13], 0x0
	s_addc_u32 s35, s29, s31
	s_cmp_ge_u32 s39, s16
	s_cbranch_scc0 .LBB64_20
; %bb.14:                               ;   in Loop: Header=BB64_13 Depth=1
	s_add_i32 s40, s39, 1
	s_cmp_ge_u32 s40, s16
	s_cbranch_scc0 .LBB64_21
.LBB64_15:                              ;   in Loop: Header=BB64_13 Depth=1
	s_add_i32 s40, s40, 1
	s_cmp_ge_u32 s40, s16
	s_cbranch_scc0 .LBB64_22
.LBB64_16:                              ;   in Loop: Header=BB64_13 Depth=1
	s_add_i32 s40, s40, 1
	s_cmp_ge_u32 s40, s16
	s_cbranch_scc1 .LBB64_18
.LBB64_17:                              ;   in Loop: Header=BB64_13 Depth=1
	s_load_dword s34, s[34:35], 0xc
	s_waitcnt lgkmcnt(0)
	s_add_i32 s17, s17, s15
	s_add_i32 s37, s34, s37
.LBB64_18:                              ;   in Loop: Header=BB64_13 Depth=1
	s_waitcnt lgkmcnt(0)
	s_add_i32 s12, s12, s38
	s_add_i32 s12, s12, s13
	;; [unrolled: 1-line block ×4, first 2 shown]
	s_add_u32 s2, s2, 16
	s_addc_u32 s3, s3, 0
	s_add_u32 s28, s28, 16
	s_addc_u32 s29, s29, 0
	s_add_i32 s35, s40, 4
	s_add_u32 s14, s28, s30
	s_addc_u32 s15, s29, s31
	s_add_u32 s12, s2, s30
	s_addc_u32 s13, s3, s31
	s_add_i32 s34, s40, 1
	s_cmp_ge_u32 s35, s10
	s_cbranch_scc1 .LBB64_24
; %bb.19:                               ;   in Loop: Header=BB64_13 Depth=1
	s_mov_b32 s39, s34
	s_branch .LBB64_13
.LBB64_20:                              ;   in Loop: Header=BB64_13 Depth=1
	s_load_dword s40, s[34:35], 0x0
	s_waitcnt lgkmcnt(0)
	s_add_i32 s17, s12, s17
	s_add_i32 s37, s40, s37
	;; [unrolled: 1-line block ×3, first 2 shown]
	s_cmp_ge_u32 s40, s16
	s_cbranch_scc1 .LBB64_15
.LBB64_21:                              ;   in Loop: Header=BB64_13 Depth=1
	s_load_dword s41, s[34:35], 0x4
	s_waitcnt lgkmcnt(0)
	s_add_i32 s17, s17, s13
	s_add_i32 s37, s41, s37
	;; [unrolled: 1-line block ×3, first 2 shown]
	s_cmp_ge_u32 s40, s16
	s_cbranch_scc1 .LBB64_16
.LBB64_22:                              ;   in Loop: Header=BB64_13 Depth=1
	s_load_dword s41, s[34:35], 0x8
	s_waitcnt lgkmcnt(0)
	s_add_i32 s17, s17, s14
	s_add_i32 s37, s41, s37
	;; [unrolled: 1-line block ×3, first 2 shown]
	s_cmp_ge_u32 s40, s16
	s_cbranch_scc0 .LBB64_17
	s_branch .LBB64_18
.LBB64_23:
	s_mov_b32 s2, 0
	s_cmp_ge_u32 s2, s10
	s_cbranch_scc0 .LBB64_47
	s_branch .LBB64_25
.LBB64_24:
	s_add_i32 s2, s39, 4
	s_cmp_ge_u32 s2, s10
	s_cbranch_scc0 .LBB64_47
.LBB64_25:
	v_mov_b32_e32 v1, s37
	v_mov_b32_e32 v2, s38
	;; [unrolled: 1-line block ×4, first 2 shown]
	ds_write_b96 v4, v[1:3] offset:1056
.LBB64_26:
	s_or_b32 exec_lo, exec_lo, s36
	s_clause 0x1
	s_load_dword s28, s[4:5], 0x23c
	s_load_dwordx4 s[12:15], s[4:5], 0xd8
	s_mul_i32 s2, s9, s16
	s_add_i32 s16, s16, 1
	s_lshl_b32 s17, s2, 8
	s_waitcnt vmcnt(0) lgkmcnt(0)
	s_barrier
	buffer_gl0_inv
	s_sub_i32 s2, s12, s17
	s_add_u32 s2, s2, 0xff
	s_addc_u32 s3, 0, 0
	s_lshr_b64 s[2:3], s[2:3], 8
	s_cmp_lt_u32 s16, s10
	s_mov_b32 s3, 0
	s_cselect_b32 s9, s9, s2
	s_cmp_eq_u32 s9, 0
	s_cbranch_scc1 .LBB64_49
; %bb.27:
	v_mov_b32_e32 v5, 0
	s_mul_i32 s6, s18, s6
	s_load_dword s18, s[4:5], 0xe8
	v_lshrrev_b32_e32 v4, 3, v0
	v_add_nc_u32_e32 v12, -1, v0
	ds_read_b96 v[1:3], v5 offset:1056
	s_mul_i32 s2, s33, s11
	s_load_dword s4, s[4:5], 0x1c8
	s_add_i32 s10, s2, s19
	s_add_i32 s2, s6, s7
	v_and_b32_e32 v4, 28, v4
	v_lshrrev_b32_e32 v11, 3, v12
	s_mul_i32 s11, s28, s20
	s_lshl_b64 s[6:7], s[2:3], 1
	s_add_i32 s2, s11, s21
	s_mov_b32 s11, s3
	s_add_u32 s6, s26, s6
	s_addc_u32 s7, s27, s7
	s_lshl_b64 s[10:11], s[10:11], 1
	v_lshl_add_u32 v10, v0, 2, v4
	v_and_b32_e32 v4, 0x1ffffffc, v11
	s_add_u32 s10, s24, s10
	s_addc_u32 s11, s25, s11
	s_lshl_b64 s[2:3], s[2:3], 3
	v_mov_b32_e32 v7, 0x8000
	s_waitcnt lgkmcnt(0)
	v_add_nc_u32_e32 v9, v1, v2
	v_add_nc_u32_e32 v1, s17, v0
	v_and_b32_e32 v2, 0xfc, v0
	v_lshlrev_b32_e32 v13, 5, v0
	v_mbcnt_lo_u32_b32 v11, -1, 0
	s_add_u32 s15, s22, s2
	v_cmp_gt_u32_e64 s2, 32, v0
	v_lshl_add_u32 v0, v12, 2, v4
	v_mul_lo_u32 v4, s18, v1
	s_addc_u32 s16, s23, s3
	v_add_nc_u32_sdwa v8, sext(v6), v7 dst_sel:DWORD dst_unused:UNUSED_PAD src0_sel:WORD_0 src1_sel:DWORD
	v_add_nc_u32_e32 v12, v2, v13
	v_and_b32_e32 v13, 15, v11
	v_bfe_i32 v14, v11, 4, 1
	v_add_nc_u32_e32 v15, -1, v11
	s_bitcmp1_b32 s14, 0
                                        ; implicit-def: $vgpr16
	s_cselect_b32 s3, -1, 0
	s_lshl_b32 s5, s18, 8
	s_branch .LBB64_30
.LBB64_28:                              ;   in Loop: Header=BB64_30 Depth=1
	s_or_b32 exec_lo, exec_lo, s14
	v_add_nc_u32_e32 v9, v19, v9
.LBB64_29:                              ;   in Loop: Header=BB64_30 Depth=1
	v_add_nc_u32_e32 v3, v18, v3
	v_add_nc_u32_e32 v4, s5, v4
	;; [unrolled: 1-line block ×3, first 2 shown]
	s_add_i32 s9, s9, -1
	s_cmp_lg_u32 s9, 0
	s_cbranch_scc0 .LBB64_49
.LBB64_30:                              ; =>This Inner Loop Header: Depth=1
	v_mov_b32_e32 v2, 0
	v_mov_b32_e32 v17, 0
	s_mov_b32 s14, exec_lo
	v_cmpx_gt_u32_e64 s12, v1
	s_cbranch_execz .LBB64_32
; %bb.31:                               ;   in Loop: Header=BB64_30 Depth=1
	v_lshlrev_b64 v[16:17], 1, v[4:5]
	v_add_co_u32 v16, vcc_lo, s6, v16
	v_add_co_ci_u32_e64 v17, null, s7, v17, vcc_lo
	global_load_ushort v16, v[16:17], off
	s_waitcnt vmcnt(0)
	v_add_nc_u32_sdwa v2, sext(v16), v7 dst_sel:DWORD dst_unused:UNUSED_PAD src0_sel:WORD_0 src1_sel:DWORD
	v_cmp_gt_u32_e32 vcc_lo, v2, v8
	v_cndmask_b32_e64 v17, 0, 1, vcc_lo
	v_cmp_lt_u32_e32 vcc_lo, v2, v8
	v_cndmask_b32_e64 v2, 0, 1, vcc_lo
	v_cmp_eq_u16_e32 vcc_lo, v16, v6
	v_cndmask_b32_e64 v2, v2, v17, s3
	v_cndmask_b32_e64 v17, 0, 1, vcc_lo
	v_and_b32_e32 v2, 1, v2
.LBB64_32:                              ;   in Loop: Header=BB64_30 Depth=1
	s_or_b32 exec_lo, exec_lo, s14
	ds_write_b32 v10, v2
	s_waitcnt lgkmcnt(0)
	s_barrier
	buffer_gl0_inv
	s_and_saveexec_b32 s14, s2
	s_cbranch_execz .LBB64_34
; %bb.33:                               ;   in Loop: Header=BB64_30 Depth=1
	ds_read2_b32 v[18:19], v12 offset1:1
	ds_read2_b32 v[20:21], v12 offset0:2 offset1:3
	ds_read2_b32 v[22:23], v12 offset0:4 offset1:5
	;; [unrolled: 1-line block ×3, first 2 shown]
	v_cmp_ne_u32_e32 vcc_lo, 0, v13
	; wave barrier
	s_waitcnt lgkmcnt(3)
	v_add_nc_u32_e32 v19, v19, v18
	s_waitcnt lgkmcnt(2)
	v_add3_u32 v19, v19, v20, v21
	s_waitcnt lgkmcnt(1)
	v_add3_u32 v19, v19, v22, v23
	;; [unrolled: 2-line block ×3, first 2 shown]
	v_mov_b32_dpp v20, v19 row_shr:1 row_mask:0xf bank_mask:0xf
	v_cndmask_b32_e32 v20, 0, v20, vcc_lo
	v_cmp_lt_u32_e32 vcc_lo, 1, v13
	v_add_nc_u32_e32 v19, v20, v19
	v_mov_b32_dpp v20, v19 row_shr:2 row_mask:0xf bank_mask:0xf
	v_cndmask_b32_e32 v20, 0, v20, vcc_lo
	v_cmp_lt_u32_e32 vcc_lo, 3, v13
	v_add_nc_u32_e32 v19, v19, v20
	;; [unrolled: 4-line block ×3, first 2 shown]
	v_mov_b32_dpp v20, v19 row_shr:8 row_mask:0xf bank_mask:0xf
	v_cndmask_b32_e32 v20, 0, v20, vcc_lo
	v_cmp_gt_i32_e32 vcc_lo, 0, v15
	v_add_nc_u32_e32 v19, v19, v20
	v_cndmask_b32_e32 v21, v15, v11, vcc_lo
	ds_swizzle_b32 v20, v19 offset:swizzle(BROADCAST,32,15)
	v_lshlrev_b32_e32 v21, 2, v21
	s_waitcnt lgkmcnt(0)
	v_and_b32_e32 v20, v14, v20
	v_add_nc_u32_e32 v19, v19, v20
	ds_bpermute_b32 v19, v21, v19
	s_waitcnt lgkmcnt(0)
	v_add_nc_u32_e32 v18, v19, v18
	v_cndmask_b32_e64 v24, v18, v2, s1
	ds_write_b32 v12, v24
	; wave barrier
	ds_read2_b32 v[18:19], v12 offset0:1 offset1:2
	ds_read2_b32 v[20:21], v12 offset0:3 offset1:4
	;; [unrolled: 1-line block ×3, first 2 shown]
	ds_read_b32 v25, v12 offset:28
	s_waitcnt lgkmcnt(3)
	v_add_nc_u32_e32 v18, v18, v24
	v_add_nc_u32_e32 v19, v19, v18
	s_waitcnt lgkmcnt(2)
	v_add_nc_u32_e32 v20, v20, v19
	v_add_nc_u32_e32 v21, v21, v20
	;; [unrolled: 3-line block ×3, first 2 shown]
	s_waitcnt lgkmcnt(0)
	v_add_nc_u32_e32 v24, v25, v23
	ds_write2_b32 v12, v18, v19 offset0:1 offset1:2
	ds_write2_b32 v12, v20, v21 offset0:3 offset1:4
	;; [unrolled: 1-line block ×3, first 2 shown]
	ds_write_b32 v12, v24 offset:28
.LBB64_34:                              ;   in Loop: Header=BB64_30 Depth=1
	s_or_b32 exec_lo, exec_lo, s14
	v_mov_b32_e32 v19, 0
	s_waitcnt lgkmcnt(0)
	s_barrier
	buffer_gl0_inv
	s_and_saveexec_b32 s14, s0
; %bb.35:                               ;   in Loop: Header=BB64_30 Depth=1
	ds_read_b32 v19, v0
; %bb.36:                               ;   in Loop: Header=BB64_30 Depth=1
	s_or_b32 exec_lo, exec_lo, s14
	ds_read_b32 v18, v5 offset:1048
	s_mov_b32 s14, exec_lo
	s_waitcnt lgkmcnt(0)
	s_barrier
	buffer_gl0_inv
	v_cmpx_ne_u32_e32 0, v2
	s_cbranch_execz .LBB64_38
; %bb.37:                               ;   in Loop: Header=BB64_30 Depth=1
	v_add_nc_u32_e32 v2, v19, v3
	v_mov_b32_e32 v20, v5
	v_mov_b32_e32 v22, v5
	v_mul_lo_u32 v19, v2, s4
	v_mul_lo_u32 v21, v2, s8
	v_mov_b32_e32 v2, v5
	v_lshlrev_b64 v[19:20], 1, v[19:20]
	v_lshlrev_b64 v[21:22], 3, v[21:22]
	v_add_co_u32 v19, vcc_lo, s10, v19
	v_add_co_ci_u32_e64 v20, null, s11, v20, vcc_lo
	v_add_co_u32 v21, vcc_lo, s15, v21
	v_add_co_ci_u32_e64 v22, null, s16, v22, vcc_lo
	global_store_short v[19:20], v16, off
	global_store_dwordx2 v[21:22], v[1:2], off
.LBB64_38:                              ;   in Loop: Header=BB64_30 Depth=1
	s_or_b32 exec_lo, exec_lo, s14
	v_cmp_le_u32_e32 vcc_lo, s13, v9
	s_cbranch_vccnz .LBB64_29
; %bb.39:                               ;   in Loop: Header=BB64_30 Depth=1
	ds_write_b32 v10, v17
	s_waitcnt lgkmcnt(0)
	s_waitcnt_vscnt null, 0x0
	s_barrier
	buffer_gl0_inv
	s_and_saveexec_b32 s14, s2
	s_cbranch_execz .LBB64_41
; %bb.40:                               ;   in Loop: Header=BB64_30 Depth=1
	ds_read2_b32 v[19:20], v12 offset1:1
	ds_read2_b32 v[21:22], v12 offset0:2 offset1:3
	ds_read2_b32 v[23:24], v12 offset0:4 offset1:5
	;; [unrolled: 1-line block ×3, first 2 shown]
	v_cmp_ne_u32_e32 vcc_lo, 0, v13
	; wave barrier
	s_waitcnt lgkmcnt(3)
	v_add_nc_u32_e32 v2, v20, v19
	s_waitcnt lgkmcnt(2)
	v_add3_u32 v2, v2, v21, v22
	s_waitcnt lgkmcnt(1)
	v_add3_u32 v2, v2, v23, v24
	;; [unrolled: 2-line block ×3, first 2 shown]
	v_mov_b32_dpp v20, v2 row_shr:1 row_mask:0xf bank_mask:0xf
	v_cndmask_b32_e32 v20, 0, v20, vcc_lo
	v_cmp_lt_u32_e32 vcc_lo, 1, v13
	v_add_nc_u32_e32 v2, v20, v2
	v_mov_b32_dpp v20, v2 row_shr:2 row_mask:0xf bank_mask:0xf
	v_cndmask_b32_e32 v20, 0, v20, vcc_lo
	v_cmp_lt_u32_e32 vcc_lo, 3, v13
	v_add_nc_u32_e32 v2, v2, v20
	;; [unrolled: 4-line block ×3, first 2 shown]
	v_mov_b32_dpp v20, v2 row_shr:8 row_mask:0xf bank_mask:0xf
	v_cndmask_b32_e32 v20, 0, v20, vcc_lo
	v_cmp_gt_i32_e32 vcc_lo, 0, v15
	v_add_nc_u32_e32 v2, v2, v20
	v_cndmask_b32_e32 v21, v15, v11, vcc_lo
	ds_swizzle_b32 v20, v2 offset:swizzle(BROADCAST,32,15)
	v_lshlrev_b32_e32 v21, 2, v21
	s_waitcnt lgkmcnt(0)
	v_and_b32_e32 v20, v14, v20
	v_add_nc_u32_e32 v2, v2, v20
	ds_bpermute_b32 v2, v21, v2
	s_waitcnt lgkmcnt(0)
	v_add_nc_u32_e32 v2, v2, v19
	v_cndmask_b32_e64 v2, v2, v17, s1
	ds_write_b32 v12, v2
	; wave barrier
	ds_read2_b32 v[19:20], v12 offset0:1 offset1:2
	ds_read2_b32 v[21:22], v12 offset0:3 offset1:4
	;; [unrolled: 1-line block ×3, first 2 shown]
	ds_read_b32 v25, v12 offset:28
	s_waitcnt lgkmcnt(3)
	v_add_nc_u32_e32 v2, v19, v2
	v_add_nc_u32_e32 v19, v20, v2
	s_waitcnt lgkmcnt(2)
	v_add_nc_u32_e32 v20, v21, v19
	v_add_nc_u32_e32 v21, v22, v20
	;; [unrolled: 3-line block ×3, first 2 shown]
	s_waitcnt lgkmcnt(0)
	v_add_nc_u32_e32 v24, v25, v23
	ds_write2_b32 v12, v2, v19 offset0:1 offset1:2
	ds_write2_b32 v12, v20, v21 offset0:3 offset1:4
	ds_write2_b32 v12, v22, v23 offset0:5 offset1:6
	ds_write_b32 v12, v24 offset:28
.LBB64_41:                              ;   in Loop: Header=BB64_30 Depth=1
	s_or_b32 exec_lo, exec_lo, s14
	v_mov_b32_e32 v2, 0
	s_waitcnt lgkmcnt(0)
	s_barrier
	buffer_gl0_inv
	s_and_saveexec_b32 s14, s0
; %bb.42:                               ;   in Loop: Header=BB64_30 Depth=1
	ds_read_b32 v2, v0
; %bb.43:                               ;   in Loop: Header=BB64_30 Depth=1
	s_or_b32 exec_lo, exec_lo, s14
	ds_read_b32 v19, v5 offset:1048
	s_mov_b32 s14, exec_lo
	s_waitcnt lgkmcnt(0)
	s_barrier
	buffer_gl0_inv
	v_cmpx_ne_u32_e32 0, v17
	s_cbranch_execz .LBB64_28
; %bb.44:                               ;   in Loop: Header=BB64_30 Depth=1
	v_add_nc_u32_e32 v2, v2, v9
	v_cmp_gt_u32_e32 vcc_lo, s13, v2
	s_and_b32 exec_lo, exec_lo, vcc_lo
	s_cbranch_execz .LBB64_28
; %bb.45:                               ;   in Loop: Header=BB64_30 Depth=1
	v_mul_lo_u32 v20, v2, s4
	v_mul_lo_u32 v22, v2, s8
	v_mov_b32_e32 v21, v5
	v_mov_b32_e32 v23, v5
	;; [unrolled: 1-line block ×3, first 2 shown]
	v_lshlrev_b64 v[20:21], 1, v[20:21]
	v_lshlrev_b64 v[22:23], 3, v[22:23]
	v_add_co_u32 v20, vcc_lo, s10, v20
	v_add_co_ci_u32_e64 v21, null, s11, v21, vcc_lo
	v_add_co_u32 v22, vcc_lo, s15, v22
	v_add_co_ci_u32_e64 v23, null, s16, v23, vcc_lo
	global_store_short v[20:21], v16, off
	global_store_dwordx2 v[22:23], v[1:2], off
	s_branch .LBB64_28
	.p2align	6
.LBB64_46:                              ;   in Loop: Header=BB64_47 Depth=1
	s_add_u32 s12, s12, 4
	s_addc_u32 s13, s13, 0
	s_waitcnt lgkmcnt(0)
	s_add_i32 s38, s3, s38
	s_add_u32 s14, s14, 4
	s_addc_u32 s15, s15, 0
	s_add_i32 s2, s2, 1
	s_cmp_lt_u32 s2, s10
	s_cbranch_scc0 .LBB64_25
.LBB64_47:                              ; =>This Inner Loop Header: Depth=1
	s_load_dword s3, s[12:13], 0x0
	s_cmp_ge_u32 s2, s16
	s_cbranch_scc1 .LBB64_46
; %bb.48:                               ;   in Loop: Header=BB64_47 Depth=1
	s_load_dword s28, s[14:15], 0x0
	s_waitcnt lgkmcnt(0)
	s_add_i32 s17, s3, s17
	s_add_i32 s37, s28, s37
	s_branch .LBB64_46
.LBB64_49:
	s_endpgm
	.section	.rodata,"a",@progbits
	.p2align	6, 0x0
	.amdhsa_kernel _ZN2at6native6mbtopk10gatherTopKIsjLin1EEEvNS_4cuda6detail10TensorInfoIKT_T0_EES8_S8_bjS8_NS5_IS6_S8_EES8_NS5_IlS8_EES8_jjPS6_PjSD_j
		.amdhsa_group_segment_fixed_size 1068
		.amdhsa_private_segment_fixed_size 0
		.amdhsa_kernarg_size 984
		.amdhsa_user_sgpr_count 6
		.amdhsa_user_sgpr_private_segment_buffer 1
		.amdhsa_user_sgpr_dispatch_ptr 0
		.amdhsa_user_sgpr_queue_ptr 0
		.amdhsa_user_sgpr_kernarg_segment_ptr 1
		.amdhsa_user_sgpr_dispatch_id 0
		.amdhsa_user_sgpr_flat_scratch_init 0
		.amdhsa_user_sgpr_private_segment_size 0
		.amdhsa_wavefront_size32 1
		.amdhsa_uses_dynamic_stack 0
		.amdhsa_system_sgpr_private_segment_wavefront_offset 0
		.amdhsa_system_sgpr_workgroup_id_x 1
		.amdhsa_system_sgpr_workgroup_id_y 1
		.amdhsa_system_sgpr_workgroup_id_z 1
		.amdhsa_system_sgpr_workgroup_info 0
		.amdhsa_system_vgpr_workitem_id 0
		.amdhsa_next_free_vgpr 27
		.amdhsa_next_free_sgpr 42
		.amdhsa_reserve_vcc 1
		.amdhsa_reserve_flat_scratch 0
		.amdhsa_float_round_mode_32 0
		.amdhsa_float_round_mode_16_64 0
		.amdhsa_float_denorm_mode_32 3
		.amdhsa_float_denorm_mode_16_64 3
		.amdhsa_dx10_clamp 1
		.amdhsa_ieee_mode 1
		.amdhsa_fp16_overflow 0
		.amdhsa_workgroup_processor_mode 1
		.amdhsa_memory_ordered 1
		.amdhsa_forward_progress 1
		.amdhsa_shared_vgpr_count 0
		.amdhsa_exception_fp_ieee_invalid_op 0
		.amdhsa_exception_fp_denorm_src 0
		.amdhsa_exception_fp_ieee_div_zero 0
		.amdhsa_exception_fp_ieee_overflow 0
		.amdhsa_exception_fp_ieee_underflow 0
		.amdhsa_exception_fp_ieee_inexact 0
		.amdhsa_exception_int_div_zero 0
	.end_amdhsa_kernel
	.section	.text._ZN2at6native6mbtopk10gatherTopKIsjLin1EEEvNS_4cuda6detail10TensorInfoIKT_T0_EES8_S8_bjS8_NS5_IS6_S8_EES8_NS5_IlS8_EES8_jjPS6_PjSD_j,"axG",@progbits,_ZN2at6native6mbtopk10gatherTopKIsjLin1EEEvNS_4cuda6detail10TensorInfoIKT_T0_EES8_S8_bjS8_NS5_IS6_S8_EES8_NS5_IlS8_EES8_jjPS6_PjSD_j,comdat
.Lfunc_end64:
	.size	_ZN2at6native6mbtopk10gatherTopKIsjLin1EEEvNS_4cuda6detail10TensorInfoIKT_T0_EES8_S8_bjS8_NS5_IS6_S8_EES8_NS5_IlS8_EES8_jjPS6_PjSD_j, .Lfunc_end64-_ZN2at6native6mbtopk10gatherTopKIsjLin1EEEvNS_4cuda6detail10TensorInfoIKT_T0_EES8_S8_bjS8_NS5_IS6_S8_EES8_NS5_IlS8_EES8_jjPS6_PjSD_j
                                        ; -- End function
	.set _ZN2at6native6mbtopk10gatherTopKIsjLin1EEEvNS_4cuda6detail10TensorInfoIKT_T0_EES8_S8_bjS8_NS5_IS6_S8_EES8_NS5_IlS8_EES8_jjPS6_PjSD_j.num_vgpr, 27
	.set _ZN2at6native6mbtopk10gatherTopKIsjLin1EEEvNS_4cuda6detail10TensorInfoIKT_T0_EES8_S8_bjS8_NS5_IS6_S8_EES8_NS5_IlS8_EES8_jjPS6_PjSD_j.num_agpr, 0
	.set _ZN2at6native6mbtopk10gatherTopKIsjLin1EEEvNS_4cuda6detail10TensorInfoIKT_T0_EES8_S8_bjS8_NS5_IS6_S8_EES8_NS5_IlS8_EES8_jjPS6_PjSD_j.numbered_sgpr, 42
	.set _ZN2at6native6mbtopk10gatherTopKIsjLin1EEEvNS_4cuda6detail10TensorInfoIKT_T0_EES8_S8_bjS8_NS5_IS6_S8_EES8_NS5_IlS8_EES8_jjPS6_PjSD_j.num_named_barrier, 0
	.set _ZN2at6native6mbtopk10gatherTopKIsjLin1EEEvNS_4cuda6detail10TensorInfoIKT_T0_EES8_S8_bjS8_NS5_IS6_S8_EES8_NS5_IlS8_EES8_jjPS6_PjSD_j.private_seg_size, 0
	.set _ZN2at6native6mbtopk10gatherTopKIsjLin1EEEvNS_4cuda6detail10TensorInfoIKT_T0_EES8_S8_bjS8_NS5_IS6_S8_EES8_NS5_IlS8_EES8_jjPS6_PjSD_j.uses_vcc, 1
	.set _ZN2at6native6mbtopk10gatherTopKIsjLin1EEEvNS_4cuda6detail10TensorInfoIKT_T0_EES8_S8_bjS8_NS5_IS6_S8_EES8_NS5_IlS8_EES8_jjPS6_PjSD_j.uses_flat_scratch, 0
	.set _ZN2at6native6mbtopk10gatherTopKIsjLin1EEEvNS_4cuda6detail10TensorInfoIKT_T0_EES8_S8_bjS8_NS5_IS6_S8_EES8_NS5_IlS8_EES8_jjPS6_PjSD_j.has_dyn_sized_stack, 0
	.set _ZN2at6native6mbtopk10gatherTopKIsjLin1EEEvNS_4cuda6detail10TensorInfoIKT_T0_EES8_S8_bjS8_NS5_IS6_S8_EES8_NS5_IlS8_EES8_jjPS6_PjSD_j.has_recursion, 0
	.set _ZN2at6native6mbtopk10gatherTopKIsjLin1EEEvNS_4cuda6detail10TensorInfoIKT_T0_EES8_S8_bjS8_NS5_IS6_S8_EES8_NS5_IlS8_EES8_jjPS6_PjSD_j.has_indirect_call, 0
	.section	.AMDGPU.csdata,"",@progbits
; Kernel info:
; codeLenInByte = 3088
; TotalNumSgprs: 44
; NumVgprs: 27
; ScratchSize: 0
; MemoryBound: 0
; FloatMode: 240
; IeeeMode: 1
; LDSByteSize: 1068 bytes/workgroup (compile time only)
; SGPRBlocks: 0
; VGPRBlocks: 3
; NumSGPRsForWavesPerEU: 44
; NumVGPRsForWavesPerEU: 27
; Occupancy: 16
; WaveLimiterHint : 1
; COMPUTE_PGM_RSRC2:SCRATCH_EN: 0
; COMPUTE_PGM_RSRC2:USER_SGPR: 6
; COMPUTE_PGM_RSRC2:TRAP_HANDLER: 0
; COMPUTE_PGM_RSRC2:TGID_X_EN: 1
; COMPUTE_PGM_RSRC2:TGID_Y_EN: 1
; COMPUTE_PGM_RSRC2:TGID_Z_EN: 1
; COMPUTE_PGM_RSRC2:TIDIG_COMP_CNT: 0
	.section	.text._ZN2at6native6sbtopk10gatherTopKIsjLin1ELb0EEEvNS_4cuda6detail10TensorInfoIKT_T0_EES8_S8_bS8_S8_NS5_IS6_S8_EES8_NS5_IlS8_EES8_PS6_,"axG",@progbits,_ZN2at6native6sbtopk10gatherTopKIsjLin1ELb0EEEvNS_4cuda6detail10TensorInfoIKT_T0_EES8_S8_bS8_S8_NS5_IS6_S8_EES8_NS5_IlS8_EES8_PS6_,comdat
	.protected	_ZN2at6native6sbtopk10gatherTopKIsjLin1ELb0EEEvNS_4cuda6detail10TensorInfoIKT_T0_EES8_S8_bS8_S8_NS5_IS6_S8_EES8_NS5_IlS8_EES8_PS6_ ; -- Begin function _ZN2at6native6sbtopk10gatherTopKIsjLin1ELb0EEEvNS_4cuda6detail10TensorInfoIKT_T0_EES8_S8_bS8_S8_NS5_IS6_S8_EES8_NS5_IlS8_EES8_PS6_
	.globl	_ZN2at6native6sbtopk10gatherTopKIsjLin1ELb0EEEvNS_4cuda6detail10TensorInfoIKT_T0_EES8_S8_bS8_S8_NS5_IS6_S8_EES8_NS5_IlS8_EES8_PS6_
	.p2align	8
	.type	_ZN2at6native6sbtopk10gatherTopKIsjLin1ELb0EEEvNS_4cuda6detail10TensorInfoIKT_T0_EES8_S8_bS8_S8_NS5_IS6_S8_EES8_NS5_IlS8_EES8_PS6_,@function
_ZN2at6native6sbtopk10gatherTopKIsjLin1ELb0EEEvNS_4cuda6detail10TensorInfoIKT_T0_EES8_S8_bS8_S8_NS5_IS6_S8_EES8_NS5_IlS8_EES8_PS6_: ; @_ZN2at6native6sbtopk10gatherTopKIsjLin1ELb0EEEvNS_4cuda6detail10TensorInfoIKT_T0_EES8_S8_bS8_S8_NS5_IS6_S8_EES8_NS5_IlS8_EES8_PS6_
; %bb.0:
	s_clause 0x1
	s_load_dwordx2 s[12:13], s[4:5], 0x2b8
	s_load_dwordx4 s[36:39], s[4:5], 0xd8
	s_add_u32 s10, s4, 0x2b8
	s_addc_u32 s11, s5, 0
	s_waitcnt lgkmcnt(0)
	s_mul_i32 s0, s13, s8
	s_add_i32 s0, s0, s7
	s_mul_i32 s0, s0, s12
	s_add_i32 s51, s0, s6
	s_cmp_ge_u32 s51, s39
	s_cbranch_scc1 .LBB65_419
; %bb.1:
	s_clause 0x1
	s_load_dword s2, s[4:5], 0xd0
	s_load_dword s40, s[4:5], 0xe8
	s_mov_b32 s1, 0
	s_mov_b32 s0, s51
	s_waitcnt lgkmcnt(0)
	s_cmp_lt_i32 s2, 2
	s_cbranch_scc1 .LBB65_4
; %bb.2:
	s_add_i32 s0, s2, -1
	s_add_i32 s7, s2, 1
	s_lshl_b64 s[8:9], s[0:1], 2
	s_add_u32 s0, s4, s8
	s_addc_u32 s3, s5, s9
	s_add_u32 s2, s0, 8
	s_addc_u32 s3, s3, 0
	s_mov_b32 s0, s51
	s_inst_prefetch 0x1
	.p2align	6
.LBB65_3:                               ; =>This Inner Loop Header: Depth=1
	s_clause 0x1
	s_load_dword s8, s[2:3], 0x0
	s_load_dword s9, s[2:3], 0x64
	s_mov_b32 s15, s0
	s_waitcnt lgkmcnt(0)
	v_cvt_f32_u32_e32 v1, s8
	s_sub_i32 s14, 0, s8
	v_rcp_iflag_f32_e32 v1, v1
	v_mul_f32_e32 v1, 0x4f7ffffe, v1
	v_cvt_u32_f32_e32 v1, v1
	v_readfirstlane_b32 s13, v1
	s_mul_i32 s14, s14, s13
	s_mul_hi_u32 s14, s13, s14
	s_add_i32 s13, s13, s14
	s_mul_hi_u32 s0, s0, s13
	s_mul_i32 s13, s0, s8
	s_add_i32 s14, s0, 1
	s_sub_i32 s13, s15, s13
	s_sub_i32 s16, s13, s8
	s_cmp_ge_u32 s13, s8
	s_cselect_b32 s0, s14, s0
	s_cselect_b32 s13, s16, s13
	s_add_i32 s14, s0, 1
	s_cmp_ge_u32 s13, s8
	s_cselect_b32 s0, s14, s0
	s_add_i32 s7, s7, -1
	s_mul_i32 s8, s0, s8
	s_sub_i32 s8, s15, s8
	s_mul_i32 s8, s9, s8
	s_add_i32 s1, s8, s1
	s_add_u32 s2, s2, -4
	s_addc_u32 s3, s3, -1
	s_cmp_gt_u32 s7, 2
	s_cbranch_scc1 .LBB65_3
.LBB65_4:
	s_inst_prefetch 0x2
	s_load_dword s7, s[4:5], 0x1c0
	s_add_u32 s2, s4, 0xf0
	s_addc_u32 s3, s5, 0
	s_mov_b32 s35, 0
	s_mov_b32 s53, s51
	s_waitcnt lgkmcnt(0)
	s_cmp_lt_i32 s7, 2
	s_cbranch_scc1 .LBB65_7
; %bb.5:
	s_add_i32 s34, s7, -1
	s_add_i32 s7, s7, 1
	s_lshl_b64 s[8:9], s[34:35], 2
	s_mov_b32 s53, s51
	s_add_u32 s8, s2, s8
	s_addc_u32 s9, s3, s9
	s_add_u32 s8, s8, 8
	s_addc_u32 s9, s9, 0
	s_inst_prefetch 0x1
	.p2align	6
.LBB65_6:                               ; =>This Inner Loop Header: Depth=1
	s_clause 0x1
	s_load_dword s13, s[8:9], 0x0
	s_load_dword s14, s[8:9], 0x64
	s_mov_b32 s17, s53
	s_waitcnt lgkmcnt(0)
	v_cvt_f32_u32_e32 v1, s13
	s_sub_i32 s16, 0, s13
	v_rcp_iflag_f32_e32 v1, v1
	v_mul_f32_e32 v1, 0x4f7ffffe, v1
	v_cvt_u32_f32_e32 v1, v1
	v_readfirstlane_b32 s15, v1
	s_mul_i32 s16, s16, s15
	s_mul_hi_u32 s16, s15, s16
	s_add_i32 s15, s15, s16
	s_mul_hi_u32 s15, s53, s15
	s_mul_i32 s16, s15, s13
	s_add_i32 s18, s15, 1
	s_sub_i32 s16, s53, s16
	s_sub_i32 s19, s16, s13
	s_cmp_ge_u32 s16, s13
	s_cselect_b32 s15, s18, s15
	s_cselect_b32 s16, s19, s16
	s_add_i32 s18, s15, 1
	s_cmp_ge_u32 s16, s13
	s_cselect_b32 s53, s18, s15
	s_add_i32 s7, s7, -1
	s_mul_i32 s13, s53, s13
	s_sub_i32 s13, s17, s13
	s_mul_i32 s13, s14, s13
	s_add_i32 s35, s13, s35
	s_add_u32 s8, s8, -4
	s_addc_u32 s9, s9, -1
	s_cmp_gt_u32 s7, 2
	s_cbranch_scc1 .LBB65_6
.LBB65_7:
	s_inst_prefetch 0x2
	s_clause 0x1
	s_load_dword s7, s[4:5], 0x6c
	s_load_dword s8, s[4:5], 0x2a0
	s_add_u32 s9, s4, 0x1d0
	s_addc_u32 s14, s5, 0
	s_mov_b32 s43, 0
	s_waitcnt lgkmcnt(0)
	s_cmp_lt_i32 s8, 2
	s_cbranch_scc1 .LBB65_10
; %bb.8:
	s_add_i32 s42, s8, -1
	s_add_i32 s13, s8, 1
	s_lshl_b64 s[16:17], s[42:43], 2
	s_add_u32 s8, s9, s16
	s_addc_u32 s9, s14, s17
	s_add_u32 s8, s8, 8
	s_addc_u32 s9, s9, 0
	s_inst_prefetch 0x1
	.p2align	6
.LBB65_9:                               ; =>This Inner Loop Header: Depth=1
	s_clause 0x1
	s_load_dword s14, s[8:9], 0x0
	s_load_dword s15, s[8:9], 0x64
	s_mov_b32 s18, s51
	s_waitcnt lgkmcnt(0)
	v_cvt_f32_u32_e32 v1, s14
	s_sub_i32 s17, 0, s14
	v_rcp_iflag_f32_e32 v1, v1
	v_mul_f32_e32 v1, 0x4f7ffffe, v1
	v_cvt_u32_f32_e32 v1, v1
	v_readfirstlane_b32 s16, v1
	s_mul_i32 s17, s17, s16
	s_mul_hi_u32 s17, s16, s17
	s_add_i32 s16, s16, s17
	s_mul_hi_u32 s16, s51, s16
	s_mul_i32 s17, s16, s14
	s_add_i32 s19, s16, 1
	s_sub_i32 s17, s51, s17
	s_sub_i32 s20, s17, s14
	s_cmp_ge_u32 s17, s14
	s_cselect_b32 s16, s19, s16
	s_cselect_b32 s17, s20, s17
	s_add_i32 s19, s16, 1
	s_cmp_ge_u32 s17, s14
	s_cselect_b32 s51, s19, s16
	s_add_i32 s13, s13, -1
	s_mul_i32 s14, s51, s14
	s_sub_i32 s14, s18, s14
	s_mul_i32 s14, s15, s14
	s_add_i32 s43, s14, s43
	s_add_u32 s8, s8, -4
	s_addc_u32 s9, s9, -1
	s_cmp_gt_u32 s13, 2
	s_cbranch_scc1 .LBB65_9
.LBB65_10:
	s_inst_prefetch 0x2
	s_clause 0x3
	s_load_dword s54, s[2:3], 0x6c
	s_load_dwordx2 s[8:9], s[4:5], 0x0
	s_load_dwordx2 s[46:47], s[4:5], 0xf0
	;; [unrolled: 1-line block ×3, first 2 shown]
	v_cmp_eq_u32_e64 s3, 0, v0
	s_mov_b32 s49, 0
	s_and_saveexec_b32 s2, s3
	s_cbranch_execz .LBB65_12
; %bb.11:
	v_mov_b32_e32 v1, 0
	v_mov_b32_e32 v2, s36
	;; [unrolled: 1-line block ×3, first 2 shown]
	ds_write_b96 v1, v[1:3] offset:4096
.LBB65_12:
	s_or_b32 exec_lo, exec_lo, s2
	s_waitcnt lgkmcnt(0)
	s_barrier
	buffer_gl0_inv
	s_load_dword s13, s[10:11], 0xc
	s_load_dword s55, s[4:5], 0x23c
	s_mul_i32 s0, s7, s0
	v_mov_b32_e32 v9, 0
	s_add_i32 s48, s0, s1
	v_mul_lo_u32 v7, s40, v0
	s_lshl_b64 s[0:1], s[48:49], 1
	v_mbcnt_lo_u32_b32 v19, -1, 0
	v_mov_b32_e32 v8, v9
	s_add_u32 s42, s8, s0
	s_addc_u32 s48, s9, s1
	s_bitcmp1_b32 s38, 0
	v_cmp_gt_u32_e32 vcc_lo, 32, v0
	s_cselect_b32 s2, -1, 0
	v_lshlrev_b64 v[1:2], 1, v[7:8]
	v_cmp_gt_i32_e64 s0, 4, v19
	s_xor_b32 s56, s2, -1
	s_movk_i32 s8, 0x1f0
	v_lshlrev_b32_e32 v18, 2, v0
	v_lshlrev_b32_e32 v20, 1, v0
	s_waitcnt lgkmcnt(0)
	s_and_b32 s50, s13, 0xffff
	s_and_b32 s59, vcc_lo, s0
	s_lshl_b32 s57, s50, 2
	v_add_co_u32 v5, vcc_lo, s42, v1
	v_cvt_f32_u32_e32 v3, s57
	v_add_co_ci_u32_e64 v6, null, s48, v2, vcc_lo
	v_lshlrev_b64 v[1:2], v19, -1
	s_bfe_u32 s1, s50, 0x80008
	v_rcp_iflag_f32_e32 v2, v3
	s_bfe_u32 s7, s13, 0xb0005
	s_lshl_b32 s58, s1, 3
	s_cmpk_gt_u32 s36, 0x600
	v_add_nc_u32_e32 v3, 2, v0
	s_cselect_b32 s60, -1, 0
	s_cmp_gt_u32 s50, 31
	v_cvt_f32_u32_e32 v8, s50
	s_cselect_b32 s61, -1, 0
	s_add_i32 s62, s50, -1
	v_mul_f32_e32 v2, 0x4f7ffffe, v2
	s_add_i32 s13, s62, s36
	s_cmp_lt_u32 s6, s12
	v_max_u32_e32 v3, s36, v3
	s_cselect_b32 s6, 12, 18
	v_cvt_u32_f32_e32 v2, v2
	s_add_u32 s38, s10, s6
	s_addc_u32 s39, s11, 0
	s_add_i32 s7, s7, -1
	s_bfe_u32 s63, s50, 0x30005
	s_and_b32 s6, s7, 0xffff
	v_xad_u32 v3, v0, -1, v3
	s_cmp_gt_u32 s6, 6
	v_readfirstlane_b32 s6, v2
	s_cselect_b32 s64, -1, 0
	s_cmp_lg_u32 s63, 0
	v_not_b32_e32 v17, v1
	s_cselect_b32 s65, -1, 0
	s_sub_i32 s7, 0, s57
	v_lshrrev_b32_e32 v1, 1, v0
	s_mul_i32 s7, s7, s6
	v_add_nc_u32_e32 v4, -2, v3
	s_mul_hi_u32 s7, s6, s7
	v_rcp_iflag_f32_e32 v8, v8
	s_add_i32 s66, s6, s7
	v_and_or_b32 v22, v1, s8, 0xc00
	s_mul_hi_u32 s6, s36, s66
	v_lshrrev_b32_e32 v2, 1, v4
	s_mul_i32 s6, s6, s57
	v_and_b32_e32 v23, -2, v3
	s_sub_i32 s6, s36, s6
	v_cmp_lt_u32_e64 s7, 31, v3
	s_sub_i32 s8, s6, s57
	s_cmp_ge_u32 s6, s57
	v_add_nc_u32_e32 v1, 1, v2
	s_cselect_b32 s6, s8, s6
	v_mul_f32_e32 v2, 0x4f7ffffe, v8
	s_sub_i32 s8, s6, s57
	s_cmp_ge_u32 s6, s57
	v_and_b32_e32 v12, 7, v1
	s_cselect_b32 s6, s8, s6
	v_cvt_u32_f32_e32 v2, v2
	s_sub_i32 s67, s36, s6
	s_sub_i32 s8, 0, s50
	v_add_nc_u32_e32 v25, s67, v0
	v_and_b32_e32 v26, -8, v1
	v_readfirstlane_b32 s9, v2
	v_cmp_ne_u32_e64 s10, v3, v23
	v_or_b32_e32 v3, 3, v18
	v_mul_lo_u32 v8, v25, s40
	s_mov_b32 s41, s40
	s_mul_i32 s8, s8, s9
	v_lshlrev_b32_e32 v27, 2, v12
	s_mul_hi_u32 s8, s9, s8
	v_mul_lo_u32 v30, s40, v3
	s_add_i32 s68, s9, s8
	v_cmp_eq_u32_e64 s0, 0, v19
	v_lshlrev_b64 v[1:2], 1, v[8:9]
	s_mul_hi_u32 s9, s13, s68
	v_cmp_gt_u32_e64 s1, s36, v0
	s_mul_i32 s9, s9, s50
	v_cmp_gt_u32_e64 s15, 2, v0
	s_sub_i32 s11, s13, s9
	v_add_co_u32 v10, vcc_lo, s42, v1
	v_add3_u32 v1, s50, s36, v0
	s_sub_i32 s12, s11, s50
	s_cmp_ge_u32 s11, s50
	v_add_co_ci_u32_e64 v11, null, s48, v2, vcc_lo
	s_cselect_b32 s12, s12, s11
	v_or_b32_e32 v2, 2, v18
	v_subrev_nc_u32_e32 v1, s6, v1
	s_sub_i32 s14, s12, s50
	s_cmp_ge_u32 s12, s50
	v_cmp_ne_u32_e64 s9, 0, v12
	s_cselect_b32 s14, s14, s12
	v_mad_u64_u32 v[12:13], null, s40, v18, s[40:41]
	v_mul_lo_u32 v29, s40, v2
	v_mul_lo_u32 v32, s40, v1
	s_sub_i32 s69, s13, s14
	v_add_nc_u32_e32 v21, 0xc00, v20
	v_add_nc_u32_e32 v24, v0, v23
	v_cmp_lt_u32_e64 s8, 13, v4
	v_cmp_gt_u32_e64 s11, s67, v18
	v_cmp_gt_u32_e64 s12, s36, v25
	;; [unrolled: 1-line block ×3, first 2 shown]
	v_lshlrev_b32_e32 v31, 2, v7
	v_lshlrev_b32_e32 v33, 3, v0
	v_lshl_or_b32 v34, v19, 2, 0xc00
	v_mov_b32_e32 v38, s37
	v_mov_b32_e32 v35, 0x8000
	;; [unrolled: 1-line block ×5, first 2 shown]
	s_mul_i32 s52, s40, s50
	s_lshl_b32 s71, s50, 3
	s_lshl_b32 s70, s52, 2
	;; [unrolled: 1-line block ×3, first 2 shown]
	s_mov_b32 s78, 14
	s_mov_b32 s74, 0
                                        ; implicit-def: $sgpr73
                                        ; implicit-def: $sgpr77
                                        ; implicit-def: $sgpr76
                                        ; implicit-def: $sgpr79
                                        ; implicit-def: $sgpr75
                                        ; implicit-def: $sgpr83
                                        ; implicit-def: $sgpr84
                                        ; implicit-def: $sgpr80
                                        ; implicit-def: $sgpr82
                                        ; implicit-def: $sgpr81
	s_branch .LBB65_15
.LBB65_13:                              ;   in Loop: Header=BB65_15 Depth=1
	s_or_b32 exec_lo, exec_lo, s17
	v_mov_b32_e32 v38, v4
	s_andn2_b32 s17, s81, exec_lo
	s_and_b32 s16, s16, exec_lo
	s_andn2_b32 s82, s82, exec_lo
	s_or_b32 s81, s17, s16
	s_andn2_b32 s80, s80, exec_lo
	s_andn2_b32 s84, s84, exec_lo
	;; [unrolled: 1-line block ×3, first 2 shown]
	s_orn2_b32 s17, s14, exec_lo
.LBB65_14:                              ;   in Loop: Header=BB65_15 Depth=1
	s_or_b32 exec_lo, exec_lo, s6
	s_and_b32 s6, exec_lo, s17
	s_or_b32 s49, s6, s49
	s_andn2_b32 s6, s75, exec_lo
	s_and_b32 s14, s81, exec_lo
	s_andn2_b32 s16, s79, exec_lo
	s_or_b32 s75, s6, s14
	s_and_b32 s6, s82, exec_lo
	s_andn2_b32 s14, s76, exec_lo
	s_and_b32 s17, s80, exec_lo
	s_or_b32 s79, s16, s6
	s_or_b32 s76, s14, s17
	s_andn2_b32 s6, s77, exec_lo
	s_and_b32 s14, s84, exec_lo
	s_andn2_b32 s16, s73, exec_lo
	s_and_b32 s17, s83, exec_lo
	s_or_b32 s77, s6, s14
	s_or_b32 s73, s16, s17
	s_andn2_b32 exec_lo, exec_lo, s49
	s_cbranch_execz .LBB65_415
.LBB65_15:                              ; =>This Loop Header: Depth=1
                                        ;     Child Loop BB65_20 Depth 2
                                        ;     Child Loop BB65_41 Depth 2
	;; [unrolled: 1-line block ×26, first 2 shown]
	ds_read_b64 v[1:2], v9 offset:4096
	s_waitcnt lgkmcnt(0)
	v_readfirstlane_b32 s85, v1
	s_cmp_lg_u32 s85, 0
	s_cbranch_scc1 .LBB65_60
; %bb.16:                               ;   in Loop: Header=BB65_15 Depth=1
	s_and_b32 vcc_lo, exec_lo, s60
	s_cbranch_vccz .LBB65_28
; %bb.17:                               ;   in Loop: Header=BB65_15 Depth=1
	v_cmp_gt_u32_e32 vcc_lo, 0x601, v2
	s_mov_b32 s16, 0
	s_mov_b32 s6, 0
	s_cbranch_vccz .LBB65_29
; %bb.18:                               ;   in Loop: Header=BB65_15 Depth=1
	global_load_ushort v1, v9, s[38:39]
	global_load_ushort v3, v[5:6], off
	v_mov_b32_e32 v4, v0
	s_mov_b32 s17, 0
	s_waitcnt vmcnt(1)
	v_add_nc_u32_e32 v2, v0, v1
	v_mul_lo_u32 v8, s40, v2
	v_mul_lo_u32 v2, s40, v1
	s_branch .LBB65_20
.LBB65_19:                              ;   in Loop: Header=BB65_20 Depth=2
	s_or_b32 exec_lo, exec_lo, s14
	v_add_nc_u32_e32 v8, v8, v2
	v_mov_b32_e32 v3, v13
	s_andn2_b32 exec_lo, exec_lo, s17
	s_cbranch_execz .LBB65_35
.LBB65_20:                              ;   Parent Loop BB65_15 Depth=1
                                        ; =>  This Inner Loop Header: Depth=2
	v_add_nc_u32_e32 v4, v4, v1
	s_waitcnt lgkmcnt(0)
	v_mov_b32_e32 v14, 0
	v_mov_b32_e32 v13, 0
	s_mov_b32 s14, exec_lo
	v_cmp_le_u32_e32 vcc_lo, s36, v4
	v_cmpx_gt_u32_e64 s36, v4
	s_cbranch_execz .LBB65_22
; %bb.21:                               ;   in Loop: Header=BB65_20 Depth=2
	v_lshlrev_b64 v[15:16], 1, v[8:9]
	v_add_co_u32 v15, s6, s42, v15
	v_add_co_ci_u32_e64 v16, null, s48, v16, s6
	global_load_ushort v13, v[15:16], off
.LBB65_22:                              ;   in Loop: Header=BB65_20 Depth=2
	s_or_b32 exec_lo, exec_lo, s14
	s_waitcnt vmcnt(0)
	v_add_nc_u32_sdwa v15, sext(v3), v35 dst_sel:DWORD dst_unused:UNUSED_PAD src0_sel:WORD_0 src1_sel:DWORD
	v_and_b32_e32 v15, v15, v36
	v_cmp_eq_u32_e64 s6, v15, v28
	s_cmp_lg_u32 s6, 0
	s_cselect_b32 s14, -1, 0
	s_and_b32 s14, s0, s14
	s_and_saveexec_b32 s18, s14
	s_cbranch_execz .LBB65_26
; %bb.23:                               ;   in Loop: Header=BB65_20 Depth=2
	s_mov_b32 s21, exec_lo
	s_bcnt1_i32_b32 s19, s6
	v_mbcnt_lo_u32_b32 v14, s21, 0
	s_mov_b32 s20, exec_lo
                                        ; implicit-def: $vgpr15
	v_cmpx_eq_u32_e32 0, v14
; %bb.24:                               ;   in Loop: Header=BB65_20 Depth=2
	s_bcnt1_i32_b32 s14, s21
	s_mul_i32 s14, s19, s14
	v_mov_b32_e32 v15, s14
	ds_add_rtn_u32 v15, v9, v15 offset:4104
; %bb.25:                               ;   in Loop: Header=BB65_20 Depth=2
	s_or_b32 exec_lo, exec_lo, s20
	s_waitcnt lgkmcnt(0)
	v_readfirstlane_b32 s14, v15
	v_mad_u32_u24 v14, s19, v14, s14
.LBB65_26:                              ;   in Loop: Header=BB65_20 Depth=2
	s_or_b32 exec_lo, exec_lo, s18
	ds_bpermute_b32 v14, v9, v14
	s_and_b32 s14, exec_lo, vcc_lo
	s_or_b32 s17, s14, s17
	s_and_saveexec_b32 s14, s6
	s_cbranch_execz .LBB65_19
; %bb.27:                               ;   in Loop: Header=BB65_20 Depth=2
	v_and_b32_e32 v15, s6, v17
	v_bcnt_u32_b32 v15, v15, 0
	v_lshlrev_b32_e32 v15, 1, v15
	s_waitcnt lgkmcnt(0)
	v_lshl_add_u32 v14, v14, 1, v15
	ds_write_b16 v14, v3
	s_branch .LBB65_19
.LBB65_28:                              ;   in Loop: Header=BB65_15 Depth=1
	s_mov_b32 s16, -1
	s_mov_b32 s6, 0
.LBB65_29:                              ;   in Loop: Header=BB65_15 Depth=1
	s_and_b32 vcc_lo, exec_lo, s16
	s_cbranch_vccz .LBB65_58
.LBB65_30:                              ;   in Loop: Header=BB65_15 Depth=1
	s_and_saveexec_b32 s14, s1
	s_cbranch_execz .LBB65_55
; %bb.31:                               ;   in Loop: Header=BB65_15 Depth=1
	global_load_ushort v1, v9, s[38:39]
	global_load_ushort v39, v[5:6], off
	v_mov_b32_e32 v2, v0
	s_mov_b32 s16, exec_lo
	s_waitcnt vmcnt(1)
	v_add_nc_u32_e32 v13, v0, v1
	v_readfirstlane_b32 s17, v1
	v_cmpx_gt_u32_e64 s36, v13
	s_cbranch_execz .LBB65_54
; %bb.32:                               ;   in Loop: Header=BB65_15 Depth=1
	s_mov_b32 s6, 0
	s_mul_i32 s18, s40, s17
                                        ; implicit-def: $vgpr2
                                        ; implicit-def: $vgpr4
                                        ; implicit-def: $vgpr1
                                        ; implicit-def: $vgpr3
	s_and_saveexec_b32 s19, s7
	s_xor_b32 s19, exec_lo, s19
	s_cbranch_execnz .LBB65_38
; %bb.33:                               ;   in Loop: Header=BB65_15 Depth=1
	s_andn2_saveexec_b32 s19, s19
	s_cbranch_execnz .LBB65_49
.LBB65_34:                              ;   in Loop: Header=BB65_15 Depth=1
	s_or_b32 exec_lo, exec_lo, s19
	s_and_saveexec_b32 s18, s6
	s_cbranch_execnz .LBB65_50
	s_branch .LBB65_53
.LBB65_35:                              ;   in Loop: Header=BB65_15 Depth=1
	s_or_b32 exec_lo, exec_lo, s17
	s_waitcnt lgkmcnt(0)
	s_barrier
	buffer_gl0_inv
	s_and_saveexec_b32 s6, s3
	s_cbranch_execz .LBB65_37
; %bb.36:                               ;   in Loop: Header=BB65_15 Depth=1
	ds_read_b32 v1, v9 offset:4104
	s_waitcnt lgkmcnt(0)
	ds_write_b32 v9, v1 offset:4096
.LBB65_37:                              ;   in Loop: Header=BB65_15 Depth=1
	s_or_b32 exec_lo, exec_lo, s6
	s_waitcnt lgkmcnt(0)
	s_mov_b32 s6, -1
	s_barrier
	s_and_b32 vcc_lo, exec_lo, s16
	s_cbranch_vccnz .LBB65_30
	s_branch .LBB65_58
.LBB65_38:                              ;   in Loop: Header=BB65_15 Depth=1
	v_cvt_f32_u32_e32 v1, s17
	v_add_nc_u32_e32 v2, s17, v13
	s_sub_i32 s6, 0, s17
	s_not_b32 s20, s18
	v_rcp_iflag_f32_e32 v1, v1
	v_max_u32_e32 v2, s36, v2
	v_sub_nc_u32_e32 v2, v2, v0
	v_mul_f32_e32 v1, 0x4f7ffffe, v1
	v_cvt_u32_f32_e32 v1, v1
	v_mul_lo_u32 v3, s6, v1
	s_lshl_b32 s6, s17, 1
	v_cmp_ne_u32_e32 vcc_lo, s6, v2
	v_cndmask_b32_e64 v4, 0, 1, vcc_lo
	v_mul_hi_u32 v3, v1, v3
	v_or_b32_e32 v4, s6, v4
	v_add_nc_u32_e32 v1, v1, v3
	v_sub_nc_u32_e32 v2, v2, v4
	v_mul_hi_u32 v1, v2, v1
	v_mul_lo_u32 v3, v1, s17
	v_sub_nc_u32_e32 v2, v2, v3
	v_add_nc_u32_e32 v3, 1, v1
	v_subrev_nc_u32_e32 v4, s17, v2
	v_cmp_le_u32_e64 s6, s17, v2
	v_cndmask_b32_e64 v1, v1, v3, s6
	v_cndmask_b32_e64 v2, v2, v4, s6
	v_add_nc_u32_e32 v3, 1, v1
	v_cmp_le_u32_e64 s6, s17, v2
	v_mul_lo_u32 v2, s40, v13
	v_cndmask_b32_e64 v1, v1, v3, s6
	s_abs_i32 s6, s18
	v_add_co_ci_u32_e64 v1, null, 0, v1, vcc_lo
	v_mul_hi_u32 v3, s6, v1
	v_mul_lo_u32 v1, s6, v1
	s_ashr_i32 s6, s20, 31
	s_cmp_eq_u32 s17, 1
	v_xor_b32_e32 v2, s6, v2
	s_cselect_b32 s20, -1, 0
	v_cmp_eq_u32_e32 vcc_lo, 0, v3
	v_cmp_le_u32_e64 s6, v1, v2
	v_mov_b32_e32 v1, v0
                                        ; implicit-def: $vgpr2
	s_and_b32 s20, vcc_lo, s20
	s_and_b32 s21, s20, s6
	s_mov_b32 s20, -1
	s_and_saveexec_b32 s6, s21
	s_cbranch_execz .LBB65_48
; %bb.39:                               ;   in Loop: Header=BB65_15 Depth=1
	v_add_nc_u32_e32 v14, 1, v13
	s_waitcnt vmcnt(0)
	v_lshlrev_b32_e32 v1, 16, v39
	v_mov_b32_e32 v8, 0
                                        ; implicit-def: $vgpr39
	v_mov_b32_e32 v16, v14
	v_mov_b32_e32 v15, v13
	s_and_saveexec_b32 s20, s8
	s_cbranch_execz .LBB65_43
; %bb.40:                               ;   in Loop: Header=BB65_15 Depth=1
	v_mov_b32_e32 v16, v14
	v_mov_b32_e32 v40, v26
	;; [unrolled: 1-line block ×4, first 2 shown]
	s_mov_b32 s21, 0
	s_mov_b32 s22, 0
.LBB65_41:                              ;   Parent Loop BB65_15 Depth=1
                                        ; =>  This Inner Loop Header: Depth=2
	v_add_nc_u32_e32 v4, 2, v16
	v_mul_lo_u32 v8, v15, s40
	v_add_nc_u32_e32 v14, 4, v16
	v_mul_lo_u32 v2, v16, s41
	;; [unrolled: 2-line block ×3, first 2 shown]
	v_mov_b32_e32 v3, v9
	v_add_nc_u32_e32 v48, 8, v16
	v_mul_lo_u32 v44, v14, s41
	v_mov_b32_e32 v43, v9
	v_add_nc_u32_e32 v50, 10, v16
	v_mul_lo_u32 v46, v39, s41
	v_lshlrev_b64 v[52:53], 1, v[8:9]
	v_mov_b32_e32 v45, v9
	v_mul_lo_u32 v48, v48, s41
	v_lshlrev_b64 v[2:3], 1, v[2:3]
	v_mov_b32_e32 v47, v9
	;; [unrolled: 3-line block ×3, first 2 shown]
	v_lshlrev_b64 v[44:45], 1, v[44:45]
	v_add_co_u32 v52, vcc_lo, s42, v52
	v_mov_b32_e32 v51, v9
	v_lshlrev_b64 v[46:47], 1, v[46:47]
	v_add_co_ci_u32_e64 v53, null, s48, v53, vcc_lo
	v_add_co_u32 v2, vcc_lo, s42, v2
	v_lshlrev_b64 v[48:49], 1, v[48:49]
	v_add_co_ci_u32_e64 v3, null, s48, v3, vcc_lo
	v_add_co_u32 v42, vcc_lo, s42, v42
	;; [unrolled: 3-line block ×3, first 2 shown]
	v_add_co_ci_u32_e64 v45, null, s48, v45, vcc_lo
	v_add_co_u32 v46, vcc_lo, s42, v46
	v_lshrrev_b32_e32 v1, 16, v1
	v_add_co_ci_u32_e64 v47, null, s48, v47, vcc_lo
	v_add_co_u32 v48, vcc_lo, s42, v48
	v_add_co_ci_u32_e64 v49, null, s48, v49, vcc_lo
	v_add_co_u32 v50, vcc_lo, s42, v50
	v_add_co_ci_u32_e64 v51, null, s48, v51, vcc_lo
	s_clause 0x6
	global_load_short_d16_hi v1, v[52:53], off
	global_load_ushort v2, v[2:3], off
	global_load_ushort v3, v[42:43], off
	;; [unrolled: 1-line block ×6, first 2 shown]
	v_add_nc_u32_e32 v8, 2, v15
	v_add_nc_u32_e32 v45, 12, v16
	;; [unrolled: 1-line block ×4, first 2 shown]
	v_mov_b32_e32 v46, v9
	v_mul_lo_u32 v8, v8, s40
	v_mul_lo_u32 v45, v45, s41
	;; [unrolled: 1-line block ×3, first 2 shown]
	v_mov_b32_e32 v48, v9
	v_add_nc_u32_e32 v39, 6, v15
	v_add_nc_u32_e32 v53, 8, v15
	;; [unrolled: 1-line block ×4, first 2 shown]
	v_lshlrev_b64 v[49:50], 1, v[8:9]
	v_mul_lo_u32 v8, v14, s40
	v_lshlrev_b64 v[45:46], 1, v[45:46]
	v_lshlrev_b64 v[47:48], 1, v[47:48]
	v_add_nc_u32_e32 v59, 14, v15
	v_add_nc_u32_e32 v40, -8, v40
	s_add_i32 s22, s22, 16
	v_add_nc_u32_e32 v16, 16, v16
	v_add_co_u32 v45, vcc_lo, s42, v45
	v_lshlrev_b64 v[51:52], 1, v[8:9]
	v_mul_lo_u32 v8, v39, s40
	v_add_co_ci_u32_e64 v46, null, s48, v46, vcc_lo
	v_add_co_u32 v47, vcc_lo, s42, v47
	v_add_co_ci_u32_e64 v48, null, s48, v48, vcc_lo
	v_add_co_u32 v49, vcc_lo, s42, v49
	v_add_co_ci_u32_e64 v50, null, s48, v50, vcc_lo
	global_load_ushort v14, v[45:46], off
	v_add_co_u32 v45, vcc_lo, s42, v51
	v_add_co_ci_u32_e64 v46, null, s48, v52, vcc_lo
	v_lshlrev_b64 v[51:52], 1, v[8:9]
	v_mul_lo_u32 v8, v53, s40
	v_add_nc_u32_e32 v15, 16, v15
	v_add_co_u32 v51, vcc_lo, s42, v51
	v_add_co_ci_u32_e64 v52, null, s48, v52, vcc_lo
	v_lshlrev_b64 v[53:54], 1, v[8:9]
	v_mul_lo_u32 v8, v55, s40
	v_add_co_u32 v53, vcc_lo, s42, v53
	v_add_co_ci_u32_e64 v54, null, s48, v54, vcc_lo
	v_lshlrev_b64 v[55:56], 1, v[8:9]
	v_mul_lo_u32 v8, v57, s40
	;; [unrolled: 4-line block ×3, first 2 shown]
	v_add_co_u32 v57, vcc_lo, s42, v57
	v_add_co_ci_u32_e64 v58, null, s48, v58, vcc_lo
	v_lshlrev_b64 v[59:60], 1, v[8:9]
	v_mov_b32_e32 v8, s22
	v_add_co_u32 v59, vcc_lo, s42, v59
	v_add_co_ci_u32_e64 v60, null, s48, v60, vcc_lo
	v_cmp_eq_u32_e32 vcc_lo, 0, v40
	s_clause 0x7
	global_load_short_d16_hi v2, v[49:50], off
	global_load_short_d16_hi v3, v[45:46], off
	;; [unrolled: 1-line block ×3, first 2 shown]
	global_load_ushort v46, v[59:60], off
	global_load_short_d16_hi v42, v[53:54], off
	global_load_short_d16_hi v43, v[55:56], off
	;; [unrolled: 1-line block ×3, first 2 shown]
	global_load_ushort v39, v[47:48], off
	s_or_b32 s21, vcc_lo, s21
	s_waitcnt vmcnt(5)
	ds_write_b128 v41, v[1:4]
	s_waitcnt vmcnt(4)
	v_perm_b32 v45, v46, v14, 0x5040100
	s_waitcnt vmcnt(0)
	v_perm_b32 v1, v39, v46, 0x5040100
	ds_write_b128 v41, v[42:45] offset:16
	v_add_nc_u32_e32 v41, 32, v41
	s_andn2_b32 exec_lo, exec_lo, s21
	s_cbranch_execnz .LBB65_41
; %bb.42:                               ;   in Loop: Header=BB65_15 Depth=1
	s_or_b32 exec_lo, exec_lo, s21
.LBB65_43:                              ;   in Loop: Header=BB65_15 Depth=1
	s_or_b32 exec_lo, exec_lo, s20
	s_and_saveexec_b32 s20, s9
	s_cbranch_execz .LBB65_47
; %bb.44:                               ;   in Loop: Header=BB65_15 Depth=1
	v_lshl_add_u32 v2, v8, 1, v20
	v_mov_b32_e32 v3, v27
	s_mov_b32 s21, 0
	s_inst_prefetch 0x1
	.p2align	6
.LBB65_45:                              ;   Parent Loop BB65_15 Depth=1
                                        ; =>  This Inner Loop Header: Depth=2
	v_mul_lo_u32 v8, v15, s40
	v_mul_lo_u32 v39, v16, s41
	v_mov_b32_e32 v40, v9
	v_add_nc_u32_e32 v3, -4, v3
	v_add_nc_u32_e32 v16, 2, v16
	v_add_nc_u32_e32 v15, 2, v15
	v_lshlrev_b64 v[41:42], 1, v[8:9]
	v_lshlrev_b64 v[39:40], 1, v[39:40]
	v_add_co_u32 v41, vcc_lo, s42, v41
	v_add_co_ci_u32_e64 v42, null, s48, v42, vcc_lo
	v_add_co_u32 v39, vcc_lo, s42, v39
	v_add_co_ci_u32_e64 v40, null, s48, v40, vcc_lo
	s_clause 0x1
	global_load_ushort v4, v[41:42], off
	global_load_ushort v39, v[39:40], off
	v_cmp_eq_u32_e32 vcc_lo, 0, v3
	s_or_b32 s21, vcc_lo, s21
	s_waitcnt vmcnt(1)
	v_alignbit_b32 v1, v4, v1, 16
	s_waitcnt vmcnt(0)
	v_perm_b32 v4, v39, v4, 0x5040100
	ds_write_b32 v2, v1
	v_add_nc_u32_e32 v2, 4, v2
	v_mov_b32_e32 v1, v4
	s_andn2_b32 exec_lo, exec_lo, s21
	s_cbranch_execnz .LBB65_45
; %bb.46:                               ;   in Loop: Header=BB65_15 Depth=1
	s_inst_prefetch 0x2
	s_or_b32 exec_lo, exec_lo, s21
.LBB65_47:                              ;   in Loop: Header=BB65_15 Depth=1
	s_or_b32 exec_lo, exec_lo, s20
	v_add_nc_u32_e32 v13, v13, v23
	v_mov_b32_e32 v1, v24
	s_orn2_b32 s20, s10, exec_lo
	v_add_nc_u32_e32 v2, -1, v13
.LBB65_48:                              ;   in Loop: Header=BB65_15 Depth=1
	s_or_b32 exec_lo, exec_lo, s6
	v_mov_b32_e32 v3, s18
	s_waitcnt vmcnt(0)
	v_mov_b32_e32 v4, v39
	s_and_b32 s6, s20, exec_lo
	s_andn2_saveexec_b32 s19, s19
	s_cbranch_execz .LBB65_34
.LBB65_49:                              ;   in Loop: Header=BB65_15 Depth=1
	v_mov_b32_e32 v3, s18
	s_waitcnt vmcnt(0)
	v_mov_b32_e32 v4, v39
	v_mov_b32_e32 v1, v0
	s_or_b32 s6, s6, exec_lo
	s_or_b32 exec_lo, exec_lo, s19
	s_and_saveexec_b32 s18, s6
	s_cbranch_execz .LBB65_53
.LBB65_50:                              ;   in Loop: Header=BB65_15 Depth=1
	v_mul_lo_u32 v8, s40, v13
	s_mov_b32 s19, 0
	s_sub_i32 s6, 0, s17
	.p2align	6
.LBB65_51:                              ;   Parent Loop BB65_15 Depth=1
                                        ; =>  This Inner Loop Header: Depth=2
	v_lshlrev_b64 v[14:15], 1, v[8:9]
	v_mov_b32_e32 v2, v13
	v_lshlrev_b32_e32 v1, 1, v1
	v_add_nc_u32_e32 v8, v8, v3
	v_add_nc_u32_e32 v13, s17, v2
	v_add_co_u32 v14, vcc_lo, s42, v14
	v_add_co_ci_u32_e64 v15, null, s48, v15, vcc_lo
	v_cmp_le_u32_e32 vcc_lo, s36, v13
	ds_write_b16 v1, v4
	v_mov_b32_e32 v1, v2
	global_load_ushort v39, v[14:15], off
	s_or_b32 s19, vcc_lo, s19
	s_waitcnt vmcnt(0)
	v_mov_b32_e32 v4, v39
	s_andn2_b32 exec_lo, exec_lo, s19
	s_cbranch_execnz .LBB65_51
; %bb.52:                               ;   in Loop: Header=BB65_15 Depth=1
	s_or_b32 exec_lo, exec_lo, s19
	v_add_nc_u32_e32 v2, s6, v13
.LBB65_53:                              ;   in Loop: Header=BB65_15 Depth=1
	s_or_b32 exec_lo, exec_lo, s18
.LBB65_54:                              ;   in Loop: Header=BB65_15 Depth=1
	s_or_b32 exec_lo, exec_lo, s16
	v_lshlrev_b32_e32 v1, 1, v2
	s_waitcnt vmcnt(0)
	ds_write_b16 v1, v39
.LBB65_55:                              ;   in Loop: Header=BB65_15 Depth=1
	s_or_b32 exec_lo, exec_lo, s14
	s_waitcnt lgkmcnt(0)
	s_barrier
	buffer_gl0_inv
	s_and_saveexec_b32 s6, s3
; %bb.56:                               ;   in Loop: Header=BB65_15 Depth=1
	v_mov_b32_e32 v1, s36
	ds_write_b32 v9, v1 offset:4096
; %bb.57:                               ;   in Loop: Header=BB65_15 Depth=1
	s_or_b32 exec_lo, exec_lo, s6
	s_mov_b32 s6, -1
	s_waitcnt lgkmcnt(0)
	s_barrier
.LBB65_58:                              ;   in Loop: Header=BB65_15 Depth=1
	s_and_b32 vcc_lo, exec_lo, s6
	s_mov_b32 s85, 0
	s_cbranch_vccz .LBB65_60
; %bb.59:                               ;   in Loop: Header=BB65_15 Depth=1
	buffer_gl0_inv
	ds_read_b32 v1, v9 offset:4096
	s_waitcnt lgkmcnt(0)
	v_readfirstlane_b32 s85, v1
.LBB65_60:                              ;   in Loop: Header=BB65_15 Depth=1
	s_cmp_lt_i32 s85, 1
	s_mov_b32 s6, -1
                                        ; implicit-def: $vgpr1
	s_cbranch_scc1 .LBB65_70
; %bb.61:                               ;   in Loop: Header=BB65_15 Depth=1
	s_and_b32 vcc_lo, exec_lo, s6
	s_cbranch_vccnz .LBB65_81
.LBB65_62:                              ;   in Loop: Header=BB65_15 Depth=1
	s_lshl_b32 s6, s74, 7
	s_and_saveexec_b32 s14, s0
.LBB65_63:                              ;   in Loop: Header=BB65_15 Depth=1
	v_lshl_add_u32 v8, s6, 2, v22
	ds_write_b128 v8, v[1:4]
.LBB65_64:                              ;   in Loop: Header=BB65_15 Depth=1
	s_or_b32 exec_lo, exec_lo, s14
	s_waitcnt lgkmcnt(0)
	s_barrier
	buffer_gl0_inv
	s_and_saveexec_b32 s14, s59
	s_cbranch_execz .LBB65_94
; %bb.65:                               ;   in Loop: Header=BB65_15 Depth=1
	v_mov_b32_e32 v1, 0
	s_andn2_b32 vcc_lo, exec_lo, s61
	s_cbranch_vccnz .LBB65_93
; %bb.66:                               ;   in Loop: Header=BB65_15 Depth=1
	s_andn2_b32 vcc_lo, exec_lo, s64
	s_cbranch_vccnz .LBB65_90
; %bb.67:                               ;   in Loop: Header=BB65_15 Depth=1
	v_lshl_add_u32 v2, s74, 9, v34
	v_mov_b32_e32 v1, 0
	s_mov_b32 s16, 0
	.p2align	6
.LBB65_68:                              ;   Parent Loop BB65_15 Depth=1
                                        ; =>  This Inner Loop Header: Depth=2
	ds_read2_b32 v[3:4], v2 offset1:4
	ds_read2_b32 v[13:14], v2 offset0:8 offset1:12
	ds_read2_b32 v[15:16], v2 offset0:16 offset1:20
	;; [unrolled: 1-line block ×3, first 2 shown]
	v_add_nc_u32_e32 v2, 0x80, v2
	s_add_i32 s16, s16, 8
	s_cmp_eq_u32 s58, s16
	s_waitcnt lgkmcnt(3)
	v_add3_u32 v1, v3, v1, v4
	s_waitcnt lgkmcnt(2)
	v_add3_u32 v1, v13, v1, v14
	;; [unrolled: 2-line block ×4, first 2 shown]
	s_cbranch_scc0 .LBB65_68
; %bb.69:                               ;   in Loop: Header=BB65_15 Depth=1
	s_mov_b32 s16, s58
	s_andn2_b32 vcc_lo, exec_lo, s65
	s_cbranch_vccz .LBB65_91
	s_branch .LBB65_93
.LBB65_70:                              ;   in Loop: Header=BB65_15 Depth=1
	v_mov_b32_e32 v1, 0
	v_mov_b32_e32 v2, 0
	;; [unrolled: 1-line block ×4, first 2 shown]
	s_and_saveexec_b32 s25, s11
	s_cbranch_execz .LBB65_74
; %bb.71:                               ;   in Loop: Header=BB65_15 Depth=1
	v_mov_b32_e32 v13, v18
	s_mov_b32 s26, 0
	s_mov_b32 s27, 0
	;; [unrolled: 1-line block ×6, first 2 shown]
.LBB65_72:                              ;   Parent Loop BB65_15 Depth=1
                                        ; =>  This Inner Loop Header: Depth=2
	v_add_nc_u32_e32 v8, s27, v31
	v_add_nc_u32_e32 v13, s57, v13
	v_lshlrev_b64 v[1:2], 1, v[8:9]
	v_add_nc_u32_e32 v8, s27, v12
	v_lshlrev_b64 v[3:4], 1, v[8:9]
	v_add_nc_u32_e32 v8, s27, v29
	v_add_co_u32 v1, vcc_lo, s42, v1
	v_add_co_ci_u32_e64 v2, null, s48, v2, vcc_lo
	v_lshlrev_b64 v[14:15], 1, v[8:9]
	v_add_nc_u32_e32 v8, s27, v30
	s_add_i32 s27, s27, s70
	global_load_sshort v16, v[1:2], off
	v_add_co_u32 v1, vcc_lo, s42, v3
	v_add_co_ci_u32_e64 v2, null, s48, v4, vcc_lo
	v_add_co_u32 v14, vcc_lo, s42, v14
	v_add_co_ci_u32_e64 v15, null, s48, v15, vcc_lo
	v_lshlrev_b64 v[3:4], 1, v[8:9]
	s_clause 0x1
	global_load_sshort v8, v[1:2], off
	global_load_sshort v14, v[14:15], off
	v_add_co_u32 v1, vcc_lo, s42, v3
	v_add_co_ci_u32_e64 v2, null, s48, v4, vcc_lo
	v_cmp_le_u32_e32 vcc_lo, s67, v13
	global_load_sshort v1, v[1:2], off
	s_waitcnt vmcnt(3)
	v_add_nc_u32_e32 v2, 0x8000, v16
	v_and_b32_e32 v3, v2, v36
	v_bfe_u32 v2, v2, s78, 2
	s_waitcnt vmcnt(2)
	v_add_nc_u32_e32 v4, 0x8000, v8
	v_cmp_eq_u32_e64 s6, v3, v28
	v_cmp_eq_u32_e64 s14, 0, v2
	s_waitcnt vmcnt(1)
	v_add_nc_u32_e32 v8, 0x8000, v14
	v_cmp_eq_u32_e64 s16, 1, v2
	v_and_b32_e32 v3, v4, v36
	v_bfe_u32 v4, v4, s78, 2
	v_cmp_eq_u32_e64 s17, 2, v2
	s_and_b32 s14, s6, s14
	v_cmp_eq_u32_e64 s18, 3, v2
	v_cmp_eq_u32_e64 s19, v3, v28
	v_and_b32_e32 v2, v8, v36
	v_bfe_u32 v3, v8, s78, 2
	v_cmp_eq_u32_e64 s20, 0, v4
	v_cndmask_b32_e64 v8, 0, 1, s14
	v_cmp_eq_u32_e64 s14, 1, v4
	s_and_b32 s16, s6, s16
	s_and_b32 s17, s6, s17
	v_cndmask_b32_e64 v14, 0, 1, s16
	v_cmp_eq_u32_e64 s16, 2, v4
	s_waitcnt vmcnt(0)
	v_add_nc_u32_e32 v1, 0x8000, v1
	v_cndmask_b32_e64 v15, 0, 1, s17
	s_and_b32 s6, s6, s18
	s_and_b32 s20, s19, s20
	;; [unrolled: 1-line block ×3, first 2 shown]
	v_cmp_eq_u32_e64 s17, 3, v4
	v_cndmask_b32_e64 v4, 0, 1, s6
	v_cmp_eq_u32_e64 s6, v2, v28
	v_cmp_eq_u32_e64 s18, 0, v3
	v_cmp_ne_u32_e64 s21, 0, v8
	v_cndmask_b32_e64 v8, 0, 1, s20
	v_cmp_eq_u32_e64 s20, 1, v3
	v_cmp_ne_u32_e64 s22, 0, v14
	v_cndmask_b32_e64 v14, 0, 1, s14
	v_cmp_eq_u32_e64 s14, 2, v3
	s_and_b32 s16, s19, s16
	v_and_b32_e32 v2, v1, v36
	v_bfe_u32 v1, v1, s78, 2
	v_cmp_ne_u32_e64 s23, 0, v15
	v_cndmask_b32_e64 v15, 0, 1, s16
	v_cmp_eq_u32_e64 s16, 3, v3
	s_and_b32 s17, s19, s17
	s_and_b32 s18, s6, s18
	;; [unrolled: 1-line block ×4, first 2 shown]
	v_cmp_ne_u32_e64 s24, 0, v4
	v_cndmask_b32_e64 v3, 0, 1, s17
	v_cmp_eq_u32_e64 s17, v2, v28
	v_cmp_eq_u32_e64 s19, 0, v1
	s_bcnt1_i32_b32 s33, s21
	v_cmp_ne_u32_e64 s21, 0, v8
	v_cndmask_b32_e64 v2, 0, 1, s18
	v_cmp_eq_u32_e64 s18, 1, v1
	v_cndmask_b32_e64 v4, 0, 1, s20
	v_cmp_eq_u32_e64 s20, 2, v1
	;; [unrolled: 2-line block ×3, first 2 shown]
	s_and_b32 s6, s6, s16
	s_bcnt1_i32_b32 s87, s24
	v_cndmask_b32_e64 v1, 0, 1, s6
	v_cmp_ne_u32_e64 s24, 0, v3
	s_and_b32 s16, s17, s19
	s_and_b32 s18, s17, s18
	;; [unrolled: 1-line block ×4, first 2 shown]
	v_cmp_ne_u32_e64 s6, 0, v2
	v_cndmask_b32_e64 v2, 0, 1, s16
	v_cmp_ne_u32_e64 s16, 0, v4
	v_cndmask_b32_e64 v3, 0, 1, s18
	v_cndmask_b32_e64 v4, 0, 1, s19
	v_cmp_ne_u32_e64 s19, 0, v1
	v_cndmask_b32_e64 v1, 0, 1, s14
	s_bcnt1_i32_b32 s34, s22
	v_cmp_ne_u32_e64 s22, 0, v14
	s_bcnt1_i32_b32 s86, s23
	v_cmp_ne_u32_e64 s23, 0, v15
	s_add_i32 s28, s87, s28
	v_cmp_ne_u32_e64 s18, 0, v8
	s_bcnt1_i32_b32 s20, s24
	s_bcnt1_i32_b32 s24, s6
	s_add_i32 s20, s28, s20
	v_cmp_ne_u32_e64 s6, 0, v2
	s_bcnt1_i32_b32 s28, s16
	v_cmp_ne_u32_e64 s14, 0, v3
	v_cmp_ne_u32_e64 s16, 0, v4
	;; [unrolled: 1-line block ×3, first 2 shown]
	s_add_i32 s31, s33, s31
	s_add_i32 s30, s34, s30
	;; [unrolled: 1-line block ×3, first 2 shown]
	s_bcnt1_i32_b32 s21, s21
	s_bcnt1_i32_b32 s22, s22
	;; [unrolled: 1-line block ×3, first 2 shown]
	s_add_i32 s21, s31, s21
	s_add_i32 s22, s30, s22
	;; [unrolled: 1-line block ×3, first 2 shown]
	s_bcnt1_i32_b32 s18, s18
	s_bcnt1_i32_b32 s19, s19
	s_add_i32 s21, s21, s24
	s_add_i32 s22, s22, s28
	;; [unrolled: 1-line block ×4, first 2 shown]
	s_bcnt1_i32_b32 s6, s6
	s_bcnt1_i32_b32 s14, s14
	;; [unrolled: 1-line block ×4, first 2 shown]
	s_add_i32 s31, s21, s6
	s_add_i32 s30, s22, s14
	;; [unrolled: 1-line block ×4, first 2 shown]
	v_mov_b32_e32 v1, s31
	v_mov_b32_e32 v2, s30
	v_mov_b32_e32 v3, s29
	v_mov_b32_e32 v4, s28
	s_or_b32 s26, vcc_lo, s26
	s_andn2_b32 exec_lo, exec_lo, s26
	s_cbranch_execnz .LBB65_72
; %bb.73:                               ;   in Loop: Header=BB65_15 Depth=1
	s_or_b32 exec_lo, exec_lo, s26
.LBB65_74:                              ;   in Loop: Header=BB65_15 Depth=1
	s_or_b32 exec_lo, exec_lo, s25
	s_and_saveexec_b32 s18, s12
	s_cbranch_execz .LBB65_80
; %bb.75:                               ;   in Loop: Header=BB65_15 Depth=1
	global_load_ushort v15, v[10:11], off
	v_mov_b32_e32 v8, v32
	v_mov_b32_e32 v13, v25
	s_mov_b32 s19, 0
	s_branch .LBB65_77
.LBB65_76:                              ;   in Loop: Header=BB65_77 Depth=2
	s_or_b32 exec_lo, exec_lo, s14
	s_waitcnt vmcnt(0)
	v_add_nc_u32_sdwa v15, sext(v15), v35 dst_sel:DWORD dst_unused:UNUSED_PAD src0_sel:WORD_0 src1_sel:DWORD
	s_and_b32 s14, exec_lo, vcc_lo
	v_add_nc_u32_e32 v8, s52, v8
	s_or_b32 s19, s14, s19
	v_and_b32_e32 v16, v15, v36
	v_bfe_u32 v15, v15, s78, 2
	v_cmp_eq_u32_e32 vcc_lo, v16, v28
	v_cmp_eq_u32_e64 s6, 0, v15
	v_cmp_eq_u32_e64 s14, 1, v15
	;; [unrolled: 1-line block ×4, first 2 shown]
	s_and_b32 s6, vcc_lo, s6
	v_cndmask_b32_e64 v15, 0, 1, s6
	s_and_b32 s6, vcc_lo, s14
	v_cndmask_b32_e64 v16, 0, 1, s6
	;; [unrolled: 2-line block ×3, first 2 shown]
	s_and_b32 s6, vcc_lo, s17
	v_cmp_ne_u32_e32 vcc_lo, 0, v15
	v_cndmask_b32_e64 v40, 0, 1, s6
	v_cmp_ne_u32_e64 s6, 0, v16
	v_cmp_ne_u32_e64 s14, 0, v39
	v_mov_b32_e32 v15, v14
	s_bcnt1_i32_b32 s17, vcc_lo
	v_cmp_ne_u32_e64 s16, 0, v40
	s_bcnt1_i32_b32 s6, s6
	s_bcnt1_i32_b32 s14, s14
	v_add_nc_u32_e32 v1, s17, v1
	v_add_nc_u32_e32 v2, s6, v2
	s_bcnt1_i32_b32 s16, s16
	v_add_nc_u32_e32 v3, s14, v3
	v_add_nc_u32_e32 v4, s16, v4
	s_andn2_b32 exec_lo, exec_lo, s19
	s_cbranch_execz .LBB65_79
.LBB65_77:                              ;   Parent Loop BB65_15 Depth=1
                                        ; =>  This Inner Loop Header: Depth=2
	v_add_nc_u32_e32 v13, s50, v13
	v_mov_b32_e32 v14, 0
	s_mov_b32 s14, exec_lo
	v_cmp_le_u32_e32 vcc_lo, s36, v13
	v_cmpx_gt_u32_e64 s36, v13
	s_cbranch_execz .LBB65_76
; %bb.78:                               ;   in Loop: Header=BB65_77 Depth=2
	v_lshlrev_b64 v[39:40], 1, v[8:9]
	v_add_co_u32 v39, s6, s42, v39
	v_add_co_ci_u32_e64 v40, null, s48, v40, s6
	global_load_ushort v14, v[39:40], off
	s_branch .LBB65_76
.LBB65_79:                              ;   in Loop: Header=BB65_15 Depth=1
	s_or_b32 exec_lo, exec_lo, s19
.LBB65_80:                              ;   in Loop: Header=BB65_15 Depth=1
	s_or_b32 exec_lo, exec_lo, s18
	s_branch .LBB65_62
.LBB65_81:                              ;   in Loop: Header=BB65_15 Depth=1
	s_mul_hi_u32 s6, s85, s66
	v_mov_b32_e32 v1, 0
	s_mul_i32 s6, s6, s57
	v_mov_b32_e32 v2, 0
	s_sub_i32 s6, s85, s6
	v_mov_b32_e32 v3, 0
	s_sub_i32 s14, s6, s57
	s_cmp_ge_u32 s6, s57
	v_mov_b32_e32 v4, 0
	s_cselect_b32 s6, s14, s6
	s_mov_b32 s87, exec_lo
	s_sub_i32 s14, s6, s57
	s_cmp_ge_u32 s6, s57
	s_cselect_b32 s6, s14, s6
	s_sub_i32 s86, s85, s6
	v_cmpx_gt_u32_e64 s86, v18
	s_cbranch_execz .LBB65_85
; %bb.82:                               ;   in Loop: Header=BB65_15 Depth=1
	v_mov_b32_e32 v8, v33
	v_mov_b32_e32 v13, v18
	s_mov_b32 s88, 0
	s_mov_b32 s89, 0
	;; [unrolled: 1-line block ×5, first 2 shown]
.LBB65_83:                              ;   Parent Loop BB65_15 Depth=1
                                        ; =>  This Inner Loop Header: Depth=2
	ds_read_b64 v[1:2], v8
	v_add_nc_u32_e32 v13, s57, v13
	v_add_nc_u32_e32 v8, s71, v8
	v_cmp_le_u32_e32 vcc_lo, s86, v13
	s_waitcnt lgkmcnt(0)
	v_add_nc_u32_sdwa v3, sext(v1), v35 dst_sel:DWORD dst_unused:UNUSED_PAD src0_sel:WORD_0 src1_sel:DWORD
	v_add_nc_u32_sdwa v1, sext(v1), v35 dst_sel:DWORD dst_unused:UNUSED_PAD src0_sel:WORD_1 src1_sel:DWORD
	v_add_nc_u32_sdwa v4, sext(v2), v35 dst_sel:DWORD dst_unused:UNUSED_PAD src0_sel:WORD_0 src1_sel:DWORD
	v_add_nc_u32_sdwa v2, sext(v2), v35 dst_sel:DWORD dst_unused:UNUSED_PAD src0_sel:WORD_1 src1_sel:DWORD
	v_and_b32_e32 v14, v3, v36
	v_bfe_u32 v3, v3, s78, 2
	v_and_b32_e32 v15, v1, v36
	v_bfe_u32 v1, v1, s78, 2
	;; [unrolled: 2-line block ×3, first 2 shown]
	v_cmp_eq_u32_e64 s6, v14, v28
	v_cmp_eq_u32_e64 s18, 0, v3
	v_and_b32_e32 v39, v2, v36
	v_bfe_u32 v2, v2, s78, 2
	v_cmp_eq_u32_e64 s14, v15, v28
	v_cmp_eq_u32_e64 s19, 0, v1
	;; [unrolled: 1-line block ×4, first 2 shown]
	s_and_b32 s18, s6, s18
	v_cmp_eq_u32_e64 s17, v39, v28
	v_cmp_eq_u32_e64 s21, 0, v2
	;; [unrolled: 1-line block ×5, first 2 shown]
	v_cndmask_b32_e64 v1, 0, 1, s18
	s_and_b32 s18, s14, s19
	v_cmp_eq_u32_e64 s22, 1, v3
	v_cmp_eq_u32_e64 s25, 1, v2
	;; [unrolled: 1-line block ×4, first 2 shown]
	v_cndmask_b32_e64 v2, 0, 1, s18
	s_and_b32 s18, s16, s20
	v_cmp_eq_u32_e64 s26, 2, v3
	v_cmp_eq_u32_e64 s30, 3, v3
	v_cndmask_b32_e64 v3, 0, 1, s18
	s_and_b32 s18, s17, s21
	v_cmp_eq_u32_e64 s24, 1, v4
	v_cmp_eq_u32_e64 s28, 2, v4
	;; [unrolled: 1-line block ×3, first 2 shown]
	v_cndmask_b32_e64 v4, 0, 1, s18
	s_and_b32 s18, s6, s22
	v_cndmask_b32_e64 v14, 0, 1, s18
	s_and_b32 s18, s14, s23
	;; [unrolled: 2-line block ×4, first 2 shown]
	v_cmp_ne_u32_e64 s19, 0, v15
	v_cndmask_b32_e64 v39, 0, 1, s18
	s_and_b32 s18, s6, s26
	s_and_b32 s6, s6, s30
	v_cndmask_b32_e64 v40, 0, 1, s18
	s_and_b32 s18, s14, s27
	v_cndmask_b32_e64 v44, 0, 1, s6
	s_and_b32 s6, s14, s31
	v_cndmask_b32_e64 v41, 0, 1, s18
	s_and_b32 s18, s16, s28
	v_cndmask_b32_e64 v45, 0, 1, s6
	s_and_b32 s6, s16, s33
	v_cndmask_b32_e64 v42, 0, 1, s18
	s_and_b32 s18, s17, s29
	v_cndmask_b32_e64 v46, 0, 1, s6
	s_and_b32 s6, s17, s34
	v_cndmask_b32_e64 v43, 0, 1, s18
	v_cndmask_b32_e64 v47, 0, 1, s6
	v_cmp_ne_u32_e64 s6, 0, v1
	v_cmp_ne_u32_e64 s18, 0, v14
	;; [unrolled: 1-line block ×11, first 2 shown]
	s_bcnt1_i32_b32 s6, s6
	s_bcnt1_i32_b32 s18, s18
	;; [unrolled: 1-line block ×4, first 2 shown]
	v_cmp_ne_u32_e64 s17, 0, v4
	v_cmp_ne_u32_e64 s21, 0, v39
	;; [unrolled: 1-line block ×4, first 2 shown]
	s_bcnt1_i32_b32 s14, s14
	s_bcnt1_i32_b32 s19, s19
	s_bcnt1_i32_b32 s23, s23
	s_bcnt1_i32_b32 s27, s27
	s_add_i32 s6, s6, s92
	s_add_i32 s18, s18, s91
	s_add_i32 s22, s22, s90
	s_add_i32 s26, s26, s89
	s_bcnt1_i32_b32 s16, s16
	s_bcnt1_i32_b32 s20, s20
	s_bcnt1_i32_b32 s24, s24
	s_bcnt1_i32_b32 s28, s28
	s_add_i32 s6, s6, s14
	s_add_i32 s14, s18, s19
	s_add_i32 s18, s22, s23
	s_add_i32 s19, s26, s27
	s_bcnt1_i32_b32 s17, s17
	s_bcnt1_i32_b32 s21, s21
	s_bcnt1_i32_b32 s25, s25
	s_bcnt1_i32_b32 s29, s29
	s_add_i32 s6, s6, s16
	s_add_i32 s14, s14, s20
	s_add_i32 s16, s18, s24
	s_add_i32 s18, s19, s28
	s_add_i32 s92, s6, s17
	s_add_i32 s91, s14, s21
	;; [unrolled: 1-line block ×4, first 2 shown]
	v_mov_b32_e32 v1, s92
	v_mov_b32_e32 v2, s91
	;; [unrolled: 1-line block ×4, first 2 shown]
	s_or_b32 s88, vcc_lo, s88
	s_andn2_b32 exec_lo, exec_lo, s88
	s_cbranch_execnz .LBB65_83
; %bb.84:                               ;   in Loop: Header=BB65_15 Depth=1
	s_or_b32 exec_lo, exec_lo, s88
.LBB65_85:                              ;   in Loop: Header=BB65_15 Depth=1
	s_or_b32 exec_lo, exec_lo, s87
	v_add_nc_u32_e32 v8, s86, v0
	s_mov_b32 s19, exec_lo
	v_cmpx_gt_u32_e64 s85, v8
	s_cbranch_execz .LBB65_89
; %bb.86:                               ;   in Loop: Header=BB65_15 Depth=1
	v_lshlrev_b32_e32 v13, 1, v8
	s_mov_b32 s20, 0
.LBB65_87:                              ;   Parent Loop BB65_15 Depth=1
                                        ; =>  This Inner Loop Header: Depth=2
	ds_read_i16 v14, v13
	v_add_nc_u32_e32 v8, s50, v8
	v_add_nc_u32_e32 v13, s72, v13
	v_cmp_le_u32_e32 vcc_lo, s85, v8
	s_waitcnt lgkmcnt(0)
	v_add_nc_u32_e32 v14, 0x8000, v14
	v_and_b32_e32 v15, v14, v36
	v_bfe_u32 v14, v14, s78, 2
	v_cmp_eq_u32_e64 s6, v15, v28
	v_cmp_eq_u32_e64 s14, 0, v14
	;; [unrolled: 1-line block ×5, first 2 shown]
	s_and_b32 s14, s6, s14
	v_cndmask_b32_e64 v14, 0, 1, s14
	s_and_b32 s14, s6, s16
	v_cndmask_b32_e64 v15, 0, 1, s14
	s_and_b32 s14, s6, s17
	s_and_b32 s6, s6, s18
	v_cndmask_b32_e64 v16, 0, 1, s14
	v_cndmask_b32_e64 v39, 0, 1, s6
	v_cmp_ne_u32_e64 s6, 0, v14
	v_cmp_ne_u32_e64 s14, 0, v15
	;; [unrolled: 1-line block ×4, first 2 shown]
	s_bcnt1_i32_b32 s6, s6
	s_bcnt1_i32_b32 s14, s14
	v_add_nc_u32_e32 v1, s6, v1
	s_bcnt1_i32_b32 s16, s16
	s_bcnt1_i32_b32 s17, s17
	v_add_nc_u32_e32 v2, s14, v2
	v_add_nc_u32_e32 v3, s16, v3
	;; [unrolled: 1-line block ×3, first 2 shown]
	s_or_b32 s20, vcc_lo, s20
	s_andn2_b32 exec_lo, exec_lo, s20
	s_cbranch_execnz .LBB65_87
; %bb.88:                               ;   in Loop: Header=BB65_15 Depth=1
	s_or_b32 exec_lo, exec_lo, s20
.LBB65_89:                              ;   in Loop: Header=BB65_15 Depth=1
	s_or_b32 exec_lo, exec_lo, s19
	s_lshl_b32 s6, s74, 7
	s_and_saveexec_b32 s14, s0
	s_cbranch_execnz .LBB65_63
	s_branch .LBB65_64
.LBB65_90:                              ;   in Loop: Header=BB65_15 Depth=1
	v_mov_b32_e32 v1, 0
	s_mov_b32 s16, 0
	s_andn2_b32 vcc_lo, exec_lo, s65
	s_cbranch_vccnz .LBB65_93
.LBB65_91:                              ;   in Loop: Header=BB65_15 Depth=1
	s_lshl_b32 s17, s74, 9
	s_lshl_b32 s16, s16, 4
	v_add3_u32 v2, s17, s16, v34
	s_mov_b32 s16, s63
.LBB65_92:                              ;   Parent Loop BB65_15 Depth=1
                                        ; =>  This Inner Loop Header: Depth=2
	ds_read_b32 v3, v2
	v_add_nc_u32_e32 v2, 16, v2
	s_add_i32 s16, s16, -1
	s_cmp_lg_u32 s16, 0
	s_waitcnt lgkmcnt(0)
	v_add_nc_u32_e32 v1, v3, v1
	s_cbranch_scc1 .LBB65_92
.LBB65_93:                              ;   in Loop: Header=BB65_15 Depth=1
	v_add_lshl_u32 v2, s6, v19, 2
	ds_write_b32 v2, v1 offset:3072
.LBB65_94:                              ;   in Loop: Header=BB65_15 Depth=1
	s_or_b32 exec_lo, exec_lo, s14
	s_lshl_b32 s6, s6, 2
	s_waitcnt lgkmcnt(0)
	v_mov_b32_e32 v1, s6
	s_barrier
	buffer_gl0_inv
	v_cmp_eq_u32_e64 s14, 1, v38
	s_lshl_b32 s18, 3, s78
	ds_read_b128 v[1:4], v1 offset:3072
	s_mov_b32 s27, -1
	s_not_b32 s19, s18
	s_mov_b32 s16, 0
	s_andn2_b32 vcc_lo, exec_lo, s56
	s_mov_b32 s24, 0
	s_mov_b32 s23, 0
                                        ; implicit-def: $sgpr25
                                        ; implicit-def: $sgpr26
                                        ; implicit-def: $vgpr8
	s_waitcnt lgkmcnt(0)
	v_readfirstlane_b32 s17, v1
	v_readfirstlane_b32 s20, v2
	;; [unrolled: 1-line block ×4, first 2 shown]
                                        ; implicit-def: $vgpr4
                                        ; implicit-def: $vgpr1
                                        ; implicit-def: $vgpr2
                                        ; implicit-def: $vgpr3
	s_cbranch_vccnz .LBB65_252
; %bb.95:                               ;   in Loop: Header=BB65_15 Depth=1
	s_cmp_eq_u32 s17, 1
	v_mov_b32_e32 v2, v28
	v_mov_b32_e32 v3, v36
	;; [unrolled: 1-line block ×3, first 2 shown]
	s_cselect_b32 s6, -1, 0
	s_mov_b32 s29, -1
	s_and_b32 s6, s6, s14
                                        ; implicit-def: $sgpr26
                                        ; implicit-def: $sgpr25
	s_and_saveexec_b32 s23, s6
	s_cbranch_execz .LBB65_121
; %bb.96:                               ;   in Loop: Header=BB65_15 Depth=1
	ds_read_b32 v1, v9 offset:4096
	s_waitcnt lgkmcnt(0)
	s_barrier
	buffer_gl0_inv
	v_readfirstlane_b32 s27, v1
	s_and_saveexec_b32 s24, s15
; %bb.97:                               ;   in Loop: Header=BB65_15 Depth=1
	ds_write_b16 v21, v9
; %bb.98:                               ;   in Loop: Header=BB65_15 Depth=1
	s_or_b32 exec_lo, exec_lo, s24
	v_and_b32_e32 v2, s19, v28
	v_or_b32_e32 v3, s18, v36
	s_mov_b32 s25, -1
	s_mov_b32 s26, 0
	s_cmp_eq_u32 s27, 0
	s_mov_b32 s24, 0
	s_mov_b32 s28, -1
	s_waitcnt lgkmcnt(0)
	s_barrier
	buffer_gl0_inv
                                        ; implicit-def: $vgpr8
	s_cbranch_scc1 .LBB65_109
; %bb.99:                               ;   in Loop: Header=BB65_15 Depth=1
	s_add_i32 s24, s27, s62
                                        ; implicit-def: $vgpr8
	s_mul_hi_u32 s28, s24, s68
	s_mul_i32 s28, s28, s50
	s_sub_i32 s28, s24, s28
	s_sub_i32 s29, s28, s50
	s_cmp_ge_u32 s28, s50
	s_cselect_b32 s28, s29, s28
	s_sub_i32 s29, s28, s50
	s_cmp_ge_u32 s28, s50
	s_cselect_b32 s28, s29, s28
	s_mov_b32 s29, exec_lo
	s_sub_i32 s30, s24, s28
	s_mov_b32 s28, 0
	s_mov_b32 s24, 0
	v_cmpx_gt_u32_e64 s30, v0
	s_cbranch_execz .LBB65_108
; %bb.100:                              ;   in Loop: Header=BB65_15 Depth=1
	v_mov_b32_e32 v1, v20
	v_mov_b32_e32 v4, v0
                                        ; implicit-def: $sgpr31
	s_inst_prefetch 0x1
	s_branch .LBB65_103
	.p2align	6
.LBB65_101:                             ;   in Loop: Header=BB65_103 Depth=2
	s_or_b32 exec_lo, exec_lo, s33
	s_waitcnt lgkmcnt(0)
	s_barrier
	buffer_gl0_inv
	ds_read_b32 v8, v9 offset:3072
	s_mov_b32 s33, -1
	s_waitcnt lgkmcnt(0)
	s_barrier
	buffer_gl0_inv
	v_cmp_ne_u32_sdwa s34, v8, v9 src0_sel:WORD_0 src1_sel:DWORD
	s_and_b32 vcc_lo, exec_lo, s34
	s_mov_b32 s34, -1
	s_cbranch_vccz .LBB65_106
.LBB65_102:                             ;   in Loop: Header=BB65_103 Depth=2
	s_and_b32 s33, exec_lo, s33
	s_or_b32 s24, s33, s24
	s_andn2_b32 s31, s31, exec_lo
	s_and_b32 s33, s34, exec_lo
	s_or_b32 s31, s31, s33
	s_andn2_b32 exec_lo, exec_lo, s24
	s_cbranch_execz .LBB65_107
.LBB65_103:                             ;   Parent Loop BB65_15 Depth=1
                                        ; =>  This Inner Loop Header: Depth=2
	s_mov_b32 s33, exec_lo
	v_cmpx_gt_u32_e64 s27, v4
	s_cbranch_execz .LBB65_101
; %bb.104:                              ;   in Loop: Header=BB65_103 Depth=2
	ds_read_u16 v8, v1
	s_waitcnt lgkmcnt(0)
	v_add_nc_u32_sdwa v13, sext(v8), v35 dst_sel:DWORD dst_unused:UNUSED_PAD src0_sel:WORD_0 src1_sel:DWORD
	v_and_b32_e32 v13, v13, v3
	v_cmp_eq_u32_e32 vcc_lo, v13, v2
	s_and_b32 exec_lo, exec_lo, vcc_lo
	s_cbranch_execz .LBB65_101
; %bb.105:                              ;   in Loop: Header=BB65_103 Depth=2
	v_perm_b32 v8, v8, 1, 0x5040100
	ds_write_b32 v9, v8 offset:3072
	s_branch .LBB65_101
.LBB65_106:                             ;   in Loop: Header=BB65_103 Depth=2
	v_add_nc_u32_e32 v4, s50, v4
	v_add_nc_u32_e32 v1, s72, v1
	s_mov_b32 s34, 0
	v_cmp_le_u32_e32 vcc_lo, s30, v4
	s_orn2_b32 s33, vcc_lo, exec_lo
	s_branch .LBB65_102
.LBB65_107:                             ;   in Loop: Header=BB65_15 Depth=1
	s_inst_prefetch 0x2
	s_or_b32 exec_lo, exec_lo, s24
	v_lshrrev_b32_e32 v8, 16, v8
	s_and_b32 s24, s31, exec_lo
.LBB65_108:                             ;   in Loop: Header=BB65_15 Depth=1
	s_or_b32 exec_lo, exec_lo, s29
.LBB65_109:                             ;   in Loop: Header=BB65_15 Depth=1
	s_and_b32 vcc_lo, exec_lo, s28
	s_cbranch_vccz .LBB65_120
; %bb.110:                              ;   in Loop: Header=BB65_15 Depth=1
                                        ; implicit-def: $vgpr8
	s_and_saveexec_b32 s25, s13
	s_cbranch_execz .LBB65_119
; %bb.111:                              ;   in Loop: Header=BB65_15 Depth=1
	v_mov_b32_e32 v8, v7
	v_mov_b32_e32 v1, v0
	s_mov_b32 s26, 0
                                        ; implicit-def: $sgpr27
	s_inst_prefetch 0x1
	s_branch .LBB65_114
	.p2align	6
.LBB65_112:                             ;   in Loop: Header=BB65_114 Depth=2
	s_or_b32 exec_lo, exec_lo, s28
	s_waitcnt lgkmcnt(0)
	s_barrier
	buffer_gl0_inv
	ds_read_b32 v4, v9 offset:3072
	s_mov_b32 s28, -1
	s_waitcnt lgkmcnt(0)
	s_barrier
	buffer_gl0_inv
	v_cmp_ne_u32_sdwa s29, v4, v9 src0_sel:WORD_0 src1_sel:DWORD
	s_and_b32 vcc_lo, exec_lo, s29
	s_mov_b32 s29, -1
	s_cbranch_vccz .LBB65_117
.LBB65_113:                             ;   in Loop: Header=BB65_114 Depth=2
	s_and_b32 s28, exec_lo, s28
	s_or_b32 s26, s28, s26
	s_andn2_b32 s27, s27, exec_lo
	s_and_b32 s28, s29, exec_lo
	s_or_b32 s27, s27, s28
	s_andn2_b32 exec_lo, exec_lo, s26
	s_cbranch_execz .LBB65_118
.LBB65_114:                             ;   Parent Loop BB65_15 Depth=1
                                        ; =>  This Inner Loop Header: Depth=2
	s_mov_b32 s28, exec_lo
	v_cmpx_gt_u32_e64 s36, v1
	s_cbranch_execz .LBB65_112
; %bb.115:                              ;   in Loop: Header=BB65_114 Depth=2
	v_lshlrev_b64 v[13:14], 1, v[8:9]
	v_add_co_u32 v13, vcc_lo, s42, v13
	v_add_co_ci_u32_e64 v14, null, s48, v14, vcc_lo
	global_load_ushort v4, v[13:14], off
	s_waitcnt vmcnt(0)
	v_add_nc_u32_sdwa v13, sext(v4), v35 dst_sel:DWORD dst_unused:UNUSED_PAD src0_sel:WORD_0 src1_sel:DWORD
	v_and_b32_e32 v13, v13, v3
	v_cmp_eq_u32_e32 vcc_lo, v13, v2
	s_and_b32 exec_lo, exec_lo, vcc_lo
	s_cbranch_execz .LBB65_112
; %bb.116:                              ;   in Loop: Header=BB65_114 Depth=2
	v_perm_b32 v4, v4, 1, 0x5040100
	ds_write_b32 v9, v4 offset:3072
	s_branch .LBB65_112
.LBB65_117:                             ;   in Loop: Header=BB65_114 Depth=2
	v_add_nc_u32_e32 v1, s50, v1
	v_add_nc_u32_e32 v8, s52, v8
	s_mov_b32 s29, 0
	v_cmp_le_u32_e32 vcc_lo, s69, v1
	s_orn2_b32 s28, vcc_lo, exec_lo
	s_branch .LBB65_113
.LBB65_118:                             ;   in Loop: Header=BB65_15 Depth=1
	s_inst_prefetch 0x2
	s_or_b32 exec_lo, exec_lo, s26
	v_lshrrev_b32_e32 v8, 16, v4
	s_andn2_b32 s24, s24, exec_lo
	s_and_b32 s26, s27, exec_lo
	s_or_b32 s24, s24, s26
.LBB65_119:                             ;   in Loop: Header=BB65_15 Depth=1
	s_or_b32 exec_lo, exec_lo, s25
	s_mov_b32 s25, 0
	s_mov_b32 s26, -1
.LBB65_120:                             ;   in Loop: Header=BB65_15 Depth=1
	s_orn2_b32 s29, s24, exec_lo
.LBB65_121:                             ;   in Loop: Header=BB65_15 Depth=1
	s_or_b32 exec_lo, exec_lo, s23
	s_mov_b32 s27, 0
	s_mov_b32 s24, 0
	;; [unrolled: 1-line block ×3, first 2 shown]
                                        ; implicit-def: $vgpr4
                                        ; implicit-def: $vgpr1
	s_and_saveexec_b32 s28, s29
	s_cbranch_execz .LBB65_251
; %bb.122:                              ;   in Loop: Header=BB65_15 Depth=1
	v_mov_b32_e32 v4, 1
	v_mov_b32_e32 v1, 1
	s_xor_b32 s23, s6, -1
	s_mov_b32 s30, 0
	s_and_saveexec_b32 s6, s23
	s_cbranch_execz .LBB65_131
; %bb.123:                              ;   in Loop: Header=BB65_15 Depth=1
	s_mov_b32 s23, exec_lo
	v_cmpx_ge_u32_e64 s17, v38
	s_xor_b32 s23, exec_lo, s23
	s_cbranch_execz .LBB65_128
; %bb.124:                              ;   in Loop: Header=BB65_15 Depth=1
	ds_read_b32 v1, v9 offset:4096
	v_and_b32_e32 v2, s19, v2
	v_or_b32_e32 v3, s18, v3
	s_waitcnt lgkmcnt(0)
	v_cmp_ne_u32_e32 vcc_lo, 0, v1
	s_cbranch_vccnz .LBB65_128
; %bb.125:                              ;   in Loop: Header=BB65_15 Depth=1
	s_and_saveexec_b32 s24, s3
; %bb.126:                              ;   in Loop: Header=BB65_15 Depth=1
	v_mov_b32_e32 v1, s17
	ds_write_b32 v9, v1 offset:4100
; %bb.127:                              ;   in Loop: Header=BB65_15 Depth=1
	s_or_b32 exec_lo, exec_lo, s24
	s_waitcnt lgkmcnt(0)
	s_barrier
	buffer_gl0_inv
.LBB65_128:                             ;   in Loop: Header=BB65_15 Depth=1
	s_or_saveexec_b32 s23, s23
	v_mov_b32_e32 v1, 8
	v_mov_b32_e32 v4, v38
	s_mov_b32 s24, 0
	s_xor_b32 exec_lo, exec_lo, s23
; %bb.129:                              ;   in Loop: Header=BB65_15 Depth=1
	v_subrev_nc_u32_e32 v4, s17, v38
	v_mov_b32_e32 v1, 0
	s_mov_b32 s24, exec_lo
; %bb.130:                              ;   in Loop: Header=BB65_15 Depth=1
	s_or_b32 exec_lo, exec_lo, s23
	s_and_b32 s30, s24, exec_lo
.LBB65_131:                             ;   in Loop: Header=BB65_15 Depth=1
	s_or_b32 exec_lo, exec_lo, s6
	s_mov_b32 s29, -1
                                        ; implicit-def: $sgpr23
                                        ; implicit-def: $sgpr24
	s_and_saveexec_b32 s6, s30
	s_xor_b32 s6, exec_lo, s6
	s_cbranch_execz .LBB65_248
; %bb.132:                              ;   in Loop: Header=BB65_15 Depth=1
	v_cmp_eq_u32_e32 vcc_lo, 1, v4
	s_cmp_eq_u32 s20, 1
	s_mov_b32 s31, -1
	s_cselect_b32 s23, -1, 0
                                        ; implicit-def: $sgpr24
	s_and_b32 s30, s23, vcc_lo
                                        ; implicit-def: $sgpr23
	s_and_saveexec_b32 s29, s30
	s_cbranch_execz .LBB65_158
; %bb.133:                              ;   in Loop: Header=BB65_15 Depth=1
	ds_read_b32 v8, v9 offset:4096
	s_waitcnt lgkmcnt(0)
	s_barrier
	buffer_gl0_inv
	v_readfirstlane_b32 s33, v8
	s_and_saveexec_b32 s23, s15
; %bb.134:                              ;   in Loop: Header=BB65_15 Depth=1
	ds_write_b16 v21, v9
; %bb.135:                              ;   in Loop: Header=BB65_15 Depth=1
	s_or_b32 exec_lo, exec_lo, s23
	s_lshl_b32 s23, 1, s78
	v_or_b32_e32 v3, s18, v3
	v_and_or_b32 v2, v2, s19, s23
	s_mov_b32 s23, -1
	s_mov_b32 s24, 0
	s_cmp_eq_u32 s33, 0
	s_mov_b32 s31, 0
	s_mov_b32 s34, -1
	s_waitcnt lgkmcnt(0)
	s_barrier
	buffer_gl0_inv
                                        ; implicit-def: $vgpr8
	s_cbranch_scc1 .LBB65_146
; %bb.136:                              ;   in Loop: Header=BB65_15 Depth=1
	s_add_i32 s31, s33, s62
                                        ; implicit-def: $vgpr8
	s_mul_hi_u32 s34, s31, s68
	s_mul_i32 s34, s34, s50
	s_sub_i32 s34, s31, s34
	s_sub_i32 s85, s34, s50
	s_cmp_ge_u32 s34, s50
	s_cselect_b32 s34, s85, s34
	s_sub_i32 s85, s34, s50
	s_cmp_ge_u32 s34, s50
	s_cselect_b32 s34, s85, s34
	s_mov_b32 s85, exec_lo
	s_sub_i32 s86, s31, s34
	s_mov_b32 s34, 0
	s_mov_b32 s31, 0
	v_cmpx_gt_u32_e64 s86, v0
	s_cbranch_execz .LBB65_145
; %bb.137:                              ;   in Loop: Header=BB65_15 Depth=1
	v_mov_b32_e32 v8, v20
	v_mov_b32_e32 v13, v0
                                        ; implicit-def: $sgpr87
	s_inst_prefetch 0x1
	s_branch .LBB65_140
	.p2align	6
.LBB65_138:                             ;   in Loop: Header=BB65_140 Depth=2
	s_or_b32 exec_lo, exec_lo, s88
	s_waitcnt lgkmcnt(0)
	s_barrier
	buffer_gl0_inv
	ds_read_b32 v14, v9 offset:3072
	s_mov_b32 s88, -1
	s_waitcnt lgkmcnt(0)
	s_barrier
	buffer_gl0_inv
	v_cmp_ne_u32_sdwa s89, v14, v9 src0_sel:WORD_0 src1_sel:DWORD
	s_and_b32 vcc_lo, exec_lo, s89
	s_mov_b32 s89, -1
	s_cbranch_vccz .LBB65_143
.LBB65_139:                             ;   in Loop: Header=BB65_140 Depth=2
	s_and_b32 s88, exec_lo, s88
	s_or_b32 s31, s88, s31
	s_andn2_b32 s87, s87, exec_lo
	s_and_b32 s88, s89, exec_lo
	s_or_b32 s87, s87, s88
	s_andn2_b32 exec_lo, exec_lo, s31
	s_cbranch_execz .LBB65_144
.LBB65_140:                             ;   Parent Loop BB65_15 Depth=1
                                        ; =>  This Inner Loop Header: Depth=2
	s_mov_b32 s88, exec_lo
	v_cmpx_gt_u32_e64 s33, v13
	s_cbranch_execz .LBB65_138
; %bb.141:                              ;   in Loop: Header=BB65_140 Depth=2
	ds_read_u16 v14, v8
	s_waitcnt lgkmcnt(0)
	v_add_nc_u32_sdwa v15, sext(v14), v35 dst_sel:DWORD dst_unused:UNUSED_PAD src0_sel:WORD_0 src1_sel:DWORD
	v_and_b32_e32 v15, v15, v3
	v_cmp_eq_u32_e32 vcc_lo, v15, v2
	s_and_b32 exec_lo, exec_lo, vcc_lo
	s_cbranch_execz .LBB65_138
; %bb.142:                              ;   in Loop: Header=BB65_140 Depth=2
	v_perm_b32 v14, v14, 1, 0x5040100
	ds_write_b32 v9, v14 offset:3072
	s_branch .LBB65_138
.LBB65_143:                             ;   in Loop: Header=BB65_140 Depth=2
	v_add_nc_u32_e32 v13, s50, v13
	v_add_nc_u32_e32 v8, s72, v8
	s_mov_b32 s89, 0
	v_cmp_le_u32_e32 vcc_lo, s86, v13
	s_orn2_b32 s88, vcc_lo, exec_lo
	s_branch .LBB65_139
.LBB65_144:                             ;   in Loop: Header=BB65_15 Depth=1
	s_inst_prefetch 0x2
	s_or_b32 exec_lo, exec_lo, s31
	v_lshrrev_b32_e32 v8, 16, v14
	s_and_b32 s31, s87, exec_lo
.LBB65_145:                             ;   in Loop: Header=BB65_15 Depth=1
	s_or_b32 exec_lo, exec_lo, s85
.LBB65_146:                             ;   in Loop: Header=BB65_15 Depth=1
	s_and_b32 vcc_lo, exec_lo, s34
	s_cbranch_vccz .LBB65_157
; %bb.147:                              ;   in Loop: Header=BB65_15 Depth=1
                                        ; implicit-def: $vgpr8
	s_and_saveexec_b32 s23, s13
	s_cbranch_execz .LBB65_156
; %bb.148:                              ;   in Loop: Header=BB65_15 Depth=1
	v_mov_b32_e32 v8, v7
	v_mov_b32_e32 v13, v0
	s_mov_b32 s24, 0
                                        ; implicit-def: $sgpr33
	s_inst_prefetch 0x1
	s_branch .LBB65_151
	.p2align	6
.LBB65_149:                             ;   in Loop: Header=BB65_151 Depth=2
	s_or_b32 exec_lo, exec_lo, s34
	s_waitcnt lgkmcnt(0)
	s_barrier
	buffer_gl0_inv
	ds_read_b32 v14, v9 offset:3072
	s_mov_b32 s34, -1
	s_waitcnt lgkmcnt(0)
	s_barrier
	buffer_gl0_inv
	v_cmp_eq_u32_sdwa s85, v14, v9 src0_sel:WORD_0 src1_sel:DWORD
	s_and_b32 vcc_lo, exec_lo, s85
	s_mov_b32 s85, -1
	s_cbranch_vccnz .LBB65_154
.LBB65_150:                             ;   in Loop: Header=BB65_151 Depth=2
	s_and_b32 s34, exec_lo, s34
	s_or_b32 s24, s34, s24
	s_andn2_b32 s33, s33, exec_lo
	s_and_b32 s34, s85, exec_lo
	s_or_b32 s33, s33, s34
	s_andn2_b32 exec_lo, exec_lo, s24
	s_cbranch_execz .LBB65_155
.LBB65_151:                             ;   Parent Loop BB65_15 Depth=1
                                        ; =>  This Inner Loop Header: Depth=2
	s_mov_b32 s34, exec_lo
	v_cmpx_gt_u32_e64 s36, v13
	s_cbranch_execz .LBB65_149
; %bb.152:                              ;   in Loop: Header=BB65_151 Depth=2
	v_lshlrev_b64 v[14:15], 1, v[8:9]
	v_add_co_u32 v14, vcc_lo, s42, v14
	v_add_co_ci_u32_e64 v15, null, s48, v15, vcc_lo
	global_load_ushort v14, v[14:15], off
	s_waitcnt vmcnt(0)
	v_add_nc_u32_sdwa v15, sext(v14), v35 dst_sel:DWORD dst_unused:UNUSED_PAD src0_sel:WORD_0 src1_sel:DWORD
	v_and_b32_e32 v15, v15, v3
	v_cmp_eq_u32_e32 vcc_lo, v15, v2
	s_and_b32 exec_lo, exec_lo, vcc_lo
	s_cbranch_execz .LBB65_149
; %bb.153:                              ;   in Loop: Header=BB65_151 Depth=2
	v_perm_b32 v14, v14, 1, 0x5040100
	ds_write_b32 v9, v14 offset:3072
	s_branch .LBB65_149
.LBB65_154:                             ;   in Loop: Header=BB65_151 Depth=2
	v_add_nc_u32_e32 v13, s50, v13
	v_add_nc_u32_e32 v8, s52, v8
	s_mov_b32 s85, 0
	v_cmp_le_u32_e32 vcc_lo, s69, v13
	s_orn2_b32 s34, vcc_lo, exec_lo
	s_branch .LBB65_150
.LBB65_155:                             ;   in Loop: Header=BB65_15 Depth=1
	s_inst_prefetch 0x2
	s_or_b32 exec_lo, exec_lo, s24
	v_lshrrev_b32_e32 v8, 16, v14
	s_andn2_b32 s24, s31, exec_lo
	s_and_b32 s31, s33, exec_lo
	s_or_b32 s31, s24, s31
.LBB65_156:                             ;   in Loop: Header=BB65_15 Depth=1
	s_or_b32 exec_lo, exec_lo, s23
	s_mov_b32 s23, 0
	s_mov_b32 s24, -1
.LBB65_157:                             ;   in Loop: Header=BB65_15 Depth=1
	s_orn2_b32 s31, s31, exec_lo
.LBB65_158:                             ;   in Loop: Header=BB65_15 Depth=1
	s_or_b32 exec_lo, exec_lo, s29
	s_mov_b32 s33, 0
	s_and_saveexec_b32 s29, s31
	s_cbranch_execz .LBB65_247
; %bb.159:                              ;   in Loop: Header=BB65_15 Depth=1
	v_mov_b32_e32 v13, 1
	v_mov_b32_e32 v1, 1
	s_xor_b32 s31, s30, -1
	s_mov_b32 s85, 0
	s_and_saveexec_b32 s30, s31
	s_cbranch_execz .LBB65_168
; %bb.160:                              ;   in Loop: Header=BB65_15 Depth=1
	s_mov_b32 s31, exec_lo
	v_cmpx_ge_u32_e64 s20, v4
	s_xor_b32 s31, exec_lo, s31
	s_cbranch_execz .LBB65_165
; %bb.161:                              ;   in Loop: Header=BB65_15 Depth=1
	ds_read_b32 v1, v9 offset:4096
	s_lshl_b32 s33, 1, s78
	v_or_b32_e32 v3, s18, v3
	v_and_or_b32 v2, v2, s19, s33
	s_waitcnt lgkmcnt(0)
	v_cmp_ne_u32_e32 vcc_lo, 0, v1
	s_cbranch_vccnz .LBB65_165
; %bb.162:                              ;   in Loop: Header=BB65_15 Depth=1
	s_and_saveexec_b32 s33, s3
; %bb.163:                              ;   in Loop: Header=BB65_15 Depth=1
	v_mov_b32_e32 v1, s20
	ds_write_b32 v9, v1 offset:4100
; %bb.164:                              ;   in Loop: Header=BB65_15 Depth=1
	s_or_b32 exec_lo, exec_lo, s33
	s_waitcnt lgkmcnt(0)
	s_barrier
	buffer_gl0_inv
.LBB65_165:                             ;   in Loop: Header=BB65_15 Depth=1
	s_or_saveexec_b32 s31, s31
	v_mov_b32_e32 v1, 8
	s_mov_b32 s33, 0
	s_xor_b32 exec_lo, exec_lo, s31
; %bb.166:                              ;   in Loop: Header=BB65_15 Depth=1
	v_subrev_nc_u32_e32 v4, s20, v4
	v_mov_b32_e32 v1, 0
	s_mov_b32 s33, exec_lo
; %bb.167:                              ;   in Loop: Header=BB65_15 Depth=1
	s_or_b32 exec_lo, exec_lo, s31
	v_mov_b32_e32 v13, v4
	s_and_b32 s85, s33, exec_lo
.LBB65_168:                             ;   in Loop: Header=BB65_15 Depth=1
	s_or_b32 exec_lo, exec_lo, s30
	s_mov_b32 s34, -1
                                        ; implicit-def: $sgpr31
                                        ; implicit-def: $sgpr33
	s_and_saveexec_b32 s30, s85
	s_cbranch_execz .LBB65_246
; %bb.169:                              ;   in Loop: Header=BB65_15 Depth=1
	v_cmp_eq_u32_e32 vcc_lo, 1, v13
	s_cmp_eq_u32 s21, 1
	s_mov_b32 s86, -1
	s_cselect_b32 s31, -1, 0
                                        ; implicit-def: $sgpr33
	s_and_b32 s85, s31, vcc_lo
                                        ; implicit-def: $sgpr31
	s_and_saveexec_b32 s34, s85
	s_cbranch_execz .LBB65_195
; %bb.170:                              ;   in Loop: Header=BB65_15 Depth=1
	ds_read_b32 v4, v9 offset:4096
	s_waitcnt lgkmcnt(0)
	s_barrier
	buffer_gl0_inv
	v_readfirstlane_b32 s87, v4
	s_and_saveexec_b32 s31, s15
; %bb.171:                              ;   in Loop: Header=BB65_15 Depth=1
	ds_write_b16 v21, v9
; %bb.172:                              ;   in Loop: Header=BB65_15 Depth=1
	s_or_b32 exec_lo, exec_lo, s31
	s_lshl_b32 s31, 2, s78
	v_or_b32_e32 v3, s18, v3
	v_and_or_b32 v2, v2, s19, s31
	s_mov_b32 s31, -1
	s_mov_b32 s33, 0
	s_cmp_eq_u32 s87, 0
	s_mov_b32 s86, 0
	s_mov_b32 s88, -1
	s_waitcnt lgkmcnt(0)
	s_barrier
	buffer_gl0_inv
                                        ; implicit-def: $vgpr8
	s_cbranch_scc1 .LBB65_183
; %bb.173:                              ;   in Loop: Header=BB65_15 Depth=1
	s_add_i32 s86, s87, s62
                                        ; implicit-def: $vgpr8
	s_mul_hi_u32 s88, s86, s68
	s_mul_i32 s88, s88, s50
	s_sub_i32 s88, s86, s88
	s_sub_i32 s89, s88, s50
	s_cmp_ge_u32 s88, s50
	s_cselect_b32 s88, s89, s88
	s_sub_i32 s89, s88, s50
	s_cmp_ge_u32 s88, s50
	s_cselect_b32 s88, s89, s88
	s_mov_b32 s89, exec_lo
	s_sub_i32 s90, s86, s88
	s_mov_b32 s88, 0
	s_mov_b32 s86, 0
	v_cmpx_gt_u32_e64 s90, v0
	s_cbranch_execz .LBB65_182
; %bb.174:                              ;   in Loop: Header=BB65_15 Depth=1
	v_mov_b32_e32 v4, v20
	v_mov_b32_e32 v8, v0
                                        ; implicit-def: $sgpr91
	s_inst_prefetch 0x1
	s_branch .LBB65_177
	.p2align	6
.LBB65_175:                             ;   in Loop: Header=BB65_177 Depth=2
	s_or_b32 exec_lo, exec_lo, s92
	s_waitcnt lgkmcnt(0)
	s_barrier
	buffer_gl0_inv
	ds_read_b32 v14, v9 offset:3072
	s_mov_b32 s92, -1
	s_waitcnt lgkmcnt(0)
	s_barrier
	buffer_gl0_inv
	v_cmp_ne_u32_sdwa s93, v14, v9 src0_sel:WORD_0 src1_sel:DWORD
	s_and_b32 vcc_lo, exec_lo, s93
	s_mov_b32 s93, -1
	s_cbranch_vccz .LBB65_180
.LBB65_176:                             ;   in Loop: Header=BB65_177 Depth=2
	s_and_b32 s92, exec_lo, s92
	s_or_b32 s86, s92, s86
	s_andn2_b32 s91, s91, exec_lo
	s_and_b32 s92, s93, exec_lo
	s_or_b32 s91, s91, s92
	s_andn2_b32 exec_lo, exec_lo, s86
	s_cbranch_execz .LBB65_181
.LBB65_177:                             ;   Parent Loop BB65_15 Depth=1
                                        ; =>  This Inner Loop Header: Depth=2
	s_mov_b32 s92, exec_lo
	v_cmpx_gt_u32_e64 s87, v8
	s_cbranch_execz .LBB65_175
; %bb.178:                              ;   in Loop: Header=BB65_177 Depth=2
	ds_read_u16 v14, v4
	s_waitcnt lgkmcnt(0)
	v_add_nc_u32_sdwa v15, sext(v14), v35 dst_sel:DWORD dst_unused:UNUSED_PAD src0_sel:WORD_0 src1_sel:DWORD
	v_and_b32_e32 v15, v15, v3
	v_cmp_eq_u32_e32 vcc_lo, v15, v2
	s_and_b32 exec_lo, exec_lo, vcc_lo
	s_cbranch_execz .LBB65_175
; %bb.179:                              ;   in Loop: Header=BB65_177 Depth=2
	v_perm_b32 v14, v14, 1, 0x5040100
	ds_write_b32 v9, v14 offset:3072
	s_branch .LBB65_175
.LBB65_180:                             ;   in Loop: Header=BB65_177 Depth=2
	v_add_nc_u32_e32 v8, s50, v8
	v_add_nc_u32_e32 v4, s72, v4
	s_mov_b32 s93, 0
	v_cmp_le_u32_e32 vcc_lo, s90, v8
	s_orn2_b32 s92, vcc_lo, exec_lo
	s_branch .LBB65_176
.LBB65_181:                             ;   in Loop: Header=BB65_15 Depth=1
	s_inst_prefetch 0x2
	s_or_b32 exec_lo, exec_lo, s86
	v_lshrrev_b32_e32 v8, 16, v14
	s_and_b32 s86, s91, exec_lo
.LBB65_182:                             ;   in Loop: Header=BB65_15 Depth=1
	s_or_b32 exec_lo, exec_lo, s89
.LBB65_183:                             ;   in Loop: Header=BB65_15 Depth=1
	s_and_b32 vcc_lo, exec_lo, s88
	s_cbranch_vccz .LBB65_194
; %bb.184:                              ;   in Loop: Header=BB65_15 Depth=1
                                        ; implicit-def: $vgpr8
	s_and_saveexec_b32 s31, s13
	s_cbranch_execz .LBB65_193
; %bb.185:                              ;   in Loop: Header=BB65_15 Depth=1
	v_mov_b32_e32 v8, v7
	v_mov_b32_e32 v4, v0
	s_mov_b32 s33, 0
                                        ; implicit-def: $sgpr87
	s_inst_prefetch 0x1
	s_branch .LBB65_188
	.p2align	6
.LBB65_186:                             ;   in Loop: Header=BB65_188 Depth=2
	s_or_b32 exec_lo, exec_lo, s88
	s_waitcnt lgkmcnt(0)
	s_barrier
	buffer_gl0_inv
	ds_read_b32 v14, v9 offset:3072
	s_mov_b32 s88, -1
	s_waitcnt lgkmcnt(0)
	s_barrier
	buffer_gl0_inv
	v_cmp_eq_u32_sdwa s89, v14, v9 src0_sel:WORD_0 src1_sel:DWORD
	s_and_b32 vcc_lo, exec_lo, s89
	s_mov_b32 s89, -1
	s_cbranch_vccnz .LBB65_191
.LBB65_187:                             ;   in Loop: Header=BB65_188 Depth=2
	s_and_b32 s88, exec_lo, s88
	s_or_b32 s33, s88, s33
	s_andn2_b32 s87, s87, exec_lo
	s_and_b32 s88, s89, exec_lo
	s_or_b32 s87, s87, s88
	s_andn2_b32 exec_lo, exec_lo, s33
	s_cbranch_execz .LBB65_192
.LBB65_188:                             ;   Parent Loop BB65_15 Depth=1
                                        ; =>  This Inner Loop Header: Depth=2
	s_mov_b32 s88, exec_lo
	v_cmpx_gt_u32_e64 s36, v4
	s_cbranch_execz .LBB65_186
; %bb.189:                              ;   in Loop: Header=BB65_188 Depth=2
	v_lshlrev_b64 v[14:15], 1, v[8:9]
	v_add_co_u32 v14, vcc_lo, s42, v14
	v_add_co_ci_u32_e64 v15, null, s48, v15, vcc_lo
	global_load_ushort v14, v[14:15], off
	s_waitcnt vmcnt(0)
	v_add_nc_u32_sdwa v15, sext(v14), v35 dst_sel:DWORD dst_unused:UNUSED_PAD src0_sel:WORD_0 src1_sel:DWORD
	v_and_b32_e32 v15, v15, v3
	v_cmp_eq_u32_e32 vcc_lo, v15, v2
	s_and_b32 exec_lo, exec_lo, vcc_lo
	s_cbranch_execz .LBB65_186
; %bb.190:                              ;   in Loop: Header=BB65_188 Depth=2
	v_perm_b32 v14, v14, 1, 0x5040100
	ds_write_b32 v9, v14 offset:3072
	s_branch .LBB65_186
.LBB65_191:                             ;   in Loop: Header=BB65_188 Depth=2
	v_add_nc_u32_e32 v4, s50, v4
	v_add_nc_u32_e32 v8, s52, v8
	s_mov_b32 s89, 0
	v_cmp_le_u32_e32 vcc_lo, s69, v4
	s_orn2_b32 s88, vcc_lo, exec_lo
	s_branch .LBB65_187
.LBB65_192:                             ;   in Loop: Header=BB65_15 Depth=1
	s_inst_prefetch 0x2
	s_or_b32 exec_lo, exec_lo, s33
	v_lshrrev_b32_e32 v8, 16, v14
	s_andn2_b32 s33, s86, exec_lo
	s_and_b32 s86, s87, exec_lo
	s_or_b32 s86, s33, s86
.LBB65_193:                             ;   in Loop: Header=BB65_15 Depth=1
	s_or_b32 exec_lo, exec_lo, s31
	s_mov_b32 s31, 0
	s_mov_b32 s33, -1
.LBB65_194:                             ;   in Loop: Header=BB65_15 Depth=1
	s_orn2_b32 s86, s86, exec_lo
.LBB65_195:                             ;   in Loop: Header=BB65_15 Depth=1
	s_or_b32 exec_lo, exec_lo, s34
	s_mov_b32 s87, 0
	s_and_saveexec_b32 s34, s86
	s_cbranch_execz .LBB65_245
; %bb.196:                              ;   in Loop: Header=BB65_15 Depth=1
	v_mov_b32_e32 v4, 1
	v_mov_b32_e32 v1, 1
	s_xor_b32 s86, s85, -1
	s_mov_b32 s89, 0
	s_and_saveexec_b32 s85, s86
	s_cbranch_execz .LBB65_205
; %bb.197:                              ;   in Loop: Header=BB65_15 Depth=1
	s_mov_b32 s86, exec_lo
	v_cmpx_ge_u32_e64 s21, v13
	s_xor_b32 s86, exec_lo, s86
	s_cbranch_execz .LBB65_202
; %bb.198:                              ;   in Loop: Header=BB65_15 Depth=1
	ds_read_b32 v1, v9 offset:4096
	s_lshl_b32 s87, 2, s78
	v_or_b32_e32 v3, s18, v3
	v_and_or_b32 v2, v2, s19, s87
	s_waitcnt lgkmcnt(0)
	v_cmp_ne_u32_e32 vcc_lo, 0, v1
	s_cbranch_vccnz .LBB65_202
; %bb.199:                              ;   in Loop: Header=BB65_15 Depth=1
	s_and_saveexec_b32 s87, s3
; %bb.200:                              ;   in Loop: Header=BB65_15 Depth=1
	v_mov_b32_e32 v1, s21
	ds_write_b32 v9, v1 offset:4100
; %bb.201:                              ;   in Loop: Header=BB65_15 Depth=1
	s_or_b32 exec_lo, exec_lo, s87
	s_waitcnt lgkmcnt(0)
	s_barrier
	buffer_gl0_inv
.LBB65_202:                             ;   in Loop: Header=BB65_15 Depth=1
	s_or_saveexec_b32 s86, s86
	v_mov_b32_e32 v1, 8
	s_mov_b32 s87, 0
	s_xor_b32 exec_lo, exec_lo, s86
; %bb.203:                              ;   in Loop: Header=BB65_15 Depth=1
	v_subrev_nc_u32_e32 v13, s21, v13
	v_mov_b32_e32 v1, 0
	s_mov_b32 s87, exec_lo
; %bb.204:                              ;   in Loop: Header=BB65_15 Depth=1
	s_or_b32 exec_lo, exec_lo, s86
	v_mov_b32_e32 v4, v13
	s_and_b32 s89, s87, exec_lo
.LBB65_205:                             ;   in Loop: Header=BB65_15 Depth=1
	s_or_b32 exec_lo, exec_lo, s85
	s_mov_b32 s86, -1
                                        ; implicit-def: $sgpr88
                                        ; implicit-def: $sgpr87
	s_and_saveexec_b32 s85, s89
	s_cbranch_execz .LBB65_244
; %bb.206:                              ;   in Loop: Header=BB65_15 Depth=1
	v_cmp_eq_u32_e32 vcc_lo, 1, v4
	s_cmp_eq_u32 s22, 1
	s_mov_b32 s90, -1
	s_cselect_b32 s86, -1, 0
                                        ; implicit-def: $sgpr88
                                        ; implicit-def: $sgpr87
	s_and_b32 s86, s86, vcc_lo
	s_and_saveexec_b32 s89, s86
	s_cbranch_execz .LBB65_232
; %bb.207:                              ;   in Loop: Header=BB65_15 Depth=1
	ds_read_b32 v8, v9 offset:4096
	s_waitcnt lgkmcnt(0)
	s_barrier
	buffer_gl0_inv
	v_readfirstlane_b32 s91, v8
	s_and_saveexec_b32 s87, s15
; %bb.208:                              ;   in Loop: Header=BB65_15 Depth=1
	ds_write_b16 v21, v9
; %bb.209:                              ;   in Loop: Header=BB65_15 Depth=1
	s_or_b32 exec_lo, exec_lo, s87
	v_or_b32_e32 v2, s18, v2
	v_or_b32_e32 v3, s18, v3
	s_mov_b32 s87, -1
	s_mov_b32 s88, 0
	s_cmp_eq_u32 s91, 0
	s_mov_b32 s90, 0
	s_mov_b32 s92, -1
	s_waitcnt lgkmcnt(0)
	s_barrier
	buffer_gl0_inv
                                        ; implicit-def: $vgpr8
	s_cbranch_scc1 .LBB65_220
; %bb.210:                              ;   in Loop: Header=BB65_15 Depth=1
	s_add_i32 s90, s91, s62
                                        ; implicit-def: $vgpr8
	s_mul_hi_u32 s92, s90, s68
	s_mul_i32 s92, s92, s50
	s_sub_i32 s92, s90, s92
	s_sub_i32 s93, s92, s50
	s_cmp_ge_u32 s92, s50
	s_cselect_b32 s92, s93, s92
	s_sub_i32 s93, s92, s50
	s_cmp_ge_u32 s92, s50
	s_cselect_b32 s92, s93, s92
	s_mov_b32 s93, exec_lo
	s_sub_i32 s94, s90, s92
	s_mov_b32 s92, 0
	s_mov_b32 s90, 0
	v_cmpx_gt_u32_e64 s94, v0
	s_cbranch_execz .LBB65_219
; %bb.211:                              ;   in Loop: Header=BB65_15 Depth=1
	v_mov_b32_e32 v8, v20
	v_mov_b32_e32 v13, v0
                                        ; implicit-def: $sgpr95
	s_inst_prefetch 0x1
	s_branch .LBB65_214
	.p2align	6
.LBB65_212:                             ;   in Loop: Header=BB65_214 Depth=2
	s_or_b32 exec_lo, exec_lo, s96
	s_waitcnt lgkmcnt(0)
	s_barrier
	buffer_gl0_inv
	ds_read_b32 v14, v9 offset:3072
	s_mov_b32 s96, -1
	s_waitcnt lgkmcnt(0)
	s_barrier
	buffer_gl0_inv
	v_cmp_ne_u32_sdwa s97, v14, v9 src0_sel:WORD_0 src1_sel:DWORD
	s_and_b32 vcc_lo, exec_lo, s97
	s_mov_b32 s97, -1
	s_cbranch_vccz .LBB65_217
.LBB65_213:                             ;   in Loop: Header=BB65_214 Depth=2
	s_and_b32 s96, exec_lo, s96
	s_or_b32 s90, s96, s90
	s_andn2_b32 s95, s95, exec_lo
	s_and_b32 s96, s97, exec_lo
	s_or_b32 s95, s95, s96
	s_andn2_b32 exec_lo, exec_lo, s90
	s_cbranch_execz .LBB65_218
.LBB65_214:                             ;   Parent Loop BB65_15 Depth=1
                                        ; =>  This Inner Loop Header: Depth=2
	s_mov_b32 s96, exec_lo
	v_cmpx_gt_u32_e64 s91, v13
	s_cbranch_execz .LBB65_212
; %bb.215:                              ;   in Loop: Header=BB65_214 Depth=2
	ds_read_u16 v14, v8
	s_waitcnt lgkmcnt(0)
	v_add_nc_u32_sdwa v15, sext(v14), v35 dst_sel:DWORD dst_unused:UNUSED_PAD src0_sel:WORD_0 src1_sel:DWORD
	v_and_b32_e32 v15, v15, v3
	v_cmp_eq_u32_e32 vcc_lo, v15, v2
	s_and_b32 exec_lo, exec_lo, vcc_lo
	s_cbranch_execz .LBB65_212
; %bb.216:                              ;   in Loop: Header=BB65_214 Depth=2
	v_perm_b32 v14, v14, 1, 0x5040100
	ds_write_b32 v9, v14 offset:3072
	s_branch .LBB65_212
.LBB65_217:                             ;   in Loop: Header=BB65_214 Depth=2
	v_add_nc_u32_e32 v13, s50, v13
	v_add_nc_u32_e32 v8, s72, v8
	s_mov_b32 s97, 0
	v_cmp_le_u32_e32 vcc_lo, s94, v13
	s_orn2_b32 s96, vcc_lo, exec_lo
	s_branch .LBB65_213
.LBB65_218:                             ;   in Loop: Header=BB65_15 Depth=1
	s_inst_prefetch 0x2
	s_or_b32 exec_lo, exec_lo, s90
	v_lshrrev_b32_e32 v8, 16, v14
	s_and_b32 s90, s95, exec_lo
.LBB65_219:                             ;   in Loop: Header=BB65_15 Depth=1
	s_or_b32 exec_lo, exec_lo, s93
.LBB65_220:                             ;   in Loop: Header=BB65_15 Depth=1
	s_and_b32 vcc_lo, exec_lo, s92
	s_cbranch_vccz .LBB65_231
; %bb.221:                              ;   in Loop: Header=BB65_15 Depth=1
                                        ; implicit-def: $vgpr8
	s_and_saveexec_b32 s87, s13
	s_cbranch_execz .LBB65_230
; %bb.222:                              ;   in Loop: Header=BB65_15 Depth=1
	v_mov_b32_e32 v8, v7
	v_mov_b32_e32 v13, v0
	s_mov_b32 s88, 0
                                        ; implicit-def: $sgpr91
	s_inst_prefetch 0x1
	s_branch .LBB65_225
	.p2align	6
.LBB65_223:                             ;   in Loop: Header=BB65_225 Depth=2
	s_or_b32 exec_lo, exec_lo, s92
	s_waitcnt lgkmcnt(0)
	s_barrier
	buffer_gl0_inv
	ds_read_b32 v14, v9 offset:3072
	s_mov_b32 s92, -1
	s_waitcnt lgkmcnt(0)
	s_barrier
	buffer_gl0_inv
	v_cmp_eq_u32_sdwa s93, v14, v9 src0_sel:WORD_0 src1_sel:DWORD
	s_and_b32 vcc_lo, exec_lo, s93
	s_mov_b32 s93, -1
	s_cbranch_vccnz .LBB65_228
.LBB65_224:                             ;   in Loop: Header=BB65_225 Depth=2
	s_and_b32 s92, exec_lo, s92
	s_or_b32 s88, s92, s88
	s_andn2_b32 s91, s91, exec_lo
	s_and_b32 s92, s93, exec_lo
	s_or_b32 s91, s91, s92
	s_andn2_b32 exec_lo, exec_lo, s88
	s_cbranch_execz .LBB65_229
.LBB65_225:                             ;   Parent Loop BB65_15 Depth=1
                                        ; =>  This Inner Loop Header: Depth=2
	s_mov_b32 s92, exec_lo
	v_cmpx_gt_u32_e64 s36, v13
	s_cbranch_execz .LBB65_223
; %bb.226:                              ;   in Loop: Header=BB65_225 Depth=2
	v_lshlrev_b64 v[14:15], 1, v[8:9]
	v_add_co_u32 v14, vcc_lo, s42, v14
	v_add_co_ci_u32_e64 v15, null, s48, v15, vcc_lo
	global_load_ushort v14, v[14:15], off
	s_waitcnt vmcnt(0)
	v_add_nc_u32_sdwa v15, sext(v14), v35 dst_sel:DWORD dst_unused:UNUSED_PAD src0_sel:WORD_0 src1_sel:DWORD
	v_and_b32_e32 v15, v15, v3
	v_cmp_eq_u32_e32 vcc_lo, v15, v2
	s_and_b32 exec_lo, exec_lo, vcc_lo
	s_cbranch_execz .LBB65_223
; %bb.227:                              ;   in Loop: Header=BB65_225 Depth=2
	v_perm_b32 v14, v14, 1, 0x5040100
	ds_write_b32 v9, v14 offset:3072
	s_branch .LBB65_223
.LBB65_228:                             ;   in Loop: Header=BB65_225 Depth=2
	v_add_nc_u32_e32 v13, s50, v13
	v_add_nc_u32_e32 v8, s52, v8
	s_mov_b32 s93, 0
	v_cmp_le_u32_e32 vcc_lo, s69, v13
	s_orn2_b32 s92, vcc_lo, exec_lo
	s_branch .LBB65_224
.LBB65_229:                             ;   in Loop: Header=BB65_15 Depth=1
	s_inst_prefetch 0x2
	s_or_b32 exec_lo, exec_lo, s88
	v_lshrrev_b32_e32 v8, 16, v14
	s_andn2_b32 s88, s90, exec_lo
	s_and_b32 s90, s91, exec_lo
	s_or_b32 s90, s88, s90
.LBB65_230:                             ;   in Loop: Header=BB65_15 Depth=1
	s_or_b32 exec_lo, exec_lo, s87
	s_mov_b32 s87, 0
	s_mov_b32 s88, -1
.LBB65_231:                             ;   in Loop: Header=BB65_15 Depth=1
	s_orn2_b32 s90, s90, exec_lo
.LBB65_232:                             ;   in Loop: Header=BB65_15 Depth=1
	s_or_b32 exec_lo, exec_lo, s89
	s_mov_b32 s91, 0
	s_and_saveexec_b32 s89, s90
	s_cbranch_execz .LBB65_243
; %bb.233:                              ;   in Loop: Header=BB65_15 Depth=1
	v_mov_b32_e32 v1, 1
	v_mov_b32_e32 v13, 1
	s_xor_b32 s90, s86, -1
	s_and_saveexec_b32 s86, s90
	s_cbranch_execz .LBB65_242
; %bb.234:                              ;   in Loop: Header=BB65_15 Depth=1
	s_mov_b32 s90, exec_lo
	v_cmpx_ge_u32_e64 s22, v4
	s_xor_b32 s90, exec_lo, s90
	s_cbranch_execz .LBB65_239
; %bb.235:                              ;   in Loop: Header=BB65_15 Depth=1
	ds_read_b32 v1, v9 offset:4096
	v_or_b32_e32 v2, s18, v2
	v_or_b32_e32 v3, s18, v3
	s_waitcnt lgkmcnt(0)
	v_cmp_ne_u32_e32 vcc_lo, 0, v1
	s_cbranch_vccnz .LBB65_239
; %bb.236:                              ;   in Loop: Header=BB65_15 Depth=1
	s_and_saveexec_b32 s91, s3
; %bb.237:                              ;   in Loop: Header=BB65_15 Depth=1
	v_mov_b32_e32 v1, s22
	ds_write_b32 v9, v1 offset:4100
; %bb.238:                              ;   in Loop: Header=BB65_15 Depth=1
	s_or_b32 exec_lo, exec_lo, s91
	s_waitcnt lgkmcnt(0)
	s_barrier
	buffer_gl0_inv
.LBB65_239:                             ;   in Loop: Header=BB65_15 Depth=1
	s_andn2_saveexec_b32 s90, s90
; %bb.240:                              ;   in Loop: Header=BB65_15 Depth=1
	v_subrev_nc_u32_e32 v4, s22, v4
; %bb.241:                              ;   in Loop: Header=BB65_15 Depth=1
	s_or_b32 exec_lo, exec_lo, s90
	v_mov_b32_e32 v1, 8
	v_mov_b32_e32 v13, v4
.LBB65_242:                             ;   in Loop: Header=BB65_15 Depth=1
	s_or_b32 exec_lo, exec_lo, s86
	v_mov_b32_e32 v4, v13
	s_mov_b32 s91, exec_lo
.LBB65_243:                             ;   in Loop: Header=BB65_15 Depth=1
	s_or_b32 exec_lo, exec_lo, s89
	s_orn2_b32 s86, s91, exec_lo
.LBB65_244:                             ;   in Loop: Header=BB65_15 Depth=1
	s_or_b32 exec_lo, exec_lo, s85
	v_mov_b32_e32 v13, v4
	s_andn2_b32 s33, s33, exec_lo
	s_and_b32 s85, s88, exec_lo
	s_andn2_b32 s31, s31, exec_lo
	s_and_b32 s87, s87, exec_lo
	s_or_b32 s33, s33, s85
	s_or_b32 s31, s31, s87
	s_and_b32 s87, s86, exec_lo
.LBB65_245:                             ;   in Loop: Header=BB65_15 Depth=1
	s_or_b32 exec_lo, exec_lo, s34
	s_orn2_b32 s34, s87, exec_lo
.LBB65_246:                             ;   in Loop: Header=BB65_15 Depth=1
	s_or_b32 exec_lo, exec_lo, s30
	v_mov_b32_e32 v4, v13
	s_andn2_b32 s24, s24, exec_lo
	s_and_b32 s30, s33, exec_lo
	s_andn2_b32 s23, s23, exec_lo
	s_and_b32 s31, s31, exec_lo
	s_or_b32 s24, s24, s30
	s_or_b32 s23, s23, s31
	s_and_b32 s33, s34, exec_lo
.LBB65_247:                             ;   in Loop: Header=BB65_15 Depth=1
	s_or_b32 exec_lo, exec_lo, s29
	s_orn2_b32 s29, s33, exec_lo
.LBB65_248:                             ;   in Loop: Header=BB65_15 Depth=1
	s_or_b32 exec_lo, exec_lo, s6
	s_mov_b32 s6, 0
	s_mov_b32 s30, 0
	s_and_saveexec_b32 s31, s29
	s_xor_b32 s29, exec_lo, s31
; %bb.249:                              ;   in Loop: Header=BB65_15 Depth=1
	v_cmp_ne_u32_e32 vcc_lo, 8, v1
	v_cmp_eq_u32_e64 s6, 8, v1
	s_and_b32 s30, vcc_lo, exec_lo
	s_and_b32 s6, s6, exec_lo
; %bb.250:                              ;   in Loop: Header=BB65_15 Depth=1
	s_or_b32 exec_lo, exec_lo, s29
	s_andn2_b32 s26, s26, exec_lo
	s_and_b32 s24, s24, exec_lo
	s_andn2_b32 s25, s25, exec_lo
	s_and_b32 s23, s23, exec_lo
	s_or_b32 s26, s26, s24
	s_or_b32 s25, s25, s23
	s_and_b32 s23, s30, exec_lo
	s_and_b32 s24, s6, exec_lo
.LBB65_251:                             ;   in Loop: Header=BB65_15 Depth=1
	s_or_b32 exec_lo, exec_lo, s28
.LBB65_252:                             ;   in Loop: Header=BB65_15 Depth=1
	s_and_b32 vcc_lo, exec_lo, s27
	s_cbranch_vccz .LBB65_265
; %bb.253:                              ;   in Loop: Header=BB65_15 Depth=1
	s_cmp_eq_u32 s22, 1
	s_mov_b32 s26, -1
	s_cselect_b32 s6, -1, 0
                                        ; implicit-def: $sgpr16
	s_and_b32 s6, s6, s14
                                        ; implicit-def: $sgpr14
	s_and_saveexec_b32 s25, s6
	s_cbranch_execz .LBB65_280
; %bb.254:                              ;   in Loop: Header=BB65_15 Depth=1
	ds_read_b32 v1, v9 offset:4096
	s_waitcnt lgkmcnt(0)
	s_barrier
	buffer_gl0_inv
	v_readfirstlane_b32 s27, v1
	s_and_saveexec_b32 s14, s15
; %bb.255:                              ;   in Loop: Header=BB65_15 Depth=1
	ds_write_b16 v21, v9
; %bb.256:                              ;   in Loop: Header=BB65_15 Depth=1
	s_or_b32 exec_lo, exec_lo, s14
	v_or_b32_e32 v28, s18, v28
	v_or_b32_e32 v36, s18, v36
	s_mov_b32 s16, -1
	s_mov_b32 s14, 0
	s_cmp_eq_u32 s27, 0
	s_mov_b32 s26, 0
	s_mov_b32 s28, -1
	s_waitcnt lgkmcnt(0)
	s_barrier
	buffer_gl0_inv
                                        ; implicit-def: $vgpr37
	s_cbranch_scc1 .LBB65_268
; %bb.257:                              ;   in Loop: Header=BB65_15 Depth=1
	s_add_i32 s26, s27, s62
                                        ; implicit-def: $vgpr37
	s_mul_hi_u32 s28, s26, s68
	s_mul_i32 s28, s28, s50
	s_sub_i32 s28, s26, s28
	s_sub_i32 s29, s28, s50
	s_cmp_ge_u32 s28, s50
	s_cselect_b32 s28, s29, s28
	s_sub_i32 s29, s28, s50
	s_cmp_ge_u32 s28, s50
	s_cselect_b32 s28, s29, s28
	s_mov_b32 s29, exec_lo
	s_sub_i32 s30, s26, s28
	s_mov_b32 s28, 0
	s_mov_b32 s26, 0
	v_cmpx_gt_u32_e64 s30, v0
	s_cbranch_execz .LBB65_267
; %bb.258:                              ;   in Loop: Header=BB65_15 Depth=1
	v_mov_b32_e32 v1, v20
	v_mov_b32_e32 v2, v0
                                        ; implicit-def: $sgpr31
	s_inst_prefetch 0x1
	s_branch .LBB65_261
	.p2align	6
.LBB65_259:                             ;   in Loop: Header=BB65_261 Depth=2
	s_or_b32 exec_lo, exec_lo, s33
	s_waitcnt lgkmcnt(0)
	s_barrier
	buffer_gl0_inv
	ds_read_b32 v3, v9 offset:3072
	s_mov_b32 s33, -1
	s_waitcnt lgkmcnt(0)
	s_barrier
	buffer_gl0_inv
	v_cmp_ne_u32_sdwa s34, v3, v9 src0_sel:WORD_0 src1_sel:DWORD
	s_and_b32 vcc_lo, exec_lo, s34
	s_mov_b32 s34, -1
	s_cbranch_vccz .LBB65_264
.LBB65_260:                             ;   in Loop: Header=BB65_261 Depth=2
	s_and_b32 s33, exec_lo, s33
	s_or_b32 s26, s33, s26
	s_andn2_b32 s31, s31, exec_lo
	s_and_b32 s33, s34, exec_lo
	s_or_b32 s31, s31, s33
	s_andn2_b32 exec_lo, exec_lo, s26
	s_cbranch_execz .LBB65_266
.LBB65_261:                             ;   Parent Loop BB65_15 Depth=1
                                        ; =>  This Inner Loop Header: Depth=2
	s_mov_b32 s33, exec_lo
	v_cmpx_gt_u32_e64 s27, v2
	s_cbranch_execz .LBB65_259
; %bb.262:                              ;   in Loop: Header=BB65_261 Depth=2
	ds_read_u16 v3, v1
	s_waitcnt lgkmcnt(0)
	v_add_nc_u32_sdwa v4, sext(v3), v35 dst_sel:DWORD dst_unused:UNUSED_PAD src0_sel:WORD_0 src1_sel:DWORD
	v_and_b32_e32 v4, v4, v36
	v_cmp_eq_u32_e32 vcc_lo, v4, v28
	s_and_b32 exec_lo, exec_lo, vcc_lo
	s_cbranch_execz .LBB65_259
; %bb.263:                              ;   in Loop: Header=BB65_261 Depth=2
	v_perm_b32 v3, v3, 1, 0x5040100
	ds_write_b32 v9, v3 offset:3072
	s_branch .LBB65_259
.LBB65_264:                             ;   in Loop: Header=BB65_261 Depth=2
	v_add_nc_u32_e32 v2, s50, v2
	v_add_nc_u32_e32 v1, s72, v1
	s_mov_b32 s34, 0
	v_cmp_le_u32_e32 vcc_lo, s30, v2
	s_orn2_b32 s33, vcc_lo, exec_lo
	s_branch .LBB65_260
.LBB65_265:                             ;   in Loop: Header=BB65_15 Depth=1
	v_mov_b32_e32 v28, v2
	v_mov_b32_e32 v36, v3
	;; [unrolled: 1-line block ×3, first 2 shown]
	s_mov_b32 s14, 0
	s_and_saveexec_b32 s6, s24
	s_cbranch_execnz .LBB65_411
	s_branch .LBB65_412
.LBB65_266:                             ;   in Loop: Header=BB65_15 Depth=1
	s_inst_prefetch 0x2
	s_or_b32 exec_lo, exec_lo, s26
	v_lshrrev_b32_e32 v37, 16, v3
	s_and_b32 s26, s31, exec_lo
.LBB65_267:                             ;   in Loop: Header=BB65_15 Depth=1
	s_or_b32 exec_lo, exec_lo, s29
.LBB65_268:                             ;   in Loop: Header=BB65_15 Depth=1
	s_and_b32 vcc_lo, exec_lo, s28
	s_cbranch_vccz .LBB65_279
; %bb.269:                              ;   in Loop: Header=BB65_15 Depth=1
                                        ; implicit-def: $vgpr37
	s_and_saveexec_b32 s14, s13
	s_cbranch_execz .LBB65_278
; %bb.270:                              ;   in Loop: Header=BB65_15 Depth=1
	v_mov_b32_e32 v8, v7
	v_mov_b32_e32 v1, v0
	s_mov_b32 s16, 0
                                        ; implicit-def: $sgpr27
	s_inst_prefetch 0x1
	s_branch .LBB65_273
	.p2align	6
.LBB65_271:                             ;   in Loop: Header=BB65_273 Depth=2
	s_or_b32 exec_lo, exec_lo, s28
	s_waitcnt lgkmcnt(0)
	s_barrier
	buffer_gl0_inv
	ds_read_b32 v2, v9 offset:3072
	s_mov_b32 s28, -1
	s_waitcnt lgkmcnt(0)
	s_barrier
	buffer_gl0_inv
	v_cmp_ne_u32_sdwa s29, v2, v9 src0_sel:WORD_0 src1_sel:DWORD
	s_and_b32 vcc_lo, exec_lo, s29
	s_mov_b32 s29, -1
	s_cbranch_vccz .LBB65_276
.LBB65_272:                             ;   in Loop: Header=BB65_273 Depth=2
	s_and_b32 s28, exec_lo, s28
	s_or_b32 s16, s28, s16
	s_andn2_b32 s27, s27, exec_lo
	s_and_b32 s28, s29, exec_lo
	s_or_b32 s27, s27, s28
	s_andn2_b32 exec_lo, exec_lo, s16
	s_cbranch_execz .LBB65_277
.LBB65_273:                             ;   Parent Loop BB65_15 Depth=1
                                        ; =>  This Inner Loop Header: Depth=2
	s_mov_b32 s28, exec_lo
	v_cmpx_gt_u32_e64 s36, v1
	s_cbranch_execz .LBB65_271
; %bb.274:                              ;   in Loop: Header=BB65_273 Depth=2
	v_lshlrev_b64 v[2:3], 1, v[8:9]
	v_add_co_u32 v2, vcc_lo, s42, v2
	v_add_co_ci_u32_e64 v3, null, s48, v3, vcc_lo
	global_load_ushort v2, v[2:3], off
	s_waitcnt vmcnt(0)
	v_add_nc_u32_sdwa v3, sext(v2), v35 dst_sel:DWORD dst_unused:UNUSED_PAD src0_sel:WORD_0 src1_sel:DWORD
	v_and_b32_e32 v3, v3, v36
	v_cmp_eq_u32_e32 vcc_lo, v3, v28
	s_and_b32 exec_lo, exec_lo, vcc_lo
	s_cbranch_execz .LBB65_271
; %bb.275:                              ;   in Loop: Header=BB65_273 Depth=2
	v_perm_b32 v2, v2, 1, 0x5040100
	ds_write_b32 v9, v2 offset:3072
	s_branch .LBB65_271
.LBB65_276:                             ;   in Loop: Header=BB65_273 Depth=2
	v_add_nc_u32_e32 v1, s50, v1
	v_add_nc_u32_e32 v8, s52, v8
	s_mov_b32 s29, 0
	v_cmp_le_u32_e32 vcc_lo, s69, v1
	s_orn2_b32 s28, vcc_lo, exec_lo
	s_branch .LBB65_272
.LBB65_277:                             ;   in Loop: Header=BB65_15 Depth=1
	s_inst_prefetch 0x2
	s_or_b32 exec_lo, exec_lo, s16
	v_lshrrev_b32_e32 v37, 16, v2
	s_andn2_b32 s16, s26, exec_lo
	s_and_b32 s26, s27, exec_lo
	s_or_b32 s26, s16, s26
.LBB65_278:                             ;   in Loop: Header=BB65_15 Depth=1
	s_or_b32 exec_lo, exec_lo, s14
	s_mov_b32 s16, 0
	s_mov_b32 s14, -1
.LBB65_279:                             ;   in Loop: Header=BB65_15 Depth=1
	s_orn2_b32 s26, s26, exec_lo
.LBB65_280:                             ;   in Loop: Header=BB65_15 Depth=1
	s_or_b32 exec_lo, exec_lo, s25
                                        ; implicit-def: $vgpr4
                                        ; implicit-def: $vgpr1
	s_and_saveexec_b32 s25, s26
	s_cbranch_execz .LBB65_410
; %bb.281:                              ;   in Loop: Header=BB65_15 Depth=1
	v_mov_b32_e32 v4, 1
	v_mov_b32_e32 v1, 1
	s_xor_b32 s26, s6, -1
	s_mov_b32 s28, 0
	s_and_saveexec_b32 s6, s26
	s_cbranch_execz .LBB65_290
; %bb.282:                              ;   in Loop: Header=BB65_15 Depth=1
	s_mov_b32 s26, exec_lo
	v_cmpx_ge_u32_e64 s22, v38
	s_xor_b32 s26, exec_lo, s26
	s_cbranch_execz .LBB65_287
; %bb.283:                              ;   in Loop: Header=BB65_15 Depth=1
	ds_read_b32 v1, v9 offset:4096
	v_or_b32_e32 v28, s18, v28
	v_or_b32_e32 v36, s18, v36
	s_waitcnt lgkmcnt(0)
	v_cmp_ne_u32_e32 vcc_lo, 0, v1
	s_cbranch_vccnz .LBB65_287
; %bb.284:                              ;   in Loop: Header=BB65_15 Depth=1
	s_and_saveexec_b32 s27, s3
; %bb.285:                              ;   in Loop: Header=BB65_15 Depth=1
	v_mov_b32_e32 v1, s22
	ds_write_b32 v9, v1 offset:4100
; %bb.286:                              ;   in Loop: Header=BB65_15 Depth=1
	s_or_b32 exec_lo, exec_lo, s27
	s_waitcnt lgkmcnt(0)
	s_barrier
	buffer_gl0_inv
.LBB65_287:                             ;   in Loop: Header=BB65_15 Depth=1
	s_or_saveexec_b32 s26, s26
	v_mov_b32_e32 v1, 5
	s_mov_b32 s27, 0
	s_xor_b32 exec_lo, exec_lo, s26
; %bb.288:                              ;   in Loop: Header=BB65_15 Depth=1
	v_subrev_nc_u32_e32 v38, s22, v38
	v_mov_b32_e32 v1, 0
	s_mov_b32 s27, exec_lo
; %bb.289:                              ;   in Loop: Header=BB65_15 Depth=1
	s_or_b32 exec_lo, exec_lo, s26
	v_mov_b32_e32 v4, v38
	s_and_b32 s28, s27, exec_lo
.LBB65_290:                             ;   in Loop: Header=BB65_15 Depth=1
	s_or_b32 exec_lo, exec_lo, s6
	s_mov_b32 s27, -1
                                        ; implicit-def: $sgpr22
                                        ; implicit-def: $sgpr26
	s_and_saveexec_b32 s6, s28
	s_xor_b32 s6, exec_lo, s6
	s_cbranch_execz .LBB65_407
; %bb.291:                              ;   in Loop: Header=BB65_15 Depth=1
	v_cmp_eq_u32_e32 vcc_lo, 1, v4
	s_cmp_eq_u32 s21, 1
	s_mov_b32 s29, -1
	s_cselect_b32 s22, -1, 0
                                        ; implicit-def: $sgpr26
	s_and_b32 s28, s22, vcc_lo
                                        ; implicit-def: $sgpr22
	s_and_saveexec_b32 s27, s28
	s_cbranch_execz .LBB65_317
; %bb.292:                              ;   in Loop: Header=BB65_15 Depth=1
	ds_read_b32 v2, v9 offset:4096
	s_waitcnt lgkmcnt(0)
	s_barrier
	buffer_gl0_inv
	v_readfirstlane_b32 s30, v2
	s_and_saveexec_b32 s22, s15
; %bb.293:                              ;   in Loop: Header=BB65_15 Depth=1
	ds_write_b16 v21, v9
; %bb.294:                              ;   in Loop: Header=BB65_15 Depth=1
	s_or_b32 exec_lo, exec_lo, s22
	s_lshl_b32 s22, 2, s78
	v_or_b32_e32 v36, s18, v36
	v_and_or_b32 v28, v28, s19, s22
	s_mov_b32 s22, -1
	s_mov_b32 s26, 0
	s_cmp_eq_u32 s30, 0
	s_mov_b32 s29, 0
	s_mov_b32 s31, -1
	s_waitcnt lgkmcnt(0)
	s_barrier
	buffer_gl0_inv
                                        ; implicit-def: $vgpr37
	s_cbranch_scc1 .LBB65_305
; %bb.295:                              ;   in Loop: Header=BB65_15 Depth=1
	s_add_i32 s29, s30, s62
                                        ; implicit-def: $vgpr37
	s_mul_hi_u32 s31, s29, s68
	s_mul_i32 s31, s31, s50
	s_sub_i32 s31, s29, s31
	s_sub_i32 s33, s31, s50
	s_cmp_ge_u32 s31, s50
	s_cselect_b32 s31, s33, s31
	s_sub_i32 s33, s31, s50
	s_cmp_ge_u32 s31, s50
	s_cselect_b32 s31, s33, s31
	s_mov_b32 s33, exec_lo
	s_sub_i32 s34, s29, s31
	s_mov_b32 s31, 0
	s_mov_b32 s29, 0
	v_cmpx_gt_u32_e64 s34, v0
	s_cbranch_execz .LBB65_304
; %bb.296:                              ;   in Loop: Header=BB65_15 Depth=1
	v_mov_b32_e32 v2, v20
	v_mov_b32_e32 v3, v0
                                        ; implicit-def: $sgpr85
	s_inst_prefetch 0x1
	s_branch .LBB65_299
	.p2align	6
.LBB65_297:                             ;   in Loop: Header=BB65_299 Depth=2
	s_or_b32 exec_lo, exec_lo, s86
	s_waitcnt lgkmcnt(0)
	s_barrier
	buffer_gl0_inv
	ds_read_b32 v8, v9 offset:3072
	s_mov_b32 s86, -1
	s_waitcnt lgkmcnt(0)
	s_barrier
	buffer_gl0_inv
	v_cmp_ne_u32_sdwa s87, v8, v9 src0_sel:WORD_0 src1_sel:DWORD
	s_and_b32 vcc_lo, exec_lo, s87
	s_mov_b32 s87, -1
	s_cbranch_vccz .LBB65_302
.LBB65_298:                             ;   in Loop: Header=BB65_299 Depth=2
	s_and_b32 s86, exec_lo, s86
	s_or_b32 s29, s86, s29
	s_andn2_b32 s85, s85, exec_lo
	s_and_b32 s86, s87, exec_lo
	s_or_b32 s85, s85, s86
	s_andn2_b32 exec_lo, exec_lo, s29
	s_cbranch_execz .LBB65_303
.LBB65_299:                             ;   Parent Loop BB65_15 Depth=1
                                        ; =>  This Inner Loop Header: Depth=2
	s_mov_b32 s86, exec_lo
	v_cmpx_gt_u32_e64 s30, v3
	s_cbranch_execz .LBB65_297
; %bb.300:                              ;   in Loop: Header=BB65_299 Depth=2
	ds_read_u16 v8, v2
	s_waitcnt lgkmcnt(0)
	v_add_nc_u32_sdwa v13, sext(v8), v35 dst_sel:DWORD dst_unused:UNUSED_PAD src0_sel:WORD_0 src1_sel:DWORD
	v_and_b32_e32 v13, v13, v36
	v_cmp_eq_u32_e32 vcc_lo, v13, v28
	s_and_b32 exec_lo, exec_lo, vcc_lo
	s_cbranch_execz .LBB65_297
; %bb.301:                              ;   in Loop: Header=BB65_299 Depth=2
	v_perm_b32 v8, v8, 1, 0x5040100
	ds_write_b32 v9, v8 offset:3072
	s_branch .LBB65_297
.LBB65_302:                             ;   in Loop: Header=BB65_299 Depth=2
	v_add_nc_u32_e32 v3, s50, v3
	v_add_nc_u32_e32 v2, s72, v2
	s_mov_b32 s87, 0
	v_cmp_le_u32_e32 vcc_lo, s34, v3
	s_orn2_b32 s86, vcc_lo, exec_lo
	s_branch .LBB65_298
.LBB65_303:                             ;   in Loop: Header=BB65_15 Depth=1
	s_inst_prefetch 0x2
	s_or_b32 exec_lo, exec_lo, s29
	v_lshrrev_b32_e32 v37, 16, v8
	s_and_b32 s29, s85, exec_lo
.LBB65_304:                             ;   in Loop: Header=BB65_15 Depth=1
	s_or_b32 exec_lo, exec_lo, s33
.LBB65_305:                             ;   in Loop: Header=BB65_15 Depth=1
	s_and_b32 vcc_lo, exec_lo, s31
	s_cbranch_vccz .LBB65_316
; %bb.306:                              ;   in Loop: Header=BB65_15 Depth=1
                                        ; implicit-def: $vgpr37
	s_and_saveexec_b32 s22, s13
	s_cbranch_execz .LBB65_315
; %bb.307:                              ;   in Loop: Header=BB65_15 Depth=1
	v_mov_b32_e32 v8, v7
	v_mov_b32_e32 v2, v0
	s_mov_b32 s26, 0
                                        ; implicit-def: $sgpr30
	s_inst_prefetch 0x1
	s_branch .LBB65_310
	.p2align	6
.LBB65_308:                             ;   in Loop: Header=BB65_310 Depth=2
	s_or_b32 exec_lo, exec_lo, s31
	s_waitcnt lgkmcnt(0)
	s_barrier
	buffer_gl0_inv
	ds_read_b32 v3, v9 offset:3072
	s_mov_b32 s31, -1
	s_waitcnt lgkmcnt(0)
	s_barrier
	buffer_gl0_inv
	v_cmp_eq_u32_sdwa s33, v3, v9 src0_sel:WORD_0 src1_sel:DWORD
	s_and_b32 vcc_lo, exec_lo, s33
	s_mov_b32 s33, -1
	s_cbranch_vccnz .LBB65_313
.LBB65_309:                             ;   in Loop: Header=BB65_310 Depth=2
	s_and_b32 s31, exec_lo, s31
	s_or_b32 s26, s31, s26
	s_andn2_b32 s30, s30, exec_lo
	s_and_b32 s31, s33, exec_lo
	s_or_b32 s30, s30, s31
	s_andn2_b32 exec_lo, exec_lo, s26
	s_cbranch_execz .LBB65_314
.LBB65_310:                             ;   Parent Loop BB65_15 Depth=1
                                        ; =>  This Inner Loop Header: Depth=2
	s_mov_b32 s31, exec_lo
	v_cmpx_gt_u32_e64 s36, v2
	s_cbranch_execz .LBB65_308
; %bb.311:                              ;   in Loop: Header=BB65_310 Depth=2
	v_lshlrev_b64 v[13:14], 1, v[8:9]
	v_add_co_u32 v13, vcc_lo, s42, v13
	v_add_co_ci_u32_e64 v14, null, s48, v14, vcc_lo
	global_load_ushort v3, v[13:14], off
	s_waitcnt vmcnt(0)
	v_add_nc_u32_sdwa v13, sext(v3), v35 dst_sel:DWORD dst_unused:UNUSED_PAD src0_sel:WORD_0 src1_sel:DWORD
	v_and_b32_e32 v13, v13, v36
	v_cmp_eq_u32_e32 vcc_lo, v13, v28
	s_and_b32 exec_lo, exec_lo, vcc_lo
	s_cbranch_execz .LBB65_308
; %bb.312:                              ;   in Loop: Header=BB65_310 Depth=2
	v_perm_b32 v3, v3, 1, 0x5040100
	ds_write_b32 v9, v3 offset:3072
	s_branch .LBB65_308
.LBB65_313:                             ;   in Loop: Header=BB65_310 Depth=2
	v_add_nc_u32_e32 v2, s50, v2
	v_add_nc_u32_e32 v8, s52, v8
	s_mov_b32 s33, 0
	v_cmp_le_u32_e32 vcc_lo, s69, v2
	s_orn2_b32 s31, vcc_lo, exec_lo
	s_branch .LBB65_309
.LBB65_314:                             ;   in Loop: Header=BB65_15 Depth=1
	s_inst_prefetch 0x2
	s_or_b32 exec_lo, exec_lo, s26
	v_lshrrev_b32_e32 v37, 16, v3
	s_andn2_b32 s26, s29, exec_lo
	s_and_b32 s29, s30, exec_lo
	s_or_b32 s29, s26, s29
.LBB65_315:                             ;   in Loop: Header=BB65_15 Depth=1
	s_or_b32 exec_lo, exec_lo, s22
	s_mov_b32 s22, 0
	s_mov_b32 s26, -1
.LBB65_316:                             ;   in Loop: Header=BB65_15 Depth=1
	s_orn2_b32 s29, s29, exec_lo
.LBB65_317:                             ;   in Loop: Header=BB65_15 Depth=1
	s_or_b32 exec_lo, exec_lo, s27
	s_mov_b32 s30, 0
	s_and_saveexec_b32 s27, s29
	s_cbranch_execz .LBB65_406
; %bb.318:                              ;   in Loop: Header=BB65_15 Depth=1
	v_mov_b32_e32 v2, 1
	v_mov_b32_e32 v1, 1
	s_xor_b32 s29, s28, -1
	s_mov_b32 s31, 0
	s_and_saveexec_b32 s28, s29
	s_cbranch_execz .LBB65_327
; %bb.319:                              ;   in Loop: Header=BB65_15 Depth=1
	s_mov_b32 s29, exec_lo
	v_cmpx_ge_u32_e64 s21, v4
	s_xor_b32 s29, exec_lo, s29
	s_cbranch_execz .LBB65_324
; %bb.320:                              ;   in Loop: Header=BB65_15 Depth=1
	ds_read_b32 v1, v9 offset:4096
	s_lshl_b32 s30, 2, s78
	v_or_b32_e32 v36, s18, v36
	v_and_or_b32 v28, v28, s19, s30
	s_waitcnt lgkmcnt(0)
	v_cmp_ne_u32_e32 vcc_lo, 0, v1
	s_cbranch_vccnz .LBB65_324
; %bb.321:                              ;   in Loop: Header=BB65_15 Depth=1
	s_and_saveexec_b32 s30, s3
; %bb.322:                              ;   in Loop: Header=BB65_15 Depth=1
	v_mov_b32_e32 v1, s21
	ds_write_b32 v9, v1 offset:4100
; %bb.323:                              ;   in Loop: Header=BB65_15 Depth=1
	s_or_b32 exec_lo, exec_lo, s30
	s_waitcnt lgkmcnt(0)
	s_barrier
	buffer_gl0_inv
.LBB65_324:                             ;   in Loop: Header=BB65_15 Depth=1
	s_or_saveexec_b32 s29, s29
	v_mov_b32_e32 v1, 5
	s_mov_b32 s30, 0
	s_xor_b32 exec_lo, exec_lo, s29
; %bb.325:                              ;   in Loop: Header=BB65_15 Depth=1
	v_subrev_nc_u32_e32 v4, s21, v4
	v_mov_b32_e32 v1, 0
	s_mov_b32 s30, exec_lo
; %bb.326:                              ;   in Loop: Header=BB65_15 Depth=1
	s_or_b32 exec_lo, exec_lo, s29
	v_mov_b32_e32 v2, v4
	s_and_b32 s31, s30, exec_lo
.LBB65_327:                             ;   in Loop: Header=BB65_15 Depth=1
	s_or_b32 exec_lo, exec_lo, s28
	s_mov_b32 s30, -1
                                        ; implicit-def: $sgpr28
                                        ; implicit-def: $sgpr29
	s_and_saveexec_b32 s21, s31
	s_cbranch_execz .LBB65_405
; %bb.328:                              ;   in Loop: Header=BB65_15 Depth=1
	v_cmp_eq_u32_e32 vcc_lo, 1, v2
	s_cmp_eq_u32 s20, 1
	s_mov_b32 s33, -1
	s_cselect_b32 s28, -1, 0
                                        ; implicit-def: $sgpr29
	s_and_b32 s31, s28, vcc_lo
                                        ; implicit-def: $sgpr28
	s_and_saveexec_b32 s30, s31
	s_cbranch_execz .LBB65_354
; %bb.329:                              ;   in Loop: Header=BB65_15 Depth=1
	ds_read_b32 v3, v9 offset:4096
	s_waitcnt lgkmcnt(0)
	s_barrier
	buffer_gl0_inv
	v_readfirstlane_b32 s34, v3
	s_and_saveexec_b32 s28, s15
; %bb.330:                              ;   in Loop: Header=BB65_15 Depth=1
	ds_write_b16 v21, v9
; %bb.331:                              ;   in Loop: Header=BB65_15 Depth=1
	s_or_b32 exec_lo, exec_lo, s28
	s_lshl_b32 s28, 1, s78
	v_or_b32_e32 v36, s18, v36
	v_and_or_b32 v28, v28, s19, s28
	s_mov_b32 s28, -1
	s_mov_b32 s29, 0
	s_cmp_eq_u32 s34, 0
	s_mov_b32 s33, 0
	s_mov_b32 s85, -1
	s_waitcnt lgkmcnt(0)
	s_barrier
	buffer_gl0_inv
                                        ; implicit-def: $vgpr37
	s_cbranch_scc1 .LBB65_342
; %bb.332:                              ;   in Loop: Header=BB65_15 Depth=1
	s_add_i32 s33, s34, s62
                                        ; implicit-def: $vgpr37
	s_mul_hi_u32 s85, s33, s68
	s_mul_i32 s85, s85, s50
	s_sub_i32 s85, s33, s85
	s_sub_i32 s86, s85, s50
	s_cmp_ge_u32 s85, s50
	s_cselect_b32 s85, s86, s85
	s_sub_i32 s86, s85, s50
	s_cmp_ge_u32 s85, s50
	s_cselect_b32 s85, s86, s85
	s_mov_b32 s86, exec_lo
	s_sub_i32 s87, s33, s85
	s_mov_b32 s85, 0
	s_mov_b32 s33, 0
	v_cmpx_gt_u32_e64 s87, v0
	s_cbranch_execz .LBB65_341
; %bb.333:                              ;   in Loop: Header=BB65_15 Depth=1
	v_mov_b32_e32 v3, v20
	v_mov_b32_e32 v4, v0
                                        ; implicit-def: $sgpr88
	s_inst_prefetch 0x1
	s_branch .LBB65_336
	.p2align	6
.LBB65_334:                             ;   in Loop: Header=BB65_336 Depth=2
	s_or_b32 exec_lo, exec_lo, s89
	s_waitcnt lgkmcnt(0)
	s_barrier
	buffer_gl0_inv
	ds_read_b32 v8, v9 offset:3072
	s_mov_b32 s89, -1
	s_waitcnt lgkmcnt(0)
	s_barrier
	buffer_gl0_inv
	v_cmp_ne_u32_sdwa s90, v8, v9 src0_sel:WORD_0 src1_sel:DWORD
	s_and_b32 vcc_lo, exec_lo, s90
	s_mov_b32 s90, -1
	s_cbranch_vccz .LBB65_339
.LBB65_335:                             ;   in Loop: Header=BB65_336 Depth=2
	s_and_b32 s89, exec_lo, s89
	s_or_b32 s33, s89, s33
	s_andn2_b32 s88, s88, exec_lo
	s_and_b32 s89, s90, exec_lo
	s_or_b32 s88, s88, s89
	s_andn2_b32 exec_lo, exec_lo, s33
	s_cbranch_execz .LBB65_340
.LBB65_336:                             ;   Parent Loop BB65_15 Depth=1
                                        ; =>  This Inner Loop Header: Depth=2
	s_mov_b32 s89, exec_lo
	v_cmpx_gt_u32_e64 s34, v4
	s_cbranch_execz .LBB65_334
; %bb.337:                              ;   in Loop: Header=BB65_336 Depth=2
	ds_read_u16 v8, v3
	s_waitcnt lgkmcnt(0)
	v_add_nc_u32_sdwa v13, sext(v8), v35 dst_sel:DWORD dst_unused:UNUSED_PAD src0_sel:WORD_0 src1_sel:DWORD
	v_and_b32_e32 v13, v13, v36
	v_cmp_eq_u32_e32 vcc_lo, v13, v28
	s_and_b32 exec_lo, exec_lo, vcc_lo
	s_cbranch_execz .LBB65_334
; %bb.338:                              ;   in Loop: Header=BB65_336 Depth=2
	v_perm_b32 v8, v8, 1, 0x5040100
	ds_write_b32 v9, v8 offset:3072
	s_branch .LBB65_334
.LBB65_339:                             ;   in Loop: Header=BB65_336 Depth=2
	v_add_nc_u32_e32 v4, s50, v4
	v_add_nc_u32_e32 v3, s72, v3
	s_mov_b32 s90, 0
	v_cmp_le_u32_e32 vcc_lo, s87, v4
	s_orn2_b32 s89, vcc_lo, exec_lo
	s_branch .LBB65_335
.LBB65_340:                             ;   in Loop: Header=BB65_15 Depth=1
	s_inst_prefetch 0x2
	s_or_b32 exec_lo, exec_lo, s33
	v_lshrrev_b32_e32 v37, 16, v8
	s_and_b32 s33, s88, exec_lo
.LBB65_341:                             ;   in Loop: Header=BB65_15 Depth=1
	s_or_b32 exec_lo, exec_lo, s86
.LBB65_342:                             ;   in Loop: Header=BB65_15 Depth=1
	s_and_b32 vcc_lo, exec_lo, s85
	s_cbranch_vccz .LBB65_353
; %bb.343:                              ;   in Loop: Header=BB65_15 Depth=1
                                        ; implicit-def: $vgpr37
	s_and_saveexec_b32 s28, s13
	s_cbranch_execz .LBB65_352
; %bb.344:                              ;   in Loop: Header=BB65_15 Depth=1
	v_mov_b32_e32 v8, v7
	v_mov_b32_e32 v3, v0
	s_mov_b32 s29, 0
                                        ; implicit-def: $sgpr34
	s_inst_prefetch 0x1
	s_branch .LBB65_347
	.p2align	6
.LBB65_345:                             ;   in Loop: Header=BB65_347 Depth=2
	s_or_b32 exec_lo, exec_lo, s85
	s_waitcnt lgkmcnt(0)
	s_barrier
	buffer_gl0_inv
	ds_read_b32 v4, v9 offset:3072
	s_mov_b32 s85, -1
	s_waitcnt lgkmcnt(0)
	s_barrier
	buffer_gl0_inv
	v_cmp_eq_u32_sdwa s86, v4, v9 src0_sel:WORD_0 src1_sel:DWORD
	s_and_b32 vcc_lo, exec_lo, s86
	s_mov_b32 s86, -1
	s_cbranch_vccnz .LBB65_350
.LBB65_346:                             ;   in Loop: Header=BB65_347 Depth=2
	s_and_b32 s85, exec_lo, s85
	s_or_b32 s29, s85, s29
	s_andn2_b32 s34, s34, exec_lo
	s_and_b32 s85, s86, exec_lo
	s_or_b32 s34, s34, s85
	s_andn2_b32 exec_lo, exec_lo, s29
	s_cbranch_execz .LBB65_351
.LBB65_347:                             ;   Parent Loop BB65_15 Depth=1
                                        ; =>  This Inner Loop Header: Depth=2
	s_mov_b32 s85, exec_lo
	v_cmpx_gt_u32_e64 s36, v3
	s_cbranch_execz .LBB65_345
; %bb.348:                              ;   in Loop: Header=BB65_347 Depth=2
	v_lshlrev_b64 v[13:14], 1, v[8:9]
	v_add_co_u32 v13, vcc_lo, s42, v13
	v_add_co_ci_u32_e64 v14, null, s48, v14, vcc_lo
	global_load_ushort v4, v[13:14], off
	s_waitcnt vmcnt(0)
	v_add_nc_u32_sdwa v13, sext(v4), v35 dst_sel:DWORD dst_unused:UNUSED_PAD src0_sel:WORD_0 src1_sel:DWORD
	v_and_b32_e32 v13, v13, v36
	v_cmp_eq_u32_e32 vcc_lo, v13, v28
	s_and_b32 exec_lo, exec_lo, vcc_lo
	s_cbranch_execz .LBB65_345
; %bb.349:                              ;   in Loop: Header=BB65_347 Depth=2
	v_perm_b32 v4, v4, 1, 0x5040100
	ds_write_b32 v9, v4 offset:3072
	s_branch .LBB65_345
.LBB65_350:                             ;   in Loop: Header=BB65_347 Depth=2
	v_add_nc_u32_e32 v3, s50, v3
	v_add_nc_u32_e32 v8, s52, v8
	s_mov_b32 s86, 0
	v_cmp_le_u32_e32 vcc_lo, s69, v3
	s_orn2_b32 s85, vcc_lo, exec_lo
	s_branch .LBB65_346
.LBB65_351:                             ;   in Loop: Header=BB65_15 Depth=1
	s_inst_prefetch 0x2
	s_or_b32 exec_lo, exec_lo, s29
	v_lshrrev_b32_e32 v37, 16, v4
	s_andn2_b32 s29, s33, exec_lo
	s_and_b32 s33, s34, exec_lo
	s_or_b32 s33, s29, s33
.LBB65_352:                             ;   in Loop: Header=BB65_15 Depth=1
	s_or_b32 exec_lo, exec_lo, s28
	s_mov_b32 s28, 0
	s_mov_b32 s29, -1
.LBB65_353:                             ;   in Loop: Header=BB65_15 Depth=1
	s_orn2_b32 s33, s33, exec_lo
.LBB65_354:                             ;   in Loop: Header=BB65_15 Depth=1
	s_or_b32 exec_lo, exec_lo, s30
	s_mov_b32 s34, 0
	s_and_saveexec_b32 s30, s33
	s_cbranch_execz .LBB65_404
; %bb.355:                              ;   in Loop: Header=BB65_15 Depth=1
	v_mov_b32_e32 v3, 1
	v_mov_b32_e32 v1, 1
	s_xor_b32 s33, s31, -1
	s_mov_b32 s85, 0
	s_and_saveexec_b32 s31, s33
	s_cbranch_execz .LBB65_364
; %bb.356:                              ;   in Loop: Header=BB65_15 Depth=1
	s_mov_b32 s33, exec_lo
	v_cmpx_ge_u32_e64 s20, v2
	s_xor_b32 s33, exec_lo, s33
	s_cbranch_execz .LBB65_361
; %bb.357:                              ;   in Loop: Header=BB65_15 Depth=1
	ds_read_b32 v1, v9 offset:4096
	s_lshl_b32 s34, 1, s78
	v_or_b32_e32 v36, s18, v36
	v_and_or_b32 v28, v28, s19, s34
	s_waitcnt lgkmcnt(0)
	v_cmp_ne_u32_e32 vcc_lo, 0, v1
	s_cbranch_vccnz .LBB65_361
; %bb.358:                              ;   in Loop: Header=BB65_15 Depth=1
	s_and_saveexec_b32 s34, s3
; %bb.359:                              ;   in Loop: Header=BB65_15 Depth=1
	v_mov_b32_e32 v1, s20
	ds_write_b32 v9, v1 offset:4100
; %bb.360:                              ;   in Loop: Header=BB65_15 Depth=1
	s_or_b32 exec_lo, exec_lo, s34
	s_waitcnt lgkmcnt(0)
	s_barrier
	buffer_gl0_inv
.LBB65_361:                             ;   in Loop: Header=BB65_15 Depth=1
	s_or_saveexec_b32 s33, s33
	v_mov_b32_e32 v1, 5
	s_mov_b32 s34, 0
	s_xor_b32 exec_lo, exec_lo, s33
; %bb.362:                              ;   in Loop: Header=BB65_15 Depth=1
	v_subrev_nc_u32_e32 v2, s20, v2
	v_mov_b32_e32 v1, 0
	s_mov_b32 s34, exec_lo
; %bb.363:                              ;   in Loop: Header=BB65_15 Depth=1
	s_or_b32 exec_lo, exec_lo, s33
	v_mov_b32_e32 v3, v2
	s_and_b32 s85, s34, exec_lo
.LBB65_364:                             ;   in Loop: Header=BB65_15 Depth=1
	s_or_b32 exec_lo, exec_lo, s31
	s_mov_b32 s31, -1
                                        ; implicit-def: $sgpr34
                                        ; implicit-def: $sgpr33
	s_and_saveexec_b32 s20, s85
	s_cbranch_execz .LBB65_403
; %bb.365:                              ;   in Loop: Header=BB65_15 Depth=1
	v_cmp_eq_u32_e32 vcc_lo, 1, v3
	s_cmp_eq_u32 s17, 1
	s_mov_b32 s86, -1
	s_cselect_b32 s31, -1, 0
                                        ; implicit-def: $sgpr34
                                        ; implicit-def: $sgpr33
	s_and_b32 s31, s31, vcc_lo
	s_and_saveexec_b32 s85, s31
	s_cbranch_execz .LBB65_391
; %bb.366:                              ;   in Loop: Header=BB65_15 Depth=1
	ds_read_b32 v2, v9 offset:4096
	s_waitcnt lgkmcnt(0)
	s_barrier
	buffer_gl0_inv
	v_readfirstlane_b32 s87, v2
	s_and_saveexec_b32 s33, s15
; %bb.367:                              ;   in Loop: Header=BB65_15 Depth=1
	ds_write_b16 v21, v9
; %bb.368:                              ;   in Loop: Header=BB65_15 Depth=1
	s_or_b32 exec_lo, exec_lo, s33
	v_and_b32_e32 v28, s19, v28
	v_or_b32_e32 v36, s18, v36
	s_mov_b32 s33, -1
	s_mov_b32 s34, 0
	s_cmp_eq_u32 s87, 0
	s_mov_b32 s86, 0
	s_mov_b32 s88, -1
	s_waitcnt lgkmcnt(0)
	s_barrier
	buffer_gl0_inv
                                        ; implicit-def: $vgpr37
	s_cbranch_scc1 .LBB65_379
; %bb.369:                              ;   in Loop: Header=BB65_15 Depth=1
	s_add_i32 s86, s87, s62
                                        ; implicit-def: $vgpr37
	s_mul_hi_u32 s88, s86, s68
	s_mul_i32 s88, s88, s50
	s_sub_i32 s88, s86, s88
	s_sub_i32 s89, s88, s50
	s_cmp_ge_u32 s88, s50
	s_cselect_b32 s88, s89, s88
	s_sub_i32 s89, s88, s50
	s_cmp_ge_u32 s88, s50
	s_cselect_b32 s88, s89, s88
	s_mov_b32 s89, exec_lo
	s_sub_i32 s90, s86, s88
	s_mov_b32 s88, 0
	s_mov_b32 s86, 0
	v_cmpx_gt_u32_e64 s90, v0
	s_cbranch_execz .LBB65_378
; %bb.370:                              ;   in Loop: Header=BB65_15 Depth=1
	v_mov_b32_e32 v2, v20
	v_mov_b32_e32 v4, v0
                                        ; implicit-def: $sgpr91
	s_inst_prefetch 0x1
	s_branch .LBB65_373
	.p2align	6
.LBB65_371:                             ;   in Loop: Header=BB65_373 Depth=2
	s_or_b32 exec_lo, exec_lo, s92
	s_waitcnt lgkmcnt(0)
	s_barrier
	buffer_gl0_inv
	ds_read_b32 v8, v9 offset:3072
	s_mov_b32 s92, -1
	s_waitcnt lgkmcnt(0)
	s_barrier
	buffer_gl0_inv
	v_cmp_ne_u32_sdwa s93, v8, v9 src0_sel:WORD_0 src1_sel:DWORD
	s_and_b32 vcc_lo, exec_lo, s93
	s_mov_b32 s93, -1
	s_cbranch_vccz .LBB65_376
.LBB65_372:                             ;   in Loop: Header=BB65_373 Depth=2
	s_and_b32 s92, exec_lo, s92
	s_or_b32 s86, s92, s86
	s_andn2_b32 s91, s91, exec_lo
	s_and_b32 s92, s93, exec_lo
	s_or_b32 s91, s91, s92
	s_andn2_b32 exec_lo, exec_lo, s86
	s_cbranch_execz .LBB65_377
.LBB65_373:                             ;   Parent Loop BB65_15 Depth=1
                                        ; =>  This Inner Loop Header: Depth=2
	s_mov_b32 s92, exec_lo
	v_cmpx_gt_u32_e64 s87, v4
	s_cbranch_execz .LBB65_371
; %bb.374:                              ;   in Loop: Header=BB65_373 Depth=2
	ds_read_u16 v8, v2
	s_waitcnt lgkmcnt(0)
	v_add_nc_u32_sdwa v13, sext(v8), v35 dst_sel:DWORD dst_unused:UNUSED_PAD src0_sel:WORD_0 src1_sel:DWORD
	v_and_b32_e32 v13, v13, v36
	v_cmp_eq_u32_e32 vcc_lo, v13, v28
	s_and_b32 exec_lo, exec_lo, vcc_lo
	s_cbranch_execz .LBB65_371
; %bb.375:                              ;   in Loop: Header=BB65_373 Depth=2
	v_perm_b32 v8, v8, 1, 0x5040100
	ds_write_b32 v9, v8 offset:3072
	s_branch .LBB65_371
.LBB65_376:                             ;   in Loop: Header=BB65_373 Depth=2
	v_add_nc_u32_e32 v4, s50, v4
	v_add_nc_u32_e32 v2, s72, v2
	s_mov_b32 s93, 0
	v_cmp_le_u32_e32 vcc_lo, s90, v4
	s_orn2_b32 s92, vcc_lo, exec_lo
	s_branch .LBB65_372
.LBB65_377:                             ;   in Loop: Header=BB65_15 Depth=1
	s_inst_prefetch 0x2
	s_or_b32 exec_lo, exec_lo, s86
	v_lshrrev_b32_e32 v37, 16, v8
	s_and_b32 s86, s91, exec_lo
.LBB65_378:                             ;   in Loop: Header=BB65_15 Depth=1
	s_or_b32 exec_lo, exec_lo, s89
.LBB65_379:                             ;   in Loop: Header=BB65_15 Depth=1
	s_and_b32 vcc_lo, exec_lo, s88
	s_cbranch_vccz .LBB65_390
; %bb.380:                              ;   in Loop: Header=BB65_15 Depth=1
                                        ; implicit-def: $vgpr37
	s_and_saveexec_b32 s33, s13
	s_cbranch_execz .LBB65_389
; %bb.381:                              ;   in Loop: Header=BB65_15 Depth=1
	v_mov_b32_e32 v8, v7
	v_mov_b32_e32 v2, v0
	s_mov_b32 s34, 0
                                        ; implicit-def: $sgpr87
	s_inst_prefetch 0x1
	s_branch .LBB65_384
	.p2align	6
.LBB65_382:                             ;   in Loop: Header=BB65_384 Depth=2
	s_or_b32 exec_lo, exec_lo, s88
	s_waitcnt lgkmcnt(0)
	s_barrier
	buffer_gl0_inv
	ds_read_b32 v4, v9 offset:3072
	s_mov_b32 s88, -1
	s_waitcnt lgkmcnt(0)
	s_barrier
	buffer_gl0_inv
	v_cmp_eq_u32_sdwa s89, v4, v9 src0_sel:WORD_0 src1_sel:DWORD
	s_and_b32 vcc_lo, exec_lo, s89
	s_mov_b32 s89, -1
	s_cbranch_vccnz .LBB65_387
.LBB65_383:                             ;   in Loop: Header=BB65_384 Depth=2
	s_and_b32 s88, exec_lo, s88
	s_or_b32 s34, s88, s34
	s_andn2_b32 s87, s87, exec_lo
	s_and_b32 s88, s89, exec_lo
	s_or_b32 s87, s87, s88
	s_andn2_b32 exec_lo, exec_lo, s34
	s_cbranch_execz .LBB65_388
.LBB65_384:                             ;   Parent Loop BB65_15 Depth=1
                                        ; =>  This Inner Loop Header: Depth=2
	s_mov_b32 s88, exec_lo
	v_cmpx_gt_u32_e64 s36, v2
	s_cbranch_execz .LBB65_382
; %bb.385:                              ;   in Loop: Header=BB65_384 Depth=2
	v_lshlrev_b64 v[13:14], 1, v[8:9]
	v_add_co_u32 v13, vcc_lo, s42, v13
	v_add_co_ci_u32_e64 v14, null, s48, v14, vcc_lo
	global_load_ushort v4, v[13:14], off
	s_waitcnt vmcnt(0)
	v_add_nc_u32_sdwa v13, sext(v4), v35 dst_sel:DWORD dst_unused:UNUSED_PAD src0_sel:WORD_0 src1_sel:DWORD
	v_and_b32_e32 v13, v13, v36
	v_cmp_eq_u32_e32 vcc_lo, v13, v28
	s_and_b32 exec_lo, exec_lo, vcc_lo
	s_cbranch_execz .LBB65_382
; %bb.386:                              ;   in Loop: Header=BB65_384 Depth=2
	v_perm_b32 v4, v4, 1, 0x5040100
	ds_write_b32 v9, v4 offset:3072
	s_branch .LBB65_382
.LBB65_387:                             ;   in Loop: Header=BB65_384 Depth=2
	v_add_nc_u32_e32 v2, s50, v2
	v_add_nc_u32_e32 v8, s52, v8
	s_mov_b32 s89, 0
	v_cmp_le_u32_e32 vcc_lo, s69, v2
	s_orn2_b32 s88, vcc_lo, exec_lo
	s_branch .LBB65_383
.LBB65_388:                             ;   in Loop: Header=BB65_15 Depth=1
	s_inst_prefetch 0x2
	s_or_b32 exec_lo, exec_lo, s34
	v_lshrrev_b32_e32 v37, 16, v4
	s_andn2_b32 s34, s86, exec_lo
	s_and_b32 s86, s87, exec_lo
	s_or_b32 s86, s34, s86
.LBB65_389:                             ;   in Loop: Header=BB65_15 Depth=1
	s_or_b32 exec_lo, exec_lo, s33
	s_mov_b32 s33, 0
	s_mov_b32 s34, -1
.LBB65_390:                             ;   in Loop: Header=BB65_15 Depth=1
	s_orn2_b32 s86, s86, exec_lo
.LBB65_391:                             ;   in Loop: Header=BB65_15 Depth=1
	s_or_b32 exec_lo, exec_lo, s85
	s_mov_b32 s87, 0
	s_and_saveexec_b32 s85, s86
	s_cbranch_execz .LBB65_402
; %bb.392:                              ;   in Loop: Header=BB65_15 Depth=1
	v_mov_b32_e32 v1, 1
	v_mov_b32_e32 v2, 1
	s_xor_b32 s86, s31, -1
	s_and_saveexec_b32 s31, s86
	s_cbranch_execz .LBB65_401
; %bb.393:                              ;   in Loop: Header=BB65_15 Depth=1
	s_mov_b32 s86, exec_lo
	v_cmpx_ge_u32_e64 s17, v3
	s_xor_b32 s86, exec_lo, s86
	s_cbranch_execz .LBB65_398
; %bb.394:                              ;   in Loop: Header=BB65_15 Depth=1
	ds_read_b32 v1, v9 offset:4096
	v_and_b32_e32 v28, s19, v28
	v_or_b32_e32 v36, s18, v36
	s_waitcnt lgkmcnt(0)
	v_cmp_ne_u32_e32 vcc_lo, 0, v1
	s_cbranch_vccnz .LBB65_398
; %bb.395:                              ;   in Loop: Header=BB65_15 Depth=1
	s_and_saveexec_b32 s18, s3
; %bb.396:                              ;   in Loop: Header=BB65_15 Depth=1
	v_mov_b32_e32 v1, s17
	ds_write_b32 v9, v1 offset:4100
; %bb.397:                              ;   in Loop: Header=BB65_15 Depth=1
	s_or_b32 exec_lo, exec_lo, s18
	s_waitcnt lgkmcnt(0)
	s_barrier
	buffer_gl0_inv
.LBB65_398:                             ;   in Loop: Header=BB65_15 Depth=1
	s_andn2_saveexec_b32 s18, s86
; %bb.399:                              ;   in Loop: Header=BB65_15 Depth=1
	v_subrev_nc_u32_e32 v3, s17, v3
; %bb.400:                              ;   in Loop: Header=BB65_15 Depth=1
	s_or_b32 exec_lo, exec_lo, s18
	v_mov_b32_e32 v1, 5
	v_mov_b32_e32 v2, v3
.LBB65_401:                             ;   in Loop: Header=BB65_15 Depth=1
	s_or_b32 exec_lo, exec_lo, s31
	v_mov_b32_e32 v3, v2
	s_mov_b32 s87, exec_lo
.LBB65_402:                             ;   in Loop: Header=BB65_15 Depth=1
	s_or_b32 exec_lo, exec_lo, s85
	s_orn2_b32 s31, s87, exec_lo
.LBB65_403:                             ;   in Loop: Header=BB65_15 Depth=1
	s_or_b32 exec_lo, exec_lo, s20
	v_mov_b32_e32 v2, v3
	s_andn2_b32 s17, s29, exec_lo
	s_and_b32 s18, s34, exec_lo
	s_andn2_b32 s19, s28, exec_lo
	s_and_b32 s20, s33, exec_lo
	s_or_b32 s29, s17, s18
	s_or_b32 s28, s19, s20
	s_and_b32 s34, s31, exec_lo
.LBB65_404:                             ;   in Loop: Header=BB65_15 Depth=1
	s_or_b32 exec_lo, exec_lo, s30
	s_orn2_b32 s30, s34, exec_lo
.LBB65_405:                             ;   in Loop: Header=BB65_15 Depth=1
	s_or_b32 exec_lo, exec_lo, s21
	v_mov_b32_e32 v4, v2
	s_andn2_b32 s17, s26, exec_lo
	s_and_b32 s18, s29, exec_lo
	s_andn2_b32 s19, s22, exec_lo
	s_and_b32 s20, s28, exec_lo
	s_or_b32 s26, s17, s18
	s_or_b32 s22, s19, s20
	s_and_b32 s30, s30, exec_lo
.LBB65_406:                             ;   in Loop: Header=BB65_15 Depth=1
	s_or_b32 exec_lo, exec_lo, s27
	s_orn2_b32 s27, s30, exec_lo
.LBB65_407:                             ;   in Loop: Header=BB65_15 Depth=1
	s_or_b32 exec_lo, exec_lo, s6
	s_mov_b32 s6, s24
	s_mov_b32 s17, s23
	s_and_saveexec_b32 s18, s27
; %bb.408:                              ;   in Loop: Header=BB65_15 Depth=1
	v_cmp_ne_u32_e32 vcc_lo, 5, v1
	v_cmp_eq_u32_e64 s6, 5, v1
	s_andn2_b32 s17, s23, exec_lo
	s_andn2_b32 s19, s24, exec_lo
	s_and_b32 s20, vcc_lo, exec_lo
	s_and_b32 s6, s6, exec_lo
	s_or_b32 s17, s17, s20
	s_or_b32 s6, s19, s6
; %bb.409:                              ;   in Loop: Header=BB65_15 Depth=1
	s_or_b32 exec_lo, exec_lo, s18
	s_andn2_b32 s14, s14, exec_lo
	s_and_b32 s18, s26, exec_lo
	s_andn2_b32 s16, s16, exec_lo
	s_and_b32 s19, s22, exec_lo
	s_or_b32 s14, s14, s18
	s_or_b32 s16, s16, s19
	s_andn2_b32 s18, s23, exec_lo
	s_and_b32 s17, s17, exec_lo
	s_andn2_b32 s19, s24, exec_lo
	s_and_b32 s6, s6, exec_lo
	s_or_b32 s23, s18, s17
	s_or_b32 s24, s19, s6
.LBB65_410:                             ;   in Loop: Header=BB65_15 Depth=1
	s_or_b32 exec_lo, exec_lo, s25
	s_mov_b32 s25, 0
	s_mov_b32 s26, 0
	s_and_saveexec_b32 s6, s24
.LBB65_411:                             ;   in Loop: Header=BB65_15 Depth=1
	v_mov_b32_e32 v1, 0
	s_or_b32 s23, s23, exec_lo
.LBB65_412:                             ;   in Loop: Header=BB65_15 Depth=1
	s_or_b32 exec_lo, exec_lo, s6
	s_andn2_b32 s6, s82, exec_lo
	s_and_b32 s14, s14, exec_lo
	s_andn2_b32 s18, s80, exec_lo
	s_and_b32 s16, s16, exec_lo
	v_mov_b32_e32 v38, v4
	s_or_b32 s82, s6, s14
	s_or_b32 s80, s18, s16
	s_andn2_b32 s6, s84, exec_lo
	s_and_b32 s14, s26, exec_lo
	s_andn2_b32 s16, s83, exec_lo
	s_and_b32 s18, s25, exec_lo
	s_mov_b32 s17, -1
	s_andn2_b32 s81, s81, exec_lo
	s_or_b32 s84, s6, s14
	s_or_b32 s83, s16, s18
	s_and_saveexec_b32 s6, s23
	s_xor_b32 s6, exec_lo, s6
	s_cbranch_execz .LBB65_14
; %bb.413:                              ;   in Loop: Header=BB65_15 Depth=1
	s_mov_b32 s14, -1
	s_mov_b32 s16, -1
	s_mov_b32 s17, exec_lo
	v_cmpx_eq_u32_e32 0, v1
	s_cbranch_execz .LBB65_13
; %bb.414:                              ;   in Loop: Header=BB65_15 Depth=1
	s_xor_b32 s74, s74, 1
	s_add_i32 s18, s78, -2
	s_cmp_eq_u32 s78, 0
	s_mov_b32 s78, s18
	s_cselect_b32 s14, -1, 0
	s_xor_b32 s16, exec_lo, -1
	s_orn2_b32 s14, s14, exec_lo
	s_branch .LBB65_13
.LBB65_415:
	s_or_b32 exec_lo, exec_lo, s49
	s_xor_b32 s9, s79, -1
	s_xor_b32 s12, s76, -1
	;; [unrolled: 1-line block ×5, first 2 shown]
	s_mov_b32 s7, 0
	s_and_saveexec_b32 s8, s6
	s_xor_b32 s6, exec_lo, s8
	s_cbranch_execnz .LBB65_420
; %bb.416:
	s_andn2_saveexec_b32 s0, s6
	s_cbranch_execnz .LBB65_439
.LBB65_417:
	s_or_b32 exec_lo, exec_lo, s0
	s_and_saveexec_b32 s0, s7
.LBB65_418:
	; divergent unreachable
.LBB65_419:
	s_endpgm
.LBB65_420:
	s_mov_b32 s8, 0
	s_and_saveexec_b32 s7, s11
	s_xor_b32 s7, exec_lo, s7
	s_cbranch_execz .LBB65_437
; %bb.421:
	s_mov_b32 s11, 0
	s_and_saveexec_b32 s8, s12
	s_xor_b32 s8, exec_lo, s8
	s_cbranch_execz .LBB65_435
; %bb.422:
	s_and_saveexec_b32 s12, s9
	s_xor_b32 s9, exec_lo, s12
	s_cbranch_execz .LBB65_433
; %bb.423:
	s_and_saveexec_b32 s11, s10
	s_xor_b32 s10, exec_lo, s11
; %bb.424:
	v_xor_b32_e32 v37, 0xffff8000, v28
; %bb.425:
	s_or_b32 exec_lo, exec_lo, s10
	s_and_saveexec_b32 s10, s3
; %bb.426:
	v_mov_b32_e32 v1, 0
	ds_write_b32 v1, v1 offset:4108
; %bb.427:
	s_or_b32 exec_lo, exec_lo, s10
	v_mov_b32_e32 v7, 0
	s_waitcnt lgkmcnt(0)
	s_barrier
	buffer_gl0_inv
	s_and_saveexec_b32 s3, s1
	s_cbranch_execz .LBB65_429
; %bb.428:
	global_load_ushort v7, v[5:6], off
.LBB65_429:
	s_or_b32 exec_lo, exec_lo, s3
	s_clause 0x1
	s_load_dword s10, s[4:5], 0x1c8
	s_load_dword s11, s[4:5], 0x2a8
	s_mul_i32 s3, s54, s53
	s_mov_b32 s5, 0
	s_add_i32 s4, s3, s35
	s_add_i32 s12, s36, 31
	s_mul_i32 s3, s55, s51
	s_lshl_b64 s[14:15], s[4:5], 1
	s_andn2_b32 s12, s12, 31
	s_add_i32 s16, s3, s43
	s_mov_b32 s17, s5
	s_add_u32 s13, s46, s14
	s_addc_u32 s14, s47, s15
	s_lshl_b64 s[16:17], s[16:17], 3
	v_cmp_gt_u32_e32 vcc_lo, s12, v0
	s_add_u32 s15, s44, s16
	s_addc_u32 s16, s45, s17
	s_mov_b32 s4, -1
	s_mov_b32 s3, 0
	s_and_saveexec_b32 s17, vcc_lo
	s_cbranch_execnz .LBB65_440
; %bb.430:
	s_or_b32 exec_lo, exec_lo, s17
	s_and_saveexec_b32 s2, s4
	s_cbranch_execnz .LBB65_455
.LBB65_431:
	s_or_b32 exec_lo, exec_lo, s2
	s_and_saveexec_b32 s0, s3
	s_xor_b32 s0, exec_lo, s0
	s_cbranch_execnz .LBB65_478
.LBB65_432:
	s_or_b32 exec_lo, exec_lo, s0
	s_waitcnt lgkmcnt(0)
	s_and_b32 s11, s5, exec_lo
.LBB65_433:
	s_andn2_saveexec_b32 s0, s9
	s_cbranch_execnz .LBB65_480
.LBB65_434:
	s_or_b32 exec_lo, exec_lo, s0
	s_and_b32 s11, s11, exec_lo
.LBB65_435:
	s_andn2_saveexec_b32 s0, s8
	s_cbranch_execnz .LBB65_479
.LBB65_436:
	s_or_b32 exec_lo, exec_lo, s0
	s_and_b32 s8, s11, exec_lo
.LBB65_437:
	s_andn2_saveexec_b32 s0, s7
	s_cbranch_execnz .LBB65_474
.LBB65_438:
	s_or_b32 exec_lo, exec_lo, s0
	s_and_b32 s7, s8, exec_lo
	s_andn2_saveexec_b32 s0, s6
	s_cbranch_execz .LBB65_417
.LBB65_439:
	s_or_b32 s7, s7, exec_lo
	s_trap 2
	s_or_b32 exec_lo, exec_lo, s0
	s_and_saveexec_b32 s0, s7
	s_cbranch_execnz .LBB65_418
	s_branch .LBB65_419
.LBB65_440:
	v_add_nc_u32_e32 v1, s50, v0
	v_mov_b32_e32 v8, 0x8000
	v_mov_b32_e32 v2, 0
	;; [unrolled: 1-line block ×3, first 2 shown]
	s_mov_b32 s18, 0
	v_mul_lo_u32 v1, s40, v1
	v_add_nc_u32_sdwa v9, sext(v37), v8 dst_sel:DWORD dst_unused:UNUSED_PAD src0_sel:WORD_0 src1_sel:DWORD
                                        ; implicit-def: $sgpr19
                                        ; implicit-def: $vgpr11
	s_branch .LBB65_442
.LBB65_441:                             ;   in Loop: Header=BB65_442 Depth=1
	s_or_b32 exec_lo, exec_lo, s21
	s_xor_b32 s3, s20, -1
	s_and_b32 s4, exec_lo, s4
	v_mov_b32_e32 v7, v12
	s_or_b32 s18, s4, s18
	v_mov_b32_e32 v3, v10
	s_andn2_b32 s4, s19, exec_lo
	s_and_b32 s3, s3, exec_lo
	s_or_b32 s19, s4, s3
	s_andn2_b32 exec_lo, exec_lo, s18
	s_cbranch_execz .LBB65_454
.LBB65_442:                             ; =>This Inner Loop Header: Depth=1
	v_add_nc_u32_e32 v10, s50, v3
	v_mov_b32_e32 v12, 0
	s_mov_b32 s4, exec_lo
	v_cmpx_gt_u32_e64 s36, v10
	s_cbranch_execz .LBB65_444
; %bb.443:                              ;   in Loop: Header=BB65_442 Depth=1
	v_lshlrev_b64 v[12:13], 1, v[1:2]
	v_add_co_u32 v12, s3, s42, v12
	v_add_co_ci_u32_e64 v13, null, s48, v13, s3
	global_load_ushort v12, v[12:13], off
.LBB65_444:                             ;   in Loop: Header=BB65_442 Depth=1
	s_or_b32 exec_lo, exec_lo, s4
	s_waitcnt vmcnt(0)
	v_add_nc_u32_sdwa v4, sext(v7), v8 dst_sel:DWORD dst_unused:UNUSED_PAD src0_sel:WORD_0 src1_sel:DWORD
	v_cmp_gt_u32_e64 s3, v4, v9
	v_cndmask_b32_e64 v13, 0, 1, s3
	v_cmp_lt_u32_e64 s3, v4, v9
	v_cndmask_b32_e64 v4, 0, 1, s3
	v_cmp_gt_u32_e64 s3, s36, v3
	v_cndmask_b32_e64 v4, v4, v13, s2
	v_and_b32_e32 v4, 1, v4
	v_cmp_eq_u32_e64 s4, 1, v4
	s_and_b32 s21, s3, s4
	v_cndmask_b32_e64 v4, 0, 1, s21
	v_cmp_ne_u32_e64 s3, 0, v4
	s_cmp_lg_u32 s3, 0
	s_cselect_b32 s4, -1, 0
	s_and_b32 s4, s0, s4
	s_and_saveexec_b32 s20, s4
	s_cbranch_execz .LBB65_448
; %bb.445:                              ;   in Loop: Header=BB65_442 Depth=1
	s_mov_b32 s24, exec_lo
	s_bcnt1_i32_b32 s22, s3
	v_mbcnt_lo_u32_b32 v4, s24, 0
	s_mov_b32 s23, exec_lo
                                        ; implicit-def: $vgpr11
	v_cmpx_eq_u32_e32 0, v4
	s_cbranch_execz .LBB65_447
; %bb.446:                              ;   in Loop: Header=BB65_442 Depth=1
	s_bcnt1_i32_b32 s4, s24
	s_mul_i32 s4, s22, s4
	s_waitcnt lgkmcnt(0)
	v_mov_b32_e32 v11, s4
	ds_add_rtn_u32 v11, v2, v11 offset:4108
.LBB65_447:                             ;   in Loop: Header=BB65_442 Depth=1
	s_or_b32 exec_lo, exec_lo, s23
	s_waitcnt lgkmcnt(0)
	v_readfirstlane_b32 s4, v11
	v_mad_u32_u24 v11, s22, v4, s4
.LBB65_448:                             ;   in Loop: Header=BB65_442 Depth=1
	s_or_b32 exec_lo, exec_lo, s20
	s_waitcnt lgkmcnt(0)
	ds_bpermute_b32 v11, v2, v11
	s_mov_b32 s4, -1
	s_mov_b32 s22, -1
	s_and_saveexec_b32 s20, s21
	s_cbranch_execz .LBB65_452
; %bb.449:                              ;   in Loop: Header=BB65_442 Depth=1
	v_and_b32_e32 v4, s3, v17
	s_mov_b32 s21, 0
	s_mov_b32 s22, exec_lo
	s_waitcnt lgkmcnt(0)
	v_bcnt_u32_b32 v4, v4, v11
	v_cmpx_gt_u32_e64 s37, v4
; %bb.450:                              ;   in Loop: Header=BB65_442 Depth=1
	v_mul_lo_u32 v13, v4, s10
	v_mul_lo_u32 v15, v4, s11
	v_mov_b32_e32 v14, v2
	v_mov_b32_e32 v16, v2
	;; [unrolled: 1-line block ×3, first 2 shown]
	s_mov_b32 s21, exec_lo
	v_lshlrev_b64 v[13:14], 1, v[13:14]
	v_lshlrev_b64 v[15:16], 3, v[15:16]
	v_add_co_u32 v13, s3, s13, v13
	v_add_co_ci_u32_e64 v14, null, s14, v14, s3
	v_add_co_u32 v15, s3, s15, v15
	v_add_co_ci_u32_e64 v16, null, s16, v16, s3
	global_store_short v[13:14], v7, off
	global_store_dwordx2 v[15:16], v[3:4], off
; %bb.451:                              ;   in Loop: Header=BB65_442 Depth=1
	s_or_b32 exec_lo, exec_lo, s22
	s_orn2_b32 s22, s21, exec_lo
.LBB65_452:                             ;   in Loop: Header=BB65_442 Depth=1
	s_or_b32 exec_lo, exec_lo, s20
	s_mov_b32 s20, -1
	s_and_saveexec_b32 s21, s22
	s_cbranch_execz .LBB65_441
; %bb.453:                              ;   in Loop: Header=BB65_442 Depth=1
	v_cmp_le_u32_e64 s3, s12, v10
	v_add_nc_u32_e32 v1, s52, v1
	s_xor_b32 s20, exec_lo, -1
	s_orn2_b32 s4, s3, exec_lo
	s_branch .LBB65_441
.LBB65_454:
	s_or_b32 exec_lo, exec_lo, s18
	s_mov_b32 s3, exec_lo
	s_orn2_b32 s4, s19, exec_lo
	s_or_b32 exec_lo, exec_lo, s17
	s_and_saveexec_b32 s2, s4
	s_cbranch_execz .LBB65_431
.LBB65_455:
	v_mov_b32_e32 v1, 0
	s_waitcnt vmcnt(0) lgkmcnt(0)
	s_waitcnt_vscnt null, 0x0
	s_barrier
	buffer_gl0_inv
	s_and_saveexec_b32 s4, s1
	s_cbranch_execz .LBB65_457
; %bb.456:
	global_load_ushort v1, v[5:6], off
.LBB65_457:
	s_or_b32 exec_lo, exec_lo, s4
	s_mov_b32 s1, 0
	s_and_saveexec_b32 s4, vcc_lo
	s_cbranch_execz .LBB65_477
; %bb.458:
	v_add_nc_u32_e32 v2, s50, v0
	v_mov_b32_e32 v3, 0
	s_mov_b32 s5, 0
                                        ; implicit-def: $sgpr17
                                        ; implicit-def: $vgpr5
	v_mul_lo_u32 v2, s40, v2
	s_branch .LBB65_461
.LBB65_459:                             ;   in Loop: Header=BB65_461 Depth=1
	s_or_b32 exec_lo, exec_lo, s19
	s_orn2_b32 s20, s21, exec_lo
	s_orn2_b32 s18, s18, exec_lo
.LBB65_460:                             ;   in Loop: Header=BB65_461 Depth=1
	s_or_b32 exec_lo, exec_lo, s1
	s_xor_b32 s1, s20, -1
	s_and_b32 s18, exec_lo, s18
	v_mov_b32_e32 v0, v4
	s_or_b32 s5, s18, s5
	v_mov_b32_e32 v1, v6
	s_andn2_b32 s17, s17, exec_lo
	s_and_b32 s1, s1, exec_lo
	s_or_b32 s17, s17, s1
	s_andn2_b32 exec_lo, exec_lo, s5
	s_cbranch_execz .LBB65_475
.LBB65_461:                             ; =>This Inner Loop Header: Depth=1
	v_add_nc_u32_e32 v4, s50, v0
	v_mov_b32_e32 v6, 0
	s_mov_b32 s1, exec_lo
	v_cmpx_gt_u32_e64 s36, v4
	s_cbranch_execz .LBB65_463
; %bb.462:                              ;   in Loop: Header=BB65_461 Depth=1
	v_lshlrev_b64 v[6:7], 1, v[2:3]
	v_add_co_u32 v6, vcc_lo, s42, v6
	v_add_co_ci_u32_e64 v7, null, s48, v7, vcc_lo
	global_load_ushort v6, v[6:7], off
.LBB65_463:                             ;   in Loop: Header=BB65_461 Depth=1
	s_or_b32 exec_lo, exec_lo, s1
	v_cmp_gt_u32_e32 vcc_lo, s36, v0
	s_waitcnt vmcnt(0)
	v_cmp_eq_u16_e64 s1, v1, v37
	s_and_b32 s19, vcc_lo, s1
	v_cndmask_b32_e64 v1, 0, 1, s19
	v_cmp_ne_u32_e32 vcc_lo, 0, v1
	s_cmp_lg_u32 vcc_lo, 0
	s_cselect_b32 s1, -1, 0
	s_and_b32 s1, s0, s1
	s_and_saveexec_b32 s18, s1
	s_cbranch_execz .LBB65_467
; %bb.464:                              ;   in Loop: Header=BB65_461 Depth=1
	s_mov_b32 s22, exec_lo
	s_bcnt1_i32_b32 s20, vcc_lo
	v_mbcnt_lo_u32_b32 v1, s22, 0
	s_mov_b32 s21, exec_lo
                                        ; implicit-def: $vgpr5
	v_cmpx_eq_u32_e32 0, v1
; %bb.465:                              ;   in Loop: Header=BB65_461 Depth=1
	s_bcnt1_i32_b32 s1, s22
	s_mul_i32 s1, s20, s1
	v_mov_b32_e32 v5, s1
	ds_add_rtn_u32 v5, v3, v5 offset:4108
; %bb.466:                              ;   in Loop: Header=BB65_461 Depth=1
	s_or_b32 exec_lo, exec_lo, s21
	s_waitcnt lgkmcnt(0)
	v_readfirstlane_b32 s1, v5
	v_mad_u32_u24 v5, s20, v1, s1
.LBB65_467:                             ;   in Loop: Header=BB65_461 Depth=1
	s_or_b32 exec_lo, exec_lo, s18
	ds_bpermute_b32 v5, v3, v5
	s_cmp_eq_u32 vcc_lo, 0
	s_mov_b32 s18, -1
	s_cselect_b32 s20, -1, 0
	s_waitcnt lgkmcnt(0)
	v_cmp_gt_u32_e64 s1, s37, v5
	s_or_b32 s21, s20, s1
	s_mov_b32 s20, -1
	s_and_saveexec_b32 s1, s21
	s_cbranch_execz .LBB65_460
; %bb.468:                              ;   in Loop: Header=BB65_461 Depth=1
	v_and_b32_e32 v1, vcc_lo, v17
	v_sub_nc_u32_e32 v7, s37, v5
	s_mov_b32 s21, -1
	v_bcnt_u32_b32 v1, v1, 0
	v_bcnt_u32_b32 v1, 0, v1
	v_cmp_gt_u32_e32 vcc_lo, v7, v1
	s_and_b32 s22, s19, vcc_lo
	s_and_saveexec_b32 s19, s22
	s_cbranch_execz .LBB65_472
; %bb.469:                              ;   in Loop: Header=BB65_461 Depth=1
	v_add_nc_u32_e32 v1, v5, v1
	s_mov_b32 s20, 0
	s_mov_b32 s21, exec_lo
	v_cmpx_gt_u32_e64 s37, v1
; %bb.470:                              ;   in Loop: Header=BB65_461 Depth=1
	v_mul_lo_u32 v7, v1, s10
	v_mul_lo_u32 v9, v1, s11
	v_mov_b32_e32 v8, v3
	v_mov_b32_e32 v10, v3
	;; [unrolled: 1-line block ×3, first 2 shown]
	s_mov_b32 s20, exec_lo
	v_lshlrev_b64 v[7:8], 1, v[7:8]
	v_lshlrev_b64 v[9:10], 3, v[9:10]
	v_add_co_u32 v7, vcc_lo, s13, v7
	v_add_co_ci_u32_e64 v8, null, s14, v8, vcc_lo
	v_add_co_u32 v9, vcc_lo, s15, v9
	v_add_co_ci_u32_e64 v10, null, s16, v10, vcc_lo
	global_store_short v[7:8], v37, off
	global_store_dwordx2 v[9:10], v[0:1], off
; %bb.471:                              ;   in Loop: Header=BB65_461 Depth=1
	s_or_b32 exec_lo, exec_lo, s21
	s_xor_b32 s21, exec_lo, -1
	s_orn2_b32 s20, s20, exec_lo
.LBB65_472:                             ;   in Loop: Header=BB65_461 Depth=1
	s_or_b32 exec_lo, exec_lo, s19
	s_and_saveexec_b32 s19, s20
	s_cbranch_execz .LBB65_459
; %bb.473:                              ;   in Loop: Header=BB65_461 Depth=1
	v_cmp_le_u32_e32 vcc_lo, s12, v4
	v_add_nc_u32_e32 v2, s52, v2
	s_or_b32 s21, s21, exec_lo
	s_orn2_b32 s18, vcc_lo, exec_lo
	s_branch .LBB65_459
.LBB65_474:
	s_or_b32 s8, s8, exec_lo
	s_trap 2
	s_branch .LBB65_438
.LBB65_475:
	s_or_b32 exec_lo, exec_lo, s5
	s_mov_b32 s0, 0
	s_and_saveexec_b32 s1, s17
	s_xor_b32 s1, exec_lo, s1
	s_cbranch_execnz .LBB65_481
.LBB65_476:
	s_or_b32 exec_lo, exec_lo, s1
	s_and_b32 s1, s0, exec_lo
.LBB65_477:
	s_or_b32 exec_lo, exec_lo, s4
	s_and_b32 s5, s1, exec_lo
	s_andn2_b32 s3, s3, exec_lo
	s_or_b32 exec_lo, exec_lo, s2
	s_and_saveexec_b32 s0, s3
	s_xor_b32 s0, exec_lo, s0
	s_cbranch_execz .LBB65_432
.LBB65_478:
	s_or_b32 s5, s5, exec_lo
	s_trap 2
	s_branch .LBB65_432
.LBB65_479:
	s_or_b32 s11, s11, exec_lo
	s_trap 2
	s_branch .LBB65_436
.LBB65_480:
	s_or_b32 s11, s11, exec_lo
	s_trap 2
	s_branch .LBB65_434
.LBB65_481:
	s_mov_b32 s0, exec_lo
	s_trap 2
	s_branch .LBB65_476
	.section	.rodata,"a",@progbits
	.p2align	6, 0x0
	.amdhsa_kernel _ZN2at6native6sbtopk10gatherTopKIsjLin1ELb0EEEvNS_4cuda6detail10TensorInfoIKT_T0_EES8_S8_bS8_S8_NS5_IS6_S8_EES8_NS5_IlS8_EES8_PS6_
		.amdhsa_group_segment_fixed_size 4112
		.amdhsa_private_segment_fixed_size 0
		.amdhsa_kernarg_size 952
		.amdhsa_user_sgpr_count 6
		.amdhsa_user_sgpr_private_segment_buffer 1
		.amdhsa_user_sgpr_dispatch_ptr 0
		.amdhsa_user_sgpr_queue_ptr 0
		.amdhsa_user_sgpr_kernarg_segment_ptr 1
		.amdhsa_user_sgpr_dispatch_id 0
		.amdhsa_user_sgpr_flat_scratch_init 0
		.amdhsa_user_sgpr_private_segment_size 0
		.amdhsa_wavefront_size32 1
		.amdhsa_uses_dynamic_stack 0
		.amdhsa_system_sgpr_private_segment_wavefront_offset 0
		.amdhsa_system_sgpr_workgroup_id_x 1
		.amdhsa_system_sgpr_workgroup_id_y 1
		.amdhsa_system_sgpr_workgroup_id_z 1
		.amdhsa_system_sgpr_workgroup_info 0
		.amdhsa_system_vgpr_workitem_id 0
		.amdhsa_next_free_vgpr 61
		.amdhsa_next_free_sgpr 98
		.amdhsa_reserve_vcc 1
		.amdhsa_reserve_flat_scratch 0
		.amdhsa_float_round_mode_32 0
		.amdhsa_float_round_mode_16_64 0
		.amdhsa_float_denorm_mode_32 3
		.amdhsa_float_denorm_mode_16_64 3
		.amdhsa_dx10_clamp 1
		.amdhsa_ieee_mode 1
		.amdhsa_fp16_overflow 0
		.amdhsa_workgroup_processor_mode 1
		.amdhsa_memory_ordered 1
		.amdhsa_forward_progress 1
		.amdhsa_shared_vgpr_count 0
		.amdhsa_exception_fp_ieee_invalid_op 0
		.amdhsa_exception_fp_denorm_src 0
		.amdhsa_exception_fp_ieee_div_zero 0
		.amdhsa_exception_fp_ieee_overflow 0
		.amdhsa_exception_fp_ieee_underflow 0
		.amdhsa_exception_fp_ieee_inexact 0
		.amdhsa_exception_int_div_zero 0
	.end_amdhsa_kernel
	.section	.text._ZN2at6native6sbtopk10gatherTopKIsjLin1ELb0EEEvNS_4cuda6detail10TensorInfoIKT_T0_EES8_S8_bS8_S8_NS5_IS6_S8_EES8_NS5_IlS8_EES8_PS6_,"axG",@progbits,_ZN2at6native6sbtopk10gatherTopKIsjLin1ELb0EEEvNS_4cuda6detail10TensorInfoIKT_T0_EES8_S8_bS8_S8_NS5_IS6_S8_EES8_NS5_IlS8_EES8_PS6_,comdat
.Lfunc_end65:
	.size	_ZN2at6native6sbtopk10gatherTopKIsjLin1ELb0EEEvNS_4cuda6detail10TensorInfoIKT_T0_EES8_S8_bS8_S8_NS5_IS6_S8_EES8_NS5_IlS8_EES8_PS6_, .Lfunc_end65-_ZN2at6native6sbtopk10gatherTopKIsjLin1ELb0EEEvNS_4cuda6detail10TensorInfoIKT_T0_EES8_S8_bS8_S8_NS5_IS6_S8_EES8_NS5_IlS8_EES8_PS6_
                                        ; -- End function
	.set _ZN2at6native6sbtopk10gatherTopKIsjLin1ELb0EEEvNS_4cuda6detail10TensorInfoIKT_T0_EES8_S8_bS8_S8_NS5_IS6_S8_EES8_NS5_IlS8_EES8_PS6_.num_vgpr, 61
	.set _ZN2at6native6sbtopk10gatherTopKIsjLin1ELb0EEEvNS_4cuda6detail10TensorInfoIKT_T0_EES8_S8_bS8_S8_NS5_IS6_S8_EES8_NS5_IlS8_EES8_PS6_.num_agpr, 0
	.set _ZN2at6native6sbtopk10gatherTopKIsjLin1ELb0EEEvNS_4cuda6detail10TensorInfoIKT_T0_EES8_S8_bS8_S8_NS5_IS6_S8_EES8_NS5_IlS8_EES8_PS6_.numbered_sgpr, 98
	.set _ZN2at6native6sbtopk10gatherTopKIsjLin1ELb0EEEvNS_4cuda6detail10TensorInfoIKT_T0_EES8_S8_bS8_S8_NS5_IS6_S8_EES8_NS5_IlS8_EES8_PS6_.num_named_barrier, 0
	.set _ZN2at6native6sbtopk10gatherTopKIsjLin1ELb0EEEvNS_4cuda6detail10TensorInfoIKT_T0_EES8_S8_bS8_S8_NS5_IS6_S8_EES8_NS5_IlS8_EES8_PS6_.private_seg_size, 0
	.set _ZN2at6native6sbtopk10gatherTopKIsjLin1ELb0EEEvNS_4cuda6detail10TensorInfoIKT_T0_EES8_S8_bS8_S8_NS5_IS6_S8_EES8_NS5_IlS8_EES8_PS6_.uses_vcc, 1
	.set _ZN2at6native6sbtopk10gatherTopKIsjLin1ELb0EEEvNS_4cuda6detail10TensorInfoIKT_T0_EES8_S8_bS8_S8_NS5_IS6_S8_EES8_NS5_IlS8_EES8_PS6_.uses_flat_scratch, 0
	.set _ZN2at6native6sbtopk10gatherTopKIsjLin1ELb0EEEvNS_4cuda6detail10TensorInfoIKT_T0_EES8_S8_bS8_S8_NS5_IS6_S8_EES8_NS5_IlS8_EES8_PS6_.has_dyn_sized_stack, 0
	.set _ZN2at6native6sbtopk10gatherTopKIsjLin1ELb0EEEvNS_4cuda6detail10TensorInfoIKT_T0_EES8_S8_bS8_S8_NS5_IS6_S8_EES8_NS5_IlS8_EES8_PS6_.has_recursion, 0
	.set _ZN2at6native6sbtopk10gatherTopKIsjLin1ELb0EEEvNS_4cuda6detail10TensorInfoIKT_T0_EES8_S8_bS8_S8_NS5_IS6_S8_EES8_NS5_IlS8_EES8_PS6_.has_indirect_call, 0
	.section	.AMDGPU.csdata,"",@progbits
; Kernel info:
; codeLenInByte = 16684
; TotalNumSgprs: 100
; NumVgprs: 61
; ScratchSize: 0
; MemoryBound: 0
; FloatMode: 240
; IeeeMode: 1
; LDSByteSize: 4112 bytes/workgroup (compile time only)
; SGPRBlocks: 0
; VGPRBlocks: 7
; NumSGPRsForWavesPerEU: 100
; NumVGPRsForWavesPerEU: 61
; Occupancy: 16
; WaveLimiterHint : 1
; COMPUTE_PGM_RSRC2:SCRATCH_EN: 0
; COMPUTE_PGM_RSRC2:USER_SGPR: 6
; COMPUTE_PGM_RSRC2:TRAP_HANDLER: 0
; COMPUTE_PGM_RSRC2:TGID_X_EN: 1
; COMPUTE_PGM_RSRC2:TGID_Y_EN: 1
; COMPUTE_PGM_RSRC2:TGID_Z_EN: 1
; COMPUTE_PGM_RSRC2:TIDIG_COMP_CNT: 0
	.section	.text._ZN2at6native6mbtopk23computeBlockDigitCountsIdjmLi1EEEvNS_4cuda6detail10TensorInfoIKT_T0_EEjPjjS8_iijT1_PSB_Ps,"axG",@progbits,_ZN2at6native6mbtopk23computeBlockDigitCountsIdjmLi1EEEvNS_4cuda6detail10TensorInfoIKT_T0_EEjPjjS8_iijT1_PSB_Ps,comdat
	.protected	_ZN2at6native6mbtopk23computeBlockDigitCountsIdjmLi1EEEvNS_4cuda6detail10TensorInfoIKT_T0_EEjPjjS8_iijT1_PSB_Ps ; -- Begin function _ZN2at6native6mbtopk23computeBlockDigitCountsIdjmLi1EEEvNS_4cuda6detail10TensorInfoIKT_T0_EEjPjjS8_iijT1_PSB_Ps
	.globl	_ZN2at6native6mbtopk23computeBlockDigitCountsIdjmLi1EEEvNS_4cuda6detail10TensorInfoIKT_T0_EEjPjjS8_iijT1_PSB_Ps
	.p2align	8
	.type	_ZN2at6native6mbtopk23computeBlockDigitCountsIdjmLi1EEEvNS_4cuda6detail10TensorInfoIKT_T0_EEjPjjS8_iijT1_PSB_Ps,@function
_ZN2at6native6mbtopk23computeBlockDigitCountsIdjmLi1EEEvNS_4cuda6detail10TensorInfoIKT_T0_EEjPjjS8_iijT1_PSB_Ps: ; @_ZN2at6native6mbtopk23computeBlockDigitCountsIdjmLi1EEEvNS_4cuda6detail10TensorInfoIKT_T0_EEjPjjS8_iijT1_PSB_Ps
; %bb.0:
	s_clause 0x2
	s_load_dword s16, s[4:5], 0xf8
	s_load_dwordx4 s[0:3], s[4:5], 0xe8
	s_load_dwordx2 s[10:11], s[4:5], 0x118
	s_mov_b32 s13, 0
	s_waitcnt lgkmcnt(0)
	v_cvt_f32_u32_e32 v1, s16
	s_mul_i32 s8, s11, s8
	s_sub_i32 s11, 0, s16
	s_add_i32 s7, s8, s7
	v_rcp_iflag_f32_e32 v1, v1
	s_mul_i32 s14, s7, s10
	s_add_i32 s14, s14, s6
	v_mul_f32_e32 v1, 0x4f7ffffe, v1
	v_cvt_u32_f32_e32 v1, v1
	v_readfirstlane_b32 s9, v1
	s_mul_i32 s11, s11, s9
	s_mul_hi_u32 s7, s9, s11
	s_add_i32 s9, s9, s7
	s_mul_hi_u32 s6, s14, s9
	s_mul_i32 s7, s6, s16
	s_add_i32 s8, s6, 1
	s_sub_i32 s7, s14, s7
	s_sub_i32 s9, s7, s16
	s_cmp_ge_u32 s7, s16
	s_cselect_b32 s6, s8, s6
	s_cselect_b32 s7, s9, s7
	s_add_i32 s8, s6, 1
	s_cmp_ge_u32 s7, s16
	s_cselect_b32 s12, s8, s6
	s_cmp_ge_u32 s12, s0
	s_cbranch_scc1 .LBB66_21
; %bb.1:
	s_clause 0x1
	s_load_dwordx4 s[8:11], s[4:5], 0x100
	s_load_dwordx2 s[6:7], s[4:5], 0x110
	s_lshl_b64 s[18:19], s[12:13], 3
	v_cmp_gt_u32_e32 vcc_lo, 0x100, v0
	v_lshlrev_b32_e32 v5, 2, v0
	s_waitcnt lgkmcnt(0)
	s_add_u32 s10, s10, s18
	s_addc_u32 s11, s11, s19
	s_and_saveexec_b32 s0, vcc_lo
; %bb.2:
	v_mov_b32_e32 v1, 0
	ds_write_b32 v5, v1
; %bb.3:
	s_or_b32 exec_lo, exec_lo, s0
	s_load_dword s15, s[4:5], 0xd8
	s_mul_i32 s0, s12, s16
	s_waitcnt lgkmcnt(0)
	s_sub_i32 s13, s14, s0
	s_barrier
	s_mul_i32 s0, s3, s13
	s_add_i32 s13, s13, 1
	s_lshl_b32 s0, s0, 8
	buffer_gl0_inv
	s_sub_i32 s17, s15, s0
	s_add_u32 s18, s17, 0xff
	s_addc_u32 s19, 0, 0
	s_lshr_b64 s[18:19], s[18:19], 8
	s_cmp_lt_u32 s13, s16
	s_mov_b32 s13, 0
	s_cselect_b32 s3, s3, s18
	s_cmp_lt_i32 s3, 1
	s_cbranch_scc1 .LBB66_19
; %bb.4:
	s_clause 0x1
	s_load_dword s18, s[4:5], 0x6c
	s_load_dwordx2 s[16:17], s[4:5], 0x0
	s_load_dwordx2 s[4:5], s[10:11], 0x0
	v_add_nc_u32_e32 v6, s0, v0
	s_waitcnt lgkmcnt(0)
	s_mul_i32 s12, s18, s12
	s_lshl_b64 s[10:11], s[12:13], 3
	s_add_u32 s10, s16, s10
	s_addc_u32 s11, s17, s11
	s_and_b32 s2, s2, 0xff
	s_cmp_eq_u32 s3, 1
	s_cbranch_scc1 .LBB66_14
; %bb.5:
	v_add_nc_u32_e32 v1, 0x100, v6
	v_mul_lo_u32 v7, s1, v6
	v_mov_b32_e32 v2, 0
	v_mov_b32_e32 v9, 1
	;; [unrolled: 1-line block ×3, first 2 shown]
	v_mul_lo_u32 v8, s1, v1
	v_mov_b32_e32 v11, v6
	s_and_b32 s12, s3, 0x7ffffffe
	s_lshl_b32 s13, s1, 9
	s_mov_b32 s16, 0
	s_mov_b32 s17, 0
	s_branch .LBB66_7
.LBB66_6:                               ;   in Loop: Header=BB66_7 Depth=1
	s_or_b32 exec_lo, exec_lo, s18
	v_add_nc_u32_e32 v11, 0x200, v11
	s_add_i32 s17, s17, 2
	s_add_i32 s16, s16, s13
	s_cmp_eq_u32 s12, s17
	s_cbranch_scc1 .LBB66_13
.LBB66_7:                               ; =>This Inner Loop Header: Depth=1
	s_mov_b32 s18, exec_lo
	v_cmpx_gt_u32_e64 s15, v11
	s_cbranch_execz .LBB66_10
; %bb.8:                                ;   in Loop: Header=BB66_7 Depth=1
	v_add_nc_u32_e32 v1, s16, v7
	v_lshlrev_b64 v[3:4], 3, v[1:2]
	v_add_co_u32 v3, s0, s10, v3
	v_add_co_ci_u32_e64 v4, null, s11, v4, s0
	global_load_dwordx2 v[3:4], v[3:4], off
	s_waitcnt vmcnt(0)
	v_cmp_o_f64_e64 s0, v[3:4], v[3:4]
	v_ashrrev_i32_e32 v1, 31, v4
	v_or_b32_e32 v12, 0x80000000, v1
	v_xor_b32_e32 v1, v1, v3
	v_xor_b32_e32 v12, v12, v4
	v_cndmask_b32_e64 v4, -1, v12, s0
	v_cndmask_b32_e64 v3, -1, v1, s0
	v_xor_b32_e32 v1, s5, v4
	v_xor_b32_e32 v12, s4, v3
	v_and_b32_e32 v13, s9, v1
	v_and_b32_e32 v12, s8, v12
	v_cmp_eq_u64_e64 s0, 0, v[12:13]
	s_and_b32 exec_lo, exec_lo, s0
; %bb.9:                                ;   in Loop: Header=BB66_7 Depth=1
	v_lshrrev_b64 v[3:4], s2, v[3:4]
	v_lshlrev_b32_sdwa v1, v10, v3 dst_sel:DWORD dst_unused:UNUSED_PAD src0_sel:DWORD src1_sel:BYTE_0
	ds_add_u32 v1, v9
.LBB66_10:                              ;   in Loop: Header=BB66_7 Depth=1
	s_or_b32 exec_lo, exec_lo, s18
	v_add_nc_u32_e32 v1, 0x100, v11
	s_mov_b32 s18, exec_lo
	v_cmpx_gt_u32_e64 s15, v1
	s_cbranch_execz .LBB66_6
; %bb.11:                               ;   in Loop: Header=BB66_7 Depth=1
	v_add_nc_u32_e32 v1, s16, v8
	v_lshlrev_b64 v[3:4], 3, v[1:2]
	v_add_co_u32 v3, s0, s10, v3
	v_add_co_ci_u32_e64 v4, null, s11, v4, s0
	global_load_dwordx2 v[3:4], v[3:4], off
	s_waitcnt vmcnt(0)
	v_cmp_o_f64_e64 s0, v[3:4], v[3:4]
	v_ashrrev_i32_e32 v1, 31, v4
	v_or_b32_e32 v12, 0x80000000, v1
	v_xor_b32_e32 v1, v1, v3
	v_xor_b32_e32 v12, v12, v4
	v_cndmask_b32_e64 v4, -1, v12, s0
	v_cndmask_b32_e64 v3, -1, v1, s0
	v_xor_b32_e32 v1, s5, v4
	v_xor_b32_e32 v12, s4, v3
	v_and_b32_e32 v13, s9, v1
	v_and_b32_e32 v12, s8, v12
	v_cmp_eq_u64_e64 s0, 0, v[12:13]
	s_and_b32 exec_lo, exec_lo, s0
	s_cbranch_execz .LBB66_6
; %bb.12:                               ;   in Loop: Header=BB66_7 Depth=1
	v_lshrrev_b64 v[3:4], s2, v[3:4]
	v_lshlrev_b32_sdwa v1, v10, v3 dst_sel:DWORD dst_unused:UNUSED_PAD src0_sel:DWORD src1_sel:BYTE_0
	ds_add_u32 v1, v9
	s_branch .LBB66_6
.LBB66_13:
	s_lshl_b32 s13, s12, 8
.LBB66_14:
	s_bitcmp0_b32 s3, 0
	s_cbranch_scc1 .LBB66_19
; %bb.15:
	v_add_nc_u32_e32 v1, s13, v6
	s_mov_b32 s3, exec_lo
	v_cmpx_gt_u32_e64 s15, v1
	s_cbranch_execz .LBB66_18
; %bb.16:
	v_mul_lo_u32 v1, v1, s1
	v_mov_b32_e32 v2, 0
	v_lshlrev_b64 v[1:2], 3, v[1:2]
	v_add_co_u32 v1, s0, s10, v1
	v_add_co_ci_u32_e64 v2, null, s11, v2, s0
	global_load_dwordx2 v[1:2], v[1:2], off
	s_waitcnt vmcnt(0)
	v_cmp_o_f64_e64 s0, v[1:2], v[1:2]
	v_ashrrev_i32_e32 v3, 31, v2
	v_or_b32_e32 v4, 0x80000000, v3
	v_xor_b32_e32 v1, v3, v1
	v_xor_b32_e32 v4, v4, v2
	v_cndmask_b32_e64 v2, -1, v4, s0
	v_cndmask_b32_e64 v1, -1, v1, s0
	v_xor_b32_e32 v3, s5, v2
	v_xor_b32_e32 v6, s4, v1
	v_and_b32_e32 v4, s9, v3
	v_and_b32_e32 v3, s8, v6
	v_cmp_eq_u64_e64 s0, 0, v[3:4]
	s_and_b32 exec_lo, exec_lo, s0
	s_cbranch_execz .LBB66_18
; %bb.17:
	v_lshrrev_b64 v[1:2], s2, v[1:2]
	v_mov_b32_e32 v2, 2
	v_lshlrev_b32_sdwa v1, v2, v1 dst_sel:DWORD dst_unused:UNUSED_PAD src0_sel:DWORD src1_sel:BYTE_0
	v_mov_b32_e32 v2, 1
	ds_add_u32 v1, v2
.LBB66_18:
	s_or_b32 exec_lo, exec_lo, s3
.LBB66_19:
	s_waitcnt lgkmcnt(0)
	s_barrier
	buffer_gl0_inv
	s_and_saveexec_b32 s0, vcc_lo
	s_cbranch_execz .LBB66_21
; %bb.20:
	ds_read_b32 v2, v5
	v_lshl_or_b32 v0, s14, 8, v0
	v_mov_b32_e32 v1, 0
	v_lshlrev_b64 v[0:1], 1, v[0:1]
	v_add_co_u32 v0, vcc_lo, s6, v0
	v_add_co_ci_u32_e64 v1, null, s7, v1, vcc_lo
	s_waitcnt lgkmcnt(0)
	global_store_short v[0:1], v2, off
.LBB66_21:
	s_endpgm
	.section	.rodata,"a",@progbits
	.p2align	6, 0x0
	.amdhsa_kernel _ZN2at6native6mbtopk23computeBlockDigitCountsIdjmLi1EEEvNS_4cuda6detail10TensorInfoIKT_T0_EEjPjjS8_iijT1_PSB_Ps
		.amdhsa_group_segment_fixed_size 1024
		.amdhsa_private_segment_fixed_size 0
		.amdhsa_kernarg_size 536
		.amdhsa_user_sgpr_count 6
		.amdhsa_user_sgpr_private_segment_buffer 1
		.amdhsa_user_sgpr_dispatch_ptr 0
		.amdhsa_user_sgpr_queue_ptr 0
		.amdhsa_user_sgpr_kernarg_segment_ptr 1
		.amdhsa_user_sgpr_dispatch_id 0
		.amdhsa_user_sgpr_flat_scratch_init 0
		.amdhsa_user_sgpr_private_segment_size 0
		.amdhsa_wavefront_size32 1
		.amdhsa_uses_dynamic_stack 0
		.amdhsa_system_sgpr_private_segment_wavefront_offset 0
		.amdhsa_system_sgpr_workgroup_id_x 1
		.amdhsa_system_sgpr_workgroup_id_y 1
		.amdhsa_system_sgpr_workgroup_id_z 1
		.amdhsa_system_sgpr_workgroup_info 0
		.amdhsa_system_vgpr_workitem_id 0
		.amdhsa_next_free_vgpr 14
		.amdhsa_next_free_sgpr 20
		.amdhsa_reserve_vcc 1
		.amdhsa_reserve_flat_scratch 0
		.amdhsa_float_round_mode_32 0
		.amdhsa_float_round_mode_16_64 0
		.amdhsa_float_denorm_mode_32 3
		.amdhsa_float_denorm_mode_16_64 3
		.amdhsa_dx10_clamp 1
		.amdhsa_ieee_mode 1
		.amdhsa_fp16_overflow 0
		.amdhsa_workgroup_processor_mode 1
		.amdhsa_memory_ordered 1
		.amdhsa_forward_progress 1
		.amdhsa_shared_vgpr_count 0
		.amdhsa_exception_fp_ieee_invalid_op 0
		.amdhsa_exception_fp_denorm_src 0
		.amdhsa_exception_fp_ieee_div_zero 0
		.amdhsa_exception_fp_ieee_overflow 0
		.amdhsa_exception_fp_ieee_underflow 0
		.amdhsa_exception_fp_ieee_inexact 0
		.amdhsa_exception_int_div_zero 0
	.end_amdhsa_kernel
	.section	.text._ZN2at6native6mbtopk23computeBlockDigitCountsIdjmLi1EEEvNS_4cuda6detail10TensorInfoIKT_T0_EEjPjjS8_iijT1_PSB_Ps,"axG",@progbits,_ZN2at6native6mbtopk23computeBlockDigitCountsIdjmLi1EEEvNS_4cuda6detail10TensorInfoIKT_T0_EEjPjjS8_iijT1_PSB_Ps,comdat
.Lfunc_end66:
	.size	_ZN2at6native6mbtopk23computeBlockDigitCountsIdjmLi1EEEvNS_4cuda6detail10TensorInfoIKT_T0_EEjPjjS8_iijT1_PSB_Ps, .Lfunc_end66-_ZN2at6native6mbtopk23computeBlockDigitCountsIdjmLi1EEEvNS_4cuda6detail10TensorInfoIKT_T0_EEjPjjS8_iijT1_PSB_Ps
                                        ; -- End function
	.set _ZN2at6native6mbtopk23computeBlockDigitCountsIdjmLi1EEEvNS_4cuda6detail10TensorInfoIKT_T0_EEjPjjS8_iijT1_PSB_Ps.num_vgpr, 14
	.set _ZN2at6native6mbtopk23computeBlockDigitCountsIdjmLi1EEEvNS_4cuda6detail10TensorInfoIKT_T0_EEjPjjS8_iijT1_PSB_Ps.num_agpr, 0
	.set _ZN2at6native6mbtopk23computeBlockDigitCountsIdjmLi1EEEvNS_4cuda6detail10TensorInfoIKT_T0_EEjPjjS8_iijT1_PSB_Ps.numbered_sgpr, 20
	.set _ZN2at6native6mbtopk23computeBlockDigitCountsIdjmLi1EEEvNS_4cuda6detail10TensorInfoIKT_T0_EEjPjjS8_iijT1_PSB_Ps.num_named_barrier, 0
	.set _ZN2at6native6mbtopk23computeBlockDigitCountsIdjmLi1EEEvNS_4cuda6detail10TensorInfoIKT_T0_EEjPjjS8_iijT1_PSB_Ps.private_seg_size, 0
	.set _ZN2at6native6mbtopk23computeBlockDigitCountsIdjmLi1EEEvNS_4cuda6detail10TensorInfoIKT_T0_EEjPjjS8_iijT1_PSB_Ps.uses_vcc, 1
	.set _ZN2at6native6mbtopk23computeBlockDigitCountsIdjmLi1EEEvNS_4cuda6detail10TensorInfoIKT_T0_EEjPjjS8_iijT1_PSB_Ps.uses_flat_scratch, 0
	.set _ZN2at6native6mbtopk23computeBlockDigitCountsIdjmLi1EEEvNS_4cuda6detail10TensorInfoIKT_T0_EEjPjjS8_iijT1_PSB_Ps.has_dyn_sized_stack, 0
	.set _ZN2at6native6mbtopk23computeBlockDigitCountsIdjmLi1EEEvNS_4cuda6detail10TensorInfoIKT_T0_EEjPjjS8_iijT1_PSB_Ps.has_recursion, 0
	.set _ZN2at6native6mbtopk23computeBlockDigitCountsIdjmLi1EEEvNS_4cuda6detail10TensorInfoIKT_T0_EEjPjjS8_iijT1_PSB_Ps.has_indirect_call, 0
	.section	.AMDGPU.csdata,"",@progbits
; Kernel info:
; codeLenInByte = 1056
; TotalNumSgprs: 22
; NumVgprs: 14
; ScratchSize: 0
; MemoryBound: 0
; FloatMode: 240
; IeeeMode: 1
; LDSByteSize: 1024 bytes/workgroup (compile time only)
; SGPRBlocks: 0
; VGPRBlocks: 1
; NumSGPRsForWavesPerEU: 22
; NumVGPRsForWavesPerEU: 14
; Occupancy: 16
; WaveLimiterHint : 1
; COMPUTE_PGM_RSRC2:SCRATCH_EN: 0
; COMPUTE_PGM_RSRC2:USER_SGPR: 6
; COMPUTE_PGM_RSRC2:TRAP_HANDLER: 0
; COMPUTE_PGM_RSRC2:TGID_X_EN: 1
; COMPUTE_PGM_RSRC2:TGID_Y_EN: 1
; COMPUTE_PGM_RSRC2:TGID_Z_EN: 1
; COMPUTE_PGM_RSRC2:TIDIG_COMP_CNT: 0
	.section	.text._ZN2at6native6mbtopk29computeBlockwiseWithinKCountsImdEEvPT_PsPjjibS6_PT0_S6_S4_S6_j,"axG",@progbits,_ZN2at6native6mbtopk29computeBlockwiseWithinKCountsImdEEvPT_PsPjjibS6_PT0_S6_S4_S6_j,comdat
	.protected	_ZN2at6native6mbtopk29computeBlockwiseWithinKCountsImdEEvPT_PsPjjibS6_PT0_S6_S4_S6_j ; -- Begin function _ZN2at6native6mbtopk29computeBlockwiseWithinKCountsImdEEvPT_PsPjjibS6_PT0_S6_S4_S6_j
	.globl	_ZN2at6native6mbtopk29computeBlockwiseWithinKCountsImdEEvPT_PsPjjibS6_PT0_S6_S4_S6_j
	.p2align	8
	.type	_ZN2at6native6mbtopk29computeBlockwiseWithinKCountsImdEEvPT_PsPjjibS6_PT0_S6_S4_S6_j,@function
_ZN2at6native6mbtopk29computeBlockwiseWithinKCountsImdEEvPT_PsPjjibS6_PT0_S6_S4_S6_j: ; @_ZN2at6native6mbtopk29computeBlockwiseWithinKCountsImdEEvPT_PsPjjibS6_PT0_S6_S4_S6_j
; %bb.0:
	s_clause 0x2
	s_load_dwordx4 s[16:19], s[4:5], 0x18
	s_load_dwordx2 s[0:1], s[4:5], 0x58
	s_load_dword s3, s[4:5], 0x50
	s_waitcnt lgkmcnt(0)
	v_cvt_f32_u32_e32 v1, s16
	s_mul_i32 s1, s1, s8
	s_add_i32 s1, s1, s7
	v_rcp_iflag_f32_e32 v1, v1
	s_mul_i32 s0, s1, s0
	s_add_i32 s2, s0, s6
	s_cmp_ge_u32 s2, s3
	v_mul_f32_e32 v1, 0x4f7ffffe, v1
	v_cvt_u32_f32_e32 v1, v1
	v_readfirstlane_b32 s0, v1
	s_cbranch_scc1 .LBB67_40
; %bb.1:
	s_sub_i32 s1, 0, s16
	v_cmp_gt_u32_e32 vcc_lo, 0x100, v0
	s_mul_i32 s1, s1, s0
	s_load_dwordx4 s[20:23], s[4:5], 0x0
	s_mul_hi_u32 s1, s0, s1
	s_add_i32 s3, s0, s1
	s_load_dwordx2 s[0:1], s[4:5], 0x10
	s_mul_hi_u32 s6, s2, s3
	s_mul_i32 s3, s6, s16
	s_add_i32 s8, s6, 1
	s_sub_i32 s7, s2, s3
	s_mov_b32 s3, 0
	s_sub_i32 s9, s7, s16
	s_cmp_ge_u32 s7, s16
	s_mov_b32 s25, s3
	s_cselect_b32 s6, s8, s6
	s_cselect_b32 s7, s9, s7
	s_add_i32 s8, s6, 1
	s_cmp_ge_u32 s7, s16
	s_cselect_b32 s24, s8, s6
	s_lshl_b64 s[6:7], s[24:25], 2
	s_waitcnt lgkmcnt(0)
	s_add_u32 s8, s0, s6
	s_addc_u32 s9, s1, s7
	s_and_saveexec_b32 s1, vcc_lo
	s_cbranch_execz .LBB67_8
; %bb.2:
	s_mul_i32 s0, s24, s16
	s_mov_b32 s11, s3
	s_lshl_b32 s10, s0, 8
	v_lshlrev_b32_e32 v1, 1, v0
	s_lshl_b64 s[10:11], s[10:11], 1
	v_mov_b32_e32 v3, 0
	s_add_u32 s0, s22, s10
	s_addc_u32 s10, s23, s11
	v_add_co_u32 v1, s0, s0, v1
	v_add_co_ci_u32_e64 v2, null, s10, 0, s0
	s_cmp_lt_u32 s16, 4
	s_cbranch_scc1 .LBB67_41
; %bb.3:
	v_mov_b32_e32 v3, 0
	s_mov_b32 s10, 0
	.p2align	6
.LBB67_4:                               ; =>This Inner Loop Header: Depth=1
	s_clause 0x3
	global_load_sshort v4, v[1:2], off
	global_load_sshort v5, v[1:2], off offset:512
	global_load_sshort v6, v[1:2], off offset:1024
	;; [unrolled: 1-line block ×3, first 2 shown]
	v_add_co_u32 v1, s0, 0x800, v1
	v_add_co_ci_u32_e64 v2, null, 0, v2, s0
	s_add_i32 s0, s10, 7
	s_add_i32 s10, s10, 4
	s_cmp_ge_u32 s0, s16
	s_waitcnt vmcnt(2)
	v_add3_u32 v3, v3, v4, v5
	s_waitcnt vmcnt(0)
	v_add3_u32 v3, v3, v6, v7
	s_cbranch_scc0 .LBB67_4
; %bb.5:
	s_cmp_ge_u32 s10, s16
	s_cbranch_scc1 .LBB67_7
.LBB67_6:                               ; =>This Inner Loop Header: Depth=1
	global_load_sshort v4, v[1:2], off
	v_add_co_u32 v1, s0, 0x200, v1
	v_add_co_ci_u32_e64 v2, null, 0, v2, s0
	s_add_i32 s10, s10, 1
	s_cmp_lt_u32 s10, s16
	s_waitcnt vmcnt(0)
	v_add_nc_u32_e32 v3, v3, v4
	s_cbranch_scc1 .LBB67_6
.LBB67_7:
	v_lshlrev_b32_e32 v1, 2, v0
	ds_write_b32 v1, v3 offset:1056
.LBB67_8:
	s_or_b32 exec_lo, exec_lo, s1
	s_load_dword s19, s[8:9], 0x0
	v_mov_b32_e32 v2, 0
	v_lshlrev_b32_e32 v4, 2, v0
	s_waitcnt lgkmcnt(0)
	s_barrier
	buffer_gl0_inv
	s_and_saveexec_b32 s0, vcc_lo
; %bb.9:
	ds_read_b32 v2, v4 offset:1056
; %bb.10:
	s_or_b32 exec_lo, exec_lo, s0
	v_lshrrev_b32_e32 v6, 5, v0
	v_cmp_gt_u32_e64 s0, 32, v0
	v_mbcnt_lo_u32_b32 v5, -1, 0
	v_lshl_add_u32 v1, v6, 2, v4
	s_waitcnt lgkmcnt(0)
	ds_write_b32 v1, v2
	s_waitcnt lgkmcnt(0)
	s_barrier
	buffer_gl0_inv
	s_and_saveexec_b32 s8, s0
	s_cbranch_execz .LBB67_12
; %bb.11:
	v_and_b32_e32 v3, 0xfc, v0
	v_lshl_add_u32 v15, v0, 5, v3
	ds_read2_b32 v[7:8], v15 offset1:1
	ds_read2_b32 v[9:10], v15 offset0:2 offset1:3
	ds_read2_b32 v[11:12], v15 offset0:4 offset1:5
	;; [unrolled: 1-line block ×3, first 2 shown]
	; wave barrier
	s_waitcnt lgkmcnt(3)
	v_add_nc_u32_e32 v3, v8, v7
	v_and_b32_e32 v8, 15, v5
	s_waitcnt lgkmcnt(2)
	v_add3_u32 v3, v3, v9, v10
	v_cmp_ne_u32_e64 s1, 0, v8
	v_bfe_i32 v10, v5, 4, 1
	s_waitcnt lgkmcnt(1)
	v_add3_u32 v3, v3, v11, v12
	s_waitcnt lgkmcnt(0)
	v_add3_u32 v3, v3, v13, v14
	v_mov_b32_dpp v9, v3 row_shr:1 row_mask:0xf bank_mask:0xf
	v_cndmask_b32_e64 v9, 0, v9, s1
	v_cmp_lt_u32_e64 s1, 1, v8
	v_add_nc_u32_e32 v3, v9, v3
	v_mov_b32_dpp v9, v3 row_shr:2 row_mask:0xf bank_mask:0xf
	v_cndmask_b32_e64 v9, 0, v9, s1
	v_cmp_lt_u32_e64 s1, 3, v8
	v_add_nc_u32_e32 v3, v3, v9
	;; [unrolled: 4-line block ×3, first 2 shown]
	v_mov_b32_dpp v9, v3 row_shr:8 row_mask:0xf bank_mask:0xf
	v_cndmask_b32_e64 v8, 0, v9, s1
	v_add_nc_u32_e32 v9, -1, v5
	v_add_nc_u32_e32 v3, v3, v8
	v_cmp_gt_i32_e64 s1, 0, v9
	ds_swizzle_b32 v8, v3 offset:swizzle(BROADCAST,32,15)
	v_cndmask_b32_e64 v9, v9, v5, s1
	v_cmp_eq_u32_e64 s1, 0, v0
	v_lshlrev_b32_e32 v9, 2, v9
	s_waitcnt lgkmcnt(0)
	v_and_b32_e32 v8, v10, v8
	v_add_nc_u32_e32 v3, v3, v8
	ds_bpermute_b32 v3, v9, v3
	s_waitcnt lgkmcnt(0)
	v_add_nc_u32_e32 v3, v3, v7
	v_cndmask_b32_e64 v11, v3, v2, s1
	ds_write_b32 v15, v11
	; wave barrier
	ds_read2_b32 v[2:3], v15 offset0:1 offset1:2
	ds_read2_b32 v[7:8], v15 offset0:3 offset1:4
	;; [unrolled: 1-line block ×3, first 2 shown]
	ds_read_b32 v12, v15 offset:28
	s_waitcnt lgkmcnt(3)
	v_add_nc_u32_e32 v2, v2, v11
	v_add_nc_u32_e32 v3, v3, v2
	s_waitcnt lgkmcnt(2)
	v_add_nc_u32_e32 v7, v7, v3
	v_add_nc_u32_e32 v8, v8, v7
	s_waitcnt lgkmcnt(1)
	v_add_nc_u32_e32 v9, v9, v8
	v_add_nc_u32_e32 v10, v10, v9
	s_waitcnt lgkmcnt(0)
	v_add_nc_u32_e32 v11, v12, v10
	ds_write2_b32 v15, v2, v3 offset0:1 offset1:2
	ds_write2_b32 v15, v7, v8 offset0:3 offset1:4
	;; [unrolled: 1-line block ×3, first 2 shown]
	ds_write_b32 v15, v11 offset:28
.LBB67_12:
	s_or_b32 exec_lo, exec_lo, s8
	s_waitcnt lgkmcnt(0)
	s_barrier
	buffer_gl0_inv
	ds_read_b32 v1, v1
	s_waitcnt lgkmcnt(0)
	s_barrier
	buffer_gl0_inv
	s_and_saveexec_b32 s1, vcc_lo
; %bb.13:
	ds_write_b32 v4, v1 offset:1056
; %bb.14:
	s_or_b32 exec_lo, exec_lo, s1
	s_clause 0x1
	s_load_dwordx8 s[8:15], s[4:5], 0x28
	s_load_dwordx2 s[4:5], s[4:5], 0x48
	s_waitcnt lgkmcnt(0)
	s_barrier
	buffer_gl0_inv
	s_and_saveexec_b32 s28, vcc_lo
	s_cbranch_execz .LBB67_23
; %bb.15:
	v_mov_b32_e32 v7, 0
	s_mov_b32 s1, exec_lo
	v_cmpx_ne_u32_e32 0, v0
; %bb.16:
	ds_read_b32 v7, v4 offset:1052
; %bb.17:
	s_or_b32 exec_lo, exec_lo, s1
	s_waitcnt lgkmcnt(0)
	v_cmp_gt_u32_e32 vcc_lo, s19, v7
	v_cmp_le_u32_e64 s1, s19, v1
	s_and_b32 s1, vcc_lo, s1
	s_and_b32 exec_lo, exec_lo, s1
	s_cbranch_execz .LBB67_23
; %bb.18:
	s_lshl_b64 s[26:27], s[24:25], 3
	v_mov_b32_e32 v1, 0
	s_add_u32 s20, s20, s26
	s_addc_u32 s21, s21, s27
	s_mul_i32 s1, s24, s16
	global_load_dwordx2 v[2:3], v1, s[20:21]
	s_lshl_b64 s[20:21], 0xff, s17
	v_lshlrev_b64 v[8:9], s17, v[0:1]
	v_not_b32_e32 v10, s21
	v_not_b32_e32 v11, s20
	s_cmp_lg_u32 s2, s1
	s_waitcnt vmcnt(0)
	v_and_b32_e32 v3, v3, v10
	v_and_b32_e32 v2, v2, v11
	v_or_b32_e32 v3, v3, v9
	v_or_b32_e32 v2, v2, v8
	ds_write_b64 v1, v[2:3] offset:2112
	s_cbranch_scc1 .LBB67_23
; %bb.19:
	s_add_u32 s14, s14, s26
	s_addc_u32 s15, s15, s27
	s_cmp_lt_i32 s17, 1
	s_mov_b32 s1, -1
	global_store_dwordx2 v1, v[2:3], s[14:15]
	s_cbranch_scc0 .LBB67_21
; %bb.20:
	v_lshrrev_b32_e32 v1, 31, v3
	v_mov_b32_e32 v9, 0
	s_add_u32 s10, s10, s26
	s_addc_u32 s11, s11, s27
	v_add_co_u32 v1, s1, v1, -1
	v_add_co_ci_u32_e64 v8, null, 0, -1, s1
	s_mov_b32 s1, 0
	v_xor_b32_e32 v2, v1, v2
	v_or_b32_e32 v8, 0x80000000, v8
	v_xor_b32_e32 v3, v8, v3
	global_store_dwordx2 v9, v[2:3], s[10:11]
.LBB67_21:
	s_andn2_b32 vcc_lo, exec_lo, s1
	s_cbranch_vccnz .LBB67_23
; %bb.22:
	v_sub_nc_u32_e32 v1, s19, v7
	v_mov_b32_e32 v2, 0
	s_add_u32 s6, s12, s6
	s_addc_u32 s7, s13, s7
	global_store_dword v2, v1, s[6:7]
.LBB67_23:
	s_or_b32 exec_lo, exec_lo, s28
	v_mov_b32_e32 v3, 0
	s_waitcnt lgkmcnt(0)
	s_waitcnt_vscnt null, 0x0
	s_barrier
	buffer_gl0_inv
	s_bitcmp0_b32 s18, 0
	ds_read_b64 v[1:2], v3 offset:2112
	s_mov_b32 s1, 0
	s_waitcnt lgkmcnt(0)
	v_lshrrev_b64 v[1:2], s17, v[1:2]
	v_and_b32_e32 v2, 0xff, v1
	v_mov_b32_e32 v1, v3
	s_cbranch_scc0 .LBB67_25
; %bb.24:
	v_and_b32_e32 v7, 0xe0, v0
	v_mov_b32_e32 v8, v3
	v_cmp_gt_u64_e64 s6, v[2:3], v[0:1]
	v_cmp_gt_u64_e64 s7, v[2:3], v[7:8]
	s_andn2_b32 vcc_lo, exec_lo, s1
	s_cbranch_vccz .LBB67_26
	s_branch .LBB67_27
.LBB67_25:
                                        ; implicit-def: $sgpr6
                                        ; implicit-def: $sgpr7
.LBB67_26:
	v_or_b32_e32 v7, 31, v0
	v_mov_b32_e32 v8, 0
	v_cmp_lt_u64_e32 vcc_lo, v[2:3], v[0:1]
	s_andn2_b32 s6, s6, exec_lo
	s_andn2_b32 s7, s7, exec_lo
	v_cmp_lt_u64_e64 s1, v[2:3], v[7:8]
	s_and_b32 s10, vcc_lo, exec_lo
	s_or_b32 s6, s6, s10
	s_and_b32 s1, s1, exec_lo
	s_or_b32 s7, s7, s1
.LBB67_27:
	v_mov_b32_e32 v1, 0
	s_and_saveexec_b32 s1, s7
	s_cbranch_execz .LBB67_31
; %bb.28:
	v_mov_b32_e32 v1, 0
	s_and_saveexec_b32 s7, s6
	s_cbranch_execz .LBB67_30
; %bb.29:
	s_lshl_b32 s10, s2, 8
	s_mov_b32 s11, 0
	v_lshlrev_b32_e32 v1, 1, v0
	s_lshl_b64 s[10:11], s[10:11], 1
	s_add_u32 s10, s22, s10
	s_addc_u32 s11, s23, s11
	global_load_sshort v1, v1, s[10:11]
.LBB67_30:
	s_or_b32 exec_lo, exec_lo, s7
	v_lshl_or_b32 v2, v5, 2, 64
	v_cmp_gt_u32_e32 vcc_lo, 24, v5
	s_waitcnt vmcnt(0)
	ds_bpermute_b32 v2, v2, v1
	v_cndmask_b32_e64 v3, 0, 8, vcc_lo
	v_cmp_gt_u32_e32 vcc_lo, 28, v5
	v_add_lshl_u32 v3, v3, v5, 2
	s_waitcnt lgkmcnt(0)
	v_add_nc_u32_e32 v1, v2, v1
	ds_bpermute_b32 v2, v3, v1
	v_cndmask_b32_e64 v3, 0, 4, vcc_lo
	v_cmp_gt_u32_e32 vcc_lo, 30, v5
	v_add_lshl_u32 v3, v3, v5, 2
	s_waitcnt lgkmcnt(0)
	v_add_nc_u32_e32 v1, v2, v1
	ds_bpermute_b32 v2, v3, v1
	v_cndmask_b32_e64 v3, 0, 2, vcc_lo
	v_cmp_ne_u32_e32 vcc_lo, 31, v5
	v_add_lshl_u32 v3, v3, v5, 2
	s_waitcnt lgkmcnt(0)
	v_add_nc_u32_e32 v1, v2, v1
	ds_bpermute_b32 v2, v3, v1
	v_add_co_ci_u32_e64 v3, null, 0, v5, vcc_lo
	s_waitcnt lgkmcnt(0)
	v_add_nc_u32_e32 v1, v2, v1
	v_lshlrev_b32_e32 v2, 2, v3
	ds_bpermute_b32 v2, v2, v1
	s_waitcnt lgkmcnt(0)
	v_add_nc_u32_e32 v1, v2, v1
.LBB67_31:
	s_or_b32 exec_lo, exec_lo, s1
	v_and_b32_e32 v2, 31, v0
	s_mov_b32 s1, exec_lo
	v_cmpx_eq_u32_e32 0, v2
; %bb.32:
	v_lshlrev_b32_e32 v2, 2, v6
	ds_write_b32 v2, v1 offset:2080
; %bb.33:
	s_or_b32 exec_lo, exec_lo, s1
	s_waitcnt lgkmcnt(0)
	s_barrier
	buffer_gl0_inv
	s_and_saveexec_b32 s1, s0
	s_cbranch_execz .LBB67_40
; %bb.34:
	v_mov_b32_e32 v1, 0
	s_mov_b32 s0, exec_lo
	v_cmpx_gt_u32_e32 8, v0
; %bb.35:
	ds_read_b32 v1, v4 offset:2080
; %bb.36:
	s_or_b32 exec_lo, exec_lo, s0
	v_cmp_gt_u32_e32 vcc_lo, 28, v5
	s_mov_b32 s0, exec_lo
	v_cndmask_b32_e64 v2, 0, 4, vcc_lo
	v_cmp_gt_u32_e32 vcc_lo, 30, v5
	v_add_lshl_u32 v2, v2, v5, 2
	v_cndmask_b32_e64 v3, 0, 2, vcc_lo
	v_cmp_ne_u32_e32 vcc_lo, 31, v5
	s_waitcnt lgkmcnt(0)
	ds_bpermute_b32 v2, v2, v1
	v_add_lshl_u32 v3, v3, v5, 2
	s_waitcnt lgkmcnt(0)
	v_add_nc_u32_e32 v1, v2, v1
	ds_bpermute_b32 v2, v3, v1
	v_add_co_ci_u32_e64 v3, null, 0, v5, vcc_lo
	s_waitcnt lgkmcnt(0)
	v_add_nc_u32_e32 v1, v2, v1
	v_lshlrev_b32_e32 v2, 2, v3
	ds_bpermute_b32 v2, v2, v1
	v_cmpx_eq_u32_e32 0, v0
	s_cbranch_execz .LBB67_38
; %bb.37:
	s_lshl_b64 s[6:7], s[2:3], 2
	v_mov_b32_e32 v3, 0
	s_add_u32 s6, s8, s6
	s_addc_u32 s7, s9, s7
	global_load_dword v4, v3, s[6:7]
	s_waitcnt vmcnt(0) lgkmcnt(0)
	v_add3_u32 v1, v2, v1, v4
	global_store_dword v3, v1, s[6:7]
.LBB67_38:
	s_or_b32 exec_lo, exec_lo, s0
	v_or_b32_e32 v0, s17, v0
	v_cmp_eq_u32_e32 vcc_lo, 0, v0
	s_and_b32 exec_lo, exec_lo, vcc_lo
	s_cbranch_execz .LBB67_40
; %bb.39:
	v_mov_b32_e32 v0, 0
	s_waitcnt lgkmcnt(0)
	v_mov_b32_e32 v2, 1
	s_lshl_b32 s0, s2, 8
	s_mov_b32 s1, 0
	s_lshl_b64 s[0:1], s[0:1], 1
	ds_read_b32 v1, v0 offset:2112
	s_add_u32 s0, s22, s0
	s_addc_u32 s1, s23, s1
	s_waitcnt lgkmcnt(0)
	v_lshlrev_b32_sdwa v1, v2, v1 dst_sel:DWORD dst_unused:UNUSED_PAD src0_sel:DWORD src1_sel:BYTE_0
	global_load_sshort v1, v1, s[0:1]
	s_lshl_b64 s[0:1], s[2:3], 2
	s_add_u32 s0, s4, s0
	s_addc_u32 s1, s5, s1
	s_waitcnt vmcnt(0)
	global_store_dword v0, v1, s[0:1]
.LBB67_40:
	s_endpgm
.LBB67_41:
	s_mov_b32 s10, s3
	s_cmp_ge_u32 s10, s16
	s_cbranch_scc0 .LBB67_6
	s_branch .LBB67_7
	.section	.rodata,"a",@progbits
	.p2align	6, 0x0
	.amdhsa_kernel _ZN2at6native6mbtopk29computeBlockwiseWithinKCountsImdEEvPT_PsPjjibS6_PT0_S6_S4_S6_j
		.amdhsa_group_segment_fixed_size 2120
		.amdhsa_private_segment_fixed_size 0
		.amdhsa_kernarg_size 344
		.amdhsa_user_sgpr_count 6
		.amdhsa_user_sgpr_private_segment_buffer 1
		.amdhsa_user_sgpr_dispatch_ptr 0
		.amdhsa_user_sgpr_queue_ptr 0
		.amdhsa_user_sgpr_kernarg_segment_ptr 1
		.amdhsa_user_sgpr_dispatch_id 0
		.amdhsa_user_sgpr_flat_scratch_init 0
		.amdhsa_user_sgpr_private_segment_size 0
		.amdhsa_wavefront_size32 1
		.amdhsa_uses_dynamic_stack 0
		.amdhsa_system_sgpr_private_segment_wavefront_offset 0
		.amdhsa_system_sgpr_workgroup_id_x 1
		.amdhsa_system_sgpr_workgroup_id_y 1
		.amdhsa_system_sgpr_workgroup_id_z 1
		.amdhsa_system_sgpr_workgroup_info 0
		.amdhsa_system_vgpr_workitem_id 0
		.amdhsa_next_free_vgpr 16
		.amdhsa_next_free_sgpr 29
		.amdhsa_reserve_vcc 1
		.amdhsa_reserve_flat_scratch 0
		.amdhsa_float_round_mode_32 0
		.amdhsa_float_round_mode_16_64 0
		.amdhsa_float_denorm_mode_32 3
		.amdhsa_float_denorm_mode_16_64 3
		.amdhsa_dx10_clamp 1
		.amdhsa_ieee_mode 1
		.amdhsa_fp16_overflow 0
		.amdhsa_workgroup_processor_mode 1
		.amdhsa_memory_ordered 1
		.amdhsa_forward_progress 1
		.amdhsa_shared_vgpr_count 0
		.amdhsa_exception_fp_ieee_invalid_op 0
		.amdhsa_exception_fp_denorm_src 0
		.amdhsa_exception_fp_ieee_div_zero 0
		.amdhsa_exception_fp_ieee_overflow 0
		.amdhsa_exception_fp_ieee_underflow 0
		.amdhsa_exception_fp_ieee_inexact 0
		.amdhsa_exception_int_div_zero 0
	.end_amdhsa_kernel
	.section	.text._ZN2at6native6mbtopk29computeBlockwiseWithinKCountsImdEEvPT_PsPjjibS6_PT0_S6_S4_S6_j,"axG",@progbits,_ZN2at6native6mbtopk29computeBlockwiseWithinKCountsImdEEvPT_PsPjjibS6_PT0_S6_S4_S6_j,comdat
.Lfunc_end67:
	.size	_ZN2at6native6mbtopk29computeBlockwiseWithinKCountsImdEEvPT_PsPjjibS6_PT0_S6_S4_S6_j, .Lfunc_end67-_ZN2at6native6mbtopk29computeBlockwiseWithinKCountsImdEEvPT_PsPjjibS6_PT0_S6_S4_S6_j
                                        ; -- End function
	.set _ZN2at6native6mbtopk29computeBlockwiseWithinKCountsImdEEvPT_PsPjjibS6_PT0_S6_S4_S6_j.num_vgpr, 16
	.set _ZN2at6native6mbtopk29computeBlockwiseWithinKCountsImdEEvPT_PsPjjibS6_PT0_S6_S4_S6_j.num_agpr, 0
	.set _ZN2at6native6mbtopk29computeBlockwiseWithinKCountsImdEEvPT_PsPjjibS6_PT0_S6_S4_S6_j.numbered_sgpr, 29
	.set _ZN2at6native6mbtopk29computeBlockwiseWithinKCountsImdEEvPT_PsPjjibS6_PT0_S6_S4_S6_j.num_named_barrier, 0
	.set _ZN2at6native6mbtopk29computeBlockwiseWithinKCountsImdEEvPT_PsPjjibS6_PT0_S6_S4_S6_j.private_seg_size, 0
	.set _ZN2at6native6mbtopk29computeBlockwiseWithinKCountsImdEEvPT_PsPjjibS6_PT0_S6_S4_S6_j.uses_vcc, 1
	.set _ZN2at6native6mbtopk29computeBlockwiseWithinKCountsImdEEvPT_PsPjjibS6_PT0_S6_S4_S6_j.uses_flat_scratch, 0
	.set _ZN2at6native6mbtopk29computeBlockwiseWithinKCountsImdEEvPT_PsPjjibS6_PT0_S6_S4_S6_j.has_dyn_sized_stack, 0
	.set _ZN2at6native6mbtopk29computeBlockwiseWithinKCountsImdEEvPT_PsPjjibS6_PT0_S6_S4_S6_j.has_recursion, 0
	.set _ZN2at6native6mbtopk29computeBlockwiseWithinKCountsImdEEvPT_PsPjjibS6_PT0_S6_S4_S6_j.has_indirect_call, 0
	.section	.AMDGPU.csdata,"",@progbits
; Kernel info:
; codeLenInByte = 2116
; TotalNumSgprs: 31
; NumVgprs: 16
; ScratchSize: 0
; MemoryBound: 0
; FloatMode: 240
; IeeeMode: 1
; LDSByteSize: 2120 bytes/workgroup (compile time only)
; SGPRBlocks: 0
; VGPRBlocks: 1
; NumSGPRsForWavesPerEU: 31
; NumVGPRsForWavesPerEU: 16
; Occupancy: 16
; WaveLimiterHint : 1
; COMPUTE_PGM_RSRC2:SCRATCH_EN: 0
; COMPUTE_PGM_RSRC2:USER_SGPR: 6
; COMPUTE_PGM_RSRC2:TRAP_HANDLER: 0
; COMPUTE_PGM_RSRC2:TGID_X_EN: 1
; COMPUTE_PGM_RSRC2:TGID_Y_EN: 1
; COMPUTE_PGM_RSRC2:TGID_Z_EN: 1
; COMPUTE_PGM_RSRC2:TIDIG_COMP_CNT: 0
	.section	.text._ZN2at6native6mbtopk10gatherTopKIdjLi1EEEvNS_4cuda6detail10TensorInfoIKT_T0_EES8_S8_bjS8_NS5_IS6_S8_EES8_NS5_IlS8_EES8_jjPS6_PjSD_j,"axG",@progbits,_ZN2at6native6mbtopk10gatherTopKIdjLi1EEEvNS_4cuda6detail10TensorInfoIKT_T0_EES8_S8_bjS8_NS5_IS6_S8_EES8_NS5_IlS8_EES8_jjPS6_PjSD_j,comdat
	.protected	_ZN2at6native6mbtopk10gatherTopKIdjLi1EEEvNS_4cuda6detail10TensorInfoIKT_T0_EES8_S8_bjS8_NS5_IS6_S8_EES8_NS5_IlS8_EES8_jjPS6_PjSD_j ; -- Begin function _ZN2at6native6mbtopk10gatherTopKIdjLi1EEEvNS_4cuda6detail10TensorInfoIKT_T0_EES8_S8_bjS8_NS5_IS6_S8_EES8_NS5_IlS8_EES8_jjPS6_PjSD_j
	.globl	_ZN2at6native6mbtopk10gatherTopKIdjLi1EEEvNS_4cuda6detail10TensorInfoIKT_T0_EES8_S8_bjS8_NS5_IS6_S8_EES8_NS5_IlS8_EES8_jjPS6_PjSD_j
	.p2align	8
	.type	_ZN2at6native6mbtopk10gatherTopKIdjLi1EEEvNS_4cuda6detail10TensorInfoIKT_T0_EES8_S8_bjS8_NS5_IS6_S8_EES8_NS5_IlS8_EES8_jjPS6_PjSD_j,@function
_ZN2at6native6mbtopk10gatherTopKIdjLi1EEEvNS_4cuda6detail10TensorInfoIKT_T0_EES8_S8_bjS8_NS5_IS6_S8_EES8_NS5_IlS8_EES8_jjPS6_PjSD_j: ; @_ZN2at6native6mbtopk10gatherTopKIdjLi1EEEvNS_4cuda6detail10TensorInfoIKT_T0_EES8_S8_bjS8_NS5_IS6_S8_EES8_NS5_IlS8_EES8_jjPS6_PjSD_j
; %bb.0:
	s_clause 0x1
	s_load_dwordx2 s[0:1], s[4:5], 0x2d8
	s_load_dword s2, s[4:5], 0x2d0
	s_waitcnt lgkmcnt(0)
	s_mul_i32 s1, s1, s8
	s_add_i32 s1, s1, s7
	s_mul_i32 s0, s1, s0
	s_add_i32 s0, s0, s6
	s_cmp_ge_u32 s0, s2
	s_cbranch_scc1 .LBB68_40
; %bb.1:
	s_load_dwordx8 s[8:15], s[4:5], 0x2a8
	s_waitcnt lgkmcnt(0)
	v_cvt_f32_u32_e32 v1, s10
	s_sub_i32 s2, 0, s10
	v_rcp_iflag_f32_e32 v1, v1
	v_mul_f32_e32 v1, 0x4f7ffffe, v1
	v_cvt_u32_f32_e32 v1, v1
	v_readfirstlane_b32 s1, v1
	s_mul_i32 s2, s2, s1
	s_mul_hi_u32 s2, s1, s2
	s_add_i32 s1, s1, s2
	s_mul_hi_u32 s1, s0, s1
	s_mul_i32 s2, s1, s10
	s_add_i32 s3, s1, 1
	s_sub_i32 s2, s0, s2
	s_sub_i32 s6, s2, s10
	s_cmp_ge_u32 s2, s10
	s_cselect_b32 s1, s3, s1
	s_cselect_b32 s2, s6, s2
	s_add_i32 s3, s1, 1
	s_cmp_ge_u32 s2, s10
	s_cselect_b32 s2, s3, s1
	s_mov_b32 s3, 0
	s_mul_i32 s16, s2, s10
	s_lshl_b64 s[6:7], s[2:3], 3
	s_sub_i32 s11, s0, s16
	s_add_u32 s0, s12, s6
	s_addc_u32 s1, s13, s7
	s_clause 0x2
	s_load_dwordx2 s[20:21], s[4:5], 0x1d0
	s_load_dwordx2 s[22:23], s[4:5], 0xf0
	;; [unrolled: 1-line block ×4, first 2 shown]
	v_cmp_ne_u32_e64 s0, 0, v0
	v_cmp_eq_u32_e64 s1, 0, v0
	s_and_saveexec_b32 s30, s1
	s_cbranch_execz .LBB68_17
; %bb.2:
	s_load_dwordx2 s[12:13], s[4:5], 0x2c8
	s_mov_b32 s17, s3
	s_lshl_b64 s[26:27], s[16:17], 2
	s_add_u32 s16, s14, s26
	s_addc_u32 s17, s15, s27
	s_waitcnt lgkmcnt(0)
	s_add_u32 s18, s12, s26
	s_addc_u32 s19, s13, s27
	s_cmp_lt_u32 s10, 4
	s_cbranch_scc1 .LBB68_14
; %bb.3:
	s_mov_b32 s31, s3
	s_mov_b32 s33, s3
	;; [unrolled: 1-line block ×3, first 2 shown]
.LBB68_4:                               ; =>This Inner Loop Header: Depth=1
	s_add_u32 s16, s14, s26
	s_addc_u32 s17, s15, s27
	s_add_u32 s28, s12, s26
	s_load_dwordx4 s[16:19], s[16:17], 0x0
	s_addc_u32 s29, s13, s27
	s_cmp_ge_u32 s34, s11
	s_cbranch_scc0 .LBB68_11
; %bb.5:                                ;   in Loop: Header=BB68_4 Depth=1
	s_add_i32 s35, s34, 1
	s_cmp_ge_u32 s35, s11
	s_cbranch_scc0 .LBB68_12
.LBB68_6:                               ;   in Loop: Header=BB68_4 Depth=1
	s_add_i32 s35, s35, 1
	s_cmp_ge_u32 s35, s11
	s_cbranch_scc0 .LBB68_13
.LBB68_7:                               ;   in Loop: Header=BB68_4 Depth=1
	s_add_i32 s35, s35, 1
	s_cmp_ge_u32 s35, s11
	s_cbranch_scc1 .LBB68_9
.LBB68_8:                               ;   in Loop: Header=BB68_4 Depth=1
	s_load_dword s28, s[28:29], 0xc
	s_waitcnt lgkmcnt(0)
	s_add_i32 s3, s3, s19
	s_add_i32 s31, s28, s31
.LBB68_9:                               ;   in Loop: Header=BB68_4 Depth=1
	s_waitcnt lgkmcnt(0)
	s_add_i32 s16, s16, s33
	s_add_i32 s16, s16, s17
	;; [unrolled: 1-line block ×4, first 2 shown]
	s_add_u32 s14, s14, 16
	s_addc_u32 s15, s15, 0
	s_add_u32 s12, s12, 16
	s_addc_u32 s13, s13, 0
	s_add_i32 s29, s35, 4
	s_add_u32 s18, s12, s26
	s_addc_u32 s19, s13, s27
	s_add_u32 s16, s14, s26
	s_addc_u32 s17, s15, s27
	s_add_i32 s28, s35, 1
	s_cmp_ge_u32 s29, s10
	s_cbranch_scc1 .LBB68_15
; %bb.10:                               ;   in Loop: Header=BB68_4 Depth=1
	s_mov_b32 s34, s28
	s_branch .LBB68_4
.LBB68_11:                              ;   in Loop: Header=BB68_4 Depth=1
	s_load_dword s35, s[28:29], 0x0
	s_waitcnt lgkmcnt(0)
	s_add_i32 s3, s16, s3
	s_add_i32 s31, s35, s31
	;; [unrolled: 1-line block ×3, first 2 shown]
	s_cmp_ge_u32 s35, s11
	s_cbranch_scc1 .LBB68_6
.LBB68_12:                              ;   in Loop: Header=BB68_4 Depth=1
	s_load_dword s36, s[28:29], 0x4
	s_waitcnt lgkmcnt(0)
	s_add_i32 s3, s3, s17
	s_add_i32 s31, s36, s31
	;; [unrolled: 1-line block ×3, first 2 shown]
	s_cmp_ge_u32 s35, s11
	s_cbranch_scc1 .LBB68_7
.LBB68_13:                              ;   in Loop: Header=BB68_4 Depth=1
	s_load_dword s36, s[28:29], 0x8
	s_waitcnt lgkmcnt(0)
	s_add_i32 s3, s3, s18
	s_add_i32 s31, s36, s31
	s_add_i32 s35, s35, 1
	s_cmp_ge_u32 s35, s11
	s_cbranch_scc0 .LBB68_8
	s_branch .LBB68_9
.LBB68_14:
	s_mov_b32 s31, 0
	s_mov_b32 s33, 0
	s_mov_b32 s12, 0
	s_cmp_ge_u32 s12, s10
	s_cbranch_scc0 .LBB68_38
	s_branch .LBB68_16
.LBB68_15:
	s_add_i32 s12, s34, 4
	s_cmp_ge_u32 s12, s10
	s_cbranch_scc0 .LBB68_38
.LBB68_16:
	v_mov_b32_e32 v1, s31
	v_mov_b32_e32 v2, s33
	;; [unrolled: 1-line block ×4, first 2 shown]
	ds_write_b96 v4, v[1:3] offset:1056
.LBB68_17:
	s_or_b32 exec_lo, exec_lo, s30
	s_clause 0x3
	s_load_dword s16, s[4:5], 0x23c
	s_load_dword s17, s[4:5], 0x15c
	;; [unrolled: 1-line block ×3, first 2 shown]
	s_load_dwordx4 s[12:15], s[4:5], 0xd8
	s_mul_i32 s3, s9, s11
	s_add_i32 s11, s11, 1
	s_lshl_b32 s3, s3, 8
	s_waitcnt lgkmcnt(0)
	s_barrier
	buffer_gl0_inv
	s_sub_i32 s15, s12, s3
	s_add_u32 s26, s15, 0xff
	s_addc_u32 s27, 0, 0
	s_lshr_b64 s[26:27], s[26:27], 8
	s_cmp_lt_u32 s11, s10
	s_mov_b32 s11, 0
	s_cselect_b32 s9, s9, s26
	s_cmp_eq_u32 s9, 0
	s_cbranch_scc1 .LBB68_40
; %bb.18:
	s_mul_i32 s10, s2, s18
	v_mov_b32_e32 v5, 0
	s_lshl_b64 s[18:19], s[10:11], 3
	s_mul_i32 s26, s2, s17
	s_mov_b32 s27, s11
	s_add_u32 s10, s24, s18
	s_addc_u32 s15, s25, s19
	s_lshl_b64 s[18:19], s[26:27], 3
	s_mul_i32 s24, s2, s16
	ds_read_b96 v[1:3], v5 offset:1056
	s_mov_b32 s25, s11
	s_add_u32 s16, s22, s18
	v_cmp_o_f64_e64 s28, s[6:7], s[6:7]
	s_addc_u32 s11, s23, s19
	s_lshl_b64 s[18:19], s[24:25], 3
	v_lshrrev_b32_e32 v4, 3, v0
	s_add_u32 s17, s20, s18
	s_addc_u32 s18, s21, s19
	s_load_dword s19, s[4:5], 0xe8
	v_add_nc_u32_e32 v6, -1, v0
	s_load_dword s4, s[4:5], 0x1c8
	v_and_b32_e32 v4, 28, v4
	s_ashr_i32 s20, s7, 31
	v_mbcnt_lo_u32_b32 v10, -1, 0
	v_lshrrev_b32_e32 v7, 3, v6
	s_or_b32 s21, s20, 0x80000000
	v_lshl_add_u32 v9, v0, 2, v4
	s_xor_b64 s[6:7], s[20:21], s[6:7]
	v_and_b32_e32 v12, 15, v10
	s_waitcnt lgkmcnt(0)
	v_add_nc_u32_e32 v8, v1, v2
	v_and_b32_e32 v4, 0x1ffffffc, v7
	v_add_nc_u32_e32 v1, s3, v0
	v_and_b32_e32 v2, 0xfc, v0
	v_lshlrev_b32_e32 v7, 5, v0
	s_and_b32 s2, s28, exec_lo
	v_cmp_gt_u32_e64 s2, 32, v0
	v_lshl_add_u32 v0, v6, 2, v4
	v_bfe_i32 v13, v10, 4, 1
	v_mul_lo_u32 v4, s19, v1
	v_add_nc_u32_e32 v11, v2, v7
	v_add_nc_u32_e32 v14, -1, v10
	s_cselect_b32 s7, s7, -1
	s_cselect_b32 s6, s6, -1
	s_bitcmp1_b32 s14, 0
                                        ; implicit-def: $vgpr6_vgpr7
	s_cselect_b32 s3, -1, 0
	s_lshl_b32 s5, s19, 8
	s_branch .LBB68_21
.LBB68_19:                              ;   in Loop: Header=BB68_21 Depth=1
	s_or_b32 exec_lo, exec_lo, s14
	v_add_nc_u32_e32 v8, v17, v8
.LBB68_20:                              ;   in Loop: Header=BB68_21 Depth=1
	v_add_nc_u32_e32 v3, v16, v3
	v_add_nc_u32_e32 v4, s5, v4
	;; [unrolled: 1-line block ×3, first 2 shown]
	s_add_i32 s9, s9, -1
	s_cmp_lg_u32 s9, 0
	s_cbranch_scc0 .LBB68_40
.LBB68_21:                              ; =>This Inner Loop Header: Depth=1
	v_mov_b32_e32 v2, 0
	v_mov_b32_e32 v15, 0
	s_mov_b32 s14, exec_lo
	v_cmpx_gt_u32_e64 s12, v1
	s_cbranch_execz .LBB68_23
; %bb.22:                               ;   in Loop: Header=BB68_21 Depth=1
	v_lshlrev_b64 v[6:7], 3, v[4:5]
	v_add_co_u32 v6, vcc_lo, s10, v6
	v_add_co_ci_u32_e64 v7, null, s15, v7, vcc_lo
	global_load_dwordx2 v[6:7], v[6:7], off
	s_waitcnt vmcnt(0)
	v_cmp_o_f64_e32 vcc_lo, v[6:7], v[6:7]
	v_ashrrev_i32_e32 v2, 31, v7
	v_or_b32_e32 v15, 0x80000000, v2
	v_xor_b32_e32 v2, v2, v6
	v_xor_b32_e32 v15, v15, v7
	v_cndmask_b32_e32 v16, -1, v15, vcc_lo
	v_cndmask_b32_e32 v15, -1, v2, vcc_lo
	v_cmp_lt_u64_e32 vcc_lo, s[6:7], v[15:16]
	v_cndmask_b32_e64 v2, 0, 1, vcc_lo
	v_cmp_gt_u64_e32 vcc_lo, s[6:7], v[15:16]
	v_cndmask_b32_e64 v17, 0, 1, vcc_lo
	v_cmp_eq_u64_e32 vcc_lo, s[6:7], v[15:16]
	v_cndmask_b32_e64 v2, v17, v2, s3
	v_cndmask_b32_e64 v15, 0, 1, vcc_lo
	v_and_b32_e32 v2, 1, v2
.LBB68_23:                              ;   in Loop: Header=BB68_21 Depth=1
	s_or_b32 exec_lo, exec_lo, s14
	ds_write_b32 v9, v2
	s_waitcnt lgkmcnt(0)
	s_barrier
	buffer_gl0_inv
	s_and_saveexec_b32 s14, s2
	s_cbranch_execz .LBB68_25
; %bb.24:                               ;   in Loop: Header=BB68_21 Depth=1
	ds_read2_b32 v[16:17], v11 offset1:1
	ds_read2_b32 v[18:19], v11 offset0:2 offset1:3
	ds_read2_b32 v[20:21], v11 offset0:4 offset1:5
	;; [unrolled: 1-line block ×3, first 2 shown]
	v_cmp_ne_u32_e32 vcc_lo, 0, v12
	; wave barrier
	s_waitcnt lgkmcnt(3)
	v_add_nc_u32_e32 v17, v17, v16
	s_waitcnt lgkmcnt(2)
	v_add3_u32 v17, v17, v18, v19
	s_waitcnt lgkmcnt(1)
	v_add3_u32 v17, v17, v20, v21
	;; [unrolled: 2-line block ×3, first 2 shown]
	v_mov_b32_dpp v18, v17 row_shr:1 row_mask:0xf bank_mask:0xf
	v_cndmask_b32_e32 v18, 0, v18, vcc_lo
	v_cmp_lt_u32_e32 vcc_lo, 1, v12
	v_add_nc_u32_e32 v17, v18, v17
	v_mov_b32_dpp v18, v17 row_shr:2 row_mask:0xf bank_mask:0xf
	v_cndmask_b32_e32 v18, 0, v18, vcc_lo
	v_cmp_lt_u32_e32 vcc_lo, 3, v12
	v_add_nc_u32_e32 v17, v17, v18
	;; [unrolled: 4-line block ×3, first 2 shown]
	v_mov_b32_dpp v18, v17 row_shr:8 row_mask:0xf bank_mask:0xf
	v_cndmask_b32_e32 v18, 0, v18, vcc_lo
	v_cmp_gt_i32_e32 vcc_lo, 0, v14
	v_add_nc_u32_e32 v17, v17, v18
	v_cndmask_b32_e32 v19, v14, v10, vcc_lo
	ds_swizzle_b32 v18, v17 offset:swizzle(BROADCAST,32,15)
	v_lshlrev_b32_e32 v19, 2, v19
	s_waitcnt lgkmcnt(0)
	v_and_b32_e32 v18, v13, v18
	v_add_nc_u32_e32 v17, v17, v18
	ds_bpermute_b32 v17, v19, v17
	s_waitcnt lgkmcnt(0)
	v_add_nc_u32_e32 v16, v17, v16
	v_cndmask_b32_e64 v22, v16, v2, s1
	ds_write_b32 v11, v22
	; wave barrier
	ds_read2_b32 v[16:17], v11 offset0:1 offset1:2
	ds_read2_b32 v[18:19], v11 offset0:3 offset1:4
	;; [unrolled: 1-line block ×3, first 2 shown]
	ds_read_b32 v23, v11 offset:28
	s_waitcnt lgkmcnt(3)
	v_add_nc_u32_e32 v16, v16, v22
	v_add_nc_u32_e32 v17, v17, v16
	s_waitcnt lgkmcnt(2)
	v_add_nc_u32_e32 v18, v18, v17
	v_add_nc_u32_e32 v19, v19, v18
	;; [unrolled: 3-line block ×3, first 2 shown]
	s_waitcnt lgkmcnt(0)
	v_add_nc_u32_e32 v22, v23, v21
	ds_write2_b32 v11, v16, v17 offset0:1 offset1:2
	ds_write2_b32 v11, v18, v19 offset0:3 offset1:4
	;; [unrolled: 1-line block ×3, first 2 shown]
	ds_write_b32 v11, v22 offset:28
.LBB68_25:                              ;   in Loop: Header=BB68_21 Depth=1
	s_or_b32 exec_lo, exec_lo, s14
	v_mov_b32_e32 v17, 0
	s_waitcnt lgkmcnt(0)
	s_barrier
	buffer_gl0_inv
	s_and_saveexec_b32 s14, s0
; %bb.26:                               ;   in Loop: Header=BB68_21 Depth=1
	ds_read_b32 v17, v0
; %bb.27:                               ;   in Loop: Header=BB68_21 Depth=1
	s_or_b32 exec_lo, exec_lo, s14
	ds_read_b32 v16, v5 offset:1048
	s_mov_b32 s14, exec_lo
	s_waitcnt lgkmcnt(0)
	s_barrier
	buffer_gl0_inv
	v_cmpx_ne_u32_e32 0, v2
	s_cbranch_execz .LBB68_29
; %bb.28:                               ;   in Loop: Header=BB68_21 Depth=1
	v_add_nc_u32_e32 v2, v17, v3
	v_mov_b32_e32 v18, v5
	v_mov_b32_e32 v20, v5
	v_mul_lo_u32 v17, v2, s4
	v_mul_lo_u32 v19, v2, s8
	v_mov_b32_e32 v2, v5
	v_lshlrev_b64 v[17:18], 3, v[17:18]
	v_lshlrev_b64 v[19:20], 3, v[19:20]
	v_add_co_u32 v17, vcc_lo, s16, v17
	v_add_co_ci_u32_e64 v18, null, s11, v18, vcc_lo
	v_add_co_u32 v19, vcc_lo, s17, v19
	v_add_co_ci_u32_e64 v20, null, s18, v20, vcc_lo
	global_store_dwordx2 v[17:18], v[6:7], off
	global_store_dwordx2 v[19:20], v[1:2], off
.LBB68_29:                              ;   in Loop: Header=BB68_21 Depth=1
	s_or_b32 exec_lo, exec_lo, s14
	v_cmp_le_u32_e32 vcc_lo, s13, v8
	s_cbranch_vccnz .LBB68_20
; %bb.30:                               ;   in Loop: Header=BB68_21 Depth=1
	ds_write_b32 v9, v15
	s_waitcnt lgkmcnt(0)
	s_waitcnt_vscnt null, 0x0
	s_barrier
	buffer_gl0_inv
	s_and_saveexec_b32 s14, s2
	s_cbranch_execz .LBB68_32
; %bb.31:                               ;   in Loop: Header=BB68_21 Depth=1
	ds_read2_b32 v[17:18], v11 offset1:1
	ds_read2_b32 v[19:20], v11 offset0:2 offset1:3
	ds_read2_b32 v[21:22], v11 offset0:4 offset1:5
	;; [unrolled: 1-line block ×3, first 2 shown]
	v_cmp_ne_u32_e32 vcc_lo, 0, v12
	; wave barrier
	s_waitcnt lgkmcnt(3)
	v_add_nc_u32_e32 v2, v18, v17
	s_waitcnt lgkmcnt(2)
	v_add3_u32 v2, v2, v19, v20
	s_waitcnt lgkmcnt(1)
	v_add3_u32 v2, v2, v21, v22
	;; [unrolled: 2-line block ×3, first 2 shown]
	v_mov_b32_dpp v18, v2 row_shr:1 row_mask:0xf bank_mask:0xf
	v_cndmask_b32_e32 v18, 0, v18, vcc_lo
	v_cmp_lt_u32_e32 vcc_lo, 1, v12
	v_add_nc_u32_e32 v2, v18, v2
	v_mov_b32_dpp v18, v2 row_shr:2 row_mask:0xf bank_mask:0xf
	v_cndmask_b32_e32 v18, 0, v18, vcc_lo
	v_cmp_lt_u32_e32 vcc_lo, 3, v12
	v_add_nc_u32_e32 v2, v2, v18
	;; [unrolled: 4-line block ×3, first 2 shown]
	v_mov_b32_dpp v18, v2 row_shr:8 row_mask:0xf bank_mask:0xf
	v_cndmask_b32_e32 v18, 0, v18, vcc_lo
	v_cmp_gt_i32_e32 vcc_lo, 0, v14
	v_add_nc_u32_e32 v2, v2, v18
	v_cndmask_b32_e32 v19, v14, v10, vcc_lo
	ds_swizzle_b32 v18, v2 offset:swizzle(BROADCAST,32,15)
	v_lshlrev_b32_e32 v19, 2, v19
	s_waitcnt lgkmcnt(0)
	v_and_b32_e32 v18, v13, v18
	v_add_nc_u32_e32 v2, v2, v18
	ds_bpermute_b32 v2, v19, v2
	s_waitcnt lgkmcnt(0)
	v_add_nc_u32_e32 v2, v2, v17
	v_cndmask_b32_e64 v2, v2, v15, s1
	ds_write_b32 v11, v2
	; wave barrier
	ds_read2_b32 v[17:18], v11 offset0:1 offset1:2
	ds_read2_b32 v[19:20], v11 offset0:3 offset1:4
	;; [unrolled: 1-line block ×3, first 2 shown]
	ds_read_b32 v23, v11 offset:28
	s_waitcnt lgkmcnt(3)
	v_add_nc_u32_e32 v2, v17, v2
	v_add_nc_u32_e32 v17, v18, v2
	s_waitcnt lgkmcnt(2)
	v_add_nc_u32_e32 v18, v19, v17
	v_add_nc_u32_e32 v19, v20, v18
	;; [unrolled: 3-line block ×3, first 2 shown]
	s_waitcnt lgkmcnt(0)
	v_add_nc_u32_e32 v22, v23, v21
	ds_write2_b32 v11, v2, v17 offset0:1 offset1:2
	ds_write2_b32 v11, v18, v19 offset0:3 offset1:4
	;; [unrolled: 1-line block ×3, first 2 shown]
	ds_write_b32 v11, v22 offset:28
.LBB68_32:                              ;   in Loop: Header=BB68_21 Depth=1
	s_or_b32 exec_lo, exec_lo, s14
	v_mov_b32_e32 v2, 0
	s_waitcnt lgkmcnt(0)
	s_barrier
	buffer_gl0_inv
	s_and_saveexec_b32 s14, s0
; %bb.33:                               ;   in Loop: Header=BB68_21 Depth=1
	ds_read_b32 v2, v0
; %bb.34:                               ;   in Loop: Header=BB68_21 Depth=1
	s_or_b32 exec_lo, exec_lo, s14
	ds_read_b32 v17, v5 offset:1048
	s_mov_b32 s14, exec_lo
	s_waitcnt lgkmcnt(0)
	s_barrier
	buffer_gl0_inv
	v_cmpx_ne_u32_e32 0, v15
	s_cbranch_execz .LBB68_19
; %bb.35:                               ;   in Loop: Header=BB68_21 Depth=1
	v_add_nc_u32_e32 v2, v2, v8
	v_cmp_gt_u32_e32 vcc_lo, s13, v2
	s_and_b32 exec_lo, exec_lo, vcc_lo
	s_cbranch_execz .LBB68_19
; %bb.36:                               ;   in Loop: Header=BB68_21 Depth=1
	v_mul_lo_u32 v18, v2, s4
	v_mul_lo_u32 v20, v2, s8
	v_mov_b32_e32 v19, v5
	v_mov_b32_e32 v21, v5
	;; [unrolled: 1-line block ×3, first 2 shown]
	v_lshlrev_b64 v[18:19], 3, v[18:19]
	v_lshlrev_b64 v[20:21], 3, v[20:21]
	v_add_co_u32 v18, vcc_lo, s16, v18
	v_add_co_ci_u32_e64 v19, null, s11, v19, vcc_lo
	v_add_co_u32 v20, vcc_lo, s17, v20
	v_add_co_ci_u32_e64 v21, null, s18, v21, vcc_lo
	global_store_dwordx2 v[18:19], v[6:7], off
	global_store_dwordx2 v[20:21], v[1:2], off
	s_branch .LBB68_19
	.p2align	6
.LBB68_37:                              ;   in Loop: Header=BB68_38 Depth=1
	s_add_u32 s16, s16, 4
	s_addc_u32 s17, s17, 0
	s_waitcnt lgkmcnt(0)
	s_add_i32 s33, s13, s33
	s_add_u32 s18, s18, 4
	s_addc_u32 s19, s19, 0
	s_add_i32 s12, s12, 1
	s_cmp_lt_u32 s12, s10
	s_cbranch_scc0 .LBB68_16
.LBB68_38:                              ; =>This Inner Loop Header: Depth=1
	s_load_dword s13, s[16:17], 0x0
	s_cmp_ge_u32 s12, s11
	s_cbranch_scc1 .LBB68_37
; %bb.39:                               ;   in Loop: Header=BB68_38 Depth=1
	s_load_dword s14, s[18:19], 0x0
	s_waitcnt lgkmcnt(0)
	s_add_i32 s3, s13, s3
	s_add_i32 s31, s14, s31
	s_branch .LBB68_37
.LBB68_40:
	s_endpgm
	.section	.rodata,"a",@progbits
	.p2align	6, 0x0
	.amdhsa_kernel _ZN2at6native6mbtopk10gatherTopKIdjLi1EEEvNS_4cuda6detail10TensorInfoIKT_T0_EES8_S8_bjS8_NS5_IS6_S8_EES8_NS5_IlS8_EES8_jjPS6_PjSD_j
		.amdhsa_group_segment_fixed_size 1068
		.amdhsa_private_segment_fixed_size 0
		.amdhsa_kernarg_size 984
		.amdhsa_user_sgpr_count 6
		.amdhsa_user_sgpr_private_segment_buffer 1
		.amdhsa_user_sgpr_dispatch_ptr 0
		.amdhsa_user_sgpr_queue_ptr 0
		.amdhsa_user_sgpr_kernarg_segment_ptr 1
		.amdhsa_user_sgpr_dispatch_id 0
		.amdhsa_user_sgpr_flat_scratch_init 0
		.amdhsa_user_sgpr_private_segment_size 0
		.amdhsa_wavefront_size32 1
		.amdhsa_uses_dynamic_stack 0
		.amdhsa_system_sgpr_private_segment_wavefront_offset 0
		.amdhsa_system_sgpr_workgroup_id_x 1
		.amdhsa_system_sgpr_workgroup_id_y 1
		.amdhsa_system_sgpr_workgroup_id_z 1
		.amdhsa_system_sgpr_workgroup_info 0
		.amdhsa_system_vgpr_workitem_id 0
		.amdhsa_next_free_vgpr 25
		.amdhsa_next_free_sgpr 37
		.amdhsa_reserve_vcc 1
		.amdhsa_reserve_flat_scratch 0
		.amdhsa_float_round_mode_32 0
		.amdhsa_float_round_mode_16_64 0
		.amdhsa_float_denorm_mode_32 3
		.amdhsa_float_denorm_mode_16_64 3
		.amdhsa_dx10_clamp 1
		.amdhsa_ieee_mode 1
		.amdhsa_fp16_overflow 0
		.amdhsa_workgroup_processor_mode 1
		.amdhsa_memory_ordered 1
		.amdhsa_forward_progress 1
		.amdhsa_shared_vgpr_count 0
		.amdhsa_exception_fp_ieee_invalid_op 0
		.amdhsa_exception_fp_denorm_src 0
		.amdhsa_exception_fp_ieee_div_zero 0
		.amdhsa_exception_fp_ieee_overflow 0
		.amdhsa_exception_fp_ieee_underflow 0
		.amdhsa_exception_fp_ieee_inexact 0
		.amdhsa_exception_int_div_zero 0
	.end_amdhsa_kernel
	.section	.text._ZN2at6native6mbtopk10gatherTopKIdjLi1EEEvNS_4cuda6detail10TensorInfoIKT_T0_EES8_S8_bjS8_NS5_IS6_S8_EES8_NS5_IlS8_EES8_jjPS6_PjSD_j,"axG",@progbits,_ZN2at6native6mbtopk10gatherTopKIdjLi1EEEvNS_4cuda6detail10TensorInfoIKT_T0_EES8_S8_bjS8_NS5_IS6_S8_EES8_NS5_IlS8_EES8_jjPS6_PjSD_j,comdat
.Lfunc_end68:
	.size	_ZN2at6native6mbtopk10gatherTopKIdjLi1EEEvNS_4cuda6detail10TensorInfoIKT_T0_EES8_S8_bjS8_NS5_IS6_S8_EES8_NS5_IlS8_EES8_jjPS6_PjSD_j, .Lfunc_end68-_ZN2at6native6mbtopk10gatherTopKIdjLi1EEEvNS_4cuda6detail10TensorInfoIKT_T0_EES8_S8_bjS8_NS5_IS6_S8_EES8_NS5_IlS8_EES8_jjPS6_PjSD_j
                                        ; -- End function
	.set _ZN2at6native6mbtopk10gatherTopKIdjLi1EEEvNS_4cuda6detail10TensorInfoIKT_T0_EES8_S8_bjS8_NS5_IS6_S8_EES8_NS5_IlS8_EES8_jjPS6_PjSD_j.num_vgpr, 25
	.set _ZN2at6native6mbtopk10gatherTopKIdjLi1EEEvNS_4cuda6detail10TensorInfoIKT_T0_EES8_S8_bjS8_NS5_IS6_S8_EES8_NS5_IlS8_EES8_jjPS6_PjSD_j.num_agpr, 0
	.set _ZN2at6native6mbtopk10gatherTopKIdjLi1EEEvNS_4cuda6detail10TensorInfoIKT_T0_EES8_S8_bjS8_NS5_IS6_S8_EES8_NS5_IlS8_EES8_jjPS6_PjSD_j.numbered_sgpr, 37
	.set _ZN2at6native6mbtopk10gatherTopKIdjLi1EEEvNS_4cuda6detail10TensorInfoIKT_T0_EES8_S8_bjS8_NS5_IS6_S8_EES8_NS5_IlS8_EES8_jjPS6_PjSD_j.num_named_barrier, 0
	.set _ZN2at6native6mbtopk10gatherTopKIdjLi1EEEvNS_4cuda6detail10TensorInfoIKT_T0_EES8_S8_bjS8_NS5_IS6_S8_EES8_NS5_IlS8_EES8_jjPS6_PjSD_j.private_seg_size, 0
	.set _ZN2at6native6mbtopk10gatherTopKIdjLi1EEEvNS_4cuda6detail10TensorInfoIKT_T0_EES8_S8_bjS8_NS5_IS6_S8_EES8_NS5_IlS8_EES8_jjPS6_PjSD_j.uses_vcc, 1
	.set _ZN2at6native6mbtopk10gatherTopKIdjLi1EEEvNS_4cuda6detail10TensorInfoIKT_T0_EES8_S8_bjS8_NS5_IS6_S8_EES8_NS5_IlS8_EES8_jjPS6_PjSD_j.uses_flat_scratch, 0
	.set _ZN2at6native6mbtopk10gatherTopKIdjLi1EEEvNS_4cuda6detail10TensorInfoIKT_T0_EES8_S8_bjS8_NS5_IS6_S8_EES8_NS5_IlS8_EES8_jjPS6_PjSD_j.has_dyn_sized_stack, 0
	.set _ZN2at6native6mbtopk10gatherTopKIdjLi1EEEvNS_4cuda6detail10TensorInfoIKT_T0_EES8_S8_bjS8_NS5_IS6_S8_EES8_NS5_IlS8_EES8_jjPS6_PjSD_j.has_recursion, 0
	.set _ZN2at6native6mbtopk10gatherTopKIdjLi1EEEvNS_4cuda6detail10TensorInfoIKT_T0_EES8_S8_bjS8_NS5_IS6_S8_EES8_NS5_IlS8_EES8_jjPS6_PjSD_j.has_indirect_call, 0
	.section	.AMDGPU.csdata,"",@progbits
; Kernel info:
; codeLenInByte = 2320
; TotalNumSgprs: 39
; NumVgprs: 25
; ScratchSize: 0
; MemoryBound: 0
; FloatMode: 240
; IeeeMode: 1
; LDSByteSize: 1068 bytes/workgroup (compile time only)
; SGPRBlocks: 0
; VGPRBlocks: 3
; NumSGPRsForWavesPerEU: 39
; NumVGPRsForWavesPerEU: 25
; Occupancy: 16
; WaveLimiterHint : 1
; COMPUTE_PGM_RSRC2:SCRATCH_EN: 0
; COMPUTE_PGM_RSRC2:USER_SGPR: 6
; COMPUTE_PGM_RSRC2:TRAP_HANDLER: 0
; COMPUTE_PGM_RSRC2:TGID_X_EN: 1
; COMPUTE_PGM_RSRC2:TGID_Y_EN: 1
; COMPUTE_PGM_RSRC2:TGID_Z_EN: 1
; COMPUTE_PGM_RSRC2:TIDIG_COMP_CNT: 0
	.section	.text._ZN2at6native6sbtopk10gatherTopKIdjLi1ELb0EEEvNS_4cuda6detail10TensorInfoIKT_T0_EES8_S8_bS8_S8_NS5_IS6_S8_EES8_NS5_IlS8_EES8_PS6_,"axG",@progbits,_ZN2at6native6sbtopk10gatherTopKIdjLi1ELb0EEEvNS_4cuda6detail10TensorInfoIKT_T0_EES8_S8_bS8_S8_NS5_IS6_S8_EES8_NS5_IlS8_EES8_PS6_,comdat
	.protected	_ZN2at6native6sbtopk10gatherTopKIdjLi1ELb0EEEvNS_4cuda6detail10TensorInfoIKT_T0_EES8_S8_bS8_S8_NS5_IS6_S8_EES8_NS5_IlS8_EES8_PS6_ ; -- Begin function _ZN2at6native6sbtopk10gatherTopKIdjLi1ELb0EEEvNS_4cuda6detail10TensorInfoIKT_T0_EES8_S8_bS8_S8_NS5_IS6_S8_EES8_NS5_IlS8_EES8_PS6_
	.globl	_ZN2at6native6sbtopk10gatherTopKIdjLi1ELb0EEEvNS_4cuda6detail10TensorInfoIKT_T0_EES8_S8_bS8_S8_NS5_IS6_S8_EES8_NS5_IlS8_EES8_PS6_
	.p2align	8
	.type	_ZN2at6native6sbtopk10gatherTopKIdjLi1ELb0EEEvNS_4cuda6detail10TensorInfoIKT_T0_EES8_S8_bS8_S8_NS5_IS6_S8_EES8_NS5_IlS8_EES8_PS6_,@function
_ZN2at6native6sbtopk10gatherTopKIdjLi1ELb0EEEvNS_4cuda6detail10TensorInfoIKT_T0_EES8_S8_bS8_S8_NS5_IS6_S8_EES8_NS5_IlS8_EES8_PS6_: ; @_ZN2at6native6sbtopk10gatherTopKIdjLi1ELb0EEEvNS_4cuda6detail10TensorInfoIKT_T0_EES8_S8_bS8_S8_NS5_IS6_S8_EES8_NS5_IlS8_EES8_PS6_
; %bb.0:
	s_clause 0x1
	s_load_dwordx2 s[2:3], s[4:5], 0x2b8
	s_load_dwordx4 s[36:39], s[4:5], 0xd8
	s_add_u32 s10, s4, 0x2b8
	s_addc_u32 s11, s5, 0
	s_waitcnt lgkmcnt(0)
	s_mul_i32 s0, s3, s8
	s_add_i32 s0, s0, s7
	s_mul_i32 s45, s0, s2
	s_add_i32 s45, s45, s6
	s_cmp_ge_u32 s45, s39
	s_cbranch_scc1 .LBB69_411
; %bb.1:
	s_clause 0x4
	s_load_dwordx2 s[34:35], s[4:5], 0x1d0
	s_load_dword s30, s[4:5], 0xe8
	s_load_dwordx2 s[40:41], s[4:5], 0xf0
	s_load_dword s7, s[4:5], 0x6c
	s_load_dwordx2 s[0:1], s[4:5], 0x0
	v_cmp_eq_u32_e64 s3, 0, v0
	s_mov_b32 s43, 0
	s_and_saveexec_b32 s8, s3
	s_cbranch_execz .LBB69_3
; %bb.2:
	v_mov_b32_e32 v1, 0
	v_mov_b32_e32 v2, s36
	;; [unrolled: 1-line block ×3, first 2 shown]
	ds_write_b96 v1, v[1:3] offset:4096
.LBB69_3:
	s_or_b32 exec_lo, exec_lo, s8
	s_waitcnt lgkmcnt(0)
	s_barrier
	buffer_gl0_inv
	s_load_dword s12, s[10:11], 0xc
	s_mul_i32 s42, s7, s45
	v_mbcnt_lo_u32_b32 v28, -1, 0
	s_lshl_b64 s[8:9], s[42:43], 3
	v_cmp_gt_u32_e32 vcc_lo, 32, v0
	s_add_u32 s31, s0, s8
	s_addc_u32 s33, s1, s9
	s_bitcmp1_b32 s38, 0
	v_cmp_gt_i32_e64 s0, 4, v28
	s_cselect_b32 s1, -1, 0
	v_mov_b32_e32 v15, 0
	s_xor_b32 s48, s1, -1
	v_mul_lo_u32 v13, s30, v0
	s_and_b32 s49, vcc_lo, s0
	s_clause 0x1
	s_load_dword s46, s[4:5], 0x23c
	s_load_dword s47, s[4:5], 0x15c
	v_mov_b32_e32 v14, v15
	v_lshlrev_b32_e32 v29, 2, v0
	v_lshlrev_b32_e32 v30, 3, v0
	v_mov_b32_e32 v16, 0
	v_mov_b32_e32 v5, 0
	s_waitcnt lgkmcnt(0)
	s_and_b32 s42, s12, 0xffff
	s_bfe_u32 s0, s12, 0xb0005
	s_lshl_b32 s50, s42, 2
	s_bfe_u32 s7, s42, 0x80008
	v_cvt_f32_u32_e32 v1, s50
	s_lshl_b32 s51, s7, 3
	s_cmpk_gt_u32 s36, 0x180
	v_cvt_f32_u32_e32 v2, s42
	s_cselect_b32 s52, -1, 0
	v_rcp_iflag_f32_e32 v1, v1
	s_cmp_gt_u32 s42, 31
	v_mad_u64_u32 v[20:21], null, s30, v29, s[30:31]
	s_cselect_b32 s53, -1, 0
	s_add_i32 s54, s42, -1
	v_mov_b32_e32 v21, 0
	s_add_i32 s9, s54, s36
	s_cmp_lt_u32 s6, s2
	v_cmp_gt_u32_e64 s2, s36, v0
	v_mul_f32_e32 v1, 0x4f7ffffe, v1
	s_cselect_b32 s6, 12, 18
	v_add_nc_u32_e32 v32, 0xc00, v30
	s_add_u32 s38, s10, s6
	s_addc_u32 s39, s11, 0
	s_add_i32 s0, s0, -1
	v_cvt_u32_f32_e32 v1, v1
	s_and_b32 s0, s0, 0xffff
	s_bfe_u32 s55, s42, 0x30005
	s_cmp_gt_u32 s0, 6
	v_lshlrev_b32_e32 v36, 2, v13
	v_readfirstlane_b32 s0, v1
	s_cselect_b32 s56, -1, 0
	s_cmp_lg_u32 s55, 0
	v_rcp_iflag_f32_e32 v1, v2
	s_cselect_b32 s57, -1, 0
	s_sub_i32 s6, 0, s50
	v_lshlrev_b32_e32 v38, 5, v0
	s_mul_i32 s7, s6, s0
	v_cmp_gt_u32_e64 s6, 2, v0
	s_mul_hi_u32 s7, s0, s7
	v_lshl_or_b32 v39, v28, 2, 0xc00
	s_add_i32 s58, s0, s7
	v_cmp_eq_u32_e64 s0, 0, v28
	s_mul_hi_u32 s7, s36, s58
	v_mul_f32_e32 v3, 0x4f7ffffe, v1
	s_mul_i32 s7, s7, s50
	v_lshlrev_b64 v[1:2], 3, v[13:14]
	s_sub_i32 s7, s36, s7
	v_mov_b32_e32 v17, 0
	s_sub_i32 s8, s7, s50
	s_cmp_ge_u32 s7, s50
	v_cvt_u32_f32_e32 v3, v3
	s_cselect_b32 s7, s8, s7
	v_add_co_u32 v11, vcc_lo, s31, v1
	s_sub_i32 s8, s7, s50
	s_cmp_ge_u32 s7, s50
	v_add_co_ci_u32_e64 v12, null, s33, v2, vcc_lo
	s_cselect_b32 s11, s8, s7
	v_lshlrev_b64 v[1:2], v28, -1
	s_sub_i32 s59, s36, s11
	v_readfirstlane_b32 s10, v3
	v_add_nc_u32_e32 v31, s59, v0
	s_sub_i32 s7, 0, s42
	s_movk_i32 s8, 0x1f0
	v_not_b32_e32 v27, v1
	s_mul_i32 s7, s7, s10
	v_mul_lo_u32 v14, v31, s30
	v_lshrrev_b32_e32 v1, 1, v0
	s_mul_hi_u32 s7, s10, s7
	v_or_b32_e32 v3, 3, v29
	s_add_i32 s60, s10, s7
	v_mov_b32_e32 v6, 0
	v_and_or_b32 v33, v1, s8, 0xc00
	s_mul_hi_u32 s7, s9, s60
	v_lshlrev_b64 v[1:2], 3, v[14:15]
	s_mul_i32 s7, s7, s42
	v_mul_lo_u32 v35, s30, v3
	s_sub_i32 s7, s9, s7
	v_mov_b32_e32 v40, s37
	s_sub_i32 s10, s7, s42
	v_add_co_u32 v18, vcc_lo, s31, v1
	v_add3_u32 v1, s42, s36, v0
	s_cmp_ge_u32 s7, s42
	v_add_co_ci_u32_e64 v19, null, s33, v2, vcc_lo
	s_cselect_b32 s8, s10, s7
	v_or_b32_e32 v2, 2, v29
	v_subrev_nc_u32_e32 v1, s11, v1
	s_sub_i32 s10, s8, s42
	s_cmp_ge_u32 s8, s42
	v_cmp_gt_u32_e64 s7, s59, v29
	s_cselect_b32 s10, s10, s8
	v_mul_lo_u32 v34, s30, v2
	v_mul_lo_u32 v37, s30, v1
	s_sub_i32 s61, s9, s10
	v_cmp_gt_u32_e64 s8, s36, v31
	v_cmp_gt_u32_e64 s9, s61, v0
	v_mov_b32_e32 v22, 0
	v_mov_b32_e32 v2, 0x3ff00000
	s_mul_i32 s44, s30, s42
	s_lshl_b32 s63, s42, 5
	s_lshl_b32 s62, s44, 2
	;; [unrolled: 1-line block ×3, first 2 shown]
	s_mov_b32 s70, 62
	s_mov_b32 s66, 0
                                        ; implicit-def: $sgpr65
                                        ; implicit-def: $sgpr69
                                        ; implicit-def: $sgpr68
                                        ; implicit-def: $sgpr71
                                        ; implicit-def: $sgpr67
                                        ; implicit-def: $sgpr75
                                        ; implicit-def: $sgpr76
                                        ; implicit-def: $sgpr72
                                        ; implicit-def: $sgpr74
                                        ; implicit-def: $sgpr73
	s_branch .LBB69_6
.LBB69_4:                               ;   in Loop: Header=BB69_6 Depth=1
	s_or_b32 exec_lo, exec_lo, s13
	v_mov_b32_e32 v40, v42
	s_andn2_b32 s13, s73, exec_lo
	s_and_b32 s12, s12, exec_lo
	s_andn2_b32 s74, s74, exec_lo
	s_or_b32 s73, s13, s12
	s_andn2_b32 s72, s72, exec_lo
	s_andn2_b32 s76, s76, exec_lo
	;; [unrolled: 1-line block ×3, first 2 shown]
	s_orn2_b32 s12, s11, exec_lo
.LBB69_5:                               ;   in Loop: Header=BB69_6 Depth=1
	s_or_b32 exec_lo, exec_lo, s10
	s_and_b32 s10, exec_lo, s12
	s_or_b32 s43, s10, s43
	s_andn2_b32 s10, s67, exec_lo
	s_and_b32 s11, s73, exec_lo
	s_andn2_b32 s12, s71, exec_lo
	s_or_b32 s67, s10, s11
	s_and_b32 s10, s74, exec_lo
	s_andn2_b32 s11, s68, exec_lo
	s_and_b32 s13, s72, exec_lo
	s_or_b32 s71, s12, s10
	s_or_b32 s68, s11, s13
	s_andn2_b32 s10, s69, exec_lo
	s_and_b32 s11, s76, exec_lo
	s_andn2_b32 s12, s65, exec_lo
	s_and_b32 s13, s75, exec_lo
	s_or_b32 s69, s10, s11
	s_or_b32 s65, s12, s13
	s_andn2_b32 exec_lo, exec_lo, s43
	s_cbranch_execz .LBB69_407
.LBB69_6:                               ; =>This Loop Header: Depth=1
                                        ;     Child Loop BB69_12 Depth 2
                                        ;     Child Loop BB69_25 Depth 2
	;; [unrolled: 1-line block ×24, first 2 shown]
	ds_read_b64 v[3:4], v15 offset:4096
	s_waitcnt lgkmcnt(0)
	v_readfirstlane_b32 s77, v3
	s_cmp_lg_u32 s77, 0
	s_cbranch_scc1 .LBB69_33
; %bb.7:                                ;   in Loop: Header=BB69_6 Depth=1
	s_and_b32 vcc_lo, exec_lo, s52
	s_cbranch_vccz .LBB69_20
; %bb.8:                                ;   in Loop: Header=BB69_6 Depth=1
	v_cmp_gt_u32_e32 vcc_lo, 0x181, v4
	s_mov_b32 s12, 0
	s_mov_b32 s10, 0
	s_cbranch_vccz .LBB69_21
; %bb.9:                                ;   in Loop: Header=BB69_6 Depth=1
	s_and_saveexec_b32 s13, s2
	s_cbranch_execz .LBB69_81
; %bb.10:                               ;   in Loop: Header=BB69_6 Depth=1
	global_load_ushort v1, v15, s[38:39]
	global_load_dwordx2 v[3:4], v[11:12], off
	v_mov_b32_e32 v10, v0
	s_mov_b32 s14, 0
	s_waitcnt vmcnt(1)
	v_add_nc_u32_e32 v7, v0, v1
	v_mul_lo_u32 v9, s30, v1
	v_mul_lo_u32 v14, s30, v7
	s_branch .LBB69_12
.LBB69_11:                              ;   in Loop: Header=BB69_12 Depth=2
	s_or_b32 exec_lo, exec_lo, s11
	v_mov_b32_e32 v3, v7
	v_add_nc_u32_e32 v14, v14, v9
	v_mov_b32_e32 v4, v8
	s_andn2_b32 exec_lo, exec_lo, s14
	s_cbranch_execz .LBB69_81
.LBB69_12:                              ;   Parent Loop BB69_6 Depth=1
                                        ; =>  This Inner Loop Header: Depth=2
	v_mov_b32_e32 v7, 0
	v_add_nc_u32_e32 v10, v10, v1
	v_mov_b32_e32 v8, 0
	s_mov_b32 s11, exec_lo
	v_cmp_le_u32_e32 vcc_lo, s36, v10
	v_cmpx_gt_u32_e64 s36, v10
	s_cbranch_execz .LBB69_14
; %bb.13:                               ;   in Loop: Header=BB69_12 Depth=2
	v_lshlrev_b64 v[7:8], 3, v[14:15]
	v_add_co_u32 v7, s10, s31, v7
	v_add_co_ci_u32_e64 v8, null, s33, v8, s10
	global_load_dwordx2 v[7:8], v[7:8], off
.LBB69_14:                              ;   in Loop: Header=BB69_12 Depth=2
	s_or_b32 exec_lo, exec_lo, s11
	s_waitcnt vmcnt(0)
	v_cmp_o_f64_e64 s10, v[3:4], v[3:4]
	s_waitcnt lgkmcnt(0)
	v_ashrrev_i32_e32 v23, 31, v4
	v_or_b32_e32 v24, 0x80000000, v23
	v_xor_b32_e32 v23, v23, v3
	v_xor_b32_e32 v24, v24, v4
	v_cndmask_b32_e64 v24, -1, v24, s10
	v_cndmask_b32_e64 v23, -1, v23, s10
	v_and_b32_e32 v24, v24, v22
	v_and_b32_e32 v23, v23, v21
	v_cmp_eq_u64_e64 s10, v[23:24], v[16:17]
	v_mov_b32_e32 v23, 0
	s_cmp_lg_u32 s10, 0
	s_cselect_b32 s11, -1, 0
	s_and_b32 s11, s0, s11
	s_and_saveexec_b32 s15, s11
	s_cbranch_execz .LBB69_18
; %bb.15:                               ;   in Loop: Header=BB69_12 Depth=2
	s_mov_b32 s18, exec_lo
	s_bcnt1_i32_b32 s16, s10
	v_mbcnt_lo_u32_b32 v23, s18, 0
	s_mov_b32 s17, exec_lo
                                        ; implicit-def: $vgpr24
	v_cmpx_eq_u32_e32 0, v23
; %bb.16:                               ;   in Loop: Header=BB69_12 Depth=2
	s_bcnt1_i32_b32 s11, s18
	s_mul_i32 s11, s16, s11
	v_mov_b32_e32 v24, s11
	ds_add_rtn_u32 v24, v15, v24 offset:4104
; %bb.17:                               ;   in Loop: Header=BB69_12 Depth=2
	s_or_b32 exec_lo, exec_lo, s17
	s_waitcnt lgkmcnt(0)
	v_readfirstlane_b32 s11, v24
	v_mad_u32_u24 v23, s16, v23, s11
.LBB69_18:                              ;   in Loop: Header=BB69_12 Depth=2
	s_or_b32 exec_lo, exec_lo, s15
	ds_bpermute_b32 v23, v15, v23
	s_and_b32 s11, exec_lo, vcc_lo
	s_or_b32 s14, s11, s14
	s_and_saveexec_b32 s11, s10
	s_cbranch_execz .LBB69_11
; %bb.19:                               ;   in Loop: Header=BB69_12 Depth=2
	v_and_b32_e32 v24, s10, v27
	v_bcnt_u32_b32 v24, v24, 0
	v_lshlrev_b32_e32 v24, 3, v24
	s_waitcnt lgkmcnt(0)
	v_lshl_add_u32 v23, v23, 3, v24
	ds_write_b64 v23, v[3:4]
	s_branch .LBB69_11
.LBB69_20:                              ;   in Loop: Header=BB69_6 Depth=1
	s_mov_b32 s12, -1
	s_mov_b32 s10, 0
.LBB69_21:                              ;   in Loop: Header=BB69_6 Depth=1
	s_and_b32 vcc_lo, exec_lo, s12
	s_cbranch_vccz .LBB69_31
.LBB69_22:                              ;   in Loop: Header=BB69_6 Depth=1
	s_and_saveexec_b32 s10, s2
	s_cbranch_execz .LBB69_28
; %bb.23:                               ;   in Loop: Header=BB69_6 Depth=1
	global_load_ushort v1, v15, s[38:39]
	global_load_dwordx2 v[3:4], v[11:12], off
	v_mov_b32_e32 v9, v0
	s_mov_b32 s11, exec_lo
	s_waitcnt vmcnt(1)
	v_add_nc_u32_e32 v7, v0, v1
	v_cmpx_gt_u32_e64 s36, v7
	s_cbranch_execz .LBB69_27
; %bb.24:                               ;   in Loop: Header=BB69_6 Depth=1
	v_mul_lo_u32 v14, s30, v7
	v_mul_lo_u32 v10, s30, v1
	v_lshlrev_b32_e32 v23, 3, v1
	v_mov_b32_e32 v24, v30
	v_mov_b32_e32 v9, v0
	s_mov_b32 s12, 0
	.p2align	6
.LBB69_25:                              ;   Parent Loop BB69_6 Depth=1
                                        ; =>  This Inner Loop Header: Depth=2
	v_lshlrev_b64 v[7:8], 3, v[14:15]
	v_add_nc_u32_e32 v9, v9, v1
	s_waitcnt vmcnt(0)
	ds_write_b64 v24, v[3:4]
	v_add_nc_u32_e32 v24, v24, v23
	v_add_nc_u32_e32 v14, v14, v10
	;; [unrolled: 1-line block ×3, first 2 shown]
	v_add_co_u32 v7, vcc_lo, s31, v7
	v_add_co_ci_u32_e64 v8, null, s33, v8, vcc_lo
	v_cmp_le_u32_e32 vcc_lo, s36, v25
	global_load_dwordx2 v[7:8], v[7:8], off
	s_or_b32 s12, vcc_lo, s12
	s_waitcnt vmcnt(0)
	v_mov_b32_e32 v3, v7
	v_mov_b32_e32 v4, v8
	s_andn2_b32 exec_lo, exec_lo, s12
	s_cbranch_execnz .LBB69_25
; %bb.26:                               ;   in Loop: Header=BB69_6 Depth=1
	s_or_b32 exec_lo, exec_lo, s12
	v_mov_b32_e32 v3, v7
	v_mov_b32_e32 v4, v8
.LBB69_27:                              ;   in Loop: Header=BB69_6 Depth=1
	s_or_b32 exec_lo, exec_lo, s11
	v_lshlrev_b32_e32 v1, 3, v9
	s_waitcnt vmcnt(0)
	ds_write_b64 v1, v[3:4]
.LBB69_28:                              ;   in Loop: Header=BB69_6 Depth=1
	s_or_b32 exec_lo, exec_lo, s10
	s_waitcnt lgkmcnt(0)
	s_barrier
	buffer_gl0_inv
	s_and_saveexec_b32 s10, s3
; %bb.29:                               ;   in Loop: Header=BB69_6 Depth=1
	v_mov_b32_e32 v1, s36
	ds_write_b32 v15, v1 offset:4096
; %bb.30:                               ;   in Loop: Header=BB69_6 Depth=1
	s_or_b32 exec_lo, exec_lo, s10
	s_mov_b32 s10, -1
	s_waitcnt lgkmcnt(0)
	s_barrier
.LBB69_31:                              ;   in Loop: Header=BB69_6 Depth=1
	s_and_b32 vcc_lo, exec_lo, s10
	s_mov_b32 s77, 0
	s_cbranch_vccz .LBB69_33
; %bb.32:                               ;   in Loop: Header=BB69_6 Depth=1
	buffer_gl0_inv
	ds_read_b32 v1, v15 offset:4096
	s_waitcnt lgkmcnt(0)
	v_readfirstlane_b32 s77, v1
.LBB69_33:                              ;   in Loop: Header=BB69_6 Depth=1
	s_cmp_lt_i32 s77, 1
	s_mov_b32 s10, -1
                                        ; implicit-def: $vgpr7
	s_cbranch_scc1 .LBB69_43
; %bb.34:                               ;   in Loop: Header=BB69_6 Depth=1
	s_and_b32 vcc_lo, exec_lo, s10
	s_cbranch_vccnz .LBB69_54
.LBB69_35:                              ;   in Loop: Header=BB69_6 Depth=1
	s_lshl_b32 s10, s66, 7
	s_and_saveexec_b32 s11, s0
.LBB69_36:                              ;   in Loop: Header=BB69_6 Depth=1
	v_lshl_add_u32 v1, s10, 2, v33
	ds_write_b128 v1, v[7:10]
.LBB69_37:                              ;   in Loop: Header=BB69_6 Depth=1
	s_or_b32 exec_lo, exec_lo, s11
	s_waitcnt lgkmcnt(0)
	s_barrier
	buffer_gl0_inv
	s_and_saveexec_b32 s11, s49
	s_cbranch_execz .LBB69_67
; %bb.38:                               ;   in Loop: Header=BB69_6 Depth=1
	v_mov_b32_e32 v1, 0
	s_andn2_b32 vcc_lo, exec_lo, s53
	s_cbranch_vccnz .LBB69_66
; %bb.39:                               ;   in Loop: Header=BB69_6 Depth=1
	s_andn2_b32 vcc_lo, exec_lo, s56
	s_cbranch_vccnz .LBB69_63
; %bb.40:                               ;   in Loop: Header=BB69_6 Depth=1
	v_lshl_add_u32 v3, s66, 9, v39
	v_mov_b32_e32 v1, 0
	s_mov_b32 s12, 0
	.p2align	6
.LBB69_41:                              ;   Parent Loop BB69_6 Depth=1
                                        ; =>  This Inner Loop Header: Depth=2
	ds_read2_b32 v[7:8], v3 offset1:4
	ds_read2_b32 v[9:10], v3 offset0:8 offset1:12
	ds_read2_b32 v[23:24], v3 offset0:16 offset1:20
	;; [unrolled: 1-line block ×3, first 2 shown]
	v_add_nc_u32_e32 v3, 0x80, v3
	s_add_i32 s12, s12, 8
	s_cmp_eq_u32 s51, s12
	s_waitcnt lgkmcnt(3)
	v_add3_u32 v1, v7, v1, v8
	s_waitcnt lgkmcnt(2)
	v_add3_u32 v1, v9, v1, v10
	;; [unrolled: 2-line block ×4, first 2 shown]
	s_cbranch_scc0 .LBB69_41
; %bb.42:                               ;   in Loop: Header=BB69_6 Depth=1
	s_mov_b32 s12, s51
	s_andn2_b32 vcc_lo, exec_lo, s57
	s_cbranch_vccz .LBB69_64
	s_branch .LBB69_66
.LBB69_43:                              ;   in Loop: Header=BB69_6 Depth=1
	v_mov_b32_e32 v7, 0
	v_mov_b32_e32 v8, 0
	;; [unrolled: 1-line block ×4, first 2 shown]
	s_and_saveexec_b32 s24, s7
	s_cbranch_execz .LBB69_47
; %bb.44:                               ;   in Loop: Header=BB69_6 Depth=1
	v_mov_b32_e32 v1, v29
	s_mov_b32 s25, 0
	s_mov_b32 s26, 0
	;; [unrolled: 1-line block ×6, first 2 shown]
.LBB69_45:                              ;   Parent Loop BB69_6 Depth=1
                                        ; =>  This Inner Loop Header: Depth=2
	v_add_nc_u32_e32 v14, s26, v36
	v_mov_b32_e32 v25, v15
	v_mov_b32_e32 v42, v15
	;; [unrolled: 1-line block ×3, first 2 shown]
	v_add_nc_u32_e32 v1, s50, v1
	v_lshlrev_b64 v[3:4], 3, v[14:15]
	v_add_nc_u32_e32 v14, s26, v20
	v_lshlrev_b64 v[7:8], 3, v[14:15]
	v_add_nc_u32_e32 v14, s26, v34
	v_add_co_u32 v3, vcc_lo, s31, v3
	v_add_co_ci_u32_e64 v4, null, s33, v4, vcc_lo
	v_lshlrev_b64 v[9:10], 3, v[14:15]
	v_add_nc_u32_e32 v14, s26, v35
	v_add_co_u32 v7, vcc_lo, s31, v7
	global_load_dwordx2 v[3:4], v[3:4], off
	v_add_co_ci_u32_e64 v8, null, s33, v8, vcc_lo
	v_lshlrev_b64 v[23:24], 3, v[14:15]
	v_add_co_u32 v9, vcc_lo, s31, v9
	v_add_co_ci_u32_e64 v10, null, s33, v10, vcc_lo
	s_clause 0x1
	global_load_dwordx2 v[7:8], v[7:8], off
	global_load_dwordx2 v[9:10], v[9:10], off
	v_add_co_u32 v23, vcc_lo, s31, v23
	v_add_co_ci_u32_e64 v24, null, s33, v24, vcc_lo
	v_cmp_le_u32_e32 vcc_lo, s59, v1
	s_add_i32 s26, s26, s62
	global_load_dwordx2 v[23:24], v[23:24], off
	s_waitcnt vmcnt(3)
	v_cmp_o_f64_e64 s10, v[3:4], v[3:4]
	v_ashrrev_i32_e32 v14, 31, v4
	v_or_b32_e32 v41, 0x80000000, v14
	v_xor_b32_e32 v14, v14, v3
	s_waitcnt vmcnt(2)
	v_cmp_o_f64_e64 s11, v[7:8], v[7:8]
	s_waitcnt vmcnt(1)
	v_cmp_o_f64_e64 s12, v[9:10], v[9:10]
	v_xor_b32_e32 v41, v41, v4
	v_ashrrev_i32_e32 v44, 31, v10
	v_ashrrev_i32_e32 v43, 31, v8
	v_or_b32_e32 v3, 0x80000000, v44
	s_waitcnt vmcnt(0)
	v_cmp_o_f64_e64 s13, v[23:24], v[23:24]
	v_or_b32_e32 v45, 0x80000000, v43
	v_xor_b32_e32 v43, v43, v7
	v_xor_b32_e32 v47, v44, v9
	v_cndmask_b32_e64 v4, -1, v41, s10
	v_ashrrev_i32_e32 v41, 31, v24
	v_xor_b32_e32 v3, v3, v10
	v_xor_b32_e32 v45, v45, v8
	v_and_b32_e32 v10, v4, v22
	v_or_b32_e32 v7, 0x80000000, v41
	v_xor_b32_e32 v41, v41, v23
	v_cndmask_b32_e64 v8, -1, v45, s11
	v_cndmask_b32_e64 v23, -1, v47, s12
	v_xor_b32_e32 v7, v7, v24
	v_cndmask_b32_e64 v24, -1, v3, s12
	v_cndmask_b32_e64 v3, -1, v14, s10
	v_and_b32_e32 v44, v8, v22
	v_and_b32_e32 v47, v23, v21
	;; [unrolled: 1-line block ×4, first 2 shown]
	v_lshrrev_b64 v[3:4], s70, v[3:4]
	v_cndmask_b32_e64 v46, -1, v7, s13
	v_cndmask_b32_e64 v7, -1, v43, s11
	;; [unrolled: 1-line block ×3, first 2 shown]
	v_cmp_eq_u64_e64 s10, v[9:10], v[16:17]
	v_cmp_eq_u64_e64 s16, v[47:48], v[16:17]
	v_and_b32_e32 v14, 3, v3
	v_and_b32_e32 v43, v7, v21
	v_lshrrev_b64 v[7:8], s70, v[7:8]
	v_lshrrev_b64 v[3:4], s70, v[23:24]
	v_and_b32_e32 v49, v46, v22
	v_cmp_eq_u64_e64 s12, 0, v[14:15]
	v_cmp_eq_u64_e64 s13, 1, v[14:15]
	;; [unrolled: 1-line block ×3, first 2 shown]
	v_and_b32_e32 v24, 3, v7
	v_cmp_eq_u64_e64 s15, 3, v[14:15]
	v_cmp_eq_u64_e64 s11, v[43:44], v[16:17]
	s_and_b32 s12, s10, s12
	v_and_b32_e32 v41, 3, v3
	v_cmp_eq_u64_e64 s17, 0, v[24:25]
	v_cmp_eq_u64_e64 s18, 1, v[24:25]
	;; [unrolled: 1-line block ×3, first 2 shown]
	v_lshrrev_b64 v[7:8], s70, v[45:46]
	v_cndmask_b32_e64 v3, 0, 1, s12
	s_and_b32 s12, s10, s13
	v_cmp_eq_u64_e64 s20, 3, v[24:25]
	v_cndmask_b32_e64 v4, 0, 1, s12
	s_and_b32 s12, s10, s14
	s_and_b32 s10, s10, s15
	v_cndmask_b32_e64 v8, 0, 1, s12
	v_cmp_eq_u64_e64 s12, 0, v[41:42]
	v_cmp_eq_u64_e64 s13, 1, v[41:42]
	v_cndmask_b32_e64 v9, 0, 1, s10
	s_and_b32 s17, s11, s17
	s_and_b32 s18, s11, s18
	;; [unrolled: 1-line block ×3, first 2 shown]
	v_and_b32_e32 v48, v45, v21
	v_and_b32_e32 v25, 3, v7
	v_cmp_eq_u64_e64 s14, 2, v[41:42]
	v_cmp_eq_u64_e64 s15, 3, v[41:42]
	v_cmp_ne_u32_e64 s21, 0, v3
	v_cndmask_b32_e64 v3, 0, 1, s17
	v_cmp_ne_u32_e64 s17, 0, v4
	v_cndmask_b32_e64 v4, 0, 1, s18
	v_cndmask_b32_e64 v7, 0, 1, s19
	s_and_b32 s11, s11, s20
	v_cmp_ne_u32_e64 s18, 0, v8
	v_cndmask_b32_e64 v8, 0, 1, s11
	v_cmp_ne_u32_e64 s19, 0, v9
	s_and_b32 s12, s16, s12
	s_and_b32 s13, s16, s13
	v_cmp_eq_u64_e64 s10, v[48:49], v[16:17]
	v_cmp_eq_u64_e64 s11, 0, v[25:26]
	;; [unrolled: 1-line block ×5, first 2 shown]
	s_bcnt1_i32_b32 s79, s21
	v_cmp_ne_u32_e64 s21, 0, v3
	v_cndmask_b32_e64 v3, 0, 1, s12
	v_cmp_ne_u32_e64 s12, 0, v4
	v_cndmask_b32_e64 v4, 0, 1, s13
	v_cmp_ne_u32_e64 s13, 0, v7
	s_and_b32 s14, s16, s14
	s_and_b32 s15, s16, s15
	v_cndmask_b32_e64 v7, 0, 1, s14
	v_cmp_ne_u32_e64 s14, 0, v8
	v_cndmask_b32_e64 v8, 0, 1, s15
	s_bcnt1_i32_b32 s19, s19
	s_and_b32 s11, s10, s11
	s_add_i32 s19, s19, s27
	s_bcnt1_i32_b32 s27, s12
	s_and_b32 s12, s10, s20
	s_bcnt1_i32_b32 s20, s13
	s_and_b32 s13, s10, s22
	s_and_b32 s10, s10, s23
	v_cmp_ne_u32_e64 s15, 0, v3
	v_cndmask_b32_e64 v3, 0, 1, s11
	v_cmp_ne_u32_e64 s11, 0, v4
	v_cndmask_b32_e64 v4, 0, 1, s12
	;; [unrolled: 2-line block ×4, first 2 shown]
	s_bcnt1_i32_b32 s18, s18
	s_add_i32 s16, s79, s78
	s_add_i32 s18, s18, s28
	s_bcnt1_i32_b32 s21, s21
	s_bcnt1_i32_b32 s14, s14
	;; [unrolled: 1-line block ×3, first 2 shown]
	s_add_i32 s16, s16, s21
	s_add_i32 s18, s18, s20
	;; [unrolled: 1-line block ×3, first 2 shown]
	v_cmp_ne_u32_e64 s10, 0, v3
	s_bcnt1_i32_b32 s19, s11
	v_cmp_ne_u32_e64 s11, 0, v4
	s_bcnt1_i32_b32 s20, s12
	;; [unrolled: 2-line block ×3, first 2 shown]
	v_cmp_ne_u32_e64 s13, 0, v8
	s_add_i32 s17, s17, s29
	s_bcnt1_i32_b32 s15, s15
	s_add_i32 s17, s17, s27
	s_add_i32 s15, s16, s15
	;; [unrolled: 1-line block ×5, first 2 shown]
	s_bcnt1_i32_b32 s10, s10
	s_bcnt1_i32_b32 s11, s11
	;; [unrolled: 1-line block ×4, first 2 shown]
	s_add_i32 s78, s15, s10
	s_add_i32 s29, s16, s11
	;; [unrolled: 1-line block ×4, first 2 shown]
	v_mov_b32_e32 v7, s78
	v_mov_b32_e32 v8, s29
	;; [unrolled: 1-line block ×4, first 2 shown]
	s_or_b32 s25, vcc_lo, s25
	s_andn2_b32 exec_lo, exec_lo, s25
	s_cbranch_execnz .LBB69_45
; %bb.46:                               ;   in Loop: Header=BB69_6 Depth=1
	s_or_b32 exec_lo, exec_lo, s25
.LBB69_47:                              ;   in Loop: Header=BB69_6 Depth=1
	s_or_b32 exec_lo, exec_lo, s24
	s_and_saveexec_b32 s14, s8
	s_cbranch_execz .LBB69_53
; %bb.48:                               ;   in Loop: Header=BB69_6 Depth=1
	global_load_dwordx2 v[25:26], v[18:19], off
	v_mov_b32_e32 v3, v37
	v_mov_b32_e32 v1, v31
	s_mov_b32 s15, 0
	s_branch .LBB69_50
.LBB69_49:                              ;   in Loop: Header=BB69_50 Depth=2
	s_or_b32 exec_lo, exec_lo, s11
	s_waitcnt vmcnt(0)
	v_cmp_o_f64_e64 s10, v[25:26], v[25:26]
	v_ashrrev_i32_e32 v4, 31, v26
	s_and_b32 s12, exec_lo, vcc_lo
	v_add_nc_u32_e32 v3, s44, v3
	s_or_b32 s15, s12, s15
	v_or_b32_e32 v14, 0x80000000, v4
	v_xor_b32_e32 v4, v4, v25
	v_xor_b32_e32 v14, v14, v26
	v_cndmask_b32_e64 v26, -1, v14, s10
	v_cndmask_b32_e64 v25, -1, v4, s10
	v_lshrrev_b64 v[41:42], s70, v[25:26]
	v_and_b32_e32 v26, v26, v22
	v_and_b32_e32 v25, v25, v21
	;; [unrolled: 1-line block ×3, first 2 shown]
	v_cmp_eq_u64_e64 s10, v[25:26], v[16:17]
	v_cmp_eq_u64_e64 s11, 0, v[14:15]
	v_cmp_eq_u64_e32 vcc_lo, 1, v[14:15]
	v_cmp_eq_u64_e64 s12, 2, v[14:15]
	v_cmp_eq_u64_e64 s13, 3, v[14:15]
	s_and_b32 s11, s10, s11
	v_cndmask_b32_e64 v4, 0, 1, s11
	s_and_b32 s11, s10, vcc_lo
	v_cndmask_b32_e64 v14, 0, 1, s11
	s_and_b32 s11, s10, s12
	s_and_b32 s10, s10, s13
	v_cndmask_b32_e64 v25, 0, 1, s11
	v_cndmask_b32_e64 v26, 0, 1, s10
	v_cmp_ne_u32_e32 vcc_lo, 0, v4
	v_cmp_ne_u32_e64 s10, 0, v14
	v_cmp_ne_u32_e64 s11, 0, v25
	;; [unrolled: 1-line block ×3, first 2 shown]
	s_bcnt1_i32_b32 s13, vcc_lo
	s_bcnt1_i32_b32 s10, s10
	v_mov_b32_e32 v26, v24
	s_bcnt1_i32_b32 s11, s11
	s_bcnt1_i32_b32 s12, s12
	v_add_nc_u32_e32 v7, s13, v7
	v_add_nc_u32_e32 v8, s10, v8
	;; [unrolled: 1-line block ×4, first 2 shown]
	v_mov_b32_e32 v25, v23
	s_andn2_b32 exec_lo, exec_lo, s15
	s_cbranch_execz .LBB69_52
.LBB69_50:                              ;   Parent Loop BB69_6 Depth=1
                                        ; =>  This Inner Loop Header: Depth=2
	v_mov_b32_e32 v23, 0
	v_add_nc_u32_e32 v1, s42, v1
	v_mov_b32_e32 v24, 0
	s_mov_b32 s11, exec_lo
	v_cmp_le_u32_e32 vcc_lo, s36, v1
	v_cmpx_gt_u32_e64 s36, v1
	s_cbranch_execz .LBB69_49
; %bb.51:                               ;   in Loop: Header=BB69_50 Depth=2
	v_mov_b32_e32 v4, v15
	v_lshlrev_b64 v[23:24], 3, v[3:4]
	v_add_co_u32 v23, s10, s31, v23
	v_add_co_ci_u32_e64 v24, null, s33, v24, s10
	global_load_dwordx2 v[23:24], v[23:24], off
	s_branch .LBB69_49
.LBB69_52:                              ;   in Loop: Header=BB69_6 Depth=1
	s_or_b32 exec_lo, exec_lo, s15
.LBB69_53:                              ;   in Loop: Header=BB69_6 Depth=1
	s_or_b32 exec_lo, exec_lo, s14
	s_branch .LBB69_35
.LBB69_54:                              ;   in Loop: Header=BB69_6 Depth=1
	s_mul_hi_u32 s10, s77, s58
	v_mov_b32_e32 v7, 0
	s_mul_i32 s10, s10, s50
	v_mov_b32_e32 v8, 0
	s_sub_i32 s10, s77, s10
	v_mov_b32_e32 v9, 0
	s_sub_i32 s11, s10, s50
	s_cmp_ge_u32 s10, s50
	v_mov_b32_e32 v10, 0
	s_cselect_b32 s10, s11, s10
	s_mov_b32 s79, exec_lo
	s_sub_i32 s11, s10, s50
	s_cmp_ge_u32 s10, s50
	s_cselect_b32 s10, s11, s10
	s_sub_i32 s78, s77, s10
	v_cmpx_gt_u32_e64 s78, v29
	s_cbranch_execz .LBB69_58
; %bb.55:                               ;   in Loop: Header=BB69_6 Depth=1
	v_mov_b32_e32 v1, v38
	v_mov_b32_e32 v3, v29
	s_mov_b32 s80, 0
	s_mov_b32 s81, 0
	;; [unrolled: 1-line block ×5, first 2 shown]
.LBB69_56:                              ;   Parent Loop BB69_6 Depth=1
                                        ; =>  This Inner Loop Header: Depth=2
	ds_read_b128 v[7:10], v1
	ds_read_b128 v[23:26], v1 offset:16
	v_mov_b32_e32 v42, v15
	v_mov_b32_e32 v44, v15
	v_mov_b32_e32 v46, v15
	v_add_nc_u32_e32 v3, s50, v3
	v_add_nc_u32_e32 v1, s63, v1
	v_cmp_le_u32_e32 vcc_lo, s78, v3
	s_waitcnt lgkmcnt(1)
	v_cmp_o_f64_e64 s10, v[7:8], v[7:8]
	v_cmp_o_f64_e64 s11, v[9:10], v[9:10]
	s_waitcnt lgkmcnt(0)
	v_cmp_o_f64_e64 s12, v[23:24], v[23:24]
	v_cmp_o_f64_e64 s13, v[25:26], v[25:26]
	v_ashrrev_i32_e32 v4, 31, v8
	v_ashrrev_i32_e32 v14, 31, v10
	;; [unrolled: 1-line block ×4, first 2 shown]
	v_or_b32_e32 v45, 0x80000000, v4
	v_or_b32_e32 v47, 0x80000000, v14
	;; [unrolled: 1-line block ×4, first 2 shown]
	v_xor_b32_e32 v4, v4, v7
	v_xor_b32_e32 v45, v45, v8
	;; [unrolled: 1-line block ×8, first 2 shown]
	v_cndmask_b32_e64 v8, -1, v45, s10
	v_cndmask_b32_e64 v10, -1, v7, s11
	;; [unrolled: 1-line block ×7, first 2 shown]
	v_and_b32_e32 v48, v8, v22
	v_and_b32_e32 v47, v7, v21
	v_lshrrev_b64 v[7:8], s70, v[7:8]
	v_cndmask_b32_e64 v25, -1, v43, s13
	v_and_b32_e32 v49, v9, v21
	v_lshrrev_b64 v[8:9], s70, v[9:10]
	v_and_b32_e32 v50, v10, v22
	v_lshrrev_b64 v[9:10], s70, v[23:24]
	v_and_b32_e32 v52, v24, v22
	v_and_b32_e32 v51, v23, v21
	v_lshrrev_b64 v[23:24], s70, v[25:26]
	v_and_b32_e32 v14, 3, v7
	v_and_b32_e32 v41, 3, v8
	;; [unrolled: 1-line block ×3, first 2 shown]
	v_cmp_eq_u64_e64 s10, v[47:48], v[16:17]
	v_and_b32_e32 v54, v26, v22
	v_cmp_eq_u64_e64 s14, 0, v[14:15]
	v_and_b32_e32 v53, v25, v21
	v_and_b32_e32 v45, 3, v23
	v_cmp_eq_u64_e64 s11, v[49:50], v[16:17]
	v_cmp_eq_u64_e64 s15, 0, v[41:42]
	;; [unrolled: 1-line block ×6, first 2 shown]
	s_and_b32 s14, s10, s14
	v_cmp_eq_u64_e64 s18, 1, v[14:15]
	v_cndmask_b32_e64 v4, 0, 1, s14
	s_and_b32 s14, s11, s15
	v_cmp_eq_u64_e64 s19, 1, v[41:42]
	v_cndmask_b32_e64 v7, 0, 1, s14
	;; [unrolled: 3-line block ×4, first 2 shown]
	s_and_b32 s14, s10, s18
	v_cmp_eq_u64_e64 s22, 2, v[14:15]
	v_cmp_eq_u64_e64 s26, 3, v[14:15]
	v_cndmask_b32_e64 v10, 0, 1, s14
	s_and_b32 s14, s11, s19
	v_cmp_eq_u64_e64 s23, 2, v[41:42]
	v_cmp_eq_u64_e64 s27, 3, v[41:42]
	v_cndmask_b32_e64 v14, 0, 1, s14
	;; [unrolled: 4-line block ×4, first 2 shown]
	s_and_b32 s14, s10, s22
	s_and_b32 s10, s10, s26
	v_cndmask_b32_e64 v25, 0, 1, s14
	s_and_b32 s14, s11, s23
	v_cndmask_b32_e64 v43, 0, 1, s10
	;; [unrolled: 2-line block ×7, first 2 shown]
	v_cndmask_b32_e64 v46, 0, 1, s10
	v_cmp_ne_u32_e64 s10, 0, v4
	v_cmp_ne_u32_e64 s14, 0, v10
	;; [unrolled: 1-line block ×12, first 2 shown]
	s_bcnt1_i32_b32 s10, s10
	s_bcnt1_i32_b32 s14, s14
	;; [unrolled: 1-line block ×4, first 2 shown]
	v_cmp_ne_u32_e64 s13, 0, v9
	v_cmp_ne_u32_e64 s17, 0, v24
	;; [unrolled: 1-line block ×4, first 2 shown]
	s_bcnt1_i32_b32 s11, s11
	s_bcnt1_i32_b32 s15, s15
	s_bcnt1_i32_b32 s19, s19
	s_bcnt1_i32_b32 s23, s23
	s_add_i32 s10, s10, s84
	s_add_i32 s14, s14, s83
	s_add_i32 s18, s18, s82
	s_add_i32 s22, s22, s81
	s_bcnt1_i32_b32 s12, s12
	s_bcnt1_i32_b32 s16, s16
	s_bcnt1_i32_b32 s20, s20
	s_bcnt1_i32_b32 s24, s24
	s_add_i32 s10, s10, s11
	s_add_i32 s11, s14, s15
	s_add_i32 s14, s18, s19
	s_add_i32 s15, s22, s23
	;; [unrolled: 8-line block ×3, first 2 shown]
	s_add_i32 s84, s10, s13
	s_add_i32 s83, s11, s17
	;; [unrolled: 1-line block ×4, first 2 shown]
	v_mov_b32_e32 v7, s84
	v_mov_b32_e32 v8, s83
	;; [unrolled: 1-line block ×4, first 2 shown]
	s_or_b32 s80, vcc_lo, s80
	s_andn2_b32 exec_lo, exec_lo, s80
	s_cbranch_execnz .LBB69_56
; %bb.57:                               ;   in Loop: Header=BB69_6 Depth=1
	s_or_b32 exec_lo, exec_lo, s80
.LBB69_58:                              ;   in Loop: Header=BB69_6 Depth=1
	s_or_b32 exec_lo, exec_lo, s79
	v_add_nc_u32_e32 v1, s78, v0
	s_mov_b32 s15, exec_lo
	v_cmpx_gt_u32_e64 s77, v1
	s_cbranch_execz .LBB69_62
; %bb.59:                               ;   in Loop: Header=BB69_6 Depth=1
	v_lshlrev_b32_e32 v3, 3, v1
	s_mov_b32 s16, 0
.LBB69_60:                              ;   Parent Loop BB69_6 Depth=1
                                        ; =>  This Inner Loop Header: Depth=2
	ds_read_b64 v[23:24], v3
	v_add_nc_u32_e32 v1, s42, v1
	v_add_nc_u32_e32 v3, s64, v3
	v_cmp_le_u32_e64 s10, s77, v1
	s_waitcnt lgkmcnt(0)
	v_cmp_o_f64_e32 vcc_lo, v[23:24], v[23:24]
	v_ashrrev_i32_e32 v4, 31, v24
	v_or_b32_e32 v14, 0x80000000, v4
	v_xor_b32_e32 v4, v4, v23
	v_xor_b32_e32 v14, v14, v24
	v_cndmask_b32_e32 v24, -1, v14, vcc_lo
	v_cndmask_b32_e32 v23, -1, v4, vcc_lo
	v_and_b32_e32 v26, v24, v22
	v_and_b32_e32 v25, v23, v21
	v_lshrrev_b64 v[23:24], s70, v[23:24]
	v_cmp_eq_u64_e32 vcc_lo, v[25:26], v[16:17]
	v_and_b32_e32 v14, 3, v23
	v_cmp_eq_u64_e64 s11, 0, v[14:15]
	v_cmp_eq_u64_e64 s12, 1, v[14:15]
	;; [unrolled: 1-line block ×4, first 2 shown]
	s_and_b32 s11, vcc_lo, s11
	v_cndmask_b32_e64 v4, 0, 1, s11
	s_and_b32 s11, vcc_lo, s12
	v_cndmask_b32_e64 v14, 0, 1, s11
	;; [unrolled: 2-line block ×3, first 2 shown]
	s_and_b32 s11, vcc_lo, s14
	v_cmp_ne_u32_e32 vcc_lo, 0, v4
	v_cndmask_b32_e64 v24, 0, 1, s11
	v_cmp_ne_u32_e64 s11, 0, v14
	v_cmp_ne_u32_e64 s12, 0, v23
	s_bcnt1_i32_b32 s14, vcc_lo
	v_cmp_ne_u32_e64 s13, 0, v24
	s_bcnt1_i32_b32 s11, s11
	s_bcnt1_i32_b32 s12, s12
	v_add_nc_u32_e32 v7, s14, v7
	v_add_nc_u32_e32 v8, s11, v8
	s_bcnt1_i32_b32 s13, s13
	v_add_nc_u32_e32 v9, s12, v9
	v_add_nc_u32_e32 v10, s13, v10
	s_or_b32 s16, s10, s16
	s_andn2_b32 exec_lo, exec_lo, s16
	s_cbranch_execnz .LBB69_60
; %bb.61:                               ;   in Loop: Header=BB69_6 Depth=1
	s_or_b32 exec_lo, exec_lo, s16
.LBB69_62:                              ;   in Loop: Header=BB69_6 Depth=1
	s_or_b32 exec_lo, exec_lo, s15
	s_lshl_b32 s10, s66, 7
	s_and_saveexec_b32 s11, s0
	s_cbranch_execnz .LBB69_36
	s_branch .LBB69_37
.LBB69_63:                              ;   in Loop: Header=BB69_6 Depth=1
	v_mov_b32_e32 v1, 0
	s_mov_b32 s12, 0
	s_andn2_b32 vcc_lo, exec_lo, s57
	s_cbranch_vccnz .LBB69_66
.LBB69_64:                              ;   in Loop: Header=BB69_6 Depth=1
	s_lshl_b32 s13, s66, 9
	s_lshl_b32 s12, s12, 4
	v_add3_u32 v3, s13, s12, v39
	s_mov_b32 s12, s55
.LBB69_65:                              ;   Parent Loop BB69_6 Depth=1
                                        ; =>  This Inner Loop Header: Depth=2
	ds_read_b32 v4, v3
	v_add_nc_u32_e32 v3, 16, v3
	s_add_i32 s12, s12, -1
	s_cmp_lg_u32 s12, 0
	s_waitcnt lgkmcnt(0)
	v_add_nc_u32_e32 v1, v4, v1
	s_cbranch_scc1 .LBB69_65
.LBB69_66:                              ;   in Loop: Header=BB69_6 Depth=1
	v_add_lshl_u32 v3, s10, v28, 2
	ds_write_b32 v3, v1 offset:3072
.LBB69_67:                              ;   in Loop: Header=BB69_6 Depth=1
	s_or_b32 exec_lo, exec_lo, s11
	s_lshl_b32 s10, s10, 2
	s_waitcnt lgkmcnt(0)
	v_mov_b32_e32 v1, s10
	s_barrier
	buffer_gl0_inv
	v_cmp_eq_u32_e64 s10, 1, v40
	s_lshl_b64 s[12:13], 3, s70
	ds_read_b128 v[7:10], v1 offset:3072
	s_mov_b32 s24, -1
	s_not_b64 s[14:15], s[12:13]
	s_mov_b32 s16, 0
	s_andn2_b32 vcc_lo, exec_lo, s48
	s_mov_b32 s21, 0
	s_mov_b32 s11, 0
                                        ; implicit-def: $sgpr22
                                        ; implicit-def: $sgpr23
                                        ; implicit-def: $vgpr42
                                        ; implicit-def: $vgpr41
                                        ; implicit-def: $vgpr25_vgpr26
                                        ; implicit-def: $vgpr23_vgpr24
	s_waitcnt lgkmcnt(0)
	v_readfirstlane_b32 s17, v7
	v_readfirstlane_b32 s18, v8
	;; [unrolled: 1-line block ×4, first 2 shown]
                                        ; implicit-def: $vgpr9_vgpr10
	s_cbranch_vccnz .LBB69_236
; %bb.68:                               ;   in Loop: Header=BB69_6 Depth=1
	s_cmp_eq_u32 s17, 1
	v_mov_b32_e32 v26, v17
	v_mov_b32_e32 v24, v22
	;; [unrolled: 1-line block ×6, first 2 shown]
	s_cselect_b32 s11, -1, 0
	s_mov_b32 s27, -1
	s_and_b32 s26, s11, s10
                                        ; implicit-def: $sgpr23
                                        ; implicit-def: $sgpr22
	s_and_saveexec_b32 s11, s26
	s_cbranch_execz .LBB69_99
; %bb.69:                               ;   in Loop: Header=BB69_6 Depth=1
	ds_read_b32 v1, v15 offset:4096
	s_waitcnt lgkmcnt(0)
	s_barrier
	buffer_gl0_inv
	v_readfirstlane_b32 s24, v1
	s_and_saveexec_b32 s21, s6
; %bb.70:                               ;   in Loop: Header=BB69_6 Depth=1
	v_mov_b32_e32 v14, v15
	ds_write_b64 v32, v[14:15]
; %bb.71:                               ;   in Loop: Header=BB69_6 Depth=1
	s_or_b32 exec_lo, exec_lo, s21
	v_and_b32_e32 v26, s15, v17
	v_and_b32_e32 v25, s14, v16
	v_or_b32_e32 v24, s13, v22
	v_or_b32_e32 v23, s12, v21
	s_mov_b32 s22, -1
	s_mov_b32 s23, 0
	s_cmp_eq_u32 s24, 0
	s_mov_b32 s21, 0
	s_mov_b32 s25, -1
	s_waitcnt lgkmcnt(0)
	s_barrier
	buffer_gl0_inv
                                        ; implicit-def: $vgpr9_vgpr10
	s_cbranch_scc1 .LBB69_86
; %bb.72:                               ;   in Loop: Header=BB69_6 Depth=1
	s_add_i32 s21, s24, s54
                                        ; implicit-def: $vgpr9_vgpr10
	s_mul_hi_u32 s25, s21, s60
	s_mul_i32 s25, s25, s42
	s_sub_i32 s25, s21, s25
	s_sub_i32 s27, s25, s42
	s_cmp_ge_u32 s25, s42
	s_cselect_b32 s25, s27, s25
	s_sub_i32 s27, s25, s42
	s_cmp_ge_u32 s25, s42
	s_cselect_b32 s25, s27, s25
	s_mov_b32 s27, exec_lo
	s_sub_i32 s28, s21, s25
	s_mov_b32 s25, 0
	s_mov_b32 s21, 0
	v_cmpx_gt_u32_e64 s28, v0
	s_cbranch_execz .LBB69_85
; %bb.73:                               ;   in Loop: Header=BB69_6 Depth=1
	v_mov_b32_e32 v14, v30
	v_mov_b32_e32 v41, v0
                                        ; implicit-def: $sgpr29
	s_inst_prefetch 0x1
	s_branch .LBB69_77
	.p2align	6
.LBB69_74:                              ;   in Loop: Header=BB69_77 Depth=2
	s_or_b32 exec_lo, exec_lo, s77
	s_waitcnt lgkmcnt(0)
	s_barrier
	buffer_gl0_inv
	ds_read_b128 v[7:10], v15 offset:3072
	s_waitcnt lgkmcnt(0)
	s_barrier
	buffer_gl0_inv
	v_cmp_neq_f64_e32 vcc_lo, 0, v[7:8]
	s_cbranch_vccnz .LBB69_80
; %bb.75:                               ;   in Loop: Header=BB69_77 Depth=2
	v_add_nc_u32_e32 v41, s42, v41
	v_add_nc_u32_e32 v14, s64, v14
	s_mov_b32 s77, 0
	v_cmp_le_u32_e32 vcc_lo, s28, v41
	s_orn2_b32 s78, vcc_lo, exec_lo
.LBB69_76:                              ;   in Loop: Header=BB69_77 Depth=2
	s_and_b32 s78, exec_lo, s78
	s_or_b32 s21, s78, s21
	s_andn2_b32 s29, s29, exec_lo
	s_and_b32 s77, s77, exec_lo
	s_or_b32 s29, s29, s77
	s_andn2_b32 exec_lo, exec_lo, s21
	s_cbranch_execz .LBB69_84
.LBB69_77:                              ;   Parent Loop BB69_6 Depth=1
                                        ; =>  This Inner Loop Header: Depth=2
	s_mov_b32 s77, exec_lo
	v_cmpx_gt_u32_e64 s24, v41
	s_cbranch_execz .LBB69_74
; %bb.78:                               ;   in Loop: Header=BB69_77 Depth=2
	ds_read_b64 v[3:4], v14
	s_waitcnt lgkmcnt(0)
	v_cmp_o_f64_e32 vcc_lo, v[3:4], v[3:4]
	v_ashrrev_i32_e32 v1, 31, v4
	v_or_b32_e32 v7, 0x80000000, v1
	v_xor_b32_e32 v1, v1, v3
	v_xor_b32_e32 v7, v7, v4
	v_cndmask_b32_e32 v7, -1, v7, vcc_lo
	v_cndmask_b32_e32 v1, -1, v1, vcc_lo
	v_and_b32_e32 v8, v7, v24
	v_and_b32_e32 v7, v1, v23
	v_cmp_eq_u64_e32 vcc_lo, v[7:8], v[25:26]
	s_and_b32 exec_lo, exec_lo, vcc_lo
	s_cbranch_execz .LBB69_74
; %bb.79:                               ;   in Loop: Header=BB69_77 Depth=2
	v_mov_b32_e32 v1, v15
	ds_write_b128 v15, v[1:4] offset:3072
	s_branch .LBB69_74
.LBB69_80:                              ;   in Loop: Header=BB69_77 Depth=2
	s_mov_b32 s78, -1
	s_mov_b32 s77, -1
                                        ; implicit-def: $vgpr41
                                        ; implicit-def: $vgpr14
	s_branch .LBB69_76
.LBB69_81:                              ;   in Loop: Header=BB69_6 Depth=1
	s_or_b32 exec_lo, exec_lo, s13
	s_waitcnt lgkmcnt(0)
	s_barrier
	buffer_gl0_inv
	s_and_saveexec_b32 s10, s3
	s_cbranch_execz .LBB69_83
; %bb.82:                               ;   in Loop: Header=BB69_6 Depth=1
	ds_read_b32 v1, v15 offset:4104
	s_waitcnt lgkmcnt(0)
	ds_write_b32 v15, v1 offset:4096
.LBB69_83:                              ;   in Loop: Header=BB69_6 Depth=1
	s_or_b32 exec_lo, exec_lo, s10
	s_waitcnt lgkmcnt(0)
	s_mov_b32 s10, -1
	s_barrier
	s_and_b32 vcc_lo, exec_lo, s12
	s_cbranch_vccnz .LBB69_22
	s_branch .LBB69_31
.LBB69_84:                              ;   in Loop: Header=BB69_6 Depth=1
	s_inst_prefetch 0x2
	s_or_b32 exec_lo, exec_lo, s21
	s_and_b32 s21, s29, exec_lo
.LBB69_85:                              ;   in Loop: Header=BB69_6 Depth=1
	s_or_b32 exec_lo, exec_lo, s27
.LBB69_86:                              ;   in Loop: Header=BB69_6 Depth=1
	s_and_b32 vcc_lo, exec_lo, s25
	s_cbranch_vccz .LBB69_98
; %bb.87:                               ;   in Loop: Header=BB69_6 Depth=1
                                        ; implicit-def: $vgpr9_vgpr10
	s_and_saveexec_b32 s22, s9
	s_cbranch_execz .LBB69_97
; %bb.88:                               ;   in Loop: Header=BB69_6 Depth=1
	v_mov_b32_e32 v14, v13
	v_mov_b32_e32 v41, v0
	s_mov_b32 s24, 0
                                        ; implicit-def: $sgpr23
	s_branch .LBB69_92
.LBB69_89:                              ;   in Loop: Header=BB69_92 Depth=2
	s_or_b32 exec_lo, exec_lo, s25
	s_waitcnt lgkmcnt(0)
	s_barrier
	buffer_gl0_inv
	ds_read_b128 v[7:10], v15 offset:3072
	s_waitcnt lgkmcnt(0)
	s_barrier
	buffer_gl0_inv
	v_cmp_neq_f64_e32 vcc_lo, 0, v[7:8]
	s_cbranch_vccnz .LBB69_95
; %bb.90:                               ;   in Loop: Header=BB69_92 Depth=2
	v_add_nc_u32_e32 v41, s42, v41
	v_add_nc_u32_e32 v14, s44, v14
	s_mov_b32 s25, 0
	v_cmp_le_u32_e32 vcc_lo, s61, v41
	s_orn2_b32 s27, vcc_lo, exec_lo
.LBB69_91:                              ;   in Loop: Header=BB69_92 Depth=2
	s_and_b32 s27, exec_lo, s27
	s_or_b32 s24, s27, s24
	s_andn2_b32 s23, s23, exec_lo
	s_and_b32 s25, s25, exec_lo
	s_or_b32 s23, s23, s25
	s_andn2_b32 exec_lo, exec_lo, s24
	s_cbranch_execz .LBB69_96
.LBB69_92:                              ;   Parent Loop BB69_6 Depth=1
                                        ; =>  This Inner Loop Header: Depth=2
	s_mov_b32 s25, exec_lo
	v_cmpx_gt_u32_e64 s36, v41
	s_cbranch_execz .LBB69_89
; %bb.93:                               ;   in Loop: Header=BB69_92 Depth=2
	v_lshlrev_b64 v[3:4], 3, v[14:15]
	v_add_co_u32 v3, vcc_lo, s31, v3
	v_add_co_ci_u32_e64 v4, null, s33, v4, vcc_lo
	global_load_dwordx2 v[3:4], v[3:4], off
	s_waitcnt vmcnt(0)
	v_cmp_o_f64_e32 vcc_lo, v[3:4], v[3:4]
	v_ashrrev_i32_e32 v1, 31, v4
	v_or_b32_e32 v7, 0x80000000, v1
	v_xor_b32_e32 v1, v1, v3
	v_xor_b32_e32 v7, v7, v4
	v_cndmask_b32_e32 v7, -1, v7, vcc_lo
	v_cndmask_b32_e32 v1, -1, v1, vcc_lo
	v_and_b32_e32 v8, v7, v24
	v_and_b32_e32 v7, v1, v23
	v_cmp_eq_u64_e32 vcc_lo, v[7:8], v[25:26]
	s_and_b32 exec_lo, exec_lo, vcc_lo
	s_cbranch_execz .LBB69_89
; %bb.94:                               ;   in Loop: Header=BB69_92 Depth=2
	v_mov_b32_e32 v1, v15
	ds_write_b128 v15, v[1:4] offset:3072
	s_branch .LBB69_89
.LBB69_95:                              ;   in Loop: Header=BB69_92 Depth=2
	s_mov_b32 s27, -1
	s_mov_b32 s25, -1
                                        ; implicit-def: $vgpr41
	s_branch .LBB69_91
.LBB69_96:                              ;   in Loop: Header=BB69_6 Depth=1
	s_or_b32 exec_lo, exec_lo, s24
	s_andn2_b32 s21, s21, exec_lo
	s_and_b32 s23, s23, exec_lo
	s_or_b32 s21, s21, s23
.LBB69_97:                              ;   in Loop: Header=BB69_6 Depth=1
	s_or_b32 exec_lo, exec_lo, s22
	s_mov_b32 s22, 0
	s_mov_b32 s23, -1
.LBB69_98:                              ;   in Loop: Header=BB69_6 Depth=1
	s_orn2_b32 s27, s21, exec_lo
.LBB69_99:                              ;   in Loop: Header=BB69_6 Depth=1
	s_or_b32 exec_lo, exec_lo, s11
	s_mov_b32 s24, 0
	s_mov_b32 s21, 0
	;; [unrolled: 1-line block ×3, first 2 shown]
                                        ; implicit-def: $vgpr42
                                        ; implicit-def: $vgpr41
	s_and_saveexec_b32 s25, s27
	s_cbranch_execz .LBB69_235
; %bb.100:                              ;   in Loop: Header=BB69_6 Depth=1
	v_mov_b32_e32 v42, 1
	v_mov_b32_e32 v41, 1
	s_xor_b32 s21, s26, -1
	s_mov_b32 s28, 0
	s_and_saveexec_b32 s11, s21
	s_cbranch_execz .LBB69_109
; %bb.101:                              ;   in Loop: Header=BB69_6 Depth=1
	s_mov_b32 s21, exec_lo
	v_cmpx_ge_u32_e64 s17, v40
	s_xor_b32 s21, exec_lo, s21
	s_cbranch_execz .LBB69_106
; %bb.102:                              ;   in Loop: Header=BB69_6 Depth=1
	ds_read_b32 v1, v15 offset:4096
	v_and_b32_e32 v26, s15, v26
	v_and_b32_e32 v25, s14, v25
	v_or_b32_e32 v24, s13, v24
	v_or_b32_e32 v23, s12, v23
	s_waitcnt lgkmcnt(0)
	v_cmp_ne_u32_e32 vcc_lo, 0, v1
	s_cbranch_vccnz .LBB69_106
; %bb.103:                              ;   in Loop: Header=BB69_6 Depth=1
	s_and_saveexec_b32 s26, s3
; %bb.104:                              ;   in Loop: Header=BB69_6 Depth=1
	v_mov_b32_e32 v1, s17
	ds_write_b32 v15, v1 offset:4100
; %bb.105:                              ;   in Loop: Header=BB69_6 Depth=1
	s_or_b32 exec_lo, exec_lo, s26
	s_waitcnt lgkmcnt(0)
	s_barrier
	buffer_gl0_inv
.LBB69_106:                             ;   in Loop: Header=BB69_6 Depth=1
	s_or_saveexec_b32 s21, s21
	v_mov_b32_e32 v41, 8
	v_mov_b32_e32 v42, v40
	s_mov_b32 s26, 0
	s_xor_b32 exec_lo, exec_lo, s21
; %bb.107:                              ;   in Loop: Header=BB69_6 Depth=1
	v_subrev_nc_u32_e32 v42, s17, v40
	v_mov_b32_e32 v41, 0
	s_mov_b32 s26, exec_lo
; %bb.108:                              ;   in Loop: Header=BB69_6 Depth=1
	s_or_b32 exec_lo, exec_lo, s21
	s_and_b32 s28, s26, exec_lo
.LBB69_109:                             ;   in Loop: Header=BB69_6 Depth=1
	s_or_b32 exec_lo, exec_lo, s11
	s_mov_b32 s27, -1
                                        ; implicit-def: $sgpr21
                                        ; implicit-def: $sgpr26
	s_and_saveexec_b32 s11, s28
	s_xor_b32 s11, exec_lo, s11
	s_cbranch_execz .LBB69_232
; %bb.110:                              ;   in Loop: Header=BB69_6 Depth=1
	v_cmp_eq_u32_e32 vcc_lo, 1, v42
	s_cmp_eq_u32 s18, 1
	s_mov_b32 s29, -1
	s_cselect_b32 s21, -1, 0
                                        ; implicit-def: $sgpr26
	s_and_b32 s28, s21, vcc_lo
                                        ; implicit-def: $sgpr21
	s_and_saveexec_b32 s27, s28
	s_cbranch_execz .LBB69_138
; %bb.111:                              ;   in Loop: Header=BB69_6 Depth=1
	ds_read_b32 v1, v15 offset:4096
	s_waitcnt lgkmcnt(0)
	s_barrier
	buffer_gl0_inv
	v_readfirstlane_b32 s77, v1
	s_and_saveexec_b32 s21, s6
; %bb.112:                              ;   in Loop: Header=BB69_6 Depth=1
	v_mov_b32_e32 v14, v15
	ds_write_b64 v32, v[14:15]
; %bb.113:                              ;   in Loop: Header=BB69_6 Depth=1
	s_or_b32 exec_lo, exec_lo, s21
	v_and_b32_e32 v1, s15, v26
	v_and_b32_e32 v3, s14, v25
	s_lshl_b64 s[78:79], 1, s70
	v_or_b32_e32 v24, s13, v24
	v_or_b32_e32 v23, s12, v23
	;; [unrolled: 1-line block ×4, first 2 shown]
	s_mov_b32 s21, -1
	s_mov_b32 s26, 0
	s_cmp_eq_u32 s77, 0
	s_mov_b32 s29, 0
	s_mov_b32 s78, -1
	s_waitcnt lgkmcnt(0)
	s_barrier
	buffer_gl0_inv
                                        ; implicit-def: $vgpr9_vgpr10
	s_cbranch_scc1 .LBB69_125
; %bb.114:                              ;   in Loop: Header=BB69_6 Depth=1
	s_add_i32 s29, s77, s54
                                        ; implicit-def: $vgpr9_vgpr10
	s_mul_hi_u32 s78, s29, s60
	s_mul_i32 s78, s78, s42
	s_sub_i32 s78, s29, s78
	s_sub_i32 s79, s78, s42
	s_cmp_ge_u32 s78, s42
	s_cselect_b32 s78, s79, s78
	s_sub_i32 s79, s78, s42
	s_cmp_ge_u32 s78, s42
	s_cselect_b32 s78, s79, s78
	s_mov_b32 s79, exec_lo
	s_sub_i32 s80, s29, s78
	s_mov_b32 s78, 0
	s_mov_b32 s29, 0
	v_cmpx_gt_u32_e64 s80, v0
	s_cbranch_execz .LBB69_124
; %bb.115:                              ;   in Loop: Header=BB69_6 Depth=1
	v_mov_b32_e32 v14, v30
	v_mov_b32_e32 v43, v0
                                        ; implicit-def: $sgpr81
	s_inst_prefetch 0x1
	s_branch .LBB69_119
	.p2align	6
.LBB69_116:                             ;   in Loop: Header=BB69_119 Depth=2
	s_or_b32 exec_lo, exec_lo, s82
	s_waitcnt lgkmcnt(0)
	s_barrier
	buffer_gl0_inv
	ds_read_b128 v[7:10], v15 offset:3072
	s_waitcnt lgkmcnt(0)
	s_barrier
	buffer_gl0_inv
	v_cmp_neq_f64_e32 vcc_lo, 0, v[7:8]
	s_cbranch_vccnz .LBB69_122
; %bb.117:                              ;   in Loop: Header=BB69_119 Depth=2
	v_add_nc_u32_e32 v43, s42, v43
	v_add_nc_u32_e32 v14, s64, v14
	s_mov_b32 s82, 0
	v_cmp_le_u32_e32 vcc_lo, s80, v43
	s_orn2_b32 s83, vcc_lo, exec_lo
.LBB69_118:                             ;   in Loop: Header=BB69_119 Depth=2
	s_and_b32 s83, exec_lo, s83
	s_or_b32 s29, s83, s29
	s_andn2_b32 s81, s81, exec_lo
	s_and_b32 s82, s82, exec_lo
	s_or_b32 s81, s81, s82
	s_andn2_b32 exec_lo, exec_lo, s29
	s_cbranch_execz .LBB69_123
.LBB69_119:                             ;   Parent Loop BB69_6 Depth=1
                                        ; =>  This Inner Loop Header: Depth=2
	s_mov_b32 s82, exec_lo
	v_cmpx_gt_u32_e64 s77, v43
	s_cbranch_execz .LBB69_116
; %bb.120:                              ;   in Loop: Header=BB69_119 Depth=2
	ds_read_b64 v[3:4], v14
	s_waitcnt lgkmcnt(0)
	v_cmp_o_f64_e32 vcc_lo, v[3:4], v[3:4]
	v_ashrrev_i32_e32 v1, 31, v4
	v_or_b32_e32 v7, 0x80000000, v1
	v_xor_b32_e32 v1, v1, v3
	v_xor_b32_e32 v7, v7, v4
	v_cndmask_b32_e32 v7, -1, v7, vcc_lo
	v_cndmask_b32_e32 v1, -1, v1, vcc_lo
	v_and_b32_e32 v8, v7, v24
	v_and_b32_e32 v7, v1, v23
	v_cmp_eq_u64_e32 vcc_lo, v[7:8], v[25:26]
	s_and_b32 exec_lo, exec_lo, vcc_lo
	s_cbranch_execz .LBB69_116
; %bb.121:                              ;   in Loop: Header=BB69_119 Depth=2
	v_mov_b32_e32 v1, v15
	ds_write_b128 v15, v[1:4] offset:3072
	s_branch .LBB69_116
.LBB69_122:                             ;   in Loop: Header=BB69_119 Depth=2
	s_mov_b32 s83, -1
	s_mov_b32 s82, -1
                                        ; implicit-def: $vgpr43
                                        ; implicit-def: $vgpr14
	s_branch .LBB69_118
.LBB69_123:                             ;   in Loop: Header=BB69_6 Depth=1
	s_inst_prefetch 0x2
	s_or_b32 exec_lo, exec_lo, s29
	s_and_b32 s29, s81, exec_lo
.LBB69_124:                             ;   in Loop: Header=BB69_6 Depth=1
	s_or_b32 exec_lo, exec_lo, s79
.LBB69_125:                             ;   in Loop: Header=BB69_6 Depth=1
	s_and_b32 vcc_lo, exec_lo, s78
	s_cbranch_vccz .LBB69_137
; %bb.126:                              ;   in Loop: Header=BB69_6 Depth=1
                                        ; implicit-def: $vgpr9_vgpr10
	s_and_saveexec_b32 s21, s9
	s_cbranch_execz .LBB69_136
; %bb.127:                              ;   in Loop: Header=BB69_6 Depth=1
	v_mov_b32_e32 v14, v13
	v_mov_b32_e32 v43, v0
	s_mov_b32 s26, 0
                                        ; implicit-def: $sgpr77
	s_branch .LBB69_131
.LBB69_128:                             ;   in Loop: Header=BB69_131 Depth=2
	s_or_b32 exec_lo, exec_lo, s78
	s_waitcnt lgkmcnt(0)
	s_barrier
	buffer_gl0_inv
	ds_read_b128 v[7:10], v15 offset:3072
	s_waitcnt lgkmcnt(0)
	s_barrier
	buffer_gl0_inv
	v_cmp_eq_f64_e32 vcc_lo, 0, v[7:8]
	s_cbranch_vccz .LBB69_134
; %bb.129:                              ;   in Loop: Header=BB69_131 Depth=2
	v_add_nc_u32_e32 v43, s42, v43
	v_add_nc_u32_e32 v14, s44, v14
	s_mov_b32 s78, 0
	v_cmp_le_u32_e32 vcc_lo, s61, v43
	s_orn2_b32 s79, vcc_lo, exec_lo
.LBB69_130:                             ;   in Loop: Header=BB69_131 Depth=2
	s_and_b32 s79, exec_lo, s79
	s_or_b32 s26, s79, s26
	s_andn2_b32 s77, s77, exec_lo
	s_and_b32 s78, s78, exec_lo
	s_or_b32 s77, s77, s78
	s_andn2_b32 exec_lo, exec_lo, s26
	s_cbranch_execz .LBB69_135
.LBB69_131:                             ;   Parent Loop BB69_6 Depth=1
                                        ; =>  This Inner Loop Header: Depth=2
	s_mov_b32 s78, exec_lo
	v_cmpx_gt_u32_e64 s36, v43
	s_cbranch_execz .LBB69_128
; %bb.132:                              ;   in Loop: Header=BB69_131 Depth=2
	v_lshlrev_b64 v[3:4], 3, v[14:15]
	v_add_co_u32 v3, vcc_lo, s31, v3
	v_add_co_ci_u32_e64 v4, null, s33, v4, vcc_lo
	global_load_dwordx2 v[3:4], v[3:4], off
	s_waitcnt vmcnt(0)
	v_cmp_o_f64_e32 vcc_lo, v[3:4], v[3:4]
	v_ashrrev_i32_e32 v1, 31, v4
	v_or_b32_e32 v7, 0x80000000, v1
	v_xor_b32_e32 v1, v1, v3
	v_xor_b32_e32 v7, v7, v4
	v_cndmask_b32_e32 v7, -1, v7, vcc_lo
	v_cndmask_b32_e32 v1, -1, v1, vcc_lo
	v_and_b32_e32 v8, v7, v24
	v_and_b32_e32 v7, v1, v23
	v_cmp_eq_u64_e32 vcc_lo, v[7:8], v[25:26]
	s_and_b32 exec_lo, exec_lo, vcc_lo
	s_cbranch_execz .LBB69_128
; %bb.133:                              ;   in Loop: Header=BB69_131 Depth=2
	v_mov_b32_e32 v1, v15
	ds_write_b128 v15, v[1:4] offset:3072
	s_branch .LBB69_128
.LBB69_134:                             ;   in Loop: Header=BB69_131 Depth=2
	s_mov_b32 s79, -1
	s_mov_b32 s78, -1
                                        ; implicit-def: $vgpr43
	s_branch .LBB69_130
.LBB69_135:                             ;   in Loop: Header=BB69_6 Depth=1
	s_or_b32 exec_lo, exec_lo, s26
	s_andn2_b32 s26, s29, exec_lo
	s_and_b32 s29, s77, exec_lo
	s_or_b32 s29, s26, s29
.LBB69_136:                             ;   in Loop: Header=BB69_6 Depth=1
	s_or_b32 exec_lo, exec_lo, s21
	s_mov_b32 s21, 0
	s_mov_b32 s26, -1
.LBB69_137:                             ;   in Loop: Header=BB69_6 Depth=1
	s_orn2_b32 s29, s29, exec_lo
.LBB69_138:                             ;   in Loop: Header=BB69_6 Depth=1
	s_or_b32 exec_lo, exec_lo, s27
	s_mov_b32 s77, 0
	s_and_saveexec_b32 s27, s29
	s_cbranch_execz .LBB69_231
; %bb.139:                              ;   in Loop: Header=BB69_6 Depth=1
	v_mov_b32_e32 v43, 1
	v_mov_b32_e32 v41, 1
	s_xor_b32 s29, s28, -1
	s_mov_b32 s79, 0
	s_and_saveexec_b32 s28, s29
	s_cbranch_execz .LBB69_148
; %bb.140:                              ;   in Loop: Header=BB69_6 Depth=1
	s_mov_b32 s29, exec_lo
	v_cmpx_ge_u32_e64 s18, v42
	s_xor_b32 s29, exec_lo, s29
	s_cbranch_execz .LBB69_145
; %bb.141:                              ;   in Loop: Header=BB69_6 Depth=1
	ds_read_b32 v1, v15 offset:4096
	v_and_b32_e32 v3, s15, v26
	v_and_b32_e32 v4, s14, v25
	s_lshl_b64 s[78:79], 1, s70
	v_or_b32_e32 v24, s13, v24
	v_or_b32_e32 v23, s12, v23
	;; [unrolled: 1-line block ×4, first 2 shown]
	s_waitcnt lgkmcnt(0)
	v_cmp_ne_u32_e32 vcc_lo, 0, v1
	s_cbranch_vccnz .LBB69_145
; %bb.142:                              ;   in Loop: Header=BB69_6 Depth=1
	s_and_saveexec_b32 s77, s3
; %bb.143:                              ;   in Loop: Header=BB69_6 Depth=1
	v_mov_b32_e32 v1, s18
	ds_write_b32 v15, v1 offset:4100
; %bb.144:                              ;   in Loop: Header=BB69_6 Depth=1
	s_or_b32 exec_lo, exec_lo, s77
	s_waitcnt lgkmcnt(0)
	s_barrier
	buffer_gl0_inv
.LBB69_145:                             ;   in Loop: Header=BB69_6 Depth=1
	s_or_saveexec_b32 s29, s29
	v_mov_b32_e32 v41, 8
	s_mov_b32 s77, 0
	s_xor_b32 exec_lo, exec_lo, s29
; %bb.146:                              ;   in Loop: Header=BB69_6 Depth=1
	v_subrev_nc_u32_e32 v42, s18, v42
	v_mov_b32_e32 v41, 0
	s_mov_b32 s77, exec_lo
; %bb.147:                              ;   in Loop: Header=BB69_6 Depth=1
	s_or_b32 exec_lo, exec_lo, s29
	v_mov_b32_e32 v43, v42
	s_and_b32 s79, s77, exec_lo
.LBB69_148:                             ;   in Loop: Header=BB69_6 Depth=1
	s_or_b32 exec_lo, exec_lo, s28
	s_mov_b32 s78, -1
                                        ; implicit-def: $sgpr29
                                        ; implicit-def: $sgpr77
	s_and_saveexec_b32 s28, s79
	s_cbranch_execz .LBB69_230
; %bb.149:                              ;   in Loop: Header=BB69_6 Depth=1
	v_cmp_eq_u32_e32 vcc_lo, 1, v43
	s_cmp_eq_u32 s19, 1
	s_mov_b32 s80, -1
	s_cselect_b32 s29, -1, 0
                                        ; implicit-def: $sgpr77
	s_and_b32 s79, s29, vcc_lo
                                        ; implicit-def: $sgpr29
	s_and_saveexec_b32 s78, s79
	s_cbranch_execz .LBB69_177
; %bb.150:                              ;   in Loop: Header=BB69_6 Depth=1
	ds_read_b32 v1, v15 offset:4096
	s_waitcnt lgkmcnt(0)
	s_barrier
	buffer_gl0_inv
	v_readfirstlane_b32 s81, v1
	s_and_saveexec_b32 s29, s6
; %bb.151:                              ;   in Loop: Header=BB69_6 Depth=1
	v_mov_b32_e32 v14, v15
	ds_write_b64 v32, v[14:15]
; %bb.152:                              ;   in Loop: Header=BB69_6 Depth=1
	s_or_b32 exec_lo, exec_lo, s29
	v_and_b32_e32 v1, s15, v26
	v_and_b32_e32 v3, s14, v25
	s_lshl_b64 s[82:83], 2, s70
	v_or_b32_e32 v24, s13, v24
	v_or_b32_e32 v23, s12, v23
	;; [unrolled: 1-line block ×4, first 2 shown]
	s_mov_b32 s29, -1
	s_mov_b32 s77, 0
	s_cmp_eq_u32 s81, 0
	s_mov_b32 s80, 0
	s_mov_b32 s82, -1
	s_waitcnt lgkmcnt(0)
	s_barrier
	buffer_gl0_inv
                                        ; implicit-def: $vgpr9_vgpr10
	s_cbranch_scc1 .LBB69_164
; %bb.153:                              ;   in Loop: Header=BB69_6 Depth=1
	s_add_i32 s80, s81, s54
                                        ; implicit-def: $vgpr9_vgpr10
	s_mul_hi_u32 s82, s80, s60
	s_mul_i32 s82, s82, s42
	s_sub_i32 s82, s80, s82
	s_sub_i32 s83, s82, s42
	s_cmp_ge_u32 s82, s42
	s_cselect_b32 s82, s83, s82
	s_sub_i32 s83, s82, s42
	s_cmp_ge_u32 s82, s42
	s_cselect_b32 s82, s83, s82
	s_mov_b32 s83, exec_lo
	s_sub_i32 s84, s80, s82
	s_mov_b32 s82, 0
	s_mov_b32 s80, 0
	v_cmpx_gt_u32_e64 s84, v0
	s_cbranch_execz .LBB69_163
; %bb.154:                              ;   in Loop: Header=BB69_6 Depth=1
	v_mov_b32_e32 v14, v30
	v_mov_b32_e32 v42, v0
                                        ; implicit-def: $sgpr85
	s_inst_prefetch 0x1
	s_branch .LBB69_158
	.p2align	6
.LBB69_155:                             ;   in Loop: Header=BB69_158 Depth=2
	s_or_b32 exec_lo, exec_lo, s86
	s_waitcnt lgkmcnt(0)
	s_barrier
	buffer_gl0_inv
	ds_read_b128 v[7:10], v15 offset:3072
	s_waitcnt lgkmcnt(0)
	s_barrier
	buffer_gl0_inv
	v_cmp_neq_f64_e32 vcc_lo, 0, v[7:8]
	s_cbranch_vccnz .LBB69_161
; %bb.156:                              ;   in Loop: Header=BB69_158 Depth=2
	v_add_nc_u32_e32 v42, s42, v42
	v_add_nc_u32_e32 v14, s64, v14
	s_mov_b32 s86, 0
	v_cmp_le_u32_e32 vcc_lo, s84, v42
	s_orn2_b32 s87, vcc_lo, exec_lo
.LBB69_157:                             ;   in Loop: Header=BB69_158 Depth=2
	s_and_b32 s87, exec_lo, s87
	s_or_b32 s80, s87, s80
	s_andn2_b32 s85, s85, exec_lo
	s_and_b32 s86, s86, exec_lo
	s_or_b32 s85, s85, s86
	s_andn2_b32 exec_lo, exec_lo, s80
	s_cbranch_execz .LBB69_162
.LBB69_158:                             ;   Parent Loop BB69_6 Depth=1
                                        ; =>  This Inner Loop Header: Depth=2
	s_mov_b32 s86, exec_lo
	v_cmpx_gt_u32_e64 s81, v42
	s_cbranch_execz .LBB69_155
; %bb.159:                              ;   in Loop: Header=BB69_158 Depth=2
	ds_read_b64 v[3:4], v14
	s_waitcnt lgkmcnt(0)
	v_cmp_o_f64_e32 vcc_lo, v[3:4], v[3:4]
	v_ashrrev_i32_e32 v1, 31, v4
	v_or_b32_e32 v7, 0x80000000, v1
	v_xor_b32_e32 v1, v1, v3
	v_xor_b32_e32 v7, v7, v4
	v_cndmask_b32_e32 v7, -1, v7, vcc_lo
	v_cndmask_b32_e32 v1, -1, v1, vcc_lo
	v_and_b32_e32 v8, v7, v24
	v_and_b32_e32 v7, v1, v23
	v_cmp_eq_u64_e32 vcc_lo, v[7:8], v[25:26]
	s_and_b32 exec_lo, exec_lo, vcc_lo
	s_cbranch_execz .LBB69_155
; %bb.160:                              ;   in Loop: Header=BB69_158 Depth=2
	v_mov_b32_e32 v1, v15
	ds_write_b128 v15, v[1:4] offset:3072
	s_branch .LBB69_155
.LBB69_161:                             ;   in Loop: Header=BB69_158 Depth=2
	s_mov_b32 s87, -1
	s_mov_b32 s86, -1
                                        ; implicit-def: $vgpr42
                                        ; implicit-def: $vgpr14
	s_branch .LBB69_157
.LBB69_162:                             ;   in Loop: Header=BB69_6 Depth=1
	s_inst_prefetch 0x2
	s_or_b32 exec_lo, exec_lo, s80
	s_and_b32 s80, s85, exec_lo
.LBB69_163:                             ;   in Loop: Header=BB69_6 Depth=1
	s_or_b32 exec_lo, exec_lo, s83
.LBB69_164:                             ;   in Loop: Header=BB69_6 Depth=1
	s_and_b32 vcc_lo, exec_lo, s82
	s_cbranch_vccz .LBB69_176
; %bb.165:                              ;   in Loop: Header=BB69_6 Depth=1
                                        ; implicit-def: $vgpr9_vgpr10
	s_and_saveexec_b32 s29, s9
	s_cbranch_execz .LBB69_175
; %bb.166:                              ;   in Loop: Header=BB69_6 Depth=1
	v_mov_b32_e32 v14, v13
	v_mov_b32_e32 v42, v0
	s_mov_b32 s77, 0
                                        ; implicit-def: $sgpr81
	s_branch .LBB69_170
.LBB69_167:                             ;   in Loop: Header=BB69_170 Depth=2
	s_or_b32 exec_lo, exec_lo, s82
	s_waitcnt lgkmcnt(0)
	s_barrier
	buffer_gl0_inv
	ds_read_b128 v[7:10], v15 offset:3072
	s_waitcnt lgkmcnt(0)
	s_barrier
	buffer_gl0_inv
	v_cmp_eq_f64_e32 vcc_lo, 0, v[7:8]
	s_cbranch_vccz .LBB69_173
; %bb.168:                              ;   in Loop: Header=BB69_170 Depth=2
	v_add_nc_u32_e32 v42, s42, v42
	v_add_nc_u32_e32 v14, s44, v14
	s_mov_b32 s82, 0
	v_cmp_le_u32_e32 vcc_lo, s61, v42
	s_orn2_b32 s83, vcc_lo, exec_lo
.LBB69_169:                             ;   in Loop: Header=BB69_170 Depth=2
	s_and_b32 s83, exec_lo, s83
	s_or_b32 s77, s83, s77
	s_andn2_b32 s81, s81, exec_lo
	s_and_b32 s82, s82, exec_lo
	s_or_b32 s81, s81, s82
	s_andn2_b32 exec_lo, exec_lo, s77
	s_cbranch_execz .LBB69_174
.LBB69_170:                             ;   Parent Loop BB69_6 Depth=1
                                        ; =>  This Inner Loop Header: Depth=2
	s_mov_b32 s82, exec_lo
	v_cmpx_gt_u32_e64 s36, v42
	s_cbranch_execz .LBB69_167
; %bb.171:                              ;   in Loop: Header=BB69_170 Depth=2
	v_lshlrev_b64 v[3:4], 3, v[14:15]
	v_add_co_u32 v3, vcc_lo, s31, v3
	v_add_co_ci_u32_e64 v4, null, s33, v4, vcc_lo
	global_load_dwordx2 v[3:4], v[3:4], off
	s_waitcnt vmcnt(0)
	v_cmp_o_f64_e32 vcc_lo, v[3:4], v[3:4]
	v_ashrrev_i32_e32 v1, 31, v4
	v_or_b32_e32 v7, 0x80000000, v1
	v_xor_b32_e32 v1, v1, v3
	v_xor_b32_e32 v7, v7, v4
	v_cndmask_b32_e32 v7, -1, v7, vcc_lo
	v_cndmask_b32_e32 v1, -1, v1, vcc_lo
	v_and_b32_e32 v8, v7, v24
	v_and_b32_e32 v7, v1, v23
	v_cmp_eq_u64_e32 vcc_lo, v[7:8], v[25:26]
	s_and_b32 exec_lo, exec_lo, vcc_lo
	s_cbranch_execz .LBB69_167
; %bb.172:                              ;   in Loop: Header=BB69_170 Depth=2
	v_mov_b32_e32 v1, v15
	ds_write_b128 v15, v[1:4] offset:3072
	s_branch .LBB69_167
.LBB69_173:                             ;   in Loop: Header=BB69_170 Depth=2
	s_mov_b32 s83, -1
	s_mov_b32 s82, -1
                                        ; implicit-def: $vgpr42
	s_branch .LBB69_169
.LBB69_174:                             ;   in Loop: Header=BB69_6 Depth=1
	s_or_b32 exec_lo, exec_lo, s77
	s_andn2_b32 s77, s80, exec_lo
	s_and_b32 s80, s81, exec_lo
	s_or_b32 s80, s77, s80
.LBB69_175:                             ;   in Loop: Header=BB69_6 Depth=1
	s_or_b32 exec_lo, exec_lo, s29
	s_mov_b32 s29, 0
	s_mov_b32 s77, -1
.LBB69_176:                             ;   in Loop: Header=BB69_6 Depth=1
	s_orn2_b32 s80, s80, exec_lo
.LBB69_177:                             ;   in Loop: Header=BB69_6 Depth=1
	s_or_b32 exec_lo, exec_lo, s78
	s_mov_b32 s81, 0
	s_and_saveexec_b32 s78, s80
	s_cbranch_execz .LBB69_229
; %bb.178:                              ;   in Loop: Header=BB69_6 Depth=1
	v_mov_b32_e32 v42, 1
	v_mov_b32_e32 v41, 1
	s_xor_b32 s80, s79, -1
	s_mov_b32 s83, 0
	s_and_saveexec_b32 s79, s80
	s_cbranch_execz .LBB69_187
; %bb.179:                              ;   in Loop: Header=BB69_6 Depth=1
	s_mov_b32 s80, exec_lo
	v_cmpx_ge_u32_e64 s19, v43
	s_xor_b32 s80, exec_lo, s80
	s_cbranch_execz .LBB69_184
; %bb.180:                              ;   in Loop: Header=BB69_6 Depth=1
	ds_read_b32 v1, v15 offset:4096
	v_and_b32_e32 v3, s15, v26
	v_and_b32_e32 v4, s14, v25
	s_lshl_b64 s[82:83], 2, s70
	v_or_b32_e32 v24, s13, v24
	v_or_b32_e32 v23, s12, v23
	;; [unrolled: 1-line block ×4, first 2 shown]
	s_waitcnt lgkmcnt(0)
	v_cmp_ne_u32_e32 vcc_lo, 0, v1
	s_cbranch_vccnz .LBB69_184
; %bb.181:                              ;   in Loop: Header=BB69_6 Depth=1
	s_and_saveexec_b32 s81, s3
; %bb.182:                              ;   in Loop: Header=BB69_6 Depth=1
	v_mov_b32_e32 v1, s19
	ds_write_b32 v15, v1 offset:4100
; %bb.183:                              ;   in Loop: Header=BB69_6 Depth=1
	s_or_b32 exec_lo, exec_lo, s81
	s_waitcnt lgkmcnt(0)
	s_barrier
	buffer_gl0_inv
.LBB69_184:                             ;   in Loop: Header=BB69_6 Depth=1
	s_or_saveexec_b32 s80, s80
	v_mov_b32_e32 v41, 8
	s_mov_b32 s81, 0
	s_xor_b32 exec_lo, exec_lo, s80
; %bb.185:                              ;   in Loop: Header=BB69_6 Depth=1
	v_subrev_nc_u32_e32 v43, s19, v43
	v_mov_b32_e32 v41, 0
	s_mov_b32 s81, exec_lo
; %bb.186:                              ;   in Loop: Header=BB69_6 Depth=1
	s_or_b32 exec_lo, exec_lo, s80
	v_mov_b32_e32 v42, v43
	s_and_b32 s83, s81, exec_lo
.LBB69_187:                             ;   in Loop: Header=BB69_6 Depth=1
	s_or_b32 exec_lo, exec_lo, s79
	s_mov_b32 s80, -1
                                        ; implicit-def: $sgpr82
                                        ; implicit-def: $sgpr81
	s_and_saveexec_b32 s79, s83
	s_cbranch_execz .LBB69_228
; %bb.188:                              ;   in Loop: Header=BB69_6 Depth=1
	v_cmp_eq_u32_e32 vcc_lo, 1, v42
	s_cmp_eq_u32 s20, 1
	s_mov_b32 s84, -1
	s_cselect_b32 s80, -1, 0
                                        ; implicit-def: $sgpr82
                                        ; implicit-def: $sgpr81
	s_and_b32 s80, s80, vcc_lo
	s_and_saveexec_b32 s83, s80
	s_cbranch_execz .LBB69_216
; %bb.189:                              ;   in Loop: Header=BB69_6 Depth=1
	ds_read_b32 v1, v15 offset:4096
	s_waitcnt lgkmcnt(0)
	s_barrier
	buffer_gl0_inv
	v_readfirstlane_b32 s85, v1
	s_and_saveexec_b32 s81, s6
; %bb.190:                              ;   in Loop: Header=BB69_6 Depth=1
	v_mov_b32_e32 v14, v15
	ds_write_b64 v32, v[14:15]
; %bb.191:                              ;   in Loop: Header=BB69_6 Depth=1
	s_or_b32 exec_lo, exec_lo, s81
	v_or_b32_e32 v26, s13, v26
	v_or_b32_e32 v25, s12, v25
	;; [unrolled: 1-line block ×4, first 2 shown]
	s_mov_b32 s81, -1
	s_mov_b32 s82, 0
	s_cmp_eq_u32 s85, 0
	s_mov_b32 s84, 0
	s_mov_b32 s86, -1
	s_waitcnt lgkmcnt(0)
	s_barrier
	buffer_gl0_inv
                                        ; implicit-def: $vgpr9_vgpr10
	s_cbranch_scc1 .LBB69_203
; %bb.192:                              ;   in Loop: Header=BB69_6 Depth=1
	s_add_i32 s84, s85, s54
                                        ; implicit-def: $vgpr9_vgpr10
	s_mul_hi_u32 s86, s84, s60
	s_mul_i32 s86, s86, s42
	s_sub_i32 s86, s84, s86
	s_sub_i32 s87, s86, s42
	s_cmp_ge_u32 s86, s42
	s_cselect_b32 s86, s87, s86
	s_sub_i32 s87, s86, s42
	s_cmp_ge_u32 s86, s42
	s_cselect_b32 s86, s87, s86
	s_mov_b32 s87, exec_lo
	s_sub_i32 s88, s84, s86
	s_mov_b32 s86, 0
	s_mov_b32 s84, 0
	v_cmpx_gt_u32_e64 s88, v0
	s_cbranch_execz .LBB69_202
; %bb.193:                              ;   in Loop: Header=BB69_6 Depth=1
	v_mov_b32_e32 v14, v30
	v_mov_b32_e32 v43, v0
                                        ; implicit-def: $sgpr89
	s_inst_prefetch 0x1
	s_branch .LBB69_197
	.p2align	6
.LBB69_194:                             ;   in Loop: Header=BB69_197 Depth=2
	s_or_b32 exec_lo, exec_lo, s90
	s_waitcnt lgkmcnt(0)
	s_barrier
	buffer_gl0_inv
	ds_read_b128 v[7:10], v15 offset:3072
	s_waitcnt lgkmcnt(0)
	s_barrier
	buffer_gl0_inv
	v_cmp_neq_f64_e32 vcc_lo, 0, v[7:8]
	s_cbranch_vccnz .LBB69_200
; %bb.195:                              ;   in Loop: Header=BB69_197 Depth=2
	v_add_nc_u32_e32 v43, s42, v43
	v_add_nc_u32_e32 v14, s64, v14
	s_mov_b32 s90, 0
	v_cmp_le_u32_e32 vcc_lo, s88, v43
	s_orn2_b32 s91, vcc_lo, exec_lo
.LBB69_196:                             ;   in Loop: Header=BB69_197 Depth=2
	s_and_b32 s91, exec_lo, s91
	s_or_b32 s84, s91, s84
	s_andn2_b32 s89, s89, exec_lo
	s_and_b32 s90, s90, exec_lo
	s_or_b32 s89, s89, s90
	s_andn2_b32 exec_lo, exec_lo, s84
	s_cbranch_execz .LBB69_201
.LBB69_197:                             ;   Parent Loop BB69_6 Depth=1
                                        ; =>  This Inner Loop Header: Depth=2
	s_mov_b32 s90, exec_lo
	v_cmpx_gt_u32_e64 s85, v43
	s_cbranch_execz .LBB69_194
; %bb.198:                              ;   in Loop: Header=BB69_197 Depth=2
	ds_read_b64 v[3:4], v14
	s_waitcnt lgkmcnt(0)
	v_cmp_o_f64_e32 vcc_lo, v[3:4], v[3:4]
	v_ashrrev_i32_e32 v1, 31, v4
	v_or_b32_e32 v7, 0x80000000, v1
	v_xor_b32_e32 v1, v1, v3
	v_xor_b32_e32 v7, v7, v4
	v_cndmask_b32_e32 v7, -1, v7, vcc_lo
	v_cndmask_b32_e32 v1, -1, v1, vcc_lo
	v_and_b32_e32 v8, v7, v24
	v_and_b32_e32 v7, v1, v23
	v_cmp_eq_u64_e32 vcc_lo, v[7:8], v[25:26]
	s_and_b32 exec_lo, exec_lo, vcc_lo
	s_cbranch_execz .LBB69_194
; %bb.199:                              ;   in Loop: Header=BB69_197 Depth=2
	v_mov_b32_e32 v1, v15
	ds_write_b128 v15, v[1:4] offset:3072
	s_branch .LBB69_194
.LBB69_200:                             ;   in Loop: Header=BB69_197 Depth=2
	s_mov_b32 s91, -1
	s_mov_b32 s90, -1
                                        ; implicit-def: $vgpr43
                                        ; implicit-def: $vgpr14
	s_branch .LBB69_196
.LBB69_201:                             ;   in Loop: Header=BB69_6 Depth=1
	s_inst_prefetch 0x2
	s_or_b32 exec_lo, exec_lo, s84
	s_and_b32 s84, s89, exec_lo
.LBB69_202:                             ;   in Loop: Header=BB69_6 Depth=1
	s_or_b32 exec_lo, exec_lo, s87
.LBB69_203:                             ;   in Loop: Header=BB69_6 Depth=1
	s_and_b32 vcc_lo, exec_lo, s86
	s_cbranch_vccz .LBB69_215
; %bb.204:                              ;   in Loop: Header=BB69_6 Depth=1
                                        ; implicit-def: $vgpr9_vgpr10
	s_and_saveexec_b32 s81, s9
	s_cbranch_execz .LBB69_214
; %bb.205:                              ;   in Loop: Header=BB69_6 Depth=1
	v_mov_b32_e32 v14, v13
	v_mov_b32_e32 v43, v0
	s_mov_b32 s82, 0
                                        ; implicit-def: $sgpr85
	s_branch .LBB69_209
.LBB69_206:                             ;   in Loop: Header=BB69_209 Depth=2
	s_or_b32 exec_lo, exec_lo, s86
	s_waitcnt lgkmcnt(0)
	s_barrier
	buffer_gl0_inv
	ds_read_b128 v[7:10], v15 offset:3072
	s_waitcnt lgkmcnt(0)
	s_barrier
	buffer_gl0_inv
	v_cmp_eq_f64_e32 vcc_lo, 0, v[7:8]
	s_cbranch_vccz .LBB69_212
; %bb.207:                              ;   in Loop: Header=BB69_209 Depth=2
	v_add_nc_u32_e32 v43, s42, v43
	v_add_nc_u32_e32 v14, s44, v14
	s_mov_b32 s86, 0
	v_cmp_le_u32_e32 vcc_lo, s61, v43
	s_orn2_b32 s87, vcc_lo, exec_lo
.LBB69_208:                             ;   in Loop: Header=BB69_209 Depth=2
	s_and_b32 s87, exec_lo, s87
	s_or_b32 s82, s87, s82
	s_andn2_b32 s85, s85, exec_lo
	s_and_b32 s86, s86, exec_lo
	s_or_b32 s85, s85, s86
	s_andn2_b32 exec_lo, exec_lo, s82
	s_cbranch_execz .LBB69_213
.LBB69_209:                             ;   Parent Loop BB69_6 Depth=1
                                        ; =>  This Inner Loop Header: Depth=2
	s_mov_b32 s86, exec_lo
	v_cmpx_gt_u32_e64 s36, v43
	s_cbranch_execz .LBB69_206
; %bb.210:                              ;   in Loop: Header=BB69_209 Depth=2
	v_lshlrev_b64 v[3:4], 3, v[14:15]
	v_add_co_u32 v3, vcc_lo, s31, v3
	v_add_co_ci_u32_e64 v4, null, s33, v4, vcc_lo
	global_load_dwordx2 v[3:4], v[3:4], off
	s_waitcnt vmcnt(0)
	v_cmp_o_f64_e32 vcc_lo, v[3:4], v[3:4]
	v_ashrrev_i32_e32 v1, 31, v4
	v_or_b32_e32 v7, 0x80000000, v1
	v_xor_b32_e32 v1, v1, v3
	v_xor_b32_e32 v7, v7, v4
	v_cndmask_b32_e32 v7, -1, v7, vcc_lo
	v_cndmask_b32_e32 v1, -1, v1, vcc_lo
	v_and_b32_e32 v8, v7, v24
	v_and_b32_e32 v7, v1, v23
	v_cmp_eq_u64_e32 vcc_lo, v[7:8], v[25:26]
	s_and_b32 exec_lo, exec_lo, vcc_lo
	s_cbranch_execz .LBB69_206
; %bb.211:                              ;   in Loop: Header=BB69_209 Depth=2
	v_mov_b32_e32 v1, v15
	ds_write_b128 v15, v[1:4] offset:3072
	s_branch .LBB69_206
.LBB69_212:                             ;   in Loop: Header=BB69_209 Depth=2
	s_mov_b32 s87, -1
	s_mov_b32 s86, -1
                                        ; implicit-def: $vgpr43
	s_branch .LBB69_208
.LBB69_213:                             ;   in Loop: Header=BB69_6 Depth=1
	s_or_b32 exec_lo, exec_lo, s82
	s_andn2_b32 s82, s84, exec_lo
	s_and_b32 s84, s85, exec_lo
	s_or_b32 s84, s82, s84
.LBB69_214:                             ;   in Loop: Header=BB69_6 Depth=1
	s_or_b32 exec_lo, exec_lo, s81
	s_mov_b32 s81, 0
	s_mov_b32 s82, -1
.LBB69_215:                             ;   in Loop: Header=BB69_6 Depth=1
	s_orn2_b32 s84, s84, exec_lo
.LBB69_216:                             ;   in Loop: Header=BB69_6 Depth=1
	s_or_b32 exec_lo, exec_lo, s83
	s_mov_b32 s85, 0
	s_and_saveexec_b32 s83, s84
	s_cbranch_execz .LBB69_227
; %bb.217:                              ;   in Loop: Header=BB69_6 Depth=1
	v_mov_b32_e32 v41, 1
	v_mov_b32_e32 v1, 1
	s_xor_b32 s84, s80, -1
	s_and_saveexec_b32 s80, s84
	s_cbranch_execz .LBB69_226
; %bb.218:                              ;   in Loop: Header=BB69_6 Depth=1
	s_mov_b32 s84, exec_lo
	v_cmpx_ge_u32_e64 s20, v42
	s_xor_b32 s84, exec_lo, s84
	s_cbranch_execz .LBB69_223
; %bb.219:                              ;   in Loop: Header=BB69_6 Depth=1
	ds_read_b32 v1, v15 offset:4096
	v_or_b32_e32 v26, s13, v26
	v_or_b32_e32 v25, s12, v25
	;; [unrolled: 1-line block ×4, first 2 shown]
	s_waitcnt lgkmcnt(0)
	v_cmp_ne_u32_e32 vcc_lo, 0, v1
	s_cbranch_vccnz .LBB69_223
; %bb.220:                              ;   in Loop: Header=BB69_6 Depth=1
	s_and_saveexec_b32 s85, s3
; %bb.221:                              ;   in Loop: Header=BB69_6 Depth=1
	v_mov_b32_e32 v1, s20
	ds_write_b32 v15, v1 offset:4100
; %bb.222:                              ;   in Loop: Header=BB69_6 Depth=1
	s_or_b32 exec_lo, exec_lo, s85
	s_waitcnt lgkmcnt(0)
	s_barrier
	buffer_gl0_inv
.LBB69_223:                             ;   in Loop: Header=BB69_6 Depth=1
	s_andn2_saveexec_b32 s84, s84
; %bb.224:                              ;   in Loop: Header=BB69_6 Depth=1
	v_subrev_nc_u32_e32 v42, s20, v42
; %bb.225:                              ;   in Loop: Header=BB69_6 Depth=1
	s_or_b32 exec_lo, exec_lo, s84
	v_mov_b32_e32 v41, 8
	v_mov_b32_e32 v1, v42
.LBB69_226:                             ;   in Loop: Header=BB69_6 Depth=1
	s_or_b32 exec_lo, exec_lo, s80
	v_mov_b32_e32 v42, v1
	s_mov_b32 s85, exec_lo
.LBB69_227:                             ;   in Loop: Header=BB69_6 Depth=1
	s_or_b32 exec_lo, exec_lo, s83
	s_orn2_b32 s80, s85, exec_lo
.LBB69_228:                             ;   in Loop: Header=BB69_6 Depth=1
	s_or_b32 exec_lo, exec_lo, s79
	v_mov_b32_e32 v43, v42
	s_andn2_b32 s77, s77, exec_lo
	s_and_b32 s79, s82, exec_lo
	s_andn2_b32 s29, s29, exec_lo
	s_and_b32 s81, s81, exec_lo
	s_or_b32 s77, s77, s79
	s_or_b32 s29, s29, s81
	s_and_b32 s81, s80, exec_lo
.LBB69_229:                             ;   in Loop: Header=BB69_6 Depth=1
	s_or_b32 exec_lo, exec_lo, s78
	s_orn2_b32 s78, s81, exec_lo
.LBB69_230:                             ;   in Loop: Header=BB69_6 Depth=1
	s_or_b32 exec_lo, exec_lo, s28
	v_mov_b32_e32 v42, v43
	s_andn2_b32 s26, s26, exec_lo
	s_and_b32 s28, s77, exec_lo
	s_andn2_b32 s21, s21, exec_lo
	s_and_b32 s29, s29, exec_lo
	s_or_b32 s26, s26, s28
	s_or_b32 s21, s21, s29
	s_and_b32 s77, s78, exec_lo
.LBB69_231:                             ;   in Loop: Header=BB69_6 Depth=1
	s_or_b32 exec_lo, exec_lo, s27
	s_orn2_b32 s27, s77, exec_lo
.LBB69_232:                             ;   in Loop: Header=BB69_6 Depth=1
	s_or_b32 exec_lo, exec_lo, s11
	s_mov_b32 s28, 0
	s_mov_b32 s29, 0
	s_and_saveexec_b32 s11, s27
	s_xor_b32 s27, exec_lo, s11
; %bb.233:                              ;   in Loop: Header=BB69_6 Depth=1
	v_cmp_ne_u32_e32 vcc_lo, 8, v41
	v_cmp_eq_u32_e64 s11, 8, v41
	s_and_b32 s29, vcc_lo, exec_lo
	s_and_b32 s28, s11, exec_lo
; %bb.234:                              ;   in Loop: Header=BB69_6 Depth=1
	s_or_b32 exec_lo, exec_lo, s27
	s_andn2_b32 s11, s23, exec_lo
	s_and_b32 s23, s26, exec_lo
	s_andn2_b32 s22, s22, exec_lo
	s_and_b32 s21, s21, exec_lo
	s_or_b32 s23, s11, s23
	s_or_b32 s22, s22, s21
	s_and_b32 s11, s29, exec_lo
	s_and_b32 s21, s28, exec_lo
.LBB69_235:                             ;   in Loop: Header=BB69_6 Depth=1
	s_or_b32 exec_lo, exec_lo, s25
.LBB69_236:                             ;   in Loop: Header=BB69_6 Depth=1
	s_and_b32 vcc_lo, exec_lo, s24
	s_cbranch_vccz .LBB69_250
; %bb.237:                              ;   in Loop: Header=BB69_6 Depth=1
	s_cmp_eq_u32 s20, 1
	s_mov_b32 s23, -1
	s_cselect_b32 s16, -1, 0
                                        ; implicit-def: $sgpr24
	s_and_b32 s10, s16, s10
                                        ; implicit-def: $sgpr16
	s_and_saveexec_b32 s22, s10
	s_cbranch_execz .LBB69_266
; %bb.238:                              ;   in Loop: Header=BB69_6 Depth=1
	ds_read_b32 v1, v15 offset:4096
	s_waitcnt lgkmcnt(0)
	s_barrier
	buffer_gl0_inv
	v_readfirstlane_b32 s25, v1
	s_and_saveexec_b32 s16, s6
; %bb.239:                              ;   in Loop: Header=BB69_6 Depth=1
	v_mov_b32_e32 v14, v15
	ds_write_b64 v32, v[14:15]
; %bb.240:                              ;   in Loop: Header=BB69_6 Depth=1
	s_or_b32 exec_lo, exec_lo, s16
	v_or_b32_e32 v17, s13, v17
	v_or_b32_e32 v16, s12, v16
	;; [unrolled: 1-line block ×4, first 2 shown]
	s_mov_b32 s16, -1
	s_mov_b32 s24, 0
	s_cmp_eq_u32 s25, 0
	s_mov_b32 s23, 0
	s_mov_b32 s26, -1
	s_waitcnt lgkmcnt(0)
	s_barrier
	buffer_gl0_inv
                                        ; implicit-def: $vgpr5_vgpr6
	s_cbranch_scc1 .LBB69_253
; %bb.241:                              ;   in Loop: Header=BB69_6 Depth=1
	s_add_i32 s23, s25, s54
                                        ; implicit-def: $vgpr5_vgpr6
	s_mul_hi_u32 s26, s23, s60
	s_mul_i32 s26, s26, s42
	s_sub_i32 s26, s23, s26
	s_sub_i32 s27, s26, s42
	s_cmp_ge_u32 s26, s42
	s_cselect_b32 s26, s27, s26
	s_sub_i32 s27, s26, s42
	s_cmp_ge_u32 s26, s42
	s_cselect_b32 s26, s27, s26
	s_mov_b32 s27, exec_lo
	s_sub_i32 s28, s23, s26
	s_mov_b32 s26, 0
	s_mov_b32 s23, 0
	v_cmpx_gt_u32_e64 s28, v0
	s_cbranch_execz .LBB69_252
; %bb.242:                              ;   in Loop: Header=BB69_6 Depth=1
	v_mov_b32_e32 v7, v30
	v_mov_b32_e32 v8, v0
                                        ; implicit-def: $sgpr29
	s_inst_prefetch 0x1
	s_branch .LBB69_246
	.p2align	6
.LBB69_243:                             ;   in Loop: Header=BB69_246 Depth=2
	s_or_b32 exec_lo, exec_lo, s77
	s_waitcnt lgkmcnt(0)
	s_barrier
	buffer_gl0_inv
	ds_read_b128 v[3:6], v15 offset:3072
	s_waitcnt lgkmcnt(0)
	s_barrier
	buffer_gl0_inv
	v_cmp_neq_f64_e32 vcc_lo, 0, v[3:4]
	s_cbranch_vccnz .LBB69_249
; %bb.244:                              ;   in Loop: Header=BB69_246 Depth=2
	v_add_nc_u32_e32 v8, s42, v8
	v_add_nc_u32_e32 v7, s64, v7
	s_mov_b32 s77, 0
	v_cmp_le_u32_e32 vcc_lo, s28, v8
	s_orn2_b32 s78, vcc_lo, exec_lo
.LBB69_245:                             ;   in Loop: Header=BB69_246 Depth=2
	s_and_b32 s78, exec_lo, s78
	s_or_b32 s23, s78, s23
	s_andn2_b32 s29, s29, exec_lo
	s_and_b32 s77, s77, exec_lo
	s_or_b32 s29, s29, s77
	s_andn2_b32 exec_lo, exec_lo, s23
	s_cbranch_execz .LBB69_251
.LBB69_246:                             ;   Parent Loop BB69_6 Depth=1
                                        ; =>  This Inner Loop Header: Depth=2
	s_mov_b32 s77, exec_lo
	v_cmpx_gt_u32_e64 s25, v8
	s_cbranch_execz .LBB69_243
; %bb.247:                              ;   in Loop: Header=BB69_246 Depth=2
	ds_read_b64 v[3:4], v7
	s_waitcnt lgkmcnt(0)
	v_cmp_o_f64_e32 vcc_lo, v[3:4], v[3:4]
	v_ashrrev_i32_e32 v1, 31, v4
	v_or_b32_e32 v5, 0x80000000, v1
	v_xor_b32_e32 v1, v1, v3
	v_xor_b32_e32 v5, v5, v4
	v_cndmask_b32_e32 v5, -1, v5, vcc_lo
	v_cndmask_b32_e32 v1, -1, v1, vcc_lo
	v_and_b32_e32 v6, v5, v22
	v_and_b32_e32 v5, v1, v21
	v_cmp_eq_u64_e32 vcc_lo, v[5:6], v[16:17]
	s_and_b32 exec_lo, exec_lo, vcc_lo
	s_cbranch_execz .LBB69_243
; %bb.248:                              ;   in Loop: Header=BB69_246 Depth=2
	v_mov_b32_e32 v1, v15
	ds_write_b128 v15, v[1:4] offset:3072
	s_branch .LBB69_243
.LBB69_249:                             ;   in Loop: Header=BB69_246 Depth=2
	s_mov_b32 s78, -1
	s_mov_b32 s77, -1
                                        ; implicit-def: $vgpr8
                                        ; implicit-def: $vgpr7
	s_branch .LBB69_245
.LBB69_250:                             ;   in Loop: Header=BB69_6 Depth=1
	v_mov_b32_e32 v16, v25
	v_mov_b32_e32 v21, v23
	;; [unrolled: 1-line block ×6, first 2 shown]
	s_mov_b32 s24, 0
	s_and_saveexec_b32 s10, s21
	s_cbranch_execnz .LBB69_403
	s_branch .LBB69_404
.LBB69_251:                             ;   in Loop: Header=BB69_6 Depth=1
	s_inst_prefetch 0x2
	s_or_b32 exec_lo, exec_lo, s23
	s_and_b32 s23, s29, exec_lo
.LBB69_252:                             ;   in Loop: Header=BB69_6 Depth=1
	s_or_b32 exec_lo, exec_lo, s27
.LBB69_253:                             ;   in Loop: Header=BB69_6 Depth=1
	s_and_b32 vcc_lo, exec_lo, s26
	s_cbranch_vccz .LBB69_265
; %bb.254:                              ;   in Loop: Header=BB69_6 Depth=1
                                        ; implicit-def: $vgpr5_vgpr6
	s_and_saveexec_b32 s16, s9
	s_cbranch_execz .LBB69_264
; %bb.255:                              ;   in Loop: Header=BB69_6 Depth=1
	v_mov_b32_e32 v14, v13
	v_mov_b32_e32 v7, v0
	s_mov_b32 s25, 0
                                        ; implicit-def: $sgpr24
	s_branch .LBB69_259
.LBB69_256:                             ;   in Loop: Header=BB69_259 Depth=2
	s_or_b32 exec_lo, exec_lo, s26
	s_waitcnt lgkmcnt(0)
	s_barrier
	buffer_gl0_inv
	ds_read_b128 v[3:6], v15 offset:3072
	s_waitcnt lgkmcnt(0)
	s_barrier
	buffer_gl0_inv
	v_cmp_neq_f64_e32 vcc_lo, 0, v[3:4]
	s_cbranch_vccnz .LBB69_262
; %bb.257:                              ;   in Loop: Header=BB69_259 Depth=2
	v_add_nc_u32_e32 v7, s42, v7
	v_add_nc_u32_e32 v14, s44, v14
	s_mov_b32 s26, 0
	v_cmp_le_u32_e32 vcc_lo, s61, v7
	s_orn2_b32 s27, vcc_lo, exec_lo
.LBB69_258:                             ;   in Loop: Header=BB69_259 Depth=2
	s_and_b32 s27, exec_lo, s27
	s_or_b32 s25, s27, s25
	s_andn2_b32 s24, s24, exec_lo
	s_and_b32 s26, s26, exec_lo
	s_or_b32 s24, s24, s26
	s_andn2_b32 exec_lo, exec_lo, s25
	s_cbranch_execz .LBB69_263
.LBB69_259:                             ;   Parent Loop BB69_6 Depth=1
                                        ; =>  This Inner Loop Header: Depth=2
	s_mov_b32 s26, exec_lo
	v_cmpx_gt_u32_e64 s36, v7
	s_cbranch_execz .LBB69_256
; %bb.260:                              ;   in Loop: Header=BB69_259 Depth=2
	v_lshlrev_b64 v[3:4], 3, v[14:15]
	v_add_co_u32 v3, vcc_lo, s31, v3
	v_add_co_ci_u32_e64 v4, null, s33, v4, vcc_lo
	global_load_dwordx2 v[3:4], v[3:4], off
	s_waitcnt vmcnt(0)
	v_cmp_o_f64_e32 vcc_lo, v[3:4], v[3:4]
	v_ashrrev_i32_e32 v1, 31, v4
	v_or_b32_e32 v5, 0x80000000, v1
	v_xor_b32_e32 v1, v1, v3
	v_xor_b32_e32 v5, v5, v4
	v_cndmask_b32_e32 v5, -1, v5, vcc_lo
	v_cndmask_b32_e32 v1, -1, v1, vcc_lo
	v_and_b32_e32 v6, v5, v22
	v_and_b32_e32 v5, v1, v21
	v_cmp_eq_u64_e32 vcc_lo, v[5:6], v[16:17]
	s_and_b32 exec_lo, exec_lo, vcc_lo
	s_cbranch_execz .LBB69_256
; %bb.261:                              ;   in Loop: Header=BB69_259 Depth=2
	v_mov_b32_e32 v1, v15
	ds_write_b128 v15, v[1:4] offset:3072
	s_branch .LBB69_256
.LBB69_262:                             ;   in Loop: Header=BB69_259 Depth=2
	s_mov_b32 s27, -1
	s_mov_b32 s26, -1
                                        ; implicit-def: $vgpr7
	s_branch .LBB69_258
.LBB69_263:                             ;   in Loop: Header=BB69_6 Depth=1
	s_or_b32 exec_lo, exec_lo, s25
	s_andn2_b32 s23, s23, exec_lo
	s_and_b32 s24, s24, exec_lo
	s_or_b32 s23, s23, s24
.LBB69_264:                             ;   in Loop: Header=BB69_6 Depth=1
	s_or_b32 exec_lo, exec_lo, s16
	s_mov_b32 s16, 0
	s_mov_b32 s24, -1
.LBB69_265:                             ;   in Loop: Header=BB69_6 Depth=1
	s_orn2_b32 s23, s23, exec_lo
.LBB69_266:                             ;   in Loop: Header=BB69_6 Depth=1
	s_or_b32 exec_lo, exec_lo, s22
                                        ; implicit-def: $vgpr42
                                        ; implicit-def: $vgpr41
	s_and_saveexec_b32 s22, s23
	s_cbranch_execz .LBB69_402
; %bb.267:                              ;   in Loop: Header=BB69_6 Depth=1
	v_mov_b32_e32 v42, 1
	v_mov_b32_e32 v41, 1
	s_xor_b32 s23, s10, -1
	s_mov_b32 s26, 0
	s_and_saveexec_b32 s10, s23
	s_cbranch_execz .LBB69_276
; %bb.268:                              ;   in Loop: Header=BB69_6 Depth=1
	s_mov_b32 s23, exec_lo
	v_cmpx_ge_u32_e64 s20, v40
	s_xor_b32 s23, exec_lo, s23
	s_cbranch_execz .LBB69_273
; %bb.269:                              ;   in Loop: Header=BB69_6 Depth=1
	ds_read_b32 v1, v15 offset:4096
	v_or_b32_e32 v17, s13, v17
	v_or_b32_e32 v16, s12, v16
	;; [unrolled: 1-line block ×4, first 2 shown]
	s_waitcnt lgkmcnt(0)
	v_cmp_ne_u32_e32 vcc_lo, 0, v1
	s_cbranch_vccnz .LBB69_273
; %bb.270:                              ;   in Loop: Header=BB69_6 Depth=1
	s_and_saveexec_b32 s25, s3
; %bb.271:                              ;   in Loop: Header=BB69_6 Depth=1
	v_mov_b32_e32 v1, s20
	ds_write_b32 v15, v1 offset:4100
; %bb.272:                              ;   in Loop: Header=BB69_6 Depth=1
	s_or_b32 exec_lo, exec_lo, s25
	s_waitcnt lgkmcnt(0)
	s_barrier
	buffer_gl0_inv
.LBB69_273:                             ;   in Loop: Header=BB69_6 Depth=1
	s_or_saveexec_b32 s23, s23
	v_mov_b32_e32 v41, 5
	s_mov_b32 s25, 0
	s_xor_b32 exec_lo, exec_lo, s23
; %bb.274:                              ;   in Loop: Header=BB69_6 Depth=1
	v_subrev_nc_u32_e32 v40, s20, v40
	v_mov_b32_e32 v41, 0
	s_mov_b32 s25, exec_lo
; %bb.275:                              ;   in Loop: Header=BB69_6 Depth=1
	s_or_b32 exec_lo, exec_lo, s23
	v_mov_b32_e32 v42, v40
	s_and_b32 s26, s25, exec_lo
.LBB69_276:                             ;   in Loop: Header=BB69_6 Depth=1
	s_or_b32 exec_lo, exec_lo, s10
	s_mov_b32 s25, -1
                                        ; implicit-def: $sgpr20
                                        ; implicit-def: $sgpr23
	s_and_saveexec_b32 s10, s26
	s_xor_b32 s10, exec_lo, s10
	s_cbranch_execz .LBB69_399
; %bb.277:                              ;   in Loop: Header=BB69_6 Depth=1
	v_cmp_eq_u32_e32 vcc_lo, 1, v42
	s_cmp_eq_u32 s19, 1
	s_mov_b32 s27, -1
	s_cselect_b32 s20, -1, 0
                                        ; implicit-def: $sgpr23
	s_and_b32 s26, s20, vcc_lo
                                        ; implicit-def: $sgpr20
	s_and_saveexec_b32 s25, s26
	s_cbranch_execz .LBB69_305
; %bb.278:                              ;   in Loop: Header=BB69_6 Depth=1
	ds_read_b32 v1, v15 offset:4096
	s_waitcnt lgkmcnt(0)
	s_barrier
	buffer_gl0_inv
	v_readfirstlane_b32 s28, v1
	s_and_saveexec_b32 s20, s6
; %bb.279:                              ;   in Loop: Header=BB69_6 Depth=1
	v_mov_b32_e32 v14, v15
	ds_write_b64 v32, v[14:15]
; %bb.280:                              ;   in Loop: Header=BB69_6 Depth=1
	s_or_b32 exec_lo, exec_lo, s20
	v_and_b32_e32 v1, s15, v17
	v_and_b32_e32 v3, s14, v16
	s_lshl_b64 s[78:79], 2, s70
	v_or_b32_e32 v22, s13, v22
	v_or_b32_e32 v21, s12, v21
	;; [unrolled: 1-line block ×4, first 2 shown]
	s_mov_b32 s20, -1
	s_mov_b32 s23, 0
	s_cmp_eq_u32 s28, 0
	s_mov_b32 s27, 0
	s_mov_b32 s29, -1
	s_waitcnt lgkmcnt(0)
	s_barrier
	buffer_gl0_inv
                                        ; implicit-def: $vgpr5_vgpr6
	s_cbranch_scc1 .LBB69_292
; %bb.281:                              ;   in Loop: Header=BB69_6 Depth=1
	s_add_i32 s27, s28, s54
                                        ; implicit-def: $vgpr5_vgpr6
	s_mul_hi_u32 s29, s27, s60
	s_mul_i32 s29, s29, s42
	s_sub_i32 s29, s27, s29
	s_sub_i32 s77, s29, s42
	s_cmp_ge_u32 s29, s42
	s_cselect_b32 s29, s77, s29
	s_sub_i32 s77, s29, s42
	s_cmp_ge_u32 s29, s42
	s_cselect_b32 s29, s77, s29
	s_mov_b32 s77, exec_lo
	s_sub_i32 s78, s27, s29
	s_mov_b32 s29, 0
	s_mov_b32 s27, 0
	v_cmpx_gt_u32_e64 s78, v0
	s_cbranch_execz .LBB69_291
; %bb.282:                              ;   in Loop: Header=BB69_6 Depth=1
	v_mov_b32_e32 v7, v30
	v_mov_b32_e32 v8, v0
                                        ; implicit-def: $sgpr79
	s_inst_prefetch 0x1
	s_branch .LBB69_286
	.p2align	6
.LBB69_283:                             ;   in Loop: Header=BB69_286 Depth=2
	s_or_b32 exec_lo, exec_lo, s80
	s_waitcnt lgkmcnt(0)
	s_barrier
	buffer_gl0_inv
	ds_read_b128 v[3:6], v15 offset:3072
	s_waitcnt lgkmcnt(0)
	s_barrier
	buffer_gl0_inv
	v_cmp_neq_f64_e32 vcc_lo, 0, v[3:4]
	s_cbranch_vccnz .LBB69_289
; %bb.284:                              ;   in Loop: Header=BB69_286 Depth=2
	v_add_nc_u32_e32 v8, s42, v8
	v_add_nc_u32_e32 v7, s64, v7
	s_mov_b32 s80, 0
	v_cmp_le_u32_e32 vcc_lo, s78, v8
	s_orn2_b32 s81, vcc_lo, exec_lo
.LBB69_285:                             ;   in Loop: Header=BB69_286 Depth=2
	s_and_b32 s81, exec_lo, s81
	s_or_b32 s27, s81, s27
	s_andn2_b32 s79, s79, exec_lo
	s_and_b32 s80, s80, exec_lo
	s_or_b32 s79, s79, s80
	s_andn2_b32 exec_lo, exec_lo, s27
	s_cbranch_execz .LBB69_290
.LBB69_286:                             ;   Parent Loop BB69_6 Depth=1
                                        ; =>  This Inner Loop Header: Depth=2
	s_mov_b32 s80, exec_lo
	v_cmpx_gt_u32_e64 s28, v8
	s_cbranch_execz .LBB69_283
; %bb.287:                              ;   in Loop: Header=BB69_286 Depth=2
	ds_read_b64 v[3:4], v7
	s_waitcnt lgkmcnt(0)
	v_cmp_o_f64_e32 vcc_lo, v[3:4], v[3:4]
	v_ashrrev_i32_e32 v1, 31, v4
	v_or_b32_e32 v5, 0x80000000, v1
	v_xor_b32_e32 v1, v1, v3
	v_xor_b32_e32 v5, v5, v4
	v_cndmask_b32_e32 v5, -1, v5, vcc_lo
	v_cndmask_b32_e32 v1, -1, v1, vcc_lo
	v_and_b32_e32 v6, v5, v22
	v_and_b32_e32 v5, v1, v21
	v_cmp_eq_u64_e32 vcc_lo, v[5:6], v[16:17]
	s_and_b32 exec_lo, exec_lo, vcc_lo
	s_cbranch_execz .LBB69_283
; %bb.288:                              ;   in Loop: Header=BB69_286 Depth=2
	v_mov_b32_e32 v1, v15
	ds_write_b128 v15, v[1:4] offset:3072
	s_branch .LBB69_283
.LBB69_289:                             ;   in Loop: Header=BB69_286 Depth=2
	s_mov_b32 s81, -1
	s_mov_b32 s80, -1
                                        ; implicit-def: $vgpr8
                                        ; implicit-def: $vgpr7
	s_branch .LBB69_285
.LBB69_290:                             ;   in Loop: Header=BB69_6 Depth=1
	s_inst_prefetch 0x2
	s_or_b32 exec_lo, exec_lo, s27
	s_and_b32 s27, s79, exec_lo
.LBB69_291:                             ;   in Loop: Header=BB69_6 Depth=1
	s_or_b32 exec_lo, exec_lo, s77
.LBB69_292:                             ;   in Loop: Header=BB69_6 Depth=1
	s_and_b32 vcc_lo, exec_lo, s29
	s_cbranch_vccz .LBB69_304
; %bb.293:                              ;   in Loop: Header=BB69_6 Depth=1
                                        ; implicit-def: $vgpr5_vgpr6
	s_and_saveexec_b32 s20, s9
	s_cbranch_execz .LBB69_303
; %bb.294:                              ;   in Loop: Header=BB69_6 Depth=1
	v_mov_b32_e32 v14, v13
	v_mov_b32_e32 v7, v0
	s_mov_b32 s23, 0
                                        ; implicit-def: $sgpr28
	s_branch .LBB69_298
.LBB69_295:                             ;   in Loop: Header=BB69_298 Depth=2
	s_or_b32 exec_lo, exec_lo, s29
	s_waitcnt lgkmcnt(0)
	s_barrier
	buffer_gl0_inv
	ds_read_b128 v[3:6], v15 offset:3072
	s_waitcnt lgkmcnt(0)
	s_barrier
	buffer_gl0_inv
	v_cmp_eq_f64_e32 vcc_lo, 0, v[3:4]
	s_cbranch_vccz .LBB69_301
; %bb.296:                              ;   in Loop: Header=BB69_298 Depth=2
	v_add_nc_u32_e32 v7, s42, v7
	v_add_nc_u32_e32 v14, s44, v14
	s_mov_b32 s29, 0
	v_cmp_le_u32_e32 vcc_lo, s61, v7
	s_orn2_b32 s77, vcc_lo, exec_lo
.LBB69_297:                             ;   in Loop: Header=BB69_298 Depth=2
	s_and_b32 s77, exec_lo, s77
	s_or_b32 s23, s77, s23
	s_andn2_b32 s28, s28, exec_lo
	s_and_b32 s29, s29, exec_lo
	s_or_b32 s28, s28, s29
	s_andn2_b32 exec_lo, exec_lo, s23
	s_cbranch_execz .LBB69_302
.LBB69_298:                             ;   Parent Loop BB69_6 Depth=1
                                        ; =>  This Inner Loop Header: Depth=2
	s_mov_b32 s29, exec_lo
	v_cmpx_gt_u32_e64 s36, v7
	s_cbranch_execz .LBB69_295
; %bb.299:                              ;   in Loop: Header=BB69_298 Depth=2
	v_lshlrev_b64 v[3:4], 3, v[14:15]
	v_add_co_u32 v3, vcc_lo, s31, v3
	v_add_co_ci_u32_e64 v4, null, s33, v4, vcc_lo
	global_load_dwordx2 v[3:4], v[3:4], off
	s_waitcnt vmcnt(0)
	v_cmp_o_f64_e32 vcc_lo, v[3:4], v[3:4]
	v_ashrrev_i32_e32 v1, 31, v4
	v_or_b32_e32 v5, 0x80000000, v1
	v_xor_b32_e32 v1, v1, v3
	v_xor_b32_e32 v5, v5, v4
	v_cndmask_b32_e32 v5, -1, v5, vcc_lo
	v_cndmask_b32_e32 v1, -1, v1, vcc_lo
	v_and_b32_e32 v6, v5, v22
	v_and_b32_e32 v5, v1, v21
	v_cmp_eq_u64_e32 vcc_lo, v[5:6], v[16:17]
	s_and_b32 exec_lo, exec_lo, vcc_lo
	s_cbranch_execz .LBB69_295
; %bb.300:                              ;   in Loop: Header=BB69_298 Depth=2
	v_mov_b32_e32 v1, v15
	ds_write_b128 v15, v[1:4] offset:3072
	s_branch .LBB69_295
.LBB69_301:                             ;   in Loop: Header=BB69_298 Depth=2
	s_mov_b32 s77, -1
	s_mov_b32 s29, -1
                                        ; implicit-def: $vgpr7
	s_branch .LBB69_297
.LBB69_302:                             ;   in Loop: Header=BB69_6 Depth=1
	s_or_b32 exec_lo, exec_lo, s23
	s_andn2_b32 s23, s27, exec_lo
	s_and_b32 s27, s28, exec_lo
	s_or_b32 s27, s23, s27
.LBB69_303:                             ;   in Loop: Header=BB69_6 Depth=1
	s_or_b32 exec_lo, exec_lo, s20
	s_mov_b32 s20, 0
	s_mov_b32 s23, -1
.LBB69_304:                             ;   in Loop: Header=BB69_6 Depth=1
	s_orn2_b32 s27, s27, exec_lo
.LBB69_305:                             ;   in Loop: Header=BB69_6 Depth=1
	s_or_b32 exec_lo, exec_lo, s25
	s_mov_b32 s28, 0
	s_and_saveexec_b32 s25, s27
	s_cbranch_execz .LBB69_398
; %bb.306:                              ;   in Loop: Header=BB69_6 Depth=1
	v_mov_b32_e32 v7, 1
	v_mov_b32_e32 v41, 1
	s_xor_b32 s27, s26, -1
	s_mov_b32 s29, 0
	s_and_saveexec_b32 s26, s27
	s_cbranch_execz .LBB69_315
; %bb.307:                              ;   in Loop: Header=BB69_6 Depth=1
	s_mov_b32 s27, exec_lo
	v_cmpx_ge_u32_e64 s19, v42
	s_xor_b32 s27, exec_lo, s27
	s_cbranch_execz .LBB69_312
; %bb.308:                              ;   in Loop: Header=BB69_6 Depth=1
	ds_read_b32 v1, v15 offset:4096
	v_and_b32_e32 v3, s15, v17
	v_and_b32_e32 v4, s14, v16
	s_lshl_b64 s[28:29], 2, s70
	v_or_b32_e32 v22, s13, v22
	v_or_b32_e32 v21, s12, v21
	;; [unrolled: 1-line block ×4, first 2 shown]
	s_waitcnt lgkmcnt(0)
	v_cmp_ne_u32_e32 vcc_lo, 0, v1
	s_cbranch_vccnz .LBB69_312
; %bb.309:                              ;   in Loop: Header=BB69_6 Depth=1
	s_and_saveexec_b32 s28, s3
; %bb.310:                              ;   in Loop: Header=BB69_6 Depth=1
	v_mov_b32_e32 v1, s19
	ds_write_b32 v15, v1 offset:4100
; %bb.311:                              ;   in Loop: Header=BB69_6 Depth=1
	s_or_b32 exec_lo, exec_lo, s28
	s_waitcnt lgkmcnt(0)
	s_barrier
	buffer_gl0_inv
.LBB69_312:                             ;   in Loop: Header=BB69_6 Depth=1
	s_or_saveexec_b32 s27, s27
	v_mov_b32_e32 v41, 5
	s_mov_b32 s28, 0
	s_xor_b32 exec_lo, exec_lo, s27
; %bb.313:                              ;   in Loop: Header=BB69_6 Depth=1
	v_subrev_nc_u32_e32 v42, s19, v42
	v_mov_b32_e32 v41, 0
	s_mov_b32 s28, exec_lo
; %bb.314:                              ;   in Loop: Header=BB69_6 Depth=1
	s_or_b32 exec_lo, exec_lo, s27
	v_mov_b32_e32 v7, v42
	s_and_b32 s29, s28, exec_lo
.LBB69_315:                             ;   in Loop: Header=BB69_6 Depth=1
	s_or_b32 exec_lo, exec_lo, s26
	s_mov_b32 s28, -1
                                        ; implicit-def: $sgpr26
                                        ; implicit-def: $sgpr27
	s_and_saveexec_b32 s19, s29
	s_cbranch_execz .LBB69_397
; %bb.316:                              ;   in Loop: Header=BB69_6 Depth=1
	v_cmp_eq_u32_e32 vcc_lo, 1, v7
	s_cmp_eq_u32 s18, 1
	s_mov_b32 s77, -1
	s_cselect_b32 s26, -1, 0
                                        ; implicit-def: $sgpr27
	s_and_b32 s29, s26, vcc_lo
                                        ; implicit-def: $sgpr26
	s_and_saveexec_b32 s28, s29
	s_cbranch_execz .LBB69_344
; %bb.317:                              ;   in Loop: Header=BB69_6 Depth=1
	ds_read_b32 v1, v15 offset:4096
	s_waitcnt lgkmcnt(0)
	s_barrier
	buffer_gl0_inv
	v_readfirstlane_b32 s78, v1
	s_and_saveexec_b32 s26, s6
; %bb.318:                              ;   in Loop: Header=BB69_6 Depth=1
	v_mov_b32_e32 v14, v15
	ds_write_b64 v32, v[14:15]
; %bb.319:                              ;   in Loop: Header=BB69_6 Depth=1
	s_or_b32 exec_lo, exec_lo, s26
	v_and_b32_e32 v1, s15, v17
	v_and_b32_e32 v3, s14, v16
	s_lshl_b64 s[26:27], 1, s70
	v_or_b32_e32 v22, s13, v22
	v_or_b32_e32 v21, s12, v21
	;; [unrolled: 1-line block ×4, first 2 shown]
	s_mov_b32 s26, -1
	s_mov_b32 s27, 0
	s_cmp_eq_u32 s78, 0
	s_mov_b32 s77, 0
	s_mov_b32 s79, -1
	s_waitcnt lgkmcnt(0)
	s_barrier
	buffer_gl0_inv
                                        ; implicit-def: $vgpr5_vgpr6
	s_cbranch_scc1 .LBB69_331
; %bb.320:                              ;   in Loop: Header=BB69_6 Depth=1
	s_add_i32 s77, s78, s54
                                        ; implicit-def: $vgpr5_vgpr6
	s_mul_hi_u32 s79, s77, s60
	s_mul_i32 s79, s79, s42
	s_sub_i32 s79, s77, s79
	s_sub_i32 s80, s79, s42
	s_cmp_ge_u32 s79, s42
	s_cselect_b32 s79, s80, s79
	s_sub_i32 s80, s79, s42
	s_cmp_ge_u32 s79, s42
	s_cselect_b32 s79, s80, s79
	s_mov_b32 s80, exec_lo
	s_sub_i32 s81, s77, s79
	s_mov_b32 s79, 0
	s_mov_b32 s77, 0
	v_cmpx_gt_u32_e64 s81, v0
	s_cbranch_execz .LBB69_330
; %bb.321:                              ;   in Loop: Header=BB69_6 Depth=1
	v_mov_b32_e32 v8, v30
	v_mov_b32_e32 v9, v0
                                        ; implicit-def: $sgpr82
	s_inst_prefetch 0x1
	s_branch .LBB69_325
	.p2align	6
.LBB69_322:                             ;   in Loop: Header=BB69_325 Depth=2
	s_or_b32 exec_lo, exec_lo, s83
	s_waitcnt lgkmcnt(0)
	s_barrier
	buffer_gl0_inv
	ds_read_b128 v[3:6], v15 offset:3072
	s_waitcnt lgkmcnt(0)
	s_barrier
	buffer_gl0_inv
	v_cmp_neq_f64_e32 vcc_lo, 0, v[3:4]
	s_cbranch_vccnz .LBB69_328
; %bb.323:                              ;   in Loop: Header=BB69_325 Depth=2
	v_add_nc_u32_e32 v9, s42, v9
	v_add_nc_u32_e32 v8, s64, v8
	s_mov_b32 s83, 0
	v_cmp_le_u32_e32 vcc_lo, s81, v9
	s_orn2_b32 s84, vcc_lo, exec_lo
.LBB69_324:                             ;   in Loop: Header=BB69_325 Depth=2
	s_and_b32 s84, exec_lo, s84
	s_or_b32 s77, s84, s77
	s_andn2_b32 s82, s82, exec_lo
	s_and_b32 s83, s83, exec_lo
	s_or_b32 s82, s82, s83
	s_andn2_b32 exec_lo, exec_lo, s77
	s_cbranch_execz .LBB69_329
.LBB69_325:                             ;   Parent Loop BB69_6 Depth=1
                                        ; =>  This Inner Loop Header: Depth=2
	s_mov_b32 s83, exec_lo
	v_cmpx_gt_u32_e64 s78, v9
	s_cbranch_execz .LBB69_322
; %bb.326:                              ;   in Loop: Header=BB69_325 Depth=2
	ds_read_b64 v[3:4], v8
	s_waitcnt lgkmcnt(0)
	v_cmp_o_f64_e32 vcc_lo, v[3:4], v[3:4]
	v_ashrrev_i32_e32 v1, 31, v4
	v_or_b32_e32 v5, 0x80000000, v1
	v_xor_b32_e32 v1, v1, v3
	v_xor_b32_e32 v5, v5, v4
	v_cndmask_b32_e32 v5, -1, v5, vcc_lo
	v_cndmask_b32_e32 v1, -1, v1, vcc_lo
	v_and_b32_e32 v6, v5, v22
	v_and_b32_e32 v5, v1, v21
	v_cmp_eq_u64_e32 vcc_lo, v[5:6], v[16:17]
	s_and_b32 exec_lo, exec_lo, vcc_lo
	s_cbranch_execz .LBB69_322
; %bb.327:                              ;   in Loop: Header=BB69_325 Depth=2
	v_mov_b32_e32 v1, v15
	ds_write_b128 v15, v[1:4] offset:3072
	s_branch .LBB69_322
.LBB69_328:                             ;   in Loop: Header=BB69_325 Depth=2
	s_mov_b32 s84, -1
	s_mov_b32 s83, -1
                                        ; implicit-def: $vgpr9
                                        ; implicit-def: $vgpr8
	s_branch .LBB69_324
.LBB69_329:                             ;   in Loop: Header=BB69_6 Depth=1
	s_inst_prefetch 0x2
	s_or_b32 exec_lo, exec_lo, s77
	s_and_b32 s77, s82, exec_lo
.LBB69_330:                             ;   in Loop: Header=BB69_6 Depth=1
	s_or_b32 exec_lo, exec_lo, s80
.LBB69_331:                             ;   in Loop: Header=BB69_6 Depth=1
	s_and_b32 vcc_lo, exec_lo, s79
	s_cbranch_vccz .LBB69_343
; %bb.332:                              ;   in Loop: Header=BB69_6 Depth=1
                                        ; implicit-def: $vgpr5_vgpr6
	s_and_saveexec_b32 s26, s9
	s_cbranch_execz .LBB69_342
; %bb.333:                              ;   in Loop: Header=BB69_6 Depth=1
	v_mov_b32_e32 v14, v13
	v_mov_b32_e32 v8, v0
	s_mov_b32 s27, 0
                                        ; implicit-def: $sgpr78
	s_branch .LBB69_337
.LBB69_334:                             ;   in Loop: Header=BB69_337 Depth=2
	s_or_b32 exec_lo, exec_lo, s79
	s_waitcnt lgkmcnt(0)
	s_barrier
	buffer_gl0_inv
	ds_read_b128 v[3:6], v15 offset:3072
	s_waitcnt lgkmcnt(0)
	s_barrier
	buffer_gl0_inv
	v_cmp_eq_f64_e32 vcc_lo, 0, v[3:4]
	s_cbranch_vccz .LBB69_340
; %bb.335:                              ;   in Loop: Header=BB69_337 Depth=2
	v_add_nc_u32_e32 v8, s42, v8
	v_add_nc_u32_e32 v14, s44, v14
	s_mov_b32 s79, 0
	v_cmp_le_u32_e32 vcc_lo, s61, v8
	s_orn2_b32 s80, vcc_lo, exec_lo
.LBB69_336:                             ;   in Loop: Header=BB69_337 Depth=2
	s_and_b32 s80, exec_lo, s80
	s_or_b32 s27, s80, s27
	s_andn2_b32 s78, s78, exec_lo
	s_and_b32 s79, s79, exec_lo
	s_or_b32 s78, s78, s79
	s_andn2_b32 exec_lo, exec_lo, s27
	s_cbranch_execz .LBB69_341
.LBB69_337:                             ;   Parent Loop BB69_6 Depth=1
                                        ; =>  This Inner Loop Header: Depth=2
	s_mov_b32 s79, exec_lo
	v_cmpx_gt_u32_e64 s36, v8
	s_cbranch_execz .LBB69_334
; %bb.338:                              ;   in Loop: Header=BB69_337 Depth=2
	v_lshlrev_b64 v[3:4], 3, v[14:15]
	v_add_co_u32 v3, vcc_lo, s31, v3
	v_add_co_ci_u32_e64 v4, null, s33, v4, vcc_lo
	global_load_dwordx2 v[3:4], v[3:4], off
	s_waitcnt vmcnt(0)
	v_cmp_o_f64_e32 vcc_lo, v[3:4], v[3:4]
	v_ashrrev_i32_e32 v1, 31, v4
	v_or_b32_e32 v5, 0x80000000, v1
	v_xor_b32_e32 v1, v1, v3
	v_xor_b32_e32 v5, v5, v4
	v_cndmask_b32_e32 v5, -1, v5, vcc_lo
	v_cndmask_b32_e32 v1, -1, v1, vcc_lo
	v_and_b32_e32 v6, v5, v22
	v_and_b32_e32 v5, v1, v21
	v_cmp_eq_u64_e32 vcc_lo, v[5:6], v[16:17]
	s_and_b32 exec_lo, exec_lo, vcc_lo
	s_cbranch_execz .LBB69_334
; %bb.339:                              ;   in Loop: Header=BB69_337 Depth=2
	v_mov_b32_e32 v1, v15
	ds_write_b128 v15, v[1:4] offset:3072
	s_branch .LBB69_334
.LBB69_340:                             ;   in Loop: Header=BB69_337 Depth=2
	s_mov_b32 s80, -1
	s_mov_b32 s79, -1
                                        ; implicit-def: $vgpr8
	s_branch .LBB69_336
.LBB69_341:                             ;   in Loop: Header=BB69_6 Depth=1
	s_or_b32 exec_lo, exec_lo, s27
	s_andn2_b32 s27, s77, exec_lo
	s_and_b32 s77, s78, exec_lo
	s_or_b32 s77, s27, s77
.LBB69_342:                             ;   in Loop: Header=BB69_6 Depth=1
	s_or_b32 exec_lo, exec_lo, s26
	s_mov_b32 s26, 0
	s_mov_b32 s27, -1
.LBB69_343:                             ;   in Loop: Header=BB69_6 Depth=1
	s_orn2_b32 s77, s77, exec_lo
.LBB69_344:                             ;   in Loop: Header=BB69_6 Depth=1
	s_or_b32 exec_lo, exec_lo, s28
	s_mov_b32 s78, 0
	s_and_saveexec_b32 s28, s77
	s_cbranch_execz .LBB69_396
; %bb.345:                              ;   in Loop: Header=BB69_6 Depth=1
	v_mov_b32_e32 v8, 1
	v_mov_b32_e32 v41, 1
	s_xor_b32 s77, s29, -1
	s_mov_b32 s79, 0
	s_and_saveexec_b32 s29, s77
	s_cbranch_execz .LBB69_354
; %bb.346:                              ;   in Loop: Header=BB69_6 Depth=1
	s_mov_b32 s77, exec_lo
	v_cmpx_ge_u32_e64 s18, v7
	s_xor_b32 s77, exec_lo, s77
	s_cbranch_execz .LBB69_351
; %bb.347:                              ;   in Loop: Header=BB69_6 Depth=1
	ds_read_b32 v1, v15 offset:4096
	v_and_b32_e32 v3, s15, v17
	v_and_b32_e32 v4, s14, v16
	s_lshl_b64 s[78:79], 1, s70
	v_or_b32_e32 v22, s13, v22
	v_or_b32_e32 v21, s12, v21
	;; [unrolled: 1-line block ×4, first 2 shown]
	s_waitcnt lgkmcnt(0)
	v_cmp_ne_u32_e32 vcc_lo, 0, v1
	s_cbranch_vccnz .LBB69_351
; %bb.348:                              ;   in Loop: Header=BB69_6 Depth=1
	s_and_saveexec_b32 s78, s3
; %bb.349:                              ;   in Loop: Header=BB69_6 Depth=1
	v_mov_b32_e32 v1, s18
	ds_write_b32 v15, v1 offset:4100
; %bb.350:                              ;   in Loop: Header=BB69_6 Depth=1
	s_or_b32 exec_lo, exec_lo, s78
	s_waitcnt lgkmcnt(0)
	s_barrier
	buffer_gl0_inv
.LBB69_351:                             ;   in Loop: Header=BB69_6 Depth=1
	s_or_saveexec_b32 s77, s77
	v_mov_b32_e32 v41, 5
	s_mov_b32 s78, 0
	s_xor_b32 exec_lo, exec_lo, s77
; %bb.352:                              ;   in Loop: Header=BB69_6 Depth=1
	v_subrev_nc_u32_e32 v7, s18, v7
	v_mov_b32_e32 v41, 0
	s_mov_b32 s78, exec_lo
; %bb.353:                              ;   in Loop: Header=BB69_6 Depth=1
	s_or_b32 exec_lo, exec_lo, s77
	v_mov_b32_e32 v8, v7
	s_and_b32 s79, s78, exec_lo
.LBB69_354:                             ;   in Loop: Header=BB69_6 Depth=1
	s_or_b32 exec_lo, exec_lo, s29
	s_mov_b32 s29, -1
                                        ; implicit-def: $sgpr78
                                        ; implicit-def: $sgpr77
	s_and_saveexec_b32 s18, s79
	s_cbranch_execz .LBB69_395
; %bb.355:                              ;   in Loop: Header=BB69_6 Depth=1
	v_cmp_eq_u32_e32 vcc_lo, 1, v8
	s_cmp_eq_u32 s17, 1
	s_mov_b32 s80, -1
	s_cselect_b32 s29, -1, 0
                                        ; implicit-def: $sgpr78
                                        ; implicit-def: $sgpr77
	s_and_b32 s29, s29, vcc_lo
	s_and_saveexec_b32 s79, s29
	s_cbranch_execz .LBB69_383
; %bb.356:                              ;   in Loop: Header=BB69_6 Depth=1
	ds_read_b32 v1, v15 offset:4096
	s_waitcnt lgkmcnt(0)
	s_barrier
	buffer_gl0_inv
	v_readfirstlane_b32 s81, v1
	s_and_saveexec_b32 s77, s6
; %bb.357:                              ;   in Loop: Header=BB69_6 Depth=1
	v_mov_b32_e32 v14, v15
	ds_write_b64 v32, v[14:15]
; %bb.358:                              ;   in Loop: Header=BB69_6 Depth=1
	s_or_b32 exec_lo, exec_lo, s77
	v_and_b32_e32 v17, s15, v17
	v_and_b32_e32 v16, s14, v16
	v_or_b32_e32 v22, s13, v22
	v_or_b32_e32 v21, s12, v21
	s_mov_b32 s77, -1
	s_mov_b32 s78, 0
	s_cmp_eq_u32 s81, 0
	s_mov_b32 s80, 0
	s_mov_b32 s82, -1
	s_waitcnt lgkmcnt(0)
	s_barrier
	buffer_gl0_inv
                                        ; implicit-def: $vgpr5_vgpr6
	s_cbranch_scc1 .LBB69_370
; %bb.359:                              ;   in Loop: Header=BB69_6 Depth=1
	s_add_i32 s80, s81, s54
                                        ; implicit-def: $vgpr5_vgpr6
	s_mul_hi_u32 s82, s80, s60
	s_mul_i32 s82, s82, s42
	s_sub_i32 s82, s80, s82
	s_sub_i32 s83, s82, s42
	s_cmp_ge_u32 s82, s42
	s_cselect_b32 s82, s83, s82
	s_sub_i32 s83, s82, s42
	s_cmp_ge_u32 s82, s42
	s_cselect_b32 s82, s83, s82
	s_mov_b32 s83, exec_lo
	s_sub_i32 s84, s80, s82
	s_mov_b32 s82, 0
	s_mov_b32 s80, 0
	v_cmpx_gt_u32_e64 s84, v0
	s_cbranch_execz .LBB69_369
; %bb.360:                              ;   in Loop: Header=BB69_6 Depth=1
	v_mov_b32_e32 v7, v30
	v_mov_b32_e32 v9, v0
                                        ; implicit-def: $sgpr85
	s_inst_prefetch 0x1
	s_branch .LBB69_364
	.p2align	6
.LBB69_361:                             ;   in Loop: Header=BB69_364 Depth=2
	s_or_b32 exec_lo, exec_lo, s86
	s_waitcnt lgkmcnt(0)
	s_barrier
	buffer_gl0_inv
	ds_read_b128 v[3:6], v15 offset:3072
	s_waitcnt lgkmcnt(0)
	s_barrier
	buffer_gl0_inv
	v_cmp_neq_f64_e32 vcc_lo, 0, v[3:4]
	s_cbranch_vccnz .LBB69_367
; %bb.362:                              ;   in Loop: Header=BB69_364 Depth=2
	v_add_nc_u32_e32 v9, s42, v9
	v_add_nc_u32_e32 v7, s64, v7
	s_mov_b32 s86, 0
	v_cmp_le_u32_e32 vcc_lo, s84, v9
	s_orn2_b32 s87, vcc_lo, exec_lo
.LBB69_363:                             ;   in Loop: Header=BB69_364 Depth=2
	s_and_b32 s87, exec_lo, s87
	s_or_b32 s80, s87, s80
	s_andn2_b32 s85, s85, exec_lo
	s_and_b32 s86, s86, exec_lo
	s_or_b32 s85, s85, s86
	s_andn2_b32 exec_lo, exec_lo, s80
	s_cbranch_execz .LBB69_368
.LBB69_364:                             ;   Parent Loop BB69_6 Depth=1
                                        ; =>  This Inner Loop Header: Depth=2
	s_mov_b32 s86, exec_lo
	v_cmpx_gt_u32_e64 s81, v9
	s_cbranch_execz .LBB69_361
; %bb.365:                              ;   in Loop: Header=BB69_364 Depth=2
	ds_read_b64 v[3:4], v7
	s_waitcnt lgkmcnt(0)
	v_cmp_o_f64_e32 vcc_lo, v[3:4], v[3:4]
	v_ashrrev_i32_e32 v1, 31, v4
	v_or_b32_e32 v5, 0x80000000, v1
	v_xor_b32_e32 v1, v1, v3
	v_xor_b32_e32 v5, v5, v4
	v_cndmask_b32_e32 v5, -1, v5, vcc_lo
	v_cndmask_b32_e32 v1, -1, v1, vcc_lo
	v_and_b32_e32 v6, v5, v22
	v_and_b32_e32 v5, v1, v21
	v_cmp_eq_u64_e32 vcc_lo, v[5:6], v[16:17]
	s_and_b32 exec_lo, exec_lo, vcc_lo
	s_cbranch_execz .LBB69_361
; %bb.366:                              ;   in Loop: Header=BB69_364 Depth=2
	v_mov_b32_e32 v1, v15
	ds_write_b128 v15, v[1:4] offset:3072
	s_branch .LBB69_361
.LBB69_367:                             ;   in Loop: Header=BB69_364 Depth=2
	s_mov_b32 s87, -1
	s_mov_b32 s86, -1
                                        ; implicit-def: $vgpr9
                                        ; implicit-def: $vgpr7
	s_branch .LBB69_363
.LBB69_368:                             ;   in Loop: Header=BB69_6 Depth=1
	s_inst_prefetch 0x2
	s_or_b32 exec_lo, exec_lo, s80
	s_and_b32 s80, s85, exec_lo
.LBB69_369:                             ;   in Loop: Header=BB69_6 Depth=1
	s_or_b32 exec_lo, exec_lo, s83
.LBB69_370:                             ;   in Loop: Header=BB69_6 Depth=1
	s_and_b32 vcc_lo, exec_lo, s82
	s_cbranch_vccz .LBB69_382
; %bb.371:                              ;   in Loop: Header=BB69_6 Depth=1
                                        ; implicit-def: $vgpr5_vgpr6
	s_and_saveexec_b32 s77, s9
	s_cbranch_execz .LBB69_381
; %bb.372:                              ;   in Loop: Header=BB69_6 Depth=1
	v_mov_b32_e32 v14, v13
	v_mov_b32_e32 v7, v0
	s_mov_b32 s78, 0
                                        ; implicit-def: $sgpr81
	s_branch .LBB69_376
.LBB69_373:                             ;   in Loop: Header=BB69_376 Depth=2
	s_or_b32 exec_lo, exec_lo, s82
	s_waitcnt lgkmcnt(0)
	s_barrier
	buffer_gl0_inv
	ds_read_b128 v[3:6], v15 offset:3072
	s_waitcnt lgkmcnt(0)
	s_barrier
	buffer_gl0_inv
	v_cmp_eq_f64_e32 vcc_lo, 0, v[3:4]
	s_cbranch_vccz .LBB69_379
; %bb.374:                              ;   in Loop: Header=BB69_376 Depth=2
	v_add_nc_u32_e32 v7, s42, v7
	v_add_nc_u32_e32 v14, s44, v14
	s_mov_b32 s82, 0
	v_cmp_le_u32_e32 vcc_lo, s61, v7
	s_orn2_b32 s83, vcc_lo, exec_lo
.LBB69_375:                             ;   in Loop: Header=BB69_376 Depth=2
	s_and_b32 s83, exec_lo, s83
	s_or_b32 s78, s83, s78
	s_andn2_b32 s81, s81, exec_lo
	s_and_b32 s82, s82, exec_lo
	s_or_b32 s81, s81, s82
	s_andn2_b32 exec_lo, exec_lo, s78
	s_cbranch_execz .LBB69_380
.LBB69_376:                             ;   Parent Loop BB69_6 Depth=1
                                        ; =>  This Inner Loop Header: Depth=2
	s_mov_b32 s82, exec_lo
	v_cmpx_gt_u32_e64 s36, v7
	s_cbranch_execz .LBB69_373
; %bb.377:                              ;   in Loop: Header=BB69_376 Depth=2
	v_lshlrev_b64 v[3:4], 3, v[14:15]
	v_add_co_u32 v3, vcc_lo, s31, v3
	v_add_co_ci_u32_e64 v4, null, s33, v4, vcc_lo
	global_load_dwordx2 v[3:4], v[3:4], off
	s_waitcnt vmcnt(0)
	v_cmp_o_f64_e32 vcc_lo, v[3:4], v[3:4]
	v_ashrrev_i32_e32 v1, 31, v4
	v_or_b32_e32 v5, 0x80000000, v1
	v_xor_b32_e32 v1, v1, v3
	v_xor_b32_e32 v5, v5, v4
	v_cndmask_b32_e32 v5, -1, v5, vcc_lo
	v_cndmask_b32_e32 v1, -1, v1, vcc_lo
	v_and_b32_e32 v6, v5, v22
	v_and_b32_e32 v5, v1, v21
	v_cmp_eq_u64_e32 vcc_lo, v[5:6], v[16:17]
	s_and_b32 exec_lo, exec_lo, vcc_lo
	s_cbranch_execz .LBB69_373
; %bb.378:                              ;   in Loop: Header=BB69_376 Depth=2
	v_mov_b32_e32 v1, v15
	ds_write_b128 v15, v[1:4] offset:3072
	s_branch .LBB69_373
.LBB69_379:                             ;   in Loop: Header=BB69_376 Depth=2
	s_mov_b32 s83, -1
	s_mov_b32 s82, -1
                                        ; implicit-def: $vgpr7
	s_branch .LBB69_375
.LBB69_380:                             ;   in Loop: Header=BB69_6 Depth=1
	s_or_b32 exec_lo, exec_lo, s78
	s_andn2_b32 s78, s80, exec_lo
	s_and_b32 s80, s81, exec_lo
	s_or_b32 s80, s78, s80
.LBB69_381:                             ;   in Loop: Header=BB69_6 Depth=1
	s_or_b32 exec_lo, exec_lo, s77
	s_mov_b32 s77, 0
	s_mov_b32 s78, -1
.LBB69_382:                             ;   in Loop: Header=BB69_6 Depth=1
	s_orn2_b32 s80, s80, exec_lo
.LBB69_383:                             ;   in Loop: Header=BB69_6 Depth=1
	s_or_b32 exec_lo, exec_lo, s79
	s_mov_b32 s81, 0
	s_and_saveexec_b32 s79, s80
	s_cbranch_execz .LBB69_394
; %bb.384:                              ;   in Loop: Header=BB69_6 Depth=1
	v_mov_b32_e32 v41, 1
	v_mov_b32_e32 v1, 1
	s_xor_b32 s80, s29, -1
	s_and_saveexec_b32 s29, s80
	s_cbranch_execz .LBB69_393
; %bb.385:                              ;   in Loop: Header=BB69_6 Depth=1
	s_mov_b32 s80, exec_lo
	v_cmpx_ge_u32_e64 s17, v8
	s_xor_b32 s80, exec_lo, s80
	s_cbranch_execz .LBB69_390
; %bb.386:                              ;   in Loop: Header=BB69_6 Depth=1
	ds_read_b32 v1, v15 offset:4096
	v_and_b32_e32 v17, s15, v17
	v_and_b32_e32 v16, s14, v16
	v_or_b32_e32 v22, s13, v22
	v_or_b32_e32 v21, s12, v21
	s_waitcnt lgkmcnt(0)
	v_cmp_ne_u32_e32 vcc_lo, 0, v1
	s_cbranch_vccnz .LBB69_390
; %bb.387:                              ;   in Loop: Header=BB69_6 Depth=1
	s_and_saveexec_b32 s12, s3
; %bb.388:                              ;   in Loop: Header=BB69_6 Depth=1
	v_mov_b32_e32 v1, s17
	ds_write_b32 v15, v1 offset:4100
; %bb.389:                              ;   in Loop: Header=BB69_6 Depth=1
	s_or_b32 exec_lo, exec_lo, s12
	s_waitcnt lgkmcnt(0)
	s_barrier
	buffer_gl0_inv
.LBB69_390:                             ;   in Loop: Header=BB69_6 Depth=1
	s_andn2_saveexec_b32 s12, s80
; %bb.391:                              ;   in Loop: Header=BB69_6 Depth=1
	v_subrev_nc_u32_e32 v8, s17, v8
; %bb.392:                              ;   in Loop: Header=BB69_6 Depth=1
	s_or_b32 exec_lo, exec_lo, s12
	v_mov_b32_e32 v41, 5
	v_mov_b32_e32 v1, v8
.LBB69_393:                             ;   in Loop: Header=BB69_6 Depth=1
	s_or_b32 exec_lo, exec_lo, s29
	v_mov_b32_e32 v8, v1
	s_mov_b32 s81, exec_lo
.LBB69_394:                             ;   in Loop: Header=BB69_6 Depth=1
	s_or_b32 exec_lo, exec_lo, s79
	s_orn2_b32 s29, s81, exec_lo
.LBB69_395:                             ;   in Loop: Header=BB69_6 Depth=1
	s_or_b32 exec_lo, exec_lo, s18
	s_andn2_b32 s12, s27, exec_lo
	s_and_b32 s13, s78, exec_lo
	s_andn2_b32 s14, s26, exec_lo
	s_and_b32 s15, s77, exec_lo
	v_mov_b32_e32 v7, v8
	s_or_b32 s27, s12, s13
	s_or_b32 s26, s14, s15
	s_and_b32 s78, s29, exec_lo
.LBB69_396:                             ;   in Loop: Header=BB69_6 Depth=1
	s_or_b32 exec_lo, exec_lo, s28
	s_orn2_b32 s28, s78, exec_lo
.LBB69_397:                             ;   in Loop: Header=BB69_6 Depth=1
	s_or_b32 exec_lo, exec_lo, s19
	s_andn2_b32 s12, s23, exec_lo
	s_and_b32 s13, s27, exec_lo
	s_andn2_b32 s14, s20, exec_lo
	s_and_b32 s15, s26, exec_lo
	v_mov_b32_e32 v42, v7
	s_or_b32 s23, s12, s13
	s_or_b32 s20, s14, s15
	s_and_b32 s28, s28, exec_lo
.LBB69_398:                             ;   in Loop: Header=BB69_6 Depth=1
	s_or_b32 exec_lo, exec_lo, s25
	s_orn2_b32 s25, s28, exec_lo
.LBB69_399:                             ;   in Loop: Header=BB69_6 Depth=1
	s_or_b32 exec_lo, exec_lo, s10
	s_mov_b32 s10, s21
	s_mov_b32 s12, s11
	s_and_saveexec_b32 s13, s25
; %bb.400:                              ;   in Loop: Header=BB69_6 Depth=1
	v_cmp_ne_u32_e32 vcc_lo, 5, v41
	v_cmp_eq_u32_e64 s10, 5, v41
	s_andn2_b32 s12, s11, exec_lo
	s_andn2_b32 s14, s21, exec_lo
	s_and_b32 s15, vcc_lo, exec_lo
	s_and_b32 s10, s10, exec_lo
	s_or_b32 s12, s12, s15
	s_or_b32 s10, s14, s10
; %bb.401:                              ;   in Loop: Header=BB69_6 Depth=1
	s_or_b32 exec_lo, exec_lo, s13
	s_andn2_b32 s13, s24, exec_lo
	s_and_b32 s14, s23, exec_lo
	s_andn2_b32 s15, s16, exec_lo
	s_and_b32 s16, s20, exec_lo
	s_or_b32 s24, s13, s14
	s_andn2_b32 s11, s11, exec_lo
	s_and_b32 s12, s12, exec_lo
	s_andn2_b32 s13, s21, exec_lo
	s_and_b32 s10, s10, exec_lo
	s_or_b32 s16, s15, s16
	s_or_b32 s11, s11, s12
	;; [unrolled: 1-line block ×3, first 2 shown]
.LBB69_402:                             ;   in Loop: Header=BB69_6 Depth=1
	s_or_b32 exec_lo, exec_lo, s22
	s_mov_b32 s22, 0
	s_mov_b32 s23, 0
	s_and_saveexec_b32 s10, s21
.LBB69_403:                             ;   in Loop: Header=BB69_6 Depth=1
	v_mov_b32_e32 v41, 0
	s_or_b32 s11, s11, exec_lo
.LBB69_404:                             ;   in Loop: Header=BB69_6 Depth=1
	s_or_b32 exec_lo, exec_lo, s10
	s_andn2_b32 s10, s74, exec_lo
	s_and_b32 s13, s24, exec_lo
	s_andn2_b32 s14, s72, exec_lo
	s_and_b32 s15, s16, exec_lo
	v_mov_b32_e32 v40, v42
	s_or_b32 s74, s10, s13
	s_or_b32 s72, s14, s15
	s_andn2_b32 s10, s76, exec_lo
	s_and_b32 s13, s23, exec_lo
	s_andn2_b32 s14, s75, exec_lo
	s_and_b32 s15, s22, exec_lo
	s_mov_b32 s12, -1
	s_andn2_b32 s73, s73, exec_lo
	s_or_b32 s76, s10, s13
	s_or_b32 s75, s14, s15
	s_and_saveexec_b32 s10, s11
	s_xor_b32 s10, exec_lo, s10
	s_cbranch_execz .LBB69_5
; %bb.405:                              ;   in Loop: Header=BB69_6 Depth=1
	s_mov_b32 s11, -1
	s_mov_b32 s13, exec_lo
	v_cmpx_eq_u32_e32 0, v41
	s_cbranch_execz .LBB69_4
; %bb.406:                              ;   in Loop: Header=BB69_6 Depth=1
	s_xor_b32 s66, s66, 1
	s_add_i32 s14, s70, -2
	s_cmp_eq_u32 s70, 0
	s_mov_b32 s70, s14
	s_cselect_b32 s11, -1, 0
	s_xor_b32 s12, exec_lo, -1
	s_orn2_b32 s11, s11, exec_lo
	s_branch .LBB69_4
.LBB69_407:
	s_or_b32 exec_lo, exec_lo, s43
	s_xor_b32 s9, s71, -1
	s_xor_b32 s12, s68, -1
	;; [unrolled: 1-line block ×5, first 2 shown]
	s_mov_b32 s7, 0
	s_and_saveexec_b32 s8, s6
	s_xor_b32 s6, exec_lo, s8
	s_cbranch_execnz .LBB69_412
; %bb.408:
	s_andn2_saveexec_b32 s0, s6
	s_cbranch_execnz .LBB69_431
.LBB69_409:
	s_or_b32 exec_lo, exec_lo, s0
	s_and_saveexec_b32 s0, s7
.LBB69_410:
	; divergent unreachable
.LBB69_411:
	s_endpgm
.LBB69_412:
	s_mov_b32 s8, 0
	s_and_saveexec_b32 s7, s11
	s_xor_b32 s7, exec_lo, s7
	s_cbranch_execz .LBB69_429
; %bb.413:
	s_mov_b32 s11, 0
	s_and_saveexec_b32 s8, s12
	s_xor_b32 s8, exec_lo, s8
	s_cbranch_execz .LBB69_427
; %bb.414:
	s_and_saveexec_b32 s12, s9
	s_xor_b32 s9, exec_lo, s12
	s_cbranch_execz .LBB69_425
; %bb.415:
	s_and_saveexec_b32 s11, s10
	s_xor_b32 s10, exec_lo, s11
; %bb.416:
	v_lshrrev_b32_e32 v1, 31, v17
	v_add_co_u32 v1, s11, v1, -1
	v_add_co_ci_u32_e64 v2, null, 0, -1, s11
	v_xor_b32_e32 v5, v1, v16
	v_or_b32_e32 v2, 0x80000000, v2
	v_xor_b32_e32 v6, v2, v17
; %bb.417:
	s_or_b32 exec_lo, exec_lo, s10
	s_and_saveexec_b32 s10, s3
; %bb.418:
	v_mov_b32_e32 v1, 0
	ds_write_b32 v1, v1 offset:4108
; %bb.419:
	s_or_b32 exec_lo, exec_lo, s10
	v_mov_b32_e32 v7, 0
	v_mov_b32_e32 v8, 0
	s_waitcnt lgkmcnt(0)
	s_barrier
	buffer_gl0_inv
	s_and_saveexec_b32 s3, s2
	s_cbranch_execz .LBB69_421
; %bb.420:
	global_load_dwordx2 v[7:8], v[11:12], off
.LBB69_421:
	s_or_b32 exec_lo, exec_lo, s3
	v_cmp_o_f64_e32 vcc_lo, v[5:6], v[5:6]
	v_ashrrev_i32_e32 v1, 31, v6
	s_clause 0x1
	s_load_dword s10, s[4:5], 0x1c8
	s_load_dword s11, s[4:5], 0x2a8
	s_mul_i32 s4, s47, s45
	s_mov_b32 s5, 0
	s_add_i32 s12, s36, 31
	v_or_b32_e32 v2, 0x80000000, v1
	v_xor_b32_e32 v1, v1, v5
	s_lshl_b64 s[14:15], s[4:5], 3
	s_mul_i32 s16, s46, s45
	s_andn2_b32 s12, s12, 31
	v_xor_b32_e32 v2, v2, v6
	s_mov_b32 s17, s5
	s_add_u32 s13, s40, s14
	s_addc_u32 s14, s41, s15
	s_lshl_b64 s[16:17], s[16:17], 3
	s_mov_b32 s18, -1
	s_add_u32 s15, s34, s16
	s_addc_u32 s16, s35, s17
	s_mov_b32 s3, 0
	v_cndmask_b32_e32 v3, -1, v2, vcc_lo
	v_cndmask_b32_e32 v2, -1, v1, vcc_lo
	v_cmp_gt_u32_e32 vcc_lo, s12, v0
	s_and_saveexec_b32 s17, vcc_lo
	s_cbranch_execnz .LBB69_432
; %bb.422:
	s_or_b32 exec_lo, exec_lo, s17
	s_and_saveexec_b32 s4, s18
	s_cbranch_execnz .LBB69_449
.LBB69_423:
	s_or_b32 exec_lo, exec_lo, s4
	s_and_saveexec_b32 s0, s3
	s_xor_b32 s0, exec_lo, s0
	s_cbranch_execnz .LBB69_474
.LBB69_424:
	s_or_b32 exec_lo, exec_lo, s0
	s_waitcnt lgkmcnt(0)
	s_and_b32 s11, s5, exec_lo
.LBB69_425:
	s_andn2_saveexec_b32 s0, s9
	s_cbranch_execnz .LBB69_476
.LBB69_426:
	s_or_b32 exec_lo, exec_lo, s0
	s_and_b32 s11, s11, exec_lo
.LBB69_427:
	s_andn2_saveexec_b32 s0, s8
	s_cbranch_execnz .LBB69_475
.LBB69_428:
	s_or_b32 exec_lo, exec_lo, s0
	s_and_b32 s8, s11, exec_lo
.LBB69_429:
	s_andn2_saveexec_b32 s0, s7
	s_cbranch_execnz .LBB69_470
.LBB69_430:
	s_or_b32 exec_lo, exec_lo, s0
	s_and_b32 s7, s8, exec_lo
	s_andn2_saveexec_b32 s0, s6
	s_cbranch_execz .LBB69_409
.LBB69_431:
	s_or_b32 s7, s7, exec_lo
	s_trap 2
	s_or_b32 exec_lo, exec_lo, s0
	s_and_saveexec_b32 s0, s7
	s_cbranch_execnz .LBB69_410
	s_branch .LBB69_411
.LBB69_432:
	v_add_nc_u32_e32 v1, s42, v0
	v_mov_b32_e32 v5, 0
	v_mov_b32_e32 v13, v0
	s_mov_b32 s18, 0
                                        ; implicit-def: $sgpr19
                                        ; implicit-def: $vgpr6
	v_mul_lo_u32 v4, s30, v1
	s_branch .LBB69_434
.LBB69_433:                             ;   in Loop: Header=BB69_434 Depth=1
	s_or_b32 exec_lo, exec_lo, s21
	s_xor_b32 s3, s20, -1
	s_and_b32 s4, exec_lo, s4
	s_waitcnt vmcnt(0)
	v_mov_b32_e32 v7, v9
	v_mov_b32_e32 v8, v10
	s_or_b32 s18, s4, s18
	v_mov_b32_e32 v13, v1
	s_andn2_b32 s4, s19, exec_lo
	s_and_b32 s3, s3, exec_lo
	s_or_b32 s19, s4, s3
	s_andn2_b32 exec_lo, exec_lo, s18
	s_cbranch_execz .LBB69_448
.LBB69_434:                             ; =>This Inner Loop Header: Depth=1
	v_mov_b32_e32 v9, 0
	v_add_nc_u32_e32 v1, s42, v13
	v_mov_b32_e32 v10, 0
	s_mov_b32 s4, exec_lo
	v_cmpx_gt_u32_e64 s36, v1
	s_cbranch_execz .LBB69_436
; %bb.435:                              ;   in Loop: Header=BB69_434 Depth=1
	v_lshlrev_b64 v[9:10], 3, v[4:5]
	v_add_co_u32 v9, s3, s31, v9
	v_add_co_ci_u32_e64 v10, null, s33, v10, s3
	global_load_dwordx2 v[9:10], v[9:10], off
.LBB69_436:                             ;   in Loop: Header=BB69_434 Depth=1
	s_or_b32 exec_lo, exec_lo, s4
	s_mov_b32 s20, 0
	s_mov_b32 s4, exec_lo
	v_cmpx_gt_u32_e64 s36, v13
	s_cbranch_execz .LBB69_438
; %bb.437:                              ;   in Loop: Header=BB69_434 Depth=1
	s_waitcnt vmcnt(0)
	v_cmp_o_f64_e64 s3, v[7:8], v[7:8]
	v_ashrrev_i32_e32 v14, 31, v8
	v_or_b32_e32 v15, 0x80000000, v14
	v_xor_b32_e32 v14, v14, v7
	v_xor_b32_e32 v15, v15, v8
	v_cndmask_b32_e64 v15, -1, v15, s3
	v_cndmask_b32_e64 v14, -1, v14, s3
	v_cmp_gt_u64_e64 s3, v[14:15], v[2:3]
	v_cndmask_b32_e64 v16, 0, 1, s3
	v_cmp_lt_u64_e64 s3, v[14:15], v[2:3]
	v_cndmask_b32_e64 v14, 0, 1, s3
	v_cndmask_b32_e64 v14, v14, v16, s1
	v_and_b32_e32 v14, 1, v14
	v_cmp_eq_u32_e64 s3, 1, v14
	s_and_b32 s20, s3, exec_lo
.LBB69_438:                             ;   in Loop: Header=BB69_434 Depth=1
	s_or_b32 exec_lo, exec_lo, s4
	v_cndmask_b32_e64 v14, 0, 1, s20
	v_cmp_ne_u32_e64 s3, 0, v14
	s_cmp_lg_u32 s3, 0
	s_cselect_b32 s4, -1, 0
	s_and_b32 s4, s0, s4
	s_and_saveexec_b32 s21, s4
	s_cbranch_execz .LBB69_442
; %bb.439:                              ;   in Loop: Header=BB69_434 Depth=1
	s_mov_b32 s24, exec_lo
	s_bcnt1_i32_b32 s22, s3
	s_waitcnt lgkmcnt(0)
	v_mbcnt_lo_u32_b32 v6, s24, 0
	s_mov_b32 s23, exec_lo
                                        ; implicit-def: $vgpr14
	v_cmpx_eq_u32_e32 0, v6
; %bb.440:                              ;   in Loop: Header=BB69_434 Depth=1
	s_bcnt1_i32_b32 s4, s24
	s_mul_i32 s4, s22, s4
	v_mov_b32_e32 v14, s4
	ds_add_rtn_u32 v14, v5, v14 offset:4108
; %bb.441:                              ;   in Loop: Header=BB69_434 Depth=1
	s_or_b32 exec_lo, exec_lo, s23
	s_waitcnt lgkmcnt(0)
	v_readfirstlane_b32 s4, v14
	v_mad_u32_u24 v6, s22, v6, s4
.LBB69_442:                             ;   in Loop: Header=BB69_434 Depth=1
	s_or_b32 exec_lo, exec_lo, s21
	s_waitcnt lgkmcnt(0)
	ds_bpermute_b32 v6, v5, v6
	s_mov_b32 s4, -1
	s_mov_b32 s22, -1
	s_and_saveexec_b32 s21, s20
	s_cbranch_execz .LBB69_446
; %bb.443:                              ;   in Loop: Header=BB69_434 Depth=1
	v_and_b32_e32 v14, s3, v27
	s_mov_b32 s20, 0
	s_mov_b32 s22, exec_lo
	s_waitcnt lgkmcnt(0)
	v_bcnt_u32_b32 v14, v14, v6
	v_cmpx_gt_u32_e64 s37, v14
	s_cbranch_execz .LBB69_445
; %bb.444:                              ;   in Loop: Header=BB69_434 Depth=1
	v_mul_lo_u32 v15, v14, s10
	v_mul_lo_u32 v17, v14, s11
	v_mov_b32_e32 v16, v5
	v_mov_b32_e32 v18, v5
	v_mov_b32_e32 v14, v5
	s_mov_b32 s20, exec_lo
	v_lshlrev_b64 v[15:16], 3, v[15:16]
	v_lshlrev_b64 v[17:18], 3, v[17:18]
	v_add_co_u32 v15, s3, s13, v15
	v_add_co_ci_u32_e64 v16, null, s14, v16, s3
	v_add_co_u32 v17, s3, s15, v17
	v_add_co_ci_u32_e64 v18, null, s16, v18, s3
	s_waitcnt vmcnt(0)
	global_store_dwordx2 v[15:16], v[7:8], off
	global_store_dwordx2 v[17:18], v[13:14], off
.LBB69_445:                             ;   in Loop: Header=BB69_434 Depth=1
	s_or_b32 exec_lo, exec_lo, s22
	s_orn2_b32 s22, s20, exec_lo
.LBB69_446:                             ;   in Loop: Header=BB69_434 Depth=1
	s_or_b32 exec_lo, exec_lo, s21
	s_mov_b32 s20, -1
	s_and_saveexec_b32 s21, s22
	s_cbranch_execz .LBB69_433
; %bb.447:                              ;   in Loop: Header=BB69_434 Depth=1
	v_cmp_le_u32_e64 s3, s12, v1
	v_add_nc_u32_e32 v4, s44, v4
	s_xor_b32 s20, exec_lo, -1
	s_orn2_b32 s4, s3, exec_lo
	s_branch .LBB69_433
.LBB69_448:
	s_or_b32 exec_lo, exec_lo, s18
	s_mov_b32 s3, exec_lo
	s_orn2_b32 s18, s19, exec_lo
	s_or_b32 exec_lo, exec_lo, s17
	s_and_saveexec_b32 s4, s18
	s_cbranch_execz .LBB69_423
.LBB69_449:
	s_waitcnt vmcnt(0)
	v_mov_b32_e32 v8, 0
	v_mov_b32_e32 v9, 0
	s_waitcnt lgkmcnt(0)
	s_waitcnt_vscnt null, 0x0
	s_barrier
	buffer_gl0_inv
	s_and_saveexec_b32 s1, s2
	s_cbranch_execz .LBB69_451
; %bb.450:
	global_load_dwordx2 v[8:9], v[11:12], off
.LBB69_451:
	s_or_b32 exec_lo, exec_lo, s1
	s_mov_b32 s1, 0
	s_and_saveexec_b32 s2, vcc_lo
	s_cbranch_execz .LBB69_473
; %bb.452:
	v_add_nc_u32_e32 v1, s42, v0
	v_mov_b32_e32 v5, 0
	s_mov_b32 s5, 0
                                        ; implicit-def: $sgpr17
                                        ; implicit-def: $vgpr11
	v_mul_lo_u32 v4, s30, v1
	s_branch .LBB69_455
.LBB69_453:                             ;   in Loop: Header=BB69_455 Depth=1
	s_or_b32 exec_lo, exec_lo, s18
	s_orn2_b32 s20, s21, exec_lo
	s_orn2_b32 s19, s19, exec_lo
.LBB69_454:                             ;   in Loop: Header=BB69_455 Depth=1
	s_or_b32 exec_lo, exec_lo, s1
	s_xor_b32 s1, s20, -1
	s_and_b32 s18, exec_lo, s19
	s_waitcnt vmcnt(0)
	v_mov_b32_e32 v9, v7
	v_mov_b32_e32 v0, v10
	s_or_b32 s5, s18, s5
	v_mov_b32_e32 v8, v6
	s_andn2_b32 s17, s17, exec_lo
	s_and_b32 s1, s1, exec_lo
	s_or_b32 s17, s17, s1
	s_andn2_b32 exec_lo, exec_lo, s5
	s_cbranch_execz .LBB69_471
.LBB69_455:                             ; =>This Inner Loop Header: Depth=1
	v_mov_b32_e32 v6, 0
	v_add_nc_u32_e32 v10, s42, v0
	v_mov_b32_e32 v7, 0
	s_mov_b32 s1, exec_lo
	v_cmpx_gt_u32_e64 s36, v10
	s_cbranch_execz .LBB69_457
; %bb.456:                              ;   in Loop: Header=BB69_455 Depth=1
	v_lshlrev_b64 v[6:7], 3, v[4:5]
	v_add_co_u32 v6, vcc_lo, s31, v6
	v_add_co_ci_u32_e64 v7, null, s33, v7, vcc_lo
	global_load_dwordx2 v[6:7], v[6:7], off
.LBB69_457:                             ;   in Loop: Header=BB69_455 Depth=1
	s_or_b32 exec_lo, exec_lo, s1
	s_mov_b32 s18, 0
	s_mov_b32 s1, exec_lo
	v_cmpx_gt_u32_e64 s36, v0
	s_cbranch_execz .LBB69_459
; %bb.458:                              ;   in Loop: Header=BB69_455 Depth=1
	s_waitcnt vmcnt(0)
	v_cmp_o_f64_e32 vcc_lo, v[8:9], v[8:9]
	v_ashrrev_i32_e32 v1, 31, v9
	v_or_b32_e32 v12, 0x80000000, v1
	v_xor_b32_e32 v1, v1, v8
	v_xor_b32_e32 v12, v12, v9
	v_cndmask_b32_e32 v13, -1, v12, vcc_lo
	v_cndmask_b32_e32 v12, -1, v1, vcc_lo
	v_cmp_eq_u64_e32 vcc_lo, v[12:13], v[2:3]
	s_and_b32 s18, vcc_lo, exec_lo
.LBB69_459:                             ;   in Loop: Header=BB69_455 Depth=1
	s_or_b32 exec_lo, exec_lo, s1
	v_cndmask_b32_e64 v1, 0, 1, s18
	v_cmp_ne_u32_e32 vcc_lo, 0, v1
	s_cmp_lg_u32 vcc_lo, 0
	s_cselect_b32 s1, -1, 0
	s_and_b32 s1, s0, s1
	s_and_saveexec_b32 s19, s1
	s_cbranch_execz .LBB69_463
; %bb.460:                              ;   in Loop: Header=BB69_455 Depth=1
	s_mov_b32 s22, exec_lo
	s_bcnt1_i32_b32 s20, vcc_lo
	v_mbcnt_lo_u32_b32 v1, s22, 0
	s_mov_b32 s21, exec_lo
                                        ; implicit-def: $vgpr11
	v_cmpx_eq_u32_e32 0, v1
; %bb.461:                              ;   in Loop: Header=BB69_455 Depth=1
	s_bcnt1_i32_b32 s1, s22
	s_mul_i32 s1, s20, s1
	v_mov_b32_e32 v11, s1
	ds_add_rtn_u32 v11, v5, v11 offset:4108
; %bb.462:                              ;   in Loop: Header=BB69_455 Depth=1
	s_or_b32 exec_lo, exec_lo, s21
	s_waitcnt lgkmcnt(0)
	v_readfirstlane_b32 s1, v11
	v_mad_u32_u24 v11, s20, v1, s1
.LBB69_463:                             ;   in Loop: Header=BB69_455 Depth=1
	s_or_b32 exec_lo, exec_lo, s19
	ds_bpermute_b32 v11, v5, v11
	s_cmp_eq_u32 vcc_lo, 0
	s_mov_b32 s19, -1
	s_cselect_b32 s20, -1, 0
	s_waitcnt lgkmcnt(0)
	v_cmp_gt_u32_e64 s1, s37, v11
	s_or_b32 s21, s20, s1
	s_mov_b32 s20, -1
	s_and_saveexec_b32 s1, s21
	s_cbranch_execz .LBB69_454
; %bb.464:                              ;   in Loop: Header=BB69_455 Depth=1
	v_and_b32_e32 v1, vcc_lo, v27
	v_sub_nc_u32_e32 v12, s37, v11
	s_mov_b32 s21, -1
	v_bcnt_u32_b32 v1, v1, 0
	v_bcnt_u32_b32 v1, 0, v1
	v_cmp_gt_u32_e32 vcc_lo, v12, v1
	s_and_b32 s22, s18, vcc_lo
	s_and_saveexec_b32 s18, s22
	s_cbranch_execz .LBB69_468
; %bb.465:                              ;   in Loop: Header=BB69_455 Depth=1
	v_add_nc_u32_e32 v1, v11, v1
	s_mov_b32 s20, 0
	s_mov_b32 s21, exec_lo
	v_cmpx_gt_u32_e64 s37, v1
	s_cbranch_execz .LBB69_467
; %bb.466:                              ;   in Loop: Header=BB69_455 Depth=1
	v_mul_lo_u32 v12, v1, s10
	v_mul_lo_u32 v14, v1, s11
	v_mov_b32_e32 v13, v5
	v_mov_b32_e32 v15, v5
	;; [unrolled: 1-line block ×3, first 2 shown]
	s_mov_b32 s20, exec_lo
	v_lshlrev_b64 v[12:13], 3, v[12:13]
	v_lshlrev_b64 v[14:15], 3, v[14:15]
	v_add_co_u32 v12, vcc_lo, s13, v12
	v_add_co_ci_u32_e64 v13, null, s14, v13, vcc_lo
	v_add_co_u32 v14, vcc_lo, s15, v14
	v_add_co_ci_u32_e64 v15, null, s16, v15, vcc_lo
	s_waitcnt vmcnt(0)
	global_store_dwordx2 v[12:13], v[8:9], off
	global_store_dwordx2 v[14:15], v[0:1], off
.LBB69_467:                             ;   in Loop: Header=BB69_455 Depth=1
	s_or_b32 exec_lo, exec_lo, s21
	s_xor_b32 s21, exec_lo, -1
	s_orn2_b32 s20, s20, exec_lo
.LBB69_468:                             ;   in Loop: Header=BB69_455 Depth=1
	s_or_b32 exec_lo, exec_lo, s18
	s_and_saveexec_b32 s18, s20
	s_cbranch_execz .LBB69_453
; %bb.469:                              ;   in Loop: Header=BB69_455 Depth=1
	v_cmp_le_u32_e32 vcc_lo, s12, v10
	v_add_nc_u32_e32 v4, s44, v4
	s_or_b32 s21, s21, exec_lo
	s_orn2_b32 s19, vcc_lo, exec_lo
	s_branch .LBB69_453
.LBB69_470:
	s_or_b32 s8, s8, exec_lo
	s_trap 2
	s_branch .LBB69_430
.LBB69_471:
	s_or_b32 exec_lo, exec_lo, s5
	s_mov_b32 s0, 0
	s_and_saveexec_b32 s1, s17
	s_xor_b32 s1, exec_lo, s1
	s_cbranch_execnz .LBB69_477
.LBB69_472:
	s_or_b32 exec_lo, exec_lo, s1
	s_and_b32 s1, s0, exec_lo
.LBB69_473:
	s_or_b32 exec_lo, exec_lo, s2
	s_and_b32 s5, s1, exec_lo
	s_andn2_b32 s3, s3, exec_lo
	s_or_b32 exec_lo, exec_lo, s4
	s_and_saveexec_b32 s0, s3
	s_xor_b32 s0, exec_lo, s0
	s_cbranch_execz .LBB69_424
.LBB69_474:
	s_or_b32 s5, s5, exec_lo
	s_trap 2
	s_branch .LBB69_424
.LBB69_475:
	s_or_b32 s11, s11, exec_lo
	s_trap 2
	s_branch .LBB69_428
.LBB69_476:
	s_or_b32 s11, s11, exec_lo
	s_trap 2
	s_branch .LBB69_426
.LBB69_477:
	s_mov_b32 s0, exec_lo
	s_trap 2
	s_branch .LBB69_472
	.section	.rodata,"a",@progbits
	.p2align	6, 0x0
	.amdhsa_kernel _ZN2at6native6sbtopk10gatherTopKIdjLi1ELb0EEEvNS_4cuda6detail10TensorInfoIKT_T0_EES8_S8_bS8_S8_NS5_IS6_S8_EES8_NS5_IlS8_EES8_PS6_
		.amdhsa_group_segment_fixed_size 4112
		.amdhsa_private_segment_fixed_size 0
		.amdhsa_kernarg_size 952
		.amdhsa_user_sgpr_count 6
		.amdhsa_user_sgpr_private_segment_buffer 1
		.amdhsa_user_sgpr_dispatch_ptr 0
		.amdhsa_user_sgpr_queue_ptr 0
		.amdhsa_user_sgpr_kernarg_segment_ptr 1
		.amdhsa_user_sgpr_dispatch_id 0
		.amdhsa_user_sgpr_flat_scratch_init 0
		.amdhsa_user_sgpr_private_segment_size 0
		.amdhsa_wavefront_size32 1
		.amdhsa_uses_dynamic_stack 0
		.amdhsa_system_sgpr_private_segment_wavefront_offset 0
		.amdhsa_system_sgpr_workgroup_id_x 1
		.amdhsa_system_sgpr_workgroup_id_y 1
		.amdhsa_system_sgpr_workgroup_id_z 1
		.amdhsa_system_sgpr_workgroup_info 0
		.amdhsa_system_vgpr_workitem_id 0
		.amdhsa_next_free_vgpr 55
		.amdhsa_next_free_sgpr 92
		.amdhsa_reserve_vcc 1
		.amdhsa_reserve_flat_scratch 0
		.amdhsa_float_round_mode_32 0
		.amdhsa_float_round_mode_16_64 0
		.amdhsa_float_denorm_mode_32 3
		.amdhsa_float_denorm_mode_16_64 3
		.amdhsa_dx10_clamp 1
		.amdhsa_ieee_mode 1
		.amdhsa_fp16_overflow 0
		.amdhsa_workgroup_processor_mode 1
		.amdhsa_memory_ordered 1
		.amdhsa_forward_progress 1
		.amdhsa_shared_vgpr_count 0
		.amdhsa_exception_fp_ieee_invalid_op 0
		.amdhsa_exception_fp_denorm_src 0
		.amdhsa_exception_fp_ieee_div_zero 0
		.amdhsa_exception_fp_ieee_overflow 0
		.amdhsa_exception_fp_ieee_underflow 0
		.amdhsa_exception_fp_ieee_inexact 0
		.amdhsa_exception_int_div_zero 0
	.end_amdhsa_kernel
	.section	.text._ZN2at6native6sbtopk10gatherTopKIdjLi1ELb0EEEvNS_4cuda6detail10TensorInfoIKT_T0_EES8_S8_bS8_S8_NS5_IS6_S8_EES8_NS5_IlS8_EES8_PS6_,"axG",@progbits,_ZN2at6native6sbtopk10gatherTopKIdjLi1ELb0EEEvNS_4cuda6detail10TensorInfoIKT_T0_EES8_S8_bS8_S8_NS5_IS6_S8_EES8_NS5_IlS8_EES8_PS6_,comdat
.Lfunc_end69:
	.size	_ZN2at6native6sbtopk10gatherTopKIdjLi1ELb0EEEvNS_4cuda6detail10TensorInfoIKT_T0_EES8_S8_bS8_S8_NS5_IS6_S8_EES8_NS5_IlS8_EES8_PS6_, .Lfunc_end69-_ZN2at6native6sbtopk10gatherTopKIdjLi1ELb0EEEvNS_4cuda6detail10TensorInfoIKT_T0_EES8_S8_bS8_S8_NS5_IS6_S8_EES8_NS5_IlS8_EES8_PS6_
                                        ; -- End function
	.set _ZN2at6native6sbtopk10gatherTopKIdjLi1ELb0EEEvNS_4cuda6detail10TensorInfoIKT_T0_EES8_S8_bS8_S8_NS5_IS6_S8_EES8_NS5_IlS8_EES8_PS6_.num_vgpr, 55
	.set _ZN2at6native6sbtopk10gatherTopKIdjLi1ELb0EEEvNS_4cuda6detail10TensorInfoIKT_T0_EES8_S8_bS8_S8_NS5_IS6_S8_EES8_NS5_IlS8_EES8_PS6_.num_agpr, 0
	.set _ZN2at6native6sbtopk10gatherTopKIdjLi1ELb0EEEvNS_4cuda6detail10TensorInfoIKT_T0_EES8_S8_bS8_S8_NS5_IS6_S8_EES8_NS5_IlS8_EES8_PS6_.numbered_sgpr, 92
	.set _ZN2at6native6sbtopk10gatherTopKIdjLi1ELb0EEEvNS_4cuda6detail10TensorInfoIKT_T0_EES8_S8_bS8_S8_NS5_IS6_S8_EES8_NS5_IlS8_EES8_PS6_.num_named_barrier, 0
	.set _ZN2at6native6sbtopk10gatherTopKIdjLi1ELb0EEEvNS_4cuda6detail10TensorInfoIKT_T0_EES8_S8_bS8_S8_NS5_IS6_S8_EES8_NS5_IlS8_EES8_PS6_.private_seg_size, 0
	.set _ZN2at6native6sbtopk10gatherTopKIdjLi1ELb0EEEvNS_4cuda6detail10TensorInfoIKT_T0_EES8_S8_bS8_S8_NS5_IS6_S8_EES8_NS5_IlS8_EES8_PS6_.uses_vcc, 1
	.set _ZN2at6native6sbtopk10gatherTopKIdjLi1ELb0EEEvNS_4cuda6detail10TensorInfoIKT_T0_EES8_S8_bS8_S8_NS5_IS6_S8_EES8_NS5_IlS8_EES8_PS6_.uses_flat_scratch, 0
	.set _ZN2at6native6sbtopk10gatherTopKIdjLi1ELb0EEEvNS_4cuda6detail10TensorInfoIKT_T0_EES8_S8_bS8_S8_NS5_IS6_S8_EES8_NS5_IlS8_EES8_PS6_.has_dyn_sized_stack, 0
	.set _ZN2at6native6sbtopk10gatherTopKIdjLi1ELb0EEEvNS_4cuda6detail10TensorInfoIKT_T0_EES8_S8_bS8_S8_NS5_IS6_S8_EES8_NS5_IlS8_EES8_PS6_.has_recursion, 0
	.set _ZN2at6native6sbtopk10gatherTopKIdjLi1ELb0EEEvNS_4cuda6detail10TensorInfoIKT_T0_EES8_S8_bS8_S8_NS5_IS6_S8_EES8_NS5_IlS8_EES8_PS6_.has_indirect_call, 0
	.section	.AMDGPU.csdata,"",@progbits
; Kernel info:
; codeLenInByte = 15020
; TotalNumSgprs: 94
; NumVgprs: 55
; ScratchSize: 0
; MemoryBound: 0
; FloatMode: 240
; IeeeMode: 1
; LDSByteSize: 4112 bytes/workgroup (compile time only)
; SGPRBlocks: 0
; VGPRBlocks: 6
; NumSGPRsForWavesPerEU: 94
; NumVGPRsForWavesPerEU: 55
; Occupancy: 16
; WaveLimiterHint : 1
; COMPUTE_PGM_RSRC2:SCRATCH_EN: 0
; COMPUTE_PGM_RSRC2:USER_SGPR: 6
; COMPUTE_PGM_RSRC2:TRAP_HANDLER: 0
; COMPUTE_PGM_RSRC2:TGID_X_EN: 1
; COMPUTE_PGM_RSRC2:TGID_Y_EN: 1
; COMPUTE_PGM_RSRC2:TGID_Z_EN: 1
; COMPUTE_PGM_RSRC2:TIDIG_COMP_CNT: 0
	.section	.text._ZN2at6native6mbtopk23computeBlockDigitCountsIdjmLi2EEEvNS_4cuda6detail10TensorInfoIKT_T0_EEjPjjS8_iijT1_PSB_Ps,"axG",@progbits,_ZN2at6native6mbtopk23computeBlockDigitCountsIdjmLi2EEEvNS_4cuda6detail10TensorInfoIKT_T0_EEjPjjS8_iijT1_PSB_Ps,comdat
	.protected	_ZN2at6native6mbtopk23computeBlockDigitCountsIdjmLi2EEEvNS_4cuda6detail10TensorInfoIKT_T0_EEjPjjS8_iijT1_PSB_Ps ; -- Begin function _ZN2at6native6mbtopk23computeBlockDigitCountsIdjmLi2EEEvNS_4cuda6detail10TensorInfoIKT_T0_EEjPjjS8_iijT1_PSB_Ps
	.globl	_ZN2at6native6mbtopk23computeBlockDigitCountsIdjmLi2EEEvNS_4cuda6detail10TensorInfoIKT_T0_EEjPjjS8_iijT1_PSB_Ps
	.p2align	8
	.type	_ZN2at6native6mbtopk23computeBlockDigitCountsIdjmLi2EEEvNS_4cuda6detail10TensorInfoIKT_T0_EEjPjjS8_iijT1_PSB_Ps,@function
_ZN2at6native6mbtopk23computeBlockDigitCountsIdjmLi2EEEvNS_4cuda6detail10TensorInfoIKT_T0_EEjPjjS8_iijT1_PSB_Ps: ; @_ZN2at6native6mbtopk23computeBlockDigitCountsIdjmLi2EEEvNS_4cuda6detail10TensorInfoIKT_T0_EEjPjjS8_iijT1_PSB_Ps
; %bb.0:
	s_clause 0x2
	s_load_dword s17, s[4:5], 0xf8
	s_load_dwordx4 s[0:3], s[4:5], 0xe8
	s_load_dwordx2 s[10:11], s[4:5], 0x118
	s_mov_b32 s13, 0
	s_waitcnt lgkmcnt(0)
	v_cvt_f32_u32_e32 v1, s17
	s_mul_i32 s8, s11, s8
	s_sub_i32 s11, 0, s17
	s_add_i32 s7, s8, s7
	v_rcp_iflag_f32_e32 v1, v1
	s_mul_i32 s16, s7, s10
	s_add_i32 s16, s16, s6
	v_mul_f32_e32 v1, 0x4f7ffffe, v1
	v_cvt_u32_f32_e32 v1, v1
	v_readfirstlane_b32 s9, v1
	s_mul_i32 s11, s11, s9
	s_mul_hi_u32 s7, s9, s11
	s_add_i32 s9, s9, s7
	s_mul_hi_u32 s6, s16, s9
	s_mul_i32 s7, s6, s17
	s_add_i32 s8, s6, 1
	s_sub_i32 s7, s16, s7
	s_sub_i32 s9, s7, s17
	s_cmp_ge_u32 s7, s17
	s_cselect_b32 s6, s8, s6
	s_cselect_b32 s7, s9, s7
	s_add_i32 s8, s6, 1
	s_cmp_ge_u32 s7, s17
	s_cselect_b32 s12, s8, s6
	s_cmp_ge_u32 s12, s0
	s_cbranch_scc1 .LBB70_21
; %bb.1:
	s_clause 0x2
	s_load_dword s0, s[4:5], 0xc
	s_load_dwordx4 s[8:11], s[4:5], 0x100
	s_load_dwordx2 s[6:7], s[4:5], 0x110
	s_lshl_b64 s[14:15], s[12:13], 3
	v_cmp_gt_u32_e32 vcc_lo, 0x100, v0
	v_lshlrev_b32_e32 v5, 2, v0
	s_waitcnt lgkmcnt(0)
	s_add_u32 s14, s10, s14
	v_cvt_f32_u32_e32 v1, s0
	s_addc_u32 s15, s11, s15
	v_rcp_iflag_f32_e32 v1, v1
	v_mul_f32_e32 v1, 0x4f7ffffe, v1
	v_cvt_u32_f32_e32 v1, v1
	v_readfirstlane_b32 s19, v1
	s_and_saveexec_b32 s10, vcc_lo
; %bb.2:
	v_mov_b32_e32 v1, 0
	ds_write_b32 v5, v1
; %bb.3:
	s_or_b32 exec_lo, exec_lo, s10
	s_load_dword s13, s[4:5], 0xd8
	s_mul_i32 s10, s12, s17
	s_waitcnt lgkmcnt(0)
	s_sub_i32 s10, s16, s10
	s_barrier
	s_mul_i32 s11, s3, s10
	s_add_i32 s20, s10, 1
	s_lshl_b32 s18, s11, 8
	buffer_gl0_inv
	s_sub_i32 s11, s13, s18
	s_add_u32 s10, s11, 0xff
	s_addc_u32 s11, 0, 0
	s_lshr_b64 s[10:11], s[10:11], 8
	s_cmp_lt_u32 s20, s17
	s_mov_b32 s11, 0
	s_cselect_b32 s3, s3, s10
	s_cmp_lt_i32 s3, 1
	s_cbranch_scc1 .LBB70_19
; %bb.4:
	s_sub_i32 s10, 0, s0
	s_clause 0x1
	s_load_dwordx2 s[20:21], s[4:5], 0x6c
	s_load_dwordx2 s[22:23], s[4:5], 0x0
	s_mul_i32 s10, s10, s19
	s_load_dwordx2 s[4:5], s[14:15], 0x0
	s_mul_hi_u32 s10, s19, s10
	v_add_nc_u32_e32 v6, s18, v0
	s_add_i32 s19, s19, s10
	s_mul_hi_u32 s10, s12, s19
	s_mul_i32 s17, s10, s0
	s_add_i32 s19, s10, 1
	s_sub_i32 s17, s12, s17
	s_sub_i32 s24, s17, s0
	s_cmp_ge_u32 s17, s0
	s_cselect_b32 s10, s19, s10
	s_cselect_b32 s14, s24, s17
	s_add_i32 s15, s10, 1
	s_cmp_ge_u32 s14, s0
	s_cselect_b32 s10, s15, s10
	s_mul_i32 s0, s10, s0
	s_waitcnt lgkmcnt(0)
	s_mul_i32 s10, s10, s20
	s_sub_i32 s0, s12, s0
	s_mul_i32 s0, s0, s21
	s_add_i32 s10, s10, s0
	s_lshl_b64 s[14:15], s[10:11], 3
	s_add_u32 s10, s22, s14
	s_addc_u32 s12, s23, s15
	s_and_b32 s2, s2, 0xff
	s_cmp_eq_u32 s3, 1
	s_cbranch_scc1 .LBB70_14
; %bb.5:
	v_add_nc_u32_e32 v1, 0x100, v6
	v_mul_lo_u32 v7, s1, v6
	v_mov_b32_e32 v2, 0
	v_mov_b32_e32 v9, 1
	;; [unrolled: 1-line block ×3, first 2 shown]
	v_mul_lo_u32 v8, s1, v1
	v_mov_b32_e32 v11, v6
	s_and_b32 s11, s3, 0x7ffffffe
	s_lshl_b32 s14, s1, 9
	s_mov_b32 s15, 0
	s_mov_b32 s17, 0
	s_branch .LBB70_7
.LBB70_6:                               ;   in Loop: Header=BB70_7 Depth=1
	s_or_b32 exec_lo, exec_lo, s18
	v_add_nc_u32_e32 v11, 0x200, v11
	s_add_i32 s17, s17, 2
	s_add_i32 s15, s15, s14
	s_cmp_eq_u32 s11, s17
	s_cbranch_scc1 .LBB70_13
.LBB70_7:                               ; =>This Inner Loop Header: Depth=1
	s_mov_b32 s18, exec_lo
	v_cmpx_gt_u32_e64 s13, v11
	s_cbranch_execz .LBB70_10
; %bb.8:                                ;   in Loop: Header=BB70_7 Depth=1
	v_add_nc_u32_e32 v1, s15, v7
	v_lshlrev_b64 v[3:4], 3, v[1:2]
	v_add_co_u32 v3, s0, s10, v3
	v_add_co_ci_u32_e64 v4, null, s12, v4, s0
	global_load_dwordx2 v[3:4], v[3:4], off
	s_waitcnt vmcnt(0)
	v_cmp_o_f64_e64 s0, v[3:4], v[3:4]
	v_ashrrev_i32_e32 v1, 31, v4
	v_or_b32_e32 v12, 0x80000000, v1
	v_xor_b32_e32 v1, v1, v3
	v_xor_b32_e32 v12, v12, v4
	v_cndmask_b32_e64 v4, -1, v12, s0
	v_cndmask_b32_e64 v3, -1, v1, s0
	v_xor_b32_e32 v1, s5, v4
	v_xor_b32_e32 v12, s4, v3
	v_and_b32_e32 v13, s9, v1
	v_and_b32_e32 v12, s8, v12
	v_cmp_eq_u64_e64 s0, 0, v[12:13]
	s_and_b32 exec_lo, exec_lo, s0
; %bb.9:                                ;   in Loop: Header=BB70_7 Depth=1
	v_lshrrev_b64 v[3:4], s2, v[3:4]
	v_lshlrev_b32_sdwa v1, v10, v3 dst_sel:DWORD dst_unused:UNUSED_PAD src0_sel:DWORD src1_sel:BYTE_0
	ds_add_u32 v1, v9
.LBB70_10:                              ;   in Loop: Header=BB70_7 Depth=1
	s_or_b32 exec_lo, exec_lo, s18
	v_add_nc_u32_e32 v1, 0x100, v11
	s_mov_b32 s18, exec_lo
	v_cmpx_gt_u32_e64 s13, v1
	s_cbranch_execz .LBB70_6
; %bb.11:                               ;   in Loop: Header=BB70_7 Depth=1
	v_add_nc_u32_e32 v1, s15, v8
	v_lshlrev_b64 v[3:4], 3, v[1:2]
	v_add_co_u32 v3, s0, s10, v3
	v_add_co_ci_u32_e64 v4, null, s12, v4, s0
	global_load_dwordx2 v[3:4], v[3:4], off
	s_waitcnt vmcnt(0)
	v_cmp_o_f64_e64 s0, v[3:4], v[3:4]
	v_ashrrev_i32_e32 v1, 31, v4
	v_or_b32_e32 v12, 0x80000000, v1
	v_xor_b32_e32 v1, v1, v3
	v_xor_b32_e32 v12, v12, v4
	v_cndmask_b32_e64 v4, -1, v12, s0
	v_cndmask_b32_e64 v3, -1, v1, s0
	v_xor_b32_e32 v1, s5, v4
	v_xor_b32_e32 v12, s4, v3
	v_and_b32_e32 v13, s9, v1
	v_and_b32_e32 v12, s8, v12
	v_cmp_eq_u64_e64 s0, 0, v[12:13]
	s_and_b32 exec_lo, exec_lo, s0
	s_cbranch_execz .LBB70_6
; %bb.12:                               ;   in Loop: Header=BB70_7 Depth=1
	v_lshrrev_b64 v[3:4], s2, v[3:4]
	v_lshlrev_b32_sdwa v1, v10, v3 dst_sel:DWORD dst_unused:UNUSED_PAD src0_sel:DWORD src1_sel:BYTE_0
	ds_add_u32 v1, v9
	s_branch .LBB70_6
.LBB70_13:
	s_lshl_b32 s11, s11, 8
.LBB70_14:
	s_bitcmp0_b32 s3, 0
	s_cbranch_scc1 .LBB70_19
; %bb.15:
	v_add_nc_u32_e32 v1, s11, v6
	s_mov_b32 s3, exec_lo
	v_cmpx_gt_u32_e64 s13, v1
	s_cbranch_execz .LBB70_18
; %bb.16:
	v_mul_lo_u32 v1, v1, s1
	v_mov_b32_e32 v2, 0
	v_lshlrev_b64 v[1:2], 3, v[1:2]
	v_add_co_u32 v1, s0, s10, v1
	v_add_co_ci_u32_e64 v2, null, s12, v2, s0
	global_load_dwordx2 v[1:2], v[1:2], off
	s_waitcnt vmcnt(0)
	v_cmp_o_f64_e64 s0, v[1:2], v[1:2]
	v_ashrrev_i32_e32 v3, 31, v2
	v_or_b32_e32 v4, 0x80000000, v3
	v_xor_b32_e32 v1, v3, v1
	v_xor_b32_e32 v4, v4, v2
	v_cndmask_b32_e64 v2, -1, v4, s0
	v_cndmask_b32_e64 v1, -1, v1, s0
	v_xor_b32_e32 v3, s5, v2
	v_xor_b32_e32 v6, s4, v1
	v_and_b32_e32 v4, s9, v3
	v_and_b32_e32 v3, s8, v6
	v_cmp_eq_u64_e64 s0, 0, v[3:4]
	s_and_b32 exec_lo, exec_lo, s0
	s_cbranch_execz .LBB70_18
; %bb.17:
	v_lshrrev_b64 v[1:2], s2, v[1:2]
	v_mov_b32_e32 v2, 2
	v_lshlrev_b32_sdwa v1, v2, v1 dst_sel:DWORD dst_unused:UNUSED_PAD src0_sel:DWORD src1_sel:BYTE_0
	v_mov_b32_e32 v2, 1
	ds_add_u32 v1, v2
.LBB70_18:
	s_or_b32 exec_lo, exec_lo, s3
.LBB70_19:
	s_waitcnt lgkmcnt(0)
	s_barrier
	buffer_gl0_inv
	s_and_saveexec_b32 s0, vcc_lo
	s_cbranch_execz .LBB70_21
; %bb.20:
	ds_read_b32 v2, v5
	v_lshl_or_b32 v0, s16, 8, v0
	v_mov_b32_e32 v1, 0
	v_lshlrev_b64 v[0:1], 1, v[0:1]
	v_add_co_u32 v0, vcc_lo, s6, v0
	v_add_co_ci_u32_e64 v1, null, s7, v1, vcc_lo
	s_waitcnt lgkmcnt(0)
	global_store_short v[0:1], v2, off
.LBB70_21:
	s_endpgm
	.section	.rodata,"a",@progbits
	.p2align	6, 0x0
	.amdhsa_kernel _ZN2at6native6mbtopk23computeBlockDigitCountsIdjmLi2EEEvNS_4cuda6detail10TensorInfoIKT_T0_EEjPjjS8_iijT1_PSB_Ps
		.amdhsa_group_segment_fixed_size 1024
		.amdhsa_private_segment_fixed_size 0
		.amdhsa_kernarg_size 536
		.amdhsa_user_sgpr_count 6
		.amdhsa_user_sgpr_private_segment_buffer 1
		.amdhsa_user_sgpr_dispatch_ptr 0
		.amdhsa_user_sgpr_queue_ptr 0
		.amdhsa_user_sgpr_kernarg_segment_ptr 1
		.amdhsa_user_sgpr_dispatch_id 0
		.amdhsa_user_sgpr_flat_scratch_init 0
		.amdhsa_user_sgpr_private_segment_size 0
		.amdhsa_wavefront_size32 1
		.amdhsa_uses_dynamic_stack 0
		.amdhsa_system_sgpr_private_segment_wavefront_offset 0
		.amdhsa_system_sgpr_workgroup_id_x 1
		.amdhsa_system_sgpr_workgroup_id_y 1
		.amdhsa_system_sgpr_workgroup_id_z 1
		.amdhsa_system_sgpr_workgroup_info 0
		.amdhsa_system_vgpr_workitem_id 0
		.amdhsa_next_free_vgpr 14
		.amdhsa_next_free_sgpr 25
		.amdhsa_reserve_vcc 1
		.amdhsa_reserve_flat_scratch 0
		.amdhsa_float_round_mode_32 0
		.amdhsa_float_round_mode_16_64 0
		.amdhsa_float_denorm_mode_32 3
		.amdhsa_float_denorm_mode_16_64 3
		.amdhsa_dx10_clamp 1
		.amdhsa_ieee_mode 1
		.amdhsa_fp16_overflow 0
		.amdhsa_workgroup_processor_mode 1
		.amdhsa_memory_ordered 1
		.amdhsa_forward_progress 1
		.amdhsa_shared_vgpr_count 0
		.amdhsa_exception_fp_ieee_invalid_op 0
		.amdhsa_exception_fp_denorm_src 0
		.amdhsa_exception_fp_ieee_div_zero 0
		.amdhsa_exception_fp_ieee_overflow 0
		.amdhsa_exception_fp_ieee_underflow 0
		.amdhsa_exception_fp_ieee_inexact 0
		.amdhsa_exception_int_div_zero 0
	.end_amdhsa_kernel
	.section	.text._ZN2at6native6mbtopk23computeBlockDigitCountsIdjmLi2EEEvNS_4cuda6detail10TensorInfoIKT_T0_EEjPjjS8_iijT1_PSB_Ps,"axG",@progbits,_ZN2at6native6mbtopk23computeBlockDigitCountsIdjmLi2EEEvNS_4cuda6detail10TensorInfoIKT_T0_EEjPjjS8_iijT1_PSB_Ps,comdat
.Lfunc_end70:
	.size	_ZN2at6native6mbtopk23computeBlockDigitCountsIdjmLi2EEEvNS_4cuda6detail10TensorInfoIKT_T0_EEjPjjS8_iijT1_PSB_Ps, .Lfunc_end70-_ZN2at6native6mbtopk23computeBlockDigitCountsIdjmLi2EEEvNS_4cuda6detail10TensorInfoIKT_T0_EEjPjjS8_iijT1_PSB_Ps
                                        ; -- End function
	.set _ZN2at6native6mbtopk23computeBlockDigitCountsIdjmLi2EEEvNS_4cuda6detail10TensorInfoIKT_T0_EEjPjjS8_iijT1_PSB_Ps.num_vgpr, 14
	.set _ZN2at6native6mbtopk23computeBlockDigitCountsIdjmLi2EEEvNS_4cuda6detail10TensorInfoIKT_T0_EEjPjjS8_iijT1_PSB_Ps.num_agpr, 0
	.set _ZN2at6native6mbtopk23computeBlockDigitCountsIdjmLi2EEEvNS_4cuda6detail10TensorInfoIKT_T0_EEjPjjS8_iijT1_PSB_Ps.numbered_sgpr, 25
	.set _ZN2at6native6mbtopk23computeBlockDigitCountsIdjmLi2EEEvNS_4cuda6detail10TensorInfoIKT_T0_EEjPjjS8_iijT1_PSB_Ps.num_named_barrier, 0
	.set _ZN2at6native6mbtopk23computeBlockDigitCountsIdjmLi2EEEvNS_4cuda6detail10TensorInfoIKT_T0_EEjPjjS8_iijT1_PSB_Ps.private_seg_size, 0
	.set _ZN2at6native6mbtopk23computeBlockDigitCountsIdjmLi2EEEvNS_4cuda6detail10TensorInfoIKT_T0_EEjPjjS8_iijT1_PSB_Ps.uses_vcc, 1
	.set _ZN2at6native6mbtopk23computeBlockDigitCountsIdjmLi2EEEvNS_4cuda6detail10TensorInfoIKT_T0_EEjPjjS8_iijT1_PSB_Ps.uses_flat_scratch, 0
	.set _ZN2at6native6mbtopk23computeBlockDigitCountsIdjmLi2EEEvNS_4cuda6detail10TensorInfoIKT_T0_EEjPjjS8_iijT1_PSB_Ps.has_dyn_sized_stack, 0
	.set _ZN2at6native6mbtopk23computeBlockDigitCountsIdjmLi2EEEvNS_4cuda6detail10TensorInfoIKT_T0_EEjPjjS8_iijT1_PSB_Ps.has_recursion, 0
	.set _ZN2at6native6mbtopk23computeBlockDigitCountsIdjmLi2EEEvNS_4cuda6detail10TensorInfoIKT_T0_EEjPjjS8_iijT1_PSB_Ps.has_indirect_call, 0
	.section	.AMDGPU.csdata,"",@progbits
; Kernel info:
; codeLenInByte = 1164
; TotalNumSgprs: 27
; NumVgprs: 14
; ScratchSize: 0
; MemoryBound: 0
; FloatMode: 240
; IeeeMode: 1
; LDSByteSize: 1024 bytes/workgroup (compile time only)
; SGPRBlocks: 0
; VGPRBlocks: 1
; NumSGPRsForWavesPerEU: 27
; NumVGPRsForWavesPerEU: 14
; Occupancy: 16
; WaveLimiterHint : 1
; COMPUTE_PGM_RSRC2:SCRATCH_EN: 0
; COMPUTE_PGM_RSRC2:USER_SGPR: 6
; COMPUTE_PGM_RSRC2:TRAP_HANDLER: 0
; COMPUTE_PGM_RSRC2:TGID_X_EN: 1
; COMPUTE_PGM_RSRC2:TGID_Y_EN: 1
; COMPUTE_PGM_RSRC2:TGID_Z_EN: 1
; COMPUTE_PGM_RSRC2:TIDIG_COMP_CNT: 0
	.section	.text._ZN2at6native6mbtopk10gatherTopKIdjLi2EEEvNS_4cuda6detail10TensorInfoIKT_T0_EES8_S8_bjS8_NS5_IS6_S8_EES8_NS5_IlS8_EES8_jjPS6_PjSD_j,"axG",@progbits,_ZN2at6native6mbtopk10gatherTopKIdjLi2EEEvNS_4cuda6detail10TensorInfoIKT_T0_EES8_S8_bjS8_NS5_IS6_S8_EES8_NS5_IlS8_EES8_jjPS6_PjSD_j,comdat
	.protected	_ZN2at6native6mbtopk10gatherTopKIdjLi2EEEvNS_4cuda6detail10TensorInfoIKT_T0_EES8_S8_bjS8_NS5_IS6_S8_EES8_NS5_IlS8_EES8_jjPS6_PjSD_j ; -- Begin function _ZN2at6native6mbtopk10gatherTopKIdjLi2EEEvNS_4cuda6detail10TensorInfoIKT_T0_EES8_S8_bjS8_NS5_IS6_S8_EES8_NS5_IlS8_EES8_jjPS6_PjSD_j
	.globl	_ZN2at6native6mbtopk10gatherTopKIdjLi2EEEvNS_4cuda6detail10TensorInfoIKT_T0_EES8_S8_bjS8_NS5_IS6_S8_EES8_NS5_IlS8_EES8_jjPS6_PjSD_j
	.p2align	8
	.type	_ZN2at6native6mbtopk10gatherTopKIdjLi2EEEvNS_4cuda6detail10TensorInfoIKT_T0_EES8_S8_bjS8_NS5_IS6_S8_EES8_NS5_IlS8_EES8_jjPS6_PjSD_j,@function
_ZN2at6native6mbtopk10gatherTopKIdjLi2EEEvNS_4cuda6detail10TensorInfoIKT_T0_EES8_S8_bjS8_NS5_IS6_S8_EES8_NS5_IlS8_EES8_jjPS6_PjSD_j: ; @_ZN2at6native6mbtopk10gatherTopKIdjLi2EEEvNS_4cuda6detail10TensorInfoIKT_T0_EES8_S8_bjS8_NS5_IS6_S8_EES8_NS5_IlS8_EES8_jjPS6_PjSD_j
; %bb.0:
	s_clause 0x1
	s_load_dwordx2 s[0:1], s[4:5], 0x2d8
	s_load_dword s2, s[4:5], 0x2d0
	s_waitcnt lgkmcnt(0)
	s_mul_i32 s1, s1, s8
	s_add_i32 s1, s1, s7
	s_mul_i32 s0, s1, s0
	s_add_i32 s0, s0, s6
	s_cmp_ge_u32 s0, s2
	s_cbranch_scc1 .LBB71_40
; %bb.1:
	s_clause 0x3
	s_load_dwordx8 s[8:15], s[4:5], 0x2a8
	s_load_dword s39, s[4:5], 0xc
	s_load_dword s38, s[4:5], 0xfc
	;; [unrolled: 1-line block ×3, first 2 shown]
	s_mov_b32 s23, 0
	s_clause 0x4
	s_load_dwordx2 s[6:7], s[4:5], 0xf0
	s_load_dwordx2 s[30:31], s[4:5], 0x6c
	;; [unrolled: 1-line block ×5, first 2 shown]
	s_waitcnt lgkmcnt(0)
	v_cvt_f32_u32_e32 v1, s10
	v_cvt_f32_u32_e32 v2, s39
	;; [unrolled: 1-line block ×4, first 2 shown]
	s_sub_i32 s11, 0, s10
	v_rcp_iflag_f32_e32 v1, v1
	v_rcp_iflag_f32_e32 v2, v2
	;; [unrolled: 1-line block ×4, first 2 shown]
	v_mul_f32_e32 v1, 0x4f7ffffe, v1
	v_cvt_u32_f32_e32 v1, v1
	v_readfirstlane_b32 s1, v1
	v_mul_f32_e32 v1, 0x4f7ffffe, v2
	v_mul_f32_e32 v2, 0x4f7ffffe, v3
	;; [unrolled: 1-line block ×3, first 2 shown]
	s_mul_i32 s11, s11, s1
	v_cvt_u32_f32_e32 v1, v1
	s_mul_hi_u32 s11, s1, s11
	v_cvt_u32_f32_e32 v2, v2
	s_add_i32 s1, s1, s11
	v_cvt_u32_f32_e32 v3, v3
	s_mul_hi_u32 s1, s0, s1
	v_readfirstlane_b32 s17, v1
	s_mul_i32 s11, s1, s10
	s_add_i32 s16, s1, 1
	s_sub_i32 s11, s0, s11
	v_readfirstlane_b32 s24, v2
	s_sub_i32 s18, s11, s10
	s_cmp_ge_u32 s11, s10
	v_readfirstlane_b32 s25, v3
	s_cselect_b32 s1, s16, s1
	s_cselect_b32 s11, s18, s11
	s_add_i32 s16, s1, 1
	s_cmp_ge_u32 s11, s10
	s_cselect_b32 s22, s16, s1
	s_sub_i32 s1, 0, s39
	s_sub_i32 s11, 0, s38
	;; [unrolled: 1-line block ×3, first 2 shown]
	s_mul_i32 s16, s22, s10
	s_mul_i32 s1, s1, s17
	;; [unrolled: 1-line block ×4, first 2 shown]
	s_sub_i32 s11, s0, s16
	s_mul_hi_u32 s0, s17, s1
	s_mul_hi_u32 s1, s24, s26
	;; [unrolled: 1-line block ×3, first 2 shown]
	s_lshl_b64 s[18:19], s[22:23], 3
	s_add_i32 s17, s17, s0
	s_add_i32 s34, s24, s1
	s_add_i32 s35, s25, s26
	s_add_u32 s0, s12, s18
	s_addc_u32 s1, s13, s19
	s_load_dwordx2 s[26:27], s[4:5], 0x23c
	s_load_dwordx2 s[24:25], s[0:1], 0x0
	v_cmp_ne_u32_e64 s0, 0, v0
	v_cmp_eq_u32_e64 s1, 0, v0
	s_mul_hi_u32 s42, s22, s17
	s_mul_hi_u32 s41, s22, s34
	;; [unrolled: 1-line block ×3, first 2 shown]
	s_and_saveexec_b32 s43, s1
	s_cbranch_execz .LBB71_17
; %bb.2:
	s_load_dwordx2 s[12:13], s[4:5], 0x2c8
	s_mov_b32 s17, s23
	s_lshl_b64 s[34:35], s[16:17], 2
	s_add_u32 s16, s14, s34
	s_addc_u32 s17, s15, s35
	s_waitcnt lgkmcnt(0)
	s_add_u32 s18, s12, s34
	s_addc_u32 s19, s13, s35
	s_cmp_lt_u32 s10, 4
	s_cbranch_scc1 .LBB71_14
; %bb.3:
	s_mov_b32 s44, s23
	s_mov_b32 s45, s23
	;; [unrolled: 1-line block ×3, first 2 shown]
.LBB71_4:                               ; =>This Inner Loop Header: Depth=1
	s_add_u32 s16, s14, s34
	s_addc_u32 s17, s15, s35
	s_add_u32 s36, s12, s34
	s_load_dwordx4 s[16:19], s[16:17], 0x0
	s_addc_u32 s37, s13, s35
	s_cmp_ge_u32 s46, s11
	s_cbranch_scc0 .LBB71_11
; %bb.5:                                ;   in Loop: Header=BB71_4 Depth=1
	s_add_i32 s47, s46, 1
	s_cmp_ge_u32 s47, s11
	s_cbranch_scc0 .LBB71_12
.LBB71_6:                               ;   in Loop: Header=BB71_4 Depth=1
	s_add_i32 s47, s47, 1
	s_cmp_ge_u32 s47, s11
	s_cbranch_scc0 .LBB71_13
.LBB71_7:                               ;   in Loop: Header=BB71_4 Depth=1
	s_add_i32 s47, s47, 1
	s_cmp_ge_u32 s47, s11
	s_cbranch_scc1 .LBB71_9
.LBB71_8:                               ;   in Loop: Header=BB71_4 Depth=1
	s_load_dword s36, s[36:37], 0xc
	s_waitcnt lgkmcnt(0)
	s_add_i32 s23, s23, s19
	s_add_i32 s44, s36, s44
.LBB71_9:                               ;   in Loop: Header=BB71_4 Depth=1
	s_waitcnt lgkmcnt(0)
	s_add_i32 s16, s16, s45
	s_add_i32 s16, s16, s17
	;; [unrolled: 1-line block ×4, first 2 shown]
	s_add_u32 s14, s14, 16
	s_addc_u32 s15, s15, 0
	s_add_u32 s12, s12, 16
	s_addc_u32 s13, s13, 0
	s_add_i32 s37, s47, 4
	s_add_u32 s18, s12, s34
	s_addc_u32 s19, s13, s35
	s_add_u32 s16, s14, s34
	s_addc_u32 s17, s15, s35
	s_add_i32 s36, s47, 1
	s_cmp_ge_u32 s37, s10
	s_cbranch_scc1 .LBB71_15
; %bb.10:                               ;   in Loop: Header=BB71_4 Depth=1
	s_mov_b32 s46, s36
	s_branch .LBB71_4
.LBB71_11:                              ;   in Loop: Header=BB71_4 Depth=1
	s_load_dword s47, s[36:37], 0x0
	s_waitcnt lgkmcnt(0)
	s_add_i32 s23, s16, s23
	s_add_i32 s44, s47, s44
	;; [unrolled: 1-line block ×3, first 2 shown]
	s_cmp_ge_u32 s47, s11
	s_cbranch_scc1 .LBB71_6
.LBB71_12:                              ;   in Loop: Header=BB71_4 Depth=1
	s_load_dword s48, s[36:37], 0x4
	s_waitcnt lgkmcnt(0)
	s_add_i32 s23, s23, s17
	s_add_i32 s44, s48, s44
	;; [unrolled: 1-line block ×3, first 2 shown]
	s_cmp_ge_u32 s47, s11
	s_cbranch_scc1 .LBB71_7
.LBB71_13:                              ;   in Loop: Header=BB71_4 Depth=1
	s_load_dword s48, s[36:37], 0x8
	s_waitcnt lgkmcnt(0)
	s_add_i32 s23, s23, s18
	s_add_i32 s44, s48, s44
	s_add_i32 s47, s47, 1
	s_cmp_ge_u32 s47, s11
	s_cbranch_scc0 .LBB71_8
	s_branch .LBB71_9
.LBB71_14:
	s_mov_b32 s44, 0
	s_mov_b32 s45, 0
	;; [unrolled: 1-line block ×3, first 2 shown]
	s_cmp_ge_u32 s12, s10
	s_cbranch_scc0 .LBB71_38
	s_branch .LBB71_16
.LBB71_15:
	s_add_i32 s12, s46, 4
	s_cmp_ge_u32 s12, s10
	s_cbranch_scc0 .LBB71_38
.LBB71_16:
	v_mov_b32_e32 v1, s44
	v_mov_b32_e32 v2, s45
	;; [unrolled: 1-line block ×4, first 2 shown]
	ds_write_b96 v4, v[1:3] offset:1056
.LBB71_17:
	s_or_b32 exec_lo, exec_lo, s43
	s_load_dwordx4 s[12:15], s[4:5], 0xd8
	s_waitcnt lgkmcnt(0)
	s_mul_i32 s15, s9, s11
	s_add_i32 s11, s11, 1
	s_lshl_b32 s19, s15, 8
	s_barrier
	buffer_gl0_inv
	s_sub_i32 s15, s12, s19
	s_add_u32 s16, s15, 0xff
	s_addc_u32 s17, 0, 0
	s_lshr_b64 s[16:17], s[16:17], 8
	s_cmp_lt_u32 s11, s10
	s_mov_b32 s11, 0
	s_cselect_b32 s9, s9, s16
	s_cmp_eq_u32 s9, 0
	s_cbranch_scc1 .LBB71_40
; %bb.18:
	s_mul_i32 s10, s42, s39
	s_add_i32 s15, s42, 1
	s_sub_i32 s10, s22, s10
	v_mov_b32_e32 v5, 0
	s_sub_i32 s16, s10, s39
	s_cmp_ge_u32 s10, s39
	v_lshrrev_b32_e32 v4, 3, v0
	s_cselect_b32 s15, s15, s42
	s_cselect_b32 s10, s16, s10
	s_add_i32 s16, s15, 1
	s_cmp_ge_u32 s10, s39
	s_mul_i32 s10, s41, s38
	s_cselect_b32 s15, s16, s15
	s_sub_i32 s16, s22, s10
	s_mul_i32 s10, s15, s39
	s_mul_i32 s15, s15, s30
	s_sub_i32 s10, s22, s10
	s_add_i32 s17, s41, 1
	s_mul_i32 s10, s10, s31
	s_sub_i32 s18, s16, s38
	s_add_i32 s10, s15, s10
	s_cmp_ge_u32 s16, s38
	ds_read_b96 v[1:3], v5 offset:1056
	s_cselect_b32 s15, s17, s41
	s_cselect_b32 s16, s18, s16
	s_add_i32 s17, s15, 1
	s_cmp_ge_u32 s16, s38
	s_mul_i32 s16, s40, s33
	s_cselect_b32 s15, s17, s15
	s_sub_i32 s17, s22, s16
	s_mul_i32 s16, s15, s38
	s_mul_i32 s15, s15, s28
	s_sub_i32 s16, s22, s16
	s_add_i32 s18, s40, 1
	s_mul_i32 s16, s16, s29
	s_sub_i32 s23, s17, s33
	s_add_i32 s16, s15, s16
	s_cmp_ge_u32 s17, s33
	v_cmp_o_f64_e64 s28, s[24:25], s[24:25]
	s_cselect_b32 s15, s18, s40
	s_cselect_b32 s17, s23, s17
	s_add_i32 s18, s15, 1
	s_cmp_ge_u32 s17, s33
	v_add_nc_u32_e32 v6, -1, v0
	s_cselect_b32 s15, s18, s15
	s_mov_b32 s17, s11
	s_mul_i32 s18, s15, s33
	s_mul_i32 s15, s15, s26
	s_sub_i32 s18, s22, s18
	s_lshl_b64 s[22:23], s[10:11], 3
	s_mul_i32 s18, s18, s27
	s_mov_b32 s27, s11
	s_add_i32 s26, s15, s18
	s_add_u32 s10, s20, s22
	s_load_dword s20, s[4:5], 0xe8
	s_addc_u32 s15, s21, s23
	s_lshl_b64 s[16:17], s[16:17], 3
	s_load_dword s4, s[4:5], 0x1c8
	s_add_u32 s11, s6, s16
	v_and_b32_e32 v4, 28, v4
	v_lshrrev_b32_e32 v7, 3, v6
	s_addc_u32 s16, s7, s17
	s_lshl_b64 s[6:7], s[26:27], 3
	s_waitcnt lgkmcnt(0)
	v_add_nc_u32_e32 v8, v1, v2
	s_add_u32 s17, s2, s6
	s_addc_u32 s18, s3, s7
	s_ashr_i32 s2, s25, 31
	v_lshl_add_u32 v9, v0, 2, v4
	v_and_b32_e32 v4, 0x1ffffffc, v7
	v_add_nc_u32_e32 v1, s19, v0
	s_or_b32 s3, s2, 0x80000000
	v_and_b32_e32 v2, 0xfc, v0
	s_xor_b64 s[2:3], s[2:3], s[24:25]
	v_lshlrev_b32_e32 v7, 5, v0
	v_mbcnt_lo_u32_b32 v10, -1, 0
	s_and_b32 s6, s28, exec_lo
	s_cselect_b32 s6, s2, -1
	v_cmp_gt_u32_e64 s2, 32, v0
	v_lshl_add_u32 v0, v6, 2, v4
	v_mul_lo_u32 v4, s20, v1
	v_add_nc_u32_e32 v11, v2, v7
	v_and_b32_e32 v12, 15, v10
	v_bfe_i32 v13, v10, 4, 1
	v_add_nc_u32_e32 v14, -1, v10
	s_cselect_b32 s7, s3, -1
	s_bitcmp1_b32 s14, 0
                                        ; implicit-def: $vgpr6_vgpr7
	s_cselect_b32 s3, -1, 0
	s_lshl_b32 s5, s20, 8
	s_branch .LBB71_21
.LBB71_19:                              ;   in Loop: Header=BB71_21 Depth=1
	s_or_b32 exec_lo, exec_lo, s14
	v_add_nc_u32_e32 v8, v17, v8
.LBB71_20:                              ;   in Loop: Header=BB71_21 Depth=1
	v_add_nc_u32_e32 v3, v16, v3
	v_add_nc_u32_e32 v4, s5, v4
	;; [unrolled: 1-line block ×3, first 2 shown]
	s_add_i32 s9, s9, -1
	s_cmp_lg_u32 s9, 0
	s_cbranch_scc0 .LBB71_40
.LBB71_21:                              ; =>This Inner Loop Header: Depth=1
	v_mov_b32_e32 v2, 0
	v_mov_b32_e32 v15, 0
	s_mov_b32 s14, exec_lo
	v_cmpx_gt_u32_e64 s12, v1
	s_cbranch_execz .LBB71_23
; %bb.22:                               ;   in Loop: Header=BB71_21 Depth=1
	v_lshlrev_b64 v[6:7], 3, v[4:5]
	v_add_co_u32 v6, vcc_lo, s10, v6
	v_add_co_ci_u32_e64 v7, null, s15, v7, vcc_lo
	global_load_dwordx2 v[6:7], v[6:7], off
	s_waitcnt vmcnt(0)
	v_cmp_o_f64_e32 vcc_lo, v[6:7], v[6:7]
	v_ashrrev_i32_e32 v2, 31, v7
	v_or_b32_e32 v15, 0x80000000, v2
	v_xor_b32_e32 v2, v2, v6
	v_xor_b32_e32 v15, v15, v7
	v_cndmask_b32_e32 v16, -1, v15, vcc_lo
	v_cndmask_b32_e32 v15, -1, v2, vcc_lo
	v_cmp_lt_u64_e32 vcc_lo, s[6:7], v[15:16]
	v_cndmask_b32_e64 v2, 0, 1, vcc_lo
	v_cmp_gt_u64_e32 vcc_lo, s[6:7], v[15:16]
	v_cndmask_b32_e64 v17, 0, 1, vcc_lo
	v_cmp_eq_u64_e32 vcc_lo, s[6:7], v[15:16]
	v_cndmask_b32_e64 v2, v17, v2, s3
	v_cndmask_b32_e64 v15, 0, 1, vcc_lo
	v_and_b32_e32 v2, 1, v2
.LBB71_23:                              ;   in Loop: Header=BB71_21 Depth=1
	s_or_b32 exec_lo, exec_lo, s14
	ds_write_b32 v9, v2
	s_waitcnt lgkmcnt(0)
	s_barrier
	buffer_gl0_inv
	s_and_saveexec_b32 s14, s2
	s_cbranch_execz .LBB71_25
; %bb.24:                               ;   in Loop: Header=BB71_21 Depth=1
	ds_read2_b32 v[16:17], v11 offset1:1
	ds_read2_b32 v[18:19], v11 offset0:2 offset1:3
	ds_read2_b32 v[20:21], v11 offset0:4 offset1:5
	ds_read2_b32 v[22:23], v11 offset0:6 offset1:7
	v_cmp_ne_u32_e32 vcc_lo, 0, v12
	; wave barrier
	s_waitcnt lgkmcnt(3)
	v_add_nc_u32_e32 v17, v17, v16
	s_waitcnt lgkmcnt(2)
	v_add3_u32 v17, v17, v18, v19
	s_waitcnt lgkmcnt(1)
	v_add3_u32 v17, v17, v20, v21
	;; [unrolled: 2-line block ×3, first 2 shown]
	v_mov_b32_dpp v18, v17 row_shr:1 row_mask:0xf bank_mask:0xf
	v_cndmask_b32_e32 v18, 0, v18, vcc_lo
	v_cmp_lt_u32_e32 vcc_lo, 1, v12
	v_add_nc_u32_e32 v17, v18, v17
	v_mov_b32_dpp v18, v17 row_shr:2 row_mask:0xf bank_mask:0xf
	v_cndmask_b32_e32 v18, 0, v18, vcc_lo
	v_cmp_lt_u32_e32 vcc_lo, 3, v12
	v_add_nc_u32_e32 v17, v17, v18
	;; [unrolled: 4-line block ×3, first 2 shown]
	v_mov_b32_dpp v18, v17 row_shr:8 row_mask:0xf bank_mask:0xf
	v_cndmask_b32_e32 v18, 0, v18, vcc_lo
	v_cmp_gt_i32_e32 vcc_lo, 0, v14
	v_add_nc_u32_e32 v17, v17, v18
	v_cndmask_b32_e32 v19, v14, v10, vcc_lo
	ds_swizzle_b32 v18, v17 offset:swizzle(BROADCAST,32,15)
	v_lshlrev_b32_e32 v19, 2, v19
	s_waitcnt lgkmcnt(0)
	v_and_b32_e32 v18, v13, v18
	v_add_nc_u32_e32 v17, v17, v18
	ds_bpermute_b32 v17, v19, v17
	s_waitcnt lgkmcnt(0)
	v_add_nc_u32_e32 v16, v17, v16
	v_cndmask_b32_e64 v22, v16, v2, s1
	ds_write_b32 v11, v22
	; wave barrier
	ds_read2_b32 v[16:17], v11 offset0:1 offset1:2
	ds_read2_b32 v[18:19], v11 offset0:3 offset1:4
	;; [unrolled: 1-line block ×3, first 2 shown]
	ds_read_b32 v23, v11 offset:28
	s_waitcnt lgkmcnt(3)
	v_add_nc_u32_e32 v16, v16, v22
	v_add_nc_u32_e32 v17, v17, v16
	s_waitcnt lgkmcnt(2)
	v_add_nc_u32_e32 v18, v18, v17
	v_add_nc_u32_e32 v19, v19, v18
	;; [unrolled: 3-line block ×3, first 2 shown]
	s_waitcnt lgkmcnt(0)
	v_add_nc_u32_e32 v22, v23, v21
	ds_write2_b32 v11, v16, v17 offset0:1 offset1:2
	ds_write2_b32 v11, v18, v19 offset0:3 offset1:4
	;; [unrolled: 1-line block ×3, first 2 shown]
	ds_write_b32 v11, v22 offset:28
.LBB71_25:                              ;   in Loop: Header=BB71_21 Depth=1
	s_or_b32 exec_lo, exec_lo, s14
	v_mov_b32_e32 v17, 0
	s_waitcnt lgkmcnt(0)
	s_barrier
	buffer_gl0_inv
	s_and_saveexec_b32 s14, s0
; %bb.26:                               ;   in Loop: Header=BB71_21 Depth=1
	ds_read_b32 v17, v0
; %bb.27:                               ;   in Loop: Header=BB71_21 Depth=1
	s_or_b32 exec_lo, exec_lo, s14
	ds_read_b32 v16, v5 offset:1048
	s_mov_b32 s14, exec_lo
	s_waitcnt lgkmcnt(0)
	s_barrier
	buffer_gl0_inv
	v_cmpx_ne_u32_e32 0, v2
	s_cbranch_execz .LBB71_29
; %bb.28:                               ;   in Loop: Header=BB71_21 Depth=1
	v_add_nc_u32_e32 v2, v17, v3
	v_mov_b32_e32 v18, v5
	v_mov_b32_e32 v20, v5
	v_mul_lo_u32 v17, v2, s4
	v_mul_lo_u32 v19, v2, s8
	v_mov_b32_e32 v2, v5
	v_lshlrev_b64 v[17:18], 3, v[17:18]
	v_lshlrev_b64 v[19:20], 3, v[19:20]
	v_add_co_u32 v17, vcc_lo, s11, v17
	v_add_co_ci_u32_e64 v18, null, s16, v18, vcc_lo
	v_add_co_u32 v19, vcc_lo, s17, v19
	v_add_co_ci_u32_e64 v20, null, s18, v20, vcc_lo
	global_store_dwordx2 v[17:18], v[6:7], off
	global_store_dwordx2 v[19:20], v[1:2], off
.LBB71_29:                              ;   in Loop: Header=BB71_21 Depth=1
	s_or_b32 exec_lo, exec_lo, s14
	v_cmp_le_u32_e32 vcc_lo, s13, v8
	s_cbranch_vccnz .LBB71_20
; %bb.30:                               ;   in Loop: Header=BB71_21 Depth=1
	ds_write_b32 v9, v15
	s_waitcnt lgkmcnt(0)
	s_waitcnt_vscnt null, 0x0
	s_barrier
	buffer_gl0_inv
	s_and_saveexec_b32 s14, s2
	s_cbranch_execz .LBB71_32
; %bb.31:                               ;   in Loop: Header=BB71_21 Depth=1
	ds_read2_b32 v[17:18], v11 offset1:1
	ds_read2_b32 v[19:20], v11 offset0:2 offset1:3
	ds_read2_b32 v[21:22], v11 offset0:4 offset1:5
	;; [unrolled: 1-line block ×3, first 2 shown]
	v_cmp_ne_u32_e32 vcc_lo, 0, v12
	; wave barrier
	s_waitcnt lgkmcnt(3)
	v_add_nc_u32_e32 v2, v18, v17
	s_waitcnt lgkmcnt(2)
	v_add3_u32 v2, v2, v19, v20
	s_waitcnt lgkmcnt(1)
	v_add3_u32 v2, v2, v21, v22
	;; [unrolled: 2-line block ×3, first 2 shown]
	v_mov_b32_dpp v18, v2 row_shr:1 row_mask:0xf bank_mask:0xf
	v_cndmask_b32_e32 v18, 0, v18, vcc_lo
	v_cmp_lt_u32_e32 vcc_lo, 1, v12
	v_add_nc_u32_e32 v2, v18, v2
	v_mov_b32_dpp v18, v2 row_shr:2 row_mask:0xf bank_mask:0xf
	v_cndmask_b32_e32 v18, 0, v18, vcc_lo
	v_cmp_lt_u32_e32 vcc_lo, 3, v12
	v_add_nc_u32_e32 v2, v2, v18
	;; [unrolled: 4-line block ×3, first 2 shown]
	v_mov_b32_dpp v18, v2 row_shr:8 row_mask:0xf bank_mask:0xf
	v_cndmask_b32_e32 v18, 0, v18, vcc_lo
	v_cmp_gt_i32_e32 vcc_lo, 0, v14
	v_add_nc_u32_e32 v2, v2, v18
	v_cndmask_b32_e32 v19, v14, v10, vcc_lo
	ds_swizzle_b32 v18, v2 offset:swizzle(BROADCAST,32,15)
	v_lshlrev_b32_e32 v19, 2, v19
	s_waitcnt lgkmcnt(0)
	v_and_b32_e32 v18, v13, v18
	v_add_nc_u32_e32 v2, v2, v18
	ds_bpermute_b32 v2, v19, v2
	s_waitcnt lgkmcnt(0)
	v_add_nc_u32_e32 v2, v2, v17
	v_cndmask_b32_e64 v2, v2, v15, s1
	ds_write_b32 v11, v2
	; wave barrier
	ds_read2_b32 v[17:18], v11 offset0:1 offset1:2
	ds_read2_b32 v[19:20], v11 offset0:3 offset1:4
	;; [unrolled: 1-line block ×3, first 2 shown]
	ds_read_b32 v23, v11 offset:28
	s_waitcnt lgkmcnt(3)
	v_add_nc_u32_e32 v2, v17, v2
	v_add_nc_u32_e32 v17, v18, v2
	s_waitcnt lgkmcnt(2)
	v_add_nc_u32_e32 v18, v19, v17
	v_add_nc_u32_e32 v19, v20, v18
	;; [unrolled: 3-line block ×3, first 2 shown]
	s_waitcnt lgkmcnt(0)
	v_add_nc_u32_e32 v22, v23, v21
	ds_write2_b32 v11, v2, v17 offset0:1 offset1:2
	ds_write2_b32 v11, v18, v19 offset0:3 offset1:4
	;; [unrolled: 1-line block ×3, first 2 shown]
	ds_write_b32 v11, v22 offset:28
.LBB71_32:                              ;   in Loop: Header=BB71_21 Depth=1
	s_or_b32 exec_lo, exec_lo, s14
	v_mov_b32_e32 v2, 0
	s_waitcnt lgkmcnt(0)
	s_barrier
	buffer_gl0_inv
	s_and_saveexec_b32 s14, s0
; %bb.33:                               ;   in Loop: Header=BB71_21 Depth=1
	ds_read_b32 v2, v0
; %bb.34:                               ;   in Loop: Header=BB71_21 Depth=1
	s_or_b32 exec_lo, exec_lo, s14
	ds_read_b32 v17, v5 offset:1048
	s_mov_b32 s14, exec_lo
	s_waitcnt lgkmcnt(0)
	s_barrier
	buffer_gl0_inv
	v_cmpx_ne_u32_e32 0, v15
	s_cbranch_execz .LBB71_19
; %bb.35:                               ;   in Loop: Header=BB71_21 Depth=1
	v_add_nc_u32_e32 v2, v2, v8
	v_cmp_gt_u32_e32 vcc_lo, s13, v2
	s_and_b32 exec_lo, exec_lo, vcc_lo
	s_cbranch_execz .LBB71_19
; %bb.36:                               ;   in Loop: Header=BB71_21 Depth=1
	v_mul_lo_u32 v18, v2, s4
	v_mul_lo_u32 v20, v2, s8
	v_mov_b32_e32 v19, v5
	v_mov_b32_e32 v21, v5
	;; [unrolled: 1-line block ×3, first 2 shown]
	v_lshlrev_b64 v[18:19], 3, v[18:19]
	v_lshlrev_b64 v[20:21], 3, v[20:21]
	v_add_co_u32 v18, vcc_lo, s11, v18
	v_add_co_ci_u32_e64 v19, null, s16, v19, vcc_lo
	v_add_co_u32 v20, vcc_lo, s17, v20
	v_add_co_ci_u32_e64 v21, null, s18, v21, vcc_lo
	global_store_dwordx2 v[18:19], v[6:7], off
	global_store_dwordx2 v[20:21], v[1:2], off
	s_branch .LBB71_19
	.p2align	6
.LBB71_37:                              ;   in Loop: Header=BB71_38 Depth=1
	s_add_u32 s16, s16, 4
	s_addc_u32 s17, s17, 0
	s_waitcnt lgkmcnt(0)
	s_add_i32 s45, s13, s45
	s_add_u32 s18, s18, 4
	s_addc_u32 s19, s19, 0
	s_add_i32 s12, s12, 1
	s_cmp_lt_u32 s12, s10
	s_cbranch_scc0 .LBB71_16
.LBB71_38:                              ; =>This Inner Loop Header: Depth=1
	s_load_dword s13, s[16:17], 0x0
	s_cmp_ge_u32 s12, s11
	s_cbranch_scc1 .LBB71_37
; %bb.39:                               ;   in Loop: Header=BB71_38 Depth=1
	s_load_dword s14, s[18:19], 0x0
	s_waitcnt lgkmcnt(0)
	s_add_i32 s23, s13, s23
	s_add_i32 s44, s14, s44
	s_branch .LBB71_37
.LBB71_40:
	s_endpgm
	.section	.rodata,"a",@progbits
	.p2align	6, 0x0
	.amdhsa_kernel _ZN2at6native6mbtopk10gatherTopKIdjLi2EEEvNS_4cuda6detail10TensorInfoIKT_T0_EES8_S8_bjS8_NS5_IS6_S8_EES8_NS5_IlS8_EES8_jjPS6_PjSD_j
		.amdhsa_group_segment_fixed_size 1068
		.amdhsa_private_segment_fixed_size 0
		.amdhsa_kernarg_size 984
		.amdhsa_user_sgpr_count 6
		.amdhsa_user_sgpr_private_segment_buffer 1
		.amdhsa_user_sgpr_dispatch_ptr 0
		.amdhsa_user_sgpr_queue_ptr 0
		.amdhsa_user_sgpr_kernarg_segment_ptr 1
		.amdhsa_user_sgpr_dispatch_id 0
		.amdhsa_user_sgpr_flat_scratch_init 0
		.amdhsa_user_sgpr_private_segment_size 0
		.amdhsa_wavefront_size32 1
		.amdhsa_uses_dynamic_stack 0
		.amdhsa_system_sgpr_private_segment_wavefront_offset 0
		.amdhsa_system_sgpr_workgroup_id_x 1
		.amdhsa_system_sgpr_workgroup_id_y 1
		.amdhsa_system_sgpr_workgroup_id_z 1
		.amdhsa_system_sgpr_workgroup_info 0
		.amdhsa_system_vgpr_workitem_id 0
		.amdhsa_next_free_vgpr 25
		.amdhsa_next_free_sgpr 49
		.amdhsa_reserve_vcc 1
		.amdhsa_reserve_flat_scratch 0
		.amdhsa_float_round_mode_32 0
		.amdhsa_float_round_mode_16_64 0
		.amdhsa_float_denorm_mode_32 3
		.amdhsa_float_denorm_mode_16_64 3
		.amdhsa_dx10_clamp 1
		.amdhsa_ieee_mode 1
		.amdhsa_fp16_overflow 0
		.amdhsa_workgroup_processor_mode 1
		.amdhsa_memory_ordered 1
		.amdhsa_forward_progress 1
		.amdhsa_shared_vgpr_count 0
		.amdhsa_exception_fp_ieee_invalid_op 0
		.amdhsa_exception_fp_denorm_src 0
		.amdhsa_exception_fp_ieee_div_zero 0
		.amdhsa_exception_fp_ieee_overflow 0
		.amdhsa_exception_fp_ieee_underflow 0
		.amdhsa_exception_fp_ieee_inexact 0
		.amdhsa_exception_int_div_zero 0
	.end_amdhsa_kernel
	.section	.text._ZN2at6native6mbtopk10gatherTopKIdjLi2EEEvNS_4cuda6detail10TensorInfoIKT_T0_EES8_S8_bjS8_NS5_IS6_S8_EES8_NS5_IlS8_EES8_jjPS6_PjSD_j,"axG",@progbits,_ZN2at6native6mbtopk10gatherTopKIdjLi2EEEvNS_4cuda6detail10TensorInfoIKT_T0_EES8_S8_bjS8_NS5_IS6_S8_EES8_NS5_IlS8_EES8_jjPS6_PjSD_j,comdat
.Lfunc_end71:
	.size	_ZN2at6native6mbtopk10gatherTopKIdjLi2EEEvNS_4cuda6detail10TensorInfoIKT_T0_EES8_S8_bjS8_NS5_IS6_S8_EES8_NS5_IlS8_EES8_jjPS6_PjSD_j, .Lfunc_end71-_ZN2at6native6mbtopk10gatherTopKIdjLi2EEEvNS_4cuda6detail10TensorInfoIKT_T0_EES8_S8_bjS8_NS5_IS6_S8_EES8_NS5_IlS8_EES8_jjPS6_PjSD_j
                                        ; -- End function
	.set _ZN2at6native6mbtopk10gatherTopKIdjLi2EEEvNS_4cuda6detail10TensorInfoIKT_T0_EES8_S8_bjS8_NS5_IS6_S8_EES8_NS5_IlS8_EES8_jjPS6_PjSD_j.num_vgpr, 25
	.set _ZN2at6native6mbtopk10gatherTopKIdjLi2EEEvNS_4cuda6detail10TensorInfoIKT_T0_EES8_S8_bjS8_NS5_IS6_S8_EES8_NS5_IlS8_EES8_jjPS6_PjSD_j.num_agpr, 0
	.set _ZN2at6native6mbtopk10gatherTopKIdjLi2EEEvNS_4cuda6detail10TensorInfoIKT_T0_EES8_S8_bjS8_NS5_IS6_S8_EES8_NS5_IlS8_EES8_jjPS6_PjSD_j.numbered_sgpr, 49
	.set _ZN2at6native6mbtopk10gatherTopKIdjLi2EEEvNS_4cuda6detail10TensorInfoIKT_T0_EES8_S8_bjS8_NS5_IS6_S8_EES8_NS5_IlS8_EES8_jjPS6_PjSD_j.num_named_barrier, 0
	.set _ZN2at6native6mbtopk10gatherTopKIdjLi2EEEvNS_4cuda6detail10TensorInfoIKT_T0_EES8_S8_bjS8_NS5_IS6_S8_EES8_NS5_IlS8_EES8_jjPS6_PjSD_j.private_seg_size, 0
	.set _ZN2at6native6mbtopk10gatherTopKIdjLi2EEEvNS_4cuda6detail10TensorInfoIKT_T0_EES8_S8_bjS8_NS5_IS6_S8_EES8_NS5_IlS8_EES8_jjPS6_PjSD_j.uses_vcc, 1
	.set _ZN2at6native6mbtopk10gatherTopKIdjLi2EEEvNS_4cuda6detail10TensorInfoIKT_T0_EES8_S8_bjS8_NS5_IS6_S8_EES8_NS5_IlS8_EES8_jjPS6_PjSD_j.uses_flat_scratch, 0
	.set _ZN2at6native6mbtopk10gatherTopKIdjLi2EEEvNS_4cuda6detail10TensorInfoIKT_T0_EES8_S8_bjS8_NS5_IS6_S8_EES8_NS5_IlS8_EES8_jjPS6_PjSD_j.has_dyn_sized_stack, 0
	.set _ZN2at6native6mbtopk10gatherTopKIdjLi2EEEvNS_4cuda6detail10TensorInfoIKT_T0_EES8_S8_bjS8_NS5_IS6_S8_EES8_NS5_IlS8_EES8_jjPS6_PjSD_j.has_recursion, 0
	.set _ZN2at6native6mbtopk10gatherTopKIdjLi2EEEvNS_4cuda6detail10TensorInfoIKT_T0_EES8_S8_bjS8_NS5_IS6_S8_EES8_NS5_IlS8_EES8_jjPS6_PjSD_j.has_indirect_call, 0
	.section	.AMDGPU.csdata,"",@progbits
; Kernel info:
; codeLenInByte = 2640
; TotalNumSgprs: 51
; NumVgprs: 25
; ScratchSize: 0
; MemoryBound: 0
; FloatMode: 240
; IeeeMode: 1
; LDSByteSize: 1068 bytes/workgroup (compile time only)
; SGPRBlocks: 0
; VGPRBlocks: 3
; NumSGPRsForWavesPerEU: 51
; NumVGPRsForWavesPerEU: 25
; Occupancy: 16
; WaveLimiterHint : 1
; COMPUTE_PGM_RSRC2:SCRATCH_EN: 0
; COMPUTE_PGM_RSRC2:USER_SGPR: 6
; COMPUTE_PGM_RSRC2:TRAP_HANDLER: 0
; COMPUTE_PGM_RSRC2:TGID_X_EN: 1
; COMPUTE_PGM_RSRC2:TGID_Y_EN: 1
; COMPUTE_PGM_RSRC2:TGID_Z_EN: 1
; COMPUTE_PGM_RSRC2:TIDIG_COMP_CNT: 0
	.section	.text._ZN2at6native6sbtopk10gatherTopKIdjLi2ELb0EEEvNS_4cuda6detail10TensorInfoIKT_T0_EES8_S8_bS8_S8_NS5_IS6_S8_EES8_NS5_IlS8_EES8_PS6_,"axG",@progbits,_ZN2at6native6sbtopk10gatherTopKIdjLi2ELb0EEEvNS_4cuda6detail10TensorInfoIKT_T0_EES8_S8_bS8_S8_NS5_IS6_S8_EES8_NS5_IlS8_EES8_PS6_,comdat
	.protected	_ZN2at6native6sbtopk10gatherTopKIdjLi2ELb0EEEvNS_4cuda6detail10TensorInfoIKT_T0_EES8_S8_bS8_S8_NS5_IS6_S8_EES8_NS5_IlS8_EES8_PS6_ ; -- Begin function _ZN2at6native6sbtopk10gatherTopKIdjLi2ELb0EEEvNS_4cuda6detail10TensorInfoIKT_T0_EES8_S8_bS8_S8_NS5_IS6_S8_EES8_NS5_IlS8_EES8_PS6_
	.globl	_ZN2at6native6sbtopk10gatherTopKIdjLi2ELb0EEEvNS_4cuda6detail10TensorInfoIKT_T0_EES8_S8_bS8_S8_NS5_IS6_S8_EES8_NS5_IlS8_EES8_PS6_
	.p2align	8
	.type	_ZN2at6native6sbtopk10gatherTopKIdjLi2ELb0EEEvNS_4cuda6detail10TensorInfoIKT_T0_EES8_S8_bS8_S8_NS5_IS6_S8_EES8_NS5_IlS8_EES8_PS6_,@function
_ZN2at6native6sbtopk10gatherTopKIdjLi2ELb0EEEvNS_4cuda6detail10TensorInfoIKT_T0_EES8_S8_bS8_S8_NS5_IS6_S8_EES8_NS5_IlS8_EES8_PS6_: ; @_ZN2at6native6sbtopk10gatherTopKIdjLi2ELb0EEEvNS_4cuda6detail10TensorInfoIKT_T0_EES8_S8_bS8_S8_NS5_IS6_S8_EES8_NS5_IlS8_EES8_PS6_
; %bb.0:
	s_clause 0x1
	s_load_dwordx2 s[2:3], s[4:5], 0x2b8
	s_load_dwordx4 s[36:39], s[4:5], 0xd8
	s_add_u32 s10, s4, 0x2b8
	s_addc_u32 s11, s5, 0
	s_waitcnt lgkmcnt(0)
	s_mul_i32 s0, s3, s8
	s_add_i32 s0, s0, s7
	s_mul_i32 s49, s0, s2
	s_add_i32 s49, s49, s6
	s_cmp_ge_u32 s49, s39
	s_cbranch_scc1 .LBB72_411
; %bb.1:
	s_clause 0x9
	s_load_dword s7, s[4:5], 0xc
	s_load_dword s51, s[4:5], 0xfc
	;; [unrolled: 1-line block ×3, first 2 shown]
	s_load_dwordx2 s[34:35], s[4:5], 0xf0
	s_load_dwordx2 s[42:43], s[4:5], 0x23c
	;; [unrolled: 1-line block ×4, first 2 shown]
	s_load_dword s30, s[4:5], 0xe8
	s_load_dwordx2 s[8:9], s[4:5], 0x6c
	s_load_dwordx2 s[0:1], s[4:5], 0x0
	v_cmp_eq_u32_e64 s3, 0, v0
	s_mov_b32 s47, 0
	s_waitcnt lgkmcnt(0)
	v_cvt_f32_u32_e32 v1, s7
	v_cvt_f32_u32_e32 v2, s51
	;; [unrolled: 1-line block ×3, first 2 shown]
	s_sub_i32 s12, 0, s7
	s_sub_i32 s16, 0, s51
	v_rcp_iflag_f32_e32 v1, v1
	v_rcp_iflag_f32_e32 v2, v2
	;; [unrolled: 1-line block ×3, first 2 shown]
	s_sub_i32 s17, 0, s50
	v_mul_f32_e32 v1, 0x4f7ffffe, v1
	v_mul_f32_e32 v2, 0x4f7ffffe, v2
	;; [unrolled: 1-line block ×3, first 2 shown]
	v_cvt_u32_f32_e32 v1, v1
	v_cvt_u32_f32_e32 v2, v2
	;; [unrolled: 1-line block ×3, first 2 shown]
	v_readfirstlane_b32 s13, v1
	v_readfirstlane_b32 s14, v2
	;; [unrolled: 1-line block ×3, first 2 shown]
	s_mul_i32 s12, s12, s13
	s_mul_i32 s16, s16, s14
	;; [unrolled: 1-line block ×3, first 2 shown]
	s_mul_hi_u32 s12, s13, s12
	s_mul_hi_u32 s16, s14, s16
	;; [unrolled: 1-line block ×3, first 2 shown]
	s_add_i32 s13, s13, s12
	s_add_i32 s14, s14, s16
	;; [unrolled: 1-line block ×3, first 2 shown]
	s_mul_hi_u32 s12, s49, s13
	s_mul_hi_u32 s53, s49, s14
	;; [unrolled: 1-line block ×3, first 2 shown]
	s_and_saveexec_b32 s13, s3
	s_cbranch_execz .LBB72_3
; %bb.2:
	v_mov_b32_e32 v1, 0
	v_mov_b32_e32 v2, s36
	;; [unrolled: 1-line block ×3, first 2 shown]
	ds_write_b96 v1, v[1:3] offset:4096
.LBB72_3:
	s_or_b32 exec_lo, exec_lo, s13
	s_mul_i32 s13, s12, s7
	s_add_i32 s14, s12, 1
	s_sub_i32 s13, s49, s13
	s_waitcnt lgkmcnt(0)
	s_sub_i32 s15, s13, s7
	s_cmp_ge_u32 s13, s7
	s_barrier
	s_cselect_b32 s12, s14, s12
	s_cselect_b32 s13, s15, s13
	buffer_gl0_inv
	s_load_dword s15, s[10:11], 0xc
	s_add_i32 s14, s12, 1
	s_cmp_ge_u32 s13, s7
	v_mbcnt_lo_u32_b32 v28, -1, 0
	s_cselect_b32 s12, s14, s12
	v_cmp_gt_u32_e32 vcc_lo, 32, v0
	s_mul_i32 s7, s12, s7
	s_mul_i32 s8, s12, s8
	s_sub_i32 s7, s49, s7
	v_mov_b32_e32 v15, 0
	s_mul_i32 s7, s7, s9
	v_mul_lo_u32 v13, s30, v0
	s_add_i32 s46, s8, s7
	v_lshlrev_b32_e32 v29, 2, v0
	s_lshl_b64 s[8:9], s[46:47], 3
	v_mov_b32_e32 v14, v15
	s_add_u32 s31, s0, s8
	s_addc_u32 s33, s1, s9
	s_bitcmp1_b32 s38, 0
	v_cmp_gt_i32_e64 s0, 4, v28
	s_cselect_b32 s1, -1, 0
	s_waitcnt lgkmcnt(0)
	s_and_b32 s46, s15, 0xffff
	s_bfe_u32 s7, s15, 0xb0005
	s_lshl_b32 s55, s46, 2
	s_bfe_u32 s8, s46, 0x80008
	v_cvt_f32_u32_e32 v1, s55
	s_xor_b32 s54, s1, -1
	s_lshl_b32 s56, s8, 3
	s_and_b32 s57, vcc_lo, s0
	s_cmpk_gt_u32 s36, 0x180
	v_rcp_iflag_f32_e32 v1, v1
	s_cselect_b32 s58, -1, 0
	s_cmp_gt_u32 s46, 31
	v_cvt_f32_u32_e32 v3, s46
	s_cselect_b32 s59, -1, 0
	s_add_i32 s60, s46, -1
	v_lshlrev_b32_e32 v30, 3, v0
	s_add_i32 s9, s60, s36
	s_cmp_lt_u32 s6, s2
	v_rcp_iflag_f32_e32 v3, v3
	v_mul_f32_e32 v1, 0x4f7ffffe, v1
	s_cselect_b32 s0, 12, 18
	v_mad_u64_u32 v[20:21], null, s30, v29, s[30:31]
	s_add_u32 s38, s10, s0
	s_addc_u32 s39, s11, 0
	s_add_i32 s7, s7, -1
	v_cvt_u32_f32_e32 v1, v1
	s_and_b32 s0, s7, 0xffff
	s_bfe_u32 s61, s46, 0x30005
	s_cmp_gt_u32 s0, 6
	v_mov_b32_e32 v16, 0
	v_readfirstlane_b32 s2, v1
	s_cselect_b32 s62, -1, 0
	s_cmp_lg_u32 s61, 0
	v_lshlrev_b64 v[1:2], 3, v[13:14]
	s_cselect_b32 s63, -1, 0
	s_sub_i32 s0, 0, s55
	v_mov_b32_e32 v5, 0
	s_mul_i32 s0, s0, s2
	v_mov_b32_e32 v21, 0
	s_mul_hi_u32 s6, s2, s0
	v_add_co_u32 v11, vcc_lo, s31, v1
	s_add_i32 s64, s2, s6
	v_mul_f32_e32 v1, 0x4f7ffffe, v3
	s_mul_hi_u32 s6, s36, s64
	v_add_co_ci_u32_e64 v12, null, s33, v2, vcc_lo
	s_mul_i32 s6, s6, s55
	v_cvt_u32_f32_e32 v1, v1
	s_sub_i32 s7, s36, s6
	v_or_b32_e32 v3, 3, v29
	s_sub_i32 s8, s7, s55
	s_cmp_ge_u32 s7, s55
	v_readfirstlane_b32 s10, v1
	s_cselect_b32 s7, s8, s7
	v_lshlrev_b64 v[1:2], v28, -1
	s_sub_i32 s8, s7, s55
	s_cmp_ge_u32 s7, s55
	v_mul_lo_u32 v35, s30, v3
	s_cselect_b32 s11, s8, s7
	s_sub_i32 s7, 0, s46
	s_sub_i32 s65, s36, s11
	s_mul_i32 s7, s7, s10
	v_add_nc_u32_e32 v31, s65, v0
	v_not_b32_e32 v27, v1
	v_lshrrev_b32_e32 v1, 1, v0
	s_mul_hi_u32 s7, s10, s7
	s_movk_i32 s8, 0x1f0
	v_mul_lo_u32 v14, v31, s30
	s_add_i32 s66, s10, s7
	v_and_or_b32 v33, v1, s8, 0xc00
	s_mul_hi_u32 s7, s9, s66
	v_cmp_eq_u32_e64 s0, 0, v28
	s_mul_i32 s7, s7, s46
	v_cmp_gt_u32_e64 s2, s36, v0
	s_sub_i32 s7, s9, s7
	v_lshlrev_b64 v[1:2], 3, v[14:15]
	s_sub_i32 s10, s7, s46
	s_cmp_ge_u32 s7, s46
	v_cmp_gt_u32_e64 s6, 2, v0
	s_cselect_b32 s8, s10, s7
	v_add_nc_u32_e32 v32, 0xc00, v30
	v_add_co_u32 v18, vcc_lo, s31, v1
	v_add3_u32 v1, s46, s36, v0
	v_add_co_ci_u32_e64 v19, null, s33, v2, vcc_lo
	v_or_b32_e32 v2, 2, v29
	s_sub_i32 s10, s8, s46
	v_subrev_nc_u32_e32 v1, s11, v1
	s_cmp_ge_u32 s8, s46
	v_cmp_gt_u32_e64 s7, s65, v29
	s_cselect_b32 s10, s10, s8
	v_mul_lo_u32 v34, s30, v2
	v_mul_lo_u32 v37, s30, v1
	s_sub_i32 s67, s9, s10
	v_cmp_gt_u32_e64 s8, s36, v31
	v_cmp_gt_u32_e64 s9, s67, v0
	v_lshlrev_b32_e32 v36, 2, v13
	v_lshlrev_b32_e32 v38, 5, v0
	v_lshl_or_b32 v39, v28, 2, 0xc00
	v_mov_b32_e32 v17, 0
	v_mov_b32_e32 v6, 0
	;; [unrolled: 1-line block ×5, first 2 shown]
	s_mul_i32 s48, s30, s46
	s_lshl_b32 s69, s46, 5
	s_lshl_b32 s68, s48, 2
	;; [unrolled: 1-line block ×3, first 2 shown]
	s_mov_b32 s76, 62
	s_mov_b32 s72, 0
                                        ; implicit-def: $sgpr71
                                        ; implicit-def: $sgpr75
                                        ; implicit-def: $sgpr74
                                        ; implicit-def: $sgpr77
                                        ; implicit-def: $sgpr73
                                        ; implicit-def: $sgpr81
                                        ; implicit-def: $sgpr82
                                        ; implicit-def: $sgpr78
                                        ; implicit-def: $sgpr80
                                        ; implicit-def: $sgpr79
	s_branch .LBB72_6
.LBB72_4:                               ;   in Loop: Header=BB72_6 Depth=1
	s_or_b32 exec_lo, exec_lo, s13
	v_mov_b32_e32 v40, v42
	s_andn2_b32 s13, s79, exec_lo
	s_and_b32 s12, s12, exec_lo
	s_andn2_b32 s80, s80, exec_lo
	s_or_b32 s79, s13, s12
	s_andn2_b32 s78, s78, exec_lo
	s_andn2_b32 s82, s82, exec_lo
	;; [unrolled: 1-line block ×3, first 2 shown]
	s_orn2_b32 s12, s11, exec_lo
.LBB72_5:                               ;   in Loop: Header=BB72_6 Depth=1
	s_or_b32 exec_lo, exec_lo, s10
	s_and_b32 s10, exec_lo, s12
	s_or_b32 s47, s10, s47
	s_andn2_b32 s10, s73, exec_lo
	s_and_b32 s11, s79, exec_lo
	s_andn2_b32 s12, s77, exec_lo
	s_or_b32 s73, s10, s11
	s_and_b32 s10, s80, exec_lo
	s_andn2_b32 s11, s74, exec_lo
	s_and_b32 s13, s78, exec_lo
	s_or_b32 s77, s12, s10
	s_or_b32 s74, s11, s13
	s_andn2_b32 s10, s75, exec_lo
	s_and_b32 s11, s82, exec_lo
	s_andn2_b32 s12, s71, exec_lo
	s_and_b32 s13, s81, exec_lo
	s_or_b32 s75, s10, s11
	s_or_b32 s71, s12, s13
	s_andn2_b32 exec_lo, exec_lo, s47
	s_cbranch_execz .LBB72_407
.LBB72_6:                               ; =>This Loop Header: Depth=1
                                        ;     Child Loop BB72_12 Depth 2
                                        ;     Child Loop BB72_25 Depth 2
	;; [unrolled: 1-line block ×24, first 2 shown]
	ds_read_b64 v[3:4], v15 offset:4096
	s_waitcnt lgkmcnt(0)
	v_readfirstlane_b32 s83, v3
	s_cmp_lg_u32 s83, 0
	s_cbranch_scc1 .LBB72_33
; %bb.7:                                ;   in Loop: Header=BB72_6 Depth=1
	s_and_b32 vcc_lo, exec_lo, s58
	s_cbranch_vccz .LBB72_20
; %bb.8:                                ;   in Loop: Header=BB72_6 Depth=1
	v_cmp_gt_u32_e32 vcc_lo, 0x181, v4
	s_mov_b32 s12, 0
	s_mov_b32 s10, 0
	s_cbranch_vccz .LBB72_21
; %bb.9:                                ;   in Loop: Header=BB72_6 Depth=1
	s_and_saveexec_b32 s13, s2
	s_cbranch_execz .LBB72_81
; %bb.10:                               ;   in Loop: Header=BB72_6 Depth=1
	global_load_ushort v1, v15, s[38:39]
	global_load_dwordx2 v[3:4], v[11:12], off
	v_mov_b32_e32 v10, v0
	s_mov_b32 s14, 0
	s_waitcnt vmcnt(1)
	v_add_nc_u32_e32 v7, v0, v1
	v_mul_lo_u32 v9, s30, v1
	v_mul_lo_u32 v14, s30, v7
	s_branch .LBB72_12
.LBB72_11:                              ;   in Loop: Header=BB72_12 Depth=2
	s_or_b32 exec_lo, exec_lo, s11
	v_mov_b32_e32 v3, v7
	v_add_nc_u32_e32 v14, v14, v9
	v_mov_b32_e32 v4, v8
	s_andn2_b32 exec_lo, exec_lo, s14
	s_cbranch_execz .LBB72_81
.LBB72_12:                              ;   Parent Loop BB72_6 Depth=1
                                        ; =>  This Inner Loop Header: Depth=2
	v_mov_b32_e32 v7, 0
	v_add_nc_u32_e32 v10, v10, v1
	v_mov_b32_e32 v8, 0
	s_mov_b32 s11, exec_lo
	v_cmp_le_u32_e32 vcc_lo, s36, v10
	v_cmpx_gt_u32_e64 s36, v10
	s_cbranch_execz .LBB72_14
; %bb.13:                               ;   in Loop: Header=BB72_12 Depth=2
	v_lshlrev_b64 v[7:8], 3, v[14:15]
	v_add_co_u32 v7, s10, s31, v7
	v_add_co_ci_u32_e64 v8, null, s33, v8, s10
	global_load_dwordx2 v[7:8], v[7:8], off
.LBB72_14:                              ;   in Loop: Header=BB72_12 Depth=2
	s_or_b32 exec_lo, exec_lo, s11
	s_waitcnt vmcnt(0)
	v_cmp_o_f64_e64 s10, v[3:4], v[3:4]
	s_waitcnt lgkmcnt(0)
	v_ashrrev_i32_e32 v23, 31, v4
	v_or_b32_e32 v24, 0x80000000, v23
	v_xor_b32_e32 v23, v23, v3
	v_xor_b32_e32 v24, v24, v4
	v_cndmask_b32_e64 v24, -1, v24, s10
	v_cndmask_b32_e64 v23, -1, v23, s10
	v_and_b32_e32 v24, v24, v22
	v_and_b32_e32 v23, v23, v21
	v_cmp_eq_u64_e64 s10, v[23:24], v[16:17]
	v_mov_b32_e32 v23, 0
	s_cmp_lg_u32 s10, 0
	s_cselect_b32 s11, -1, 0
	s_and_b32 s11, s0, s11
	s_and_saveexec_b32 s15, s11
	s_cbranch_execz .LBB72_18
; %bb.15:                               ;   in Loop: Header=BB72_12 Depth=2
	s_mov_b32 s18, exec_lo
	s_bcnt1_i32_b32 s16, s10
	v_mbcnt_lo_u32_b32 v23, s18, 0
	s_mov_b32 s17, exec_lo
                                        ; implicit-def: $vgpr24
	v_cmpx_eq_u32_e32 0, v23
; %bb.16:                               ;   in Loop: Header=BB72_12 Depth=2
	s_bcnt1_i32_b32 s11, s18
	s_mul_i32 s11, s16, s11
	v_mov_b32_e32 v24, s11
	ds_add_rtn_u32 v24, v15, v24 offset:4104
; %bb.17:                               ;   in Loop: Header=BB72_12 Depth=2
	s_or_b32 exec_lo, exec_lo, s17
	s_waitcnt lgkmcnt(0)
	v_readfirstlane_b32 s11, v24
	v_mad_u32_u24 v23, s16, v23, s11
.LBB72_18:                              ;   in Loop: Header=BB72_12 Depth=2
	s_or_b32 exec_lo, exec_lo, s15
	ds_bpermute_b32 v23, v15, v23
	s_and_b32 s11, exec_lo, vcc_lo
	s_or_b32 s14, s11, s14
	s_and_saveexec_b32 s11, s10
	s_cbranch_execz .LBB72_11
; %bb.19:                               ;   in Loop: Header=BB72_12 Depth=2
	v_and_b32_e32 v24, s10, v27
	v_bcnt_u32_b32 v24, v24, 0
	v_lshlrev_b32_e32 v24, 3, v24
	s_waitcnt lgkmcnt(0)
	v_lshl_add_u32 v23, v23, 3, v24
	ds_write_b64 v23, v[3:4]
	s_branch .LBB72_11
.LBB72_20:                              ;   in Loop: Header=BB72_6 Depth=1
	s_mov_b32 s12, -1
	s_mov_b32 s10, 0
.LBB72_21:                              ;   in Loop: Header=BB72_6 Depth=1
	s_and_b32 vcc_lo, exec_lo, s12
	s_cbranch_vccz .LBB72_31
.LBB72_22:                              ;   in Loop: Header=BB72_6 Depth=1
	s_and_saveexec_b32 s10, s2
	s_cbranch_execz .LBB72_28
; %bb.23:                               ;   in Loop: Header=BB72_6 Depth=1
	global_load_ushort v1, v15, s[38:39]
	global_load_dwordx2 v[3:4], v[11:12], off
	v_mov_b32_e32 v9, v0
	s_mov_b32 s11, exec_lo
	s_waitcnt vmcnt(1)
	v_add_nc_u32_e32 v7, v0, v1
	v_cmpx_gt_u32_e64 s36, v7
	s_cbranch_execz .LBB72_27
; %bb.24:                               ;   in Loop: Header=BB72_6 Depth=1
	v_mul_lo_u32 v14, s30, v7
	v_mul_lo_u32 v10, s30, v1
	v_lshlrev_b32_e32 v23, 3, v1
	v_mov_b32_e32 v24, v30
	v_mov_b32_e32 v9, v0
	s_mov_b32 s12, 0
	.p2align	6
.LBB72_25:                              ;   Parent Loop BB72_6 Depth=1
                                        ; =>  This Inner Loop Header: Depth=2
	v_lshlrev_b64 v[7:8], 3, v[14:15]
	v_add_nc_u32_e32 v9, v9, v1
	s_waitcnt vmcnt(0)
	ds_write_b64 v24, v[3:4]
	v_add_nc_u32_e32 v24, v24, v23
	v_add_nc_u32_e32 v14, v14, v10
	;; [unrolled: 1-line block ×3, first 2 shown]
	v_add_co_u32 v7, vcc_lo, s31, v7
	v_add_co_ci_u32_e64 v8, null, s33, v8, vcc_lo
	v_cmp_le_u32_e32 vcc_lo, s36, v25
	global_load_dwordx2 v[7:8], v[7:8], off
	s_or_b32 s12, vcc_lo, s12
	s_waitcnt vmcnt(0)
	v_mov_b32_e32 v3, v7
	v_mov_b32_e32 v4, v8
	s_andn2_b32 exec_lo, exec_lo, s12
	s_cbranch_execnz .LBB72_25
; %bb.26:                               ;   in Loop: Header=BB72_6 Depth=1
	s_or_b32 exec_lo, exec_lo, s12
	v_mov_b32_e32 v3, v7
	v_mov_b32_e32 v4, v8
.LBB72_27:                              ;   in Loop: Header=BB72_6 Depth=1
	s_or_b32 exec_lo, exec_lo, s11
	v_lshlrev_b32_e32 v1, 3, v9
	s_waitcnt vmcnt(0)
	ds_write_b64 v1, v[3:4]
.LBB72_28:                              ;   in Loop: Header=BB72_6 Depth=1
	s_or_b32 exec_lo, exec_lo, s10
	s_waitcnt lgkmcnt(0)
	s_barrier
	buffer_gl0_inv
	s_and_saveexec_b32 s10, s3
; %bb.29:                               ;   in Loop: Header=BB72_6 Depth=1
	v_mov_b32_e32 v1, s36
	ds_write_b32 v15, v1 offset:4096
; %bb.30:                               ;   in Loop: Header=BB72_6 Depth=1
	s_or_b32 exec_lo, exec_lo, s10
	s_mov_b32 s10, -1
	s_waitcnt lgkmcnt(0)
	s_barrier
.LBB72_31:                              ;   in Loop: Header=BB72_6 Depth=1
	s_and_b32 vcc_lo, exec_lo, s10
	s_mov_b32 s83, 0
	s_cbranch_vccz .LBB72_33
; %bb.32:                               ;   in Loop: Header=BB72_6 Depth=1
	buffer_gl0_inv
	ds_read_b32 v1, v15 offset:4096
	s_waitcnt lgkmcnt(0)
	v_readfirstlane_b32 s83, v1
.LBB72_33:                              ;   in Loop: Header=BB72_6 Depth=1
	s_cmp_lt_i32 s83, 1
	s_mov_b32 s10, -1
                                        ; implicit-def: $vgpr7
	s_cbranch_scc1 .LBB72_43
; %bb.34:                               ;   in Loop: Header=BB72_6 Depth=1
	s_and_b32 vcc_lo, exec_lo, s10
	s_cbranch_vccnz .LBB72_54
.LBB72_35:                              ;   in Loop: Header=BB72_6 Depth=1
	s_lshl_b32 s10, s72, 7
	s_and_saveexec_b32 s11, s0
.LBB72_36:                              ;   in Loop: Header=BB72_6 Depth=1
	v_lshl_add_u32 v1, s10, 2, v33
	ds_write_b128 v1, v[7:10]
.LBB72_37:                              ;   in Loop: Header=BB72_6 Depth=1
	s_or_b32 exec_lo, exec_lo, s11
	s_waitcnt lgkmcnt(0)
	s_barrier
	buffer_gl0_inv
	s_and_saveexec_b32 s11, s57
	s_cbranch_execz .LBB72_67
; %bb.38:                               ;   in Loop: Header=BB72_6 Depth=1
	v_mov_b32_e32 v1, 0
	s_andn2_b32 vcc_lo, exec_lo, s59
	s_cbranch_vccnz .LBB72_66
; %bb.39:                               ;   in Loop: Header=BB72_6 Depth=1
	s_andn2_b32 vcc_lo, exec_lo, s62
	s_cbranch_vccnz .LBB72_63
; %bb.40:                               ;   in Loop: Header=BB72_6 Depth=1
	v_lshl_add_u32 v3, s72, 9, v39
	v_mov_b32_e32 v1, 0
	s_mov_b32 s12, 0
	.p2align	6
.LBB72_41:                              ;   Parent Loop BB72_6 Depth=1
                                        ; =>  This Inner Loop Header: Depth=2
	ds_read2_b32 v[7:8], v3 offset1:4
	ds_read2_b32 v[9:10], v3 offset0:8 offset1:12
	ds_read2_b32 v[23:24], v3 offset0:16 offset1:20
	;; [unrolled: 1-line block ×3, first 2 shown]
	v_add_nc_u32_e32 v3, 0x80, v3
	s_add_i32 s12, s12, 8
	s_cmp_eq_u32 s56, s12
	s_waitcnt lgkmcnt(3)
	v_add3_u32 v1, v7, v1, v8
	s_waitcnt lgkmcnt(2)
	v_add3_u32 v1, v9, v1, v10
	;; [unrolled: 2-line block ×4, first 2 shown]
	s_cbranch_scc0 .LBB72_41
; %bb.42:                               ;   in Loop: Header=BB72_6 Depth=1
	s_mov_b32 s12, s56
	s_andn2_b32 vcc_lo, exec_lo, s63
	s_cbranch_vccz .LBB72_64
	s_branch .LBB72_66
.LBB72_43:                              ;   in Loop: Header=BB72_6 Depth=1
	v_mov_b32_e32 v7, 0
	v_mov_b32_e32 v8, 0
	;; [unrolled: 1-line block ×4, first 2 shown]
	s_and_saveexec_b32 s24, s7
	s_cbranch_execz .LBB72_47
; %bb.44:                               ;   in Loop: Header=BB72_6 Depth=1
	v_mov_b32_e32 v1, v29
	s_mov_b32 s25, 0
	s_mov_b32 s26, 0
	;; [unrolled: 1-line block ×6, first 2 shown]
.LBB72_45:                              ;   Parent Loop BB72_6 Depth=1
                                        ; =>  This Inner Loop Header: Depth=2
	v_add_nc_u32_e32 v14, s26, v36
	v_mov_b32_e32 v25, v15
	v_mov_b32_e32 v42, v15
	;; [unrolled: 1-line block ×3, first 2 shown]
	v_add_nc_u32_e32 v1, s55, v1
	v_lshlrev_b64 v[3:4], 3, v[14:15]
	v_add_nc_u32_e32 v14, s26, v20
	v_lshlrev_b64 v[7:8], 3, v[14:15]
	v_add_nc_u32_e32 v14, s26, v34
	v_add_co_u32 v3, vcc_lo, s31, v3
	v_add_co_ci_u32_e64 v4, null, s33, v4, vcc_lo
	v_lshlrev_b64 v[9:10], 3, v[14:15]
	v_add_nc_u32_e32 v14, s26, v35
	v_add_co_u32 v7, vcc_lo, s31, v7
	global_load_dwordx2 v[3:4], v[3:4], off
	v_add_co_ci_u32_e64 v8, null, s33, v8, vcc_lo
	v_lshlrev_b64 v[23:24], 3, v[14:15]
	v_add_co_u32 v9, vcc_lo, s31, v9
	v_add_co_ci_u32_e64 v10, null, s33, v10, vcc_lo
	s_clause 0x1
	global_load_dwordx2 v[7:8], v[7:8], off
	global_load_dwordx2 v[9:10], v[9:10], off
	v_add_co_u32 v23, vcc_lo, s31, v23
	v_add_co_ci_u32_e64 v24, null, s33, v24, vcc_lo
	v_cmp_le_u32_e32 vcc_lo, s65, v1
	s_add_i32 s26, s26, s68
	global_load_dwordx2 v[23:24], v[23:24], off
	s_waitcnt vmcnt(3)
	v_cmp_o_f64_e64 s10, v[3:4], v[3:4]
	v_ashrrev_i32_e32 v14, 31, v4
	v_or_b32_e32 v41, 0x80000000, v14
	v_xor_b32_e32 v14, v14, v3
	s_waitcnt vmcnt(2)
	v_cmp_o_f64_e64 s11, v[7:8], v[7:8]
	s_waitcnt vmcnt(1)
	v_cmp_o_f64_e64 s12, v[9:10], v[9:10]
	v_xor_b32_e32 v41, v41, v4
	v_ashrrev_i32_e32 v44, 31, v10
	v_ashrrev_i32_e32 v43, 31, v8
	v_or_b32_e32 v3, 0x80000000, v44
	s_waitcnt vmcnt(0)
	v_cmp_o_f64_e64 s13, v[23:24], v[23:24]
	v_or_b32_e32 v45, 0x80000000, v43
	v_xor_b32_e32 v43, v43, v7
	v_xor_b32_e32 v47, v44, v9
	v_cndmask_b32_e64 v4, -1, v41, s10
	v_ashrrev_i32_e32 v41, 31, v24
	v_xor_b32_e32 v3, v3, v10
	v_xor_b32_e32 v45, v45, v8
	v_and_b32_e32 v10, v4, v22
	v_or_b32_e32 v7, 0x80000000, v41
	v_xor_b32_e32 v41, v41, v23
	v_cndmask_b32_e64 v8, -1, v45, s11
	v_cndmask_b32_e64 v23, -1, v47, s12
	v_xor_b32_e32 v7, v7, v24
	v_cndmask_b32_e64 v24, -1, v3, s12
	v_cndmask_b32_e64 v3, -1, v14, s10
	v_and_b32_e32 v44, v8, v22
	v_and_b32_e32 v47, v23, v21
	;; [unrolled: 1-line block ×4, first 2 shown]
	v_lshrrev_b64 v[3:4], s76, v[3:4]
	v_cndmask_b32_e64 v46, -1, v7, s13
	v_cndmask_b32_e64 v7, -1, v43, s11
	;; [unrolled: 1-line block ×3, first 2 shown]
	v_cmp_eq_u64_e64 s10, v[9:10], v[16:17]
	v_cmp_eq_u64_e64 s16, v[47:48], v[16:17]
	v_and_b32_e32 v14, 3, v3
	v_and_b32_e32 v43, v7, v21
	v_lshrrev_b64 v[7:8], s76, v[7:8]
	v_lshrrev_b64 v[3:4], s76, v[23:24]
	v_and_b32_e32 v49, v46, v22
	v_cmp_eq_u64_e64 s12, 0, v[14:15]
	v_cmp_eq_u64_e64 s13, 1, v[14:15]
	;; [unrolled: 1-line block ×3, first 2 shown]
	v_and_b32_e32 v24, 3, v7
	v_cmp_eq_u64_e64 s15, 3, v[14:15]
	v_cmp_eq_u64_e64 s11, v[43:44], v[16:17]
	s_and_b32 s12, s10, s12
	v_and_b32_e32 v41, 3, v3
	v_cmp_eq_u64_e64 s17, 0, v[24:25]
	v_cmp_eq_u64_e64 s18, 1, v[24:25]
	;; [unrolled: 1-line block ×3, first 2 shown]
	v_lshrrev_b64 v[7:8], s76, v[45:46]
	v_cndmask_b32_e64 v3, 0, 1, s12
	s_and_b32 s12, s10, s13
	v_cmp_eq_u64_e64 s20, 3, v[24:25]
	v_cndmask_b32_e64 v4, 0, 1, s12
	s_and_b32 s12, s10, s14
	s_and_b32 s10, s10, s15
	v_cndmask_b32_e64 v8, 0, 1, s12
	v_cmp_eq_u64_e64 s12, 0, v[41:42]
	v_cmp_eq_u64_e64 s13, 1, v[41:42]
	v_cndmask_b32_e64 v9, 0, 1, s10
	s_and_b32 s17, s11, s17
	s_and_b32 s18, s11, s18
	;; [unrolled: 1-line block ×3, first 2 shown]
	v_and_b32_e32 v48, v45, v21
	v_and_b32_e32 v25, 3, v7
	v_cmp_eq_u64_e64 s14, 2, v[41:42]
	v_cmp_eq_u64_e64 s15, 3, v[41:42]
	v_cmp_ne_u32_e64 s21, 0, v3
	v_cndmask_b32_e64 v3, 0, 1, s17
	v_cmp_ne_u32_e64 s17, 0, v4
	v_cndmask_b32_e64 v4, 0, 1, s18
	v_cndmask_b32_e64 v7, 0, 1, s19
	s_and_b32 s11, s11, s20
	v_cmp_ne_u32_e64 s18, 0, v8
	v_cndmask_b32_e64 v8, 0, 1, s11
	v_cmp_ne_u32_e64 s19, 0, v9
	s_and_b32 s12, s16, s12
	s_and_b32 s13, s16, s13
	v_cmp_eq_u64_e64 s10, v[48:49], v[16:17]
	v_cmp_eq_u64_e64 s11, 0, v[25:26]
	;; [unrolled: 1-line block ×5, first 2 shown]
	s_bcnt1_i32_b32 s85, s21
	v_cmp_ne_u32_e64 s21, 0, v3
	v_cndmask_b32_e64 v3, 0, 1, s12
	v_cmp_ne_u32_e64 s12, 0, v4
	v_cndmask_b32_e64 v4, 0, 1, s13
	v_cmp_ne_u32_e64 s13, 0, v7
	s_and_b32 s14, s16, s14
	s_and_b32 s15, s16, s15
	v_cndmask_b32_e64 v7, 0, 1, s14
	v_cmp_ne_u32_e64 s14, 0, v8
	v_cndmask_b32_e64 v8, 0, 1, s15
	s_bcnt1_i32_b32 s19, s19
	s_and_b32 s11, s10, s11
	s_add_i32 s19, s19, s27
	s_bcnt1_i32_b32 s27, s12
	s_and_b32 s12, s10, s20
	s_bcnt1_i32_b32 s20, s13
	s_and_b32 s13, s10, s22
	s_and_b32 s10, s10, s23
	v_cmp_ne_u32_e64 s15, 0, v3
	v_cndmask_b32_e64 v3, 0, 1, s11
	v_cmp_ne_u32_e64 s11, 0, v4
	v_cndmask_b32_e64 v4, 0, 1, s12
	;; [unrolled: 2-line block ×4, first 2 shown]
	s_bcnt1_i32_b32 s18, s18
	s_add_i32 s16, s85, s84
	s_add_i32 s18, s18, s28
	s_bcnt1_i32_b32 s21, s21
	s_bcnt1_i32_b32 s14, s14
	;; [unrolled: 1-line block ×3, first 2 shown]
	s_add_i32 s16, s16, s21
	s_add_i32 s18, s18, s20
	;; [unrolled: 1-line block ×3, first 2 shown]
	v_cmp_ne_u32_e64 s10, 0, v3
	s_bcnt1_i32_b32 s19, s11
	v_cmp_ne_u32_e64 s11, 0, v4
	s_bcnt1_i32_b32 s20, s12
	;; [unrolled: 2-line block ×3, first 2 shown]
	v_cmp_ne_u32_e64 s13, 0, v8
	s_add_i32 s17, s17, s29
	s_bcnt1_i32_b32 s15, s15
	s_add_i32 s17, s17, s27
	s_add_i32 s15, s16, s15
	;; [unrolled: 1-line block ×5, first 2 shown]
	s_bcnt1_i32_b32 s10, s10
	s_bcnt1_i32_b32 s11, s11
	;; [unrolled: 1-line block ×4, first 2 shown]
	s_add_i32 s84, s15, s10
	s_add_i32 s29, s16, s11
	;; [unrolled: 1-line block ×4, first 2 shown]
	v_mov_b32_e32 v7, s84
	v_mov_b32_e32 v8, s29
	;; [unrolled: 1-line block ×4, first 2 shown]
	s_or_b32 s25, vcc_lo, s25
	s_andn2_b32 exec_lo, exec_lo, s25
	s_cbranch_execnz .LBB72_45
; %bb.46:                               ;   in Loop: Header=BB72_6 Depth=1
	s_or_b32 exec_lo, exec_lo, s25
.LBB72_47:                              ;   in Loop: Header=BB72_6 Depth=1
	s_or_b32 exec_lo, exec_lo, s24
	s_and_saveexec_b32 s14, s8
	s_cbranch_execz .LBB72_53
; %bb.48:                               ;   in Loop: Header=BB72_6 Depth=1
	global_load_dwordx2 v[25:26], v[18:19], off
	v_mov_b32_e32 v3, v37
	v_mov_b32_e32 v1, v31
	s_mov_b32 s15, 0
	s_branch .LBB72_50
.LBB72_49:                              ;   in Loop: Header=BB72_50 Depth=2
	s_or_b32 exec_lo, exec_lo, s11
	s_waitcnt vmcnt(0)
	v_cmp_o_f64_e64 s10, v[25:26], v[25:26]
	v_ashrrev_i32_e32 v4, 31, v26
	s_and_b32 s12, exec_lo, vcc_lo
	v_add_nc_u32_e32 v3, s48, v3
	s_or_b32 s15, s12, s15
	v_or_b32_e32 v14, 0x80000000, v4
	v_xor_b32_e32 v4, v4, v25
	v_xor_b32_e32 v14, v14, v26
	v_cndmask_b32_e64 v26, -1, v14, s10
	v_cndmask_b32_e64 v25, -1, v4, s10
	v_lshrrev_b64 v[41:42], s76, v[25:26]
	v_and_b32_e32 v26, v26, v22
	v_and_b32_e32 v25, v25, v21
	;; [unrolled: 1-line block ×3, first 2 shown]
	v_cmp_eq_u64_e64 s10, v[25:26], v[16:17]
	v_cmp_eq_u64_e64 s11, 0, v[14:15]
	v_cmp_eq_u64_e32 vcc_lo, 1, v[14:15]
	v_cmp_eq_u64_e64 s12, 2, v[14:15]
	v_cmp_eq_u64_e64 s13, 3, v[14:15]
	s_and_b32 s11, s10, s11
	v_cndmask_b32_e64 v4, 0, 1, s11
	s_and_b32 s11, s10, vcc_lo
	v_cndmask_b32_e64 v14, 0, 1, s11
	s_and_b32 s11, s10, s12
	s_and_b32 s10, s10, s13
	v_cndmask_b32_e64 v25, 0, 1, s11
	v_cndmask_b32_e64 v26, 0, 1, s10
	v_cmp_ne_u32_e32 vcc_lo, 0, v4
	v_cmp_ne_u32_e64 s10, 0, v14
	v_cmp_ne_u32_e64 s11, 0, v25
	;; [unrolled: 1-line block ×3, first 2 shown]
	s_bcnt1_i32_b32 s13, vcc_lo
	s_bcnt1_i32_b32 s10, s10
	v_mov_b32_e32 v26, v24
	s_bcnt1_i32_b32 s11, s11
	s_bcnt1_i32_b32 s12, s12
	v_add_nc_u32_e32 v7, s13, v7
	v_add_nc_u32_e32 v8, s10, v8
	;; [unrolled: 1-line block ×4, first 2 shown]
	v_mov_b32_e32 v25, v23
	s_andn2_b32 exec_lo, exec_lo, s15
	s_cbranch_execz .LBB72_52
.LBB72_50:                              ;   Parent Loop BB72_6 Depth=1
                                        ; =>  This Inner Loop Header: Depth=2
	v_mov_b32_e32 v23, 0
	v_add_nc_u32_e32 v1, s46, v1
	v_mov_b32_e32 v24, 0
	s_mov_b32 s11, exec_lo
	v_cmp_le_u32_e32 vcc_lo, s36, v1
	v_cmpx_gt_u32_e64 s36, v1
	s_cbranch_execz .LBB72_49
; %bb.51:                               ;   in Loop: Header=BB72_50 Depth=2
	v_mov_b32_e32 v4, v15
	v_lshlrev_b64 v[23:24], 3, v[3:4]
	v_add_co_u32 v23, s10, s31, v23
	v_add_co_ci_u32_e64 v24, null, s33, v24, s10
	global_load_dwordx2 v[23:24], v[23:24], off
	s_branch .LBB72_49
.LBB72_52:                              ;   in Loop: Header=BB72_6 Depth=1
	s_or_b32 exec_lo, exec_lo, s15
.LBB72_53:                              ;   in Loop: Header=BB72_6 Depth=1
	s_or_b32 exec_lo, exec_lo, s14
	s_branch .LBB72_35
.LBB72_54:                              ;   in Loop: Header=BB72_6 Depth=1
	s_mul_hi_u32 s10, s83, s64
	v_mov_b32_e32 v7, 0
	s_mul_i32 s10, s10, s55
	v_mov_b32_e32 v8, 0
	s_sub_i32 s10, s83, s10
	v_mov_b32_e32 v9, 0
	s_sub_i32 s11, s10, s55
	s_cmp_ge_u32 s10, s55
	v_mov_b32_e32 v10, 0
	s_cselect_b32 s10, s11, s10
	s_mov_b32 s85, exec_lo
	s_sub_i32 s11, s10, s55
	s_cmp_ge_u32 s10, s55
	s_cselect_b32 s10, s11, s10
	s_sub_i32 s84, s83, s10
	v_cmpx_gt_u32_e64 s84, v29
	s_cbranch_execz .LBB72_58
; %bb.55:                               ;   in Loop: Header=BB72_6 Depth=1
	v_mov_b32_e32 v1, v38
	v_mov_b32_e32 v3, v29
	s_mov_b32 s86, 0
	s_mov_b32 s87, 0
	;; [unrolled: 1-line block ×5, first 2 shown]
.LBB72_56:                              ;   Parent Loop BB72_6 Depth=1
                                        ; =>  This Inner Loop Header: Depth=2
	ds_read_b128 v[7:10], v1
	ds_read_b128 v[23:26], v1 offset:16
	v_mov_b32_e32 v42, v15
	v_mov_b32_e32 v44, v15
	;; [unrolled: 1-line block ×3, first 2 shown]
	v_add_nc_u32_e32 v3, s55, v3
	v_add_nc_u32_e32 v1, s69, v1
	v_cmp_le_u32_e32 vcc_lo, s84, v3
	s_waitcnt lgkmcnt(1)
	v_cmp_o_f64_e64 s10, v[7:8], v[7:8]
	v_cmp_o_f64_e64 s11, v[9:10], v[9:10]
	s_waitcnt lgkmcnt(0)
	v_cmp_o_f64_e64 s12, v[23:24], v[23:24]
	v_cmp_o_f64_e64 s13, v[25:26], v[25:26]
	v_ashrrev_i32_e32 v4, 31, v8
	v_ashrrev_i32_e32 v14, 31, v10
	;; [unrolled: 1-line block ×4, first 2 shown]
	v_or_b32_e32 v45, 0x80000000, v4
	v_or_b32_e32 v47, 0x80000000, v14
	;; [unrolled: 1-line block ×4, first 2 shown]
	v_xor_b32_e32 v4, v4, v7
	v_xor_b32_e32 v45, v45, v8
	;; [unrolled: 1-line block ×8, first 2 shown]
	v_cndmask_b32_e64 v8, -1, v45, s10
	v_cndmask_b32_e64 v10, -1, v7, s11
	;; [unrolled: 1-line block ×7, first 2 shown]
	v_and_b32_e32 v48, v8, v22
	v_and_b32_e32 v47, v7, v21
	v_lshrrev_b64 v[7:8], s76, v[7:8]
	v_cndmask_b32_e64 v25, -1, v43, s13
	v_and_b32_e32 v49, v9, v21
	v_lshrrev_b64 v[8:9], s76, v[9:10]
	v_and_b32_e32 v50, v10, v22
	v_lshrrev_b64 v[9:10], s76, v[23:24]
	v_and_b32_e32 v52, v24, v22
	v_and_b32_e32 v51, v23, v21
	v_lshrrev_b64 v[23:24], s76, v[25:26]
	v_and_b32_e32 v14, 3, v7
	v_and_b32_e32 v41, 3, v8
	;; [unrolled: 1-line block ×3, first 2 shown]
	v_cmp_eq_u64_e64 s10, v[47:48], v[16:17]
	v_and_b32_e32 v54, v26, v22
	v_cmp_eq_u64_e64 s14, 0, v[14:15]
	v_and_b32_e32 v53, v25, v21
	v_and_b32_e32 v45, 3, v23
	v_cmp_eq_u64_e64 s11, v[49:50], v[16:17]
	v_cmp_eq_u64_e64 s15, 0, v[41:42]
	;; [unrolled: 1-line block ×6, first 2 shown]
	s_and_b32 s14, s10, s14
	v_cmp_eq_u64_e64 s18, 1, v[14:15]
	v_cndmask_b32_e64 v4, 0, 1, s14
	s_and_b32 s14, s11, s15
	v_cmp_eq_u64_e64 s19, 1, v[41:42]
	v_cndmask_b32_e64 v7, 0, 1, s14
	;; [unrolled: 3-line block ×4, first 2 shown]
	s_and_b32 s14, s10, s18
	v_cmp_eq_u64_e64 s22, 2, v[14:15]
	v_cmp_eq_u64_e64 s26, 3, v[14:15]
	v_cndmask_b32_e64 v10, 0, 1, s14
	s_and_b32 s14, s11, s19
	v_cmp_eq_u64_e64 s23, 2, v[41:42]
	v_cmp_eq_u64_e64 s27, 3, v[41:42]
	v_cndmask_b32_e64 v14, 0, 1, s14
	;; [unrolled: 4-line block ×4, first 2 shown]
	s_and_b32 s14, s10, s22
	s_and_b32 s10, s10, s26
	v_cndmask_b32_e64 v25, 0, 1, s14
	s_and_b32 s14, s11, s23
	v_cndmask_b32_e64 v43, 0, 1, s10
	;; [unrolled: 2-line block ×7, first 2 shown]
	v_cndmask_b32_e64 v46, 0, 1, s10
	v_cmp_ne_u32_e64 s10, 0, v4
	v_cmp_ne_u32_e64 s14, 0, v10
	v_cmp_ne_u32_e64 s18, 0, v25
	v_cmp_ne_u32_e64 s22, 0, v43
	v_cmp_ne_u32_e64 s11, 0, v7
	v_cmp_ne_u32_e64 s15, 0, v14
	v_cmp_ne_u32_e64 s19, 0, v26
	v_cmp_ne_u32_e64 s23, 0, v44
	v_cmp_ne_u32_e64 s12, 0, v8
	v_cmp_ne_u32_e64 s16, 0, v23
	v_cmp_ne_u32_e64 s20, 0, v41
	v_cmp_ne_u32_e64 s24, 0, v45
	s_bcnt1_i32_b32 s10, s10
	s_bcnt1_i32_b32 s14, s14
	;; [unrolled: 1-line block ×4, first 2 shown]
	v_cmp_ne_u32_e64 s13, 0, v9
	v_cmp_ne_u32_e64 s17, 0, v24
	;; [unrolled: 1-line block ×4, first 2 shown]
	s_bcnt1_i32_b32 s11, s11
	s_bcnt1_i32_b32 s15, s15
	s_bcnt1_i32_b32 s19, s19
	s_bcnt1_i32_b32 s23, s23
	s_add_i32 s10, s10, s90
	s_add_i32 s14, s14, s89
	s_add_i32 s18, s18, s88
	s_add_i32 s22, s22, s87
	s_bcnt1_i32_b32 s12, s12
	s_bcnt1_i32_b32 s16, s16
	s_bcnt1_i32_b32 s20, s20
	s_bcnt1_i32_b32 s24, s24
	s_add_i32 s10, s10, s11
	s_add_i32 s11, s14, s15
	s_add_i32 s14, s18, s19
	s_add_i32 s15, s22, s23
	;; [unrolled: 8-line block ×3, first 2 shown]
	s_add_i32 s90, s10, s13
	s_add_i32 s89, s11, s17
	;; [unrolled: 1-line block ×4, first 2 shown]
	v_mov_b32_e32 v7, s90
	v_mov_b32_e32 v8, s89
	;; [unrolled: 1-line block ×4, first 2 shown]
	s_or_b32 s86, vcc_lo, s86
	s_andn2_b32 exec_lo, exec_lo, s86
	s_cbranch_execnz .LBB72_56
; %bb.57:                               ;   in Loop: Header=BB72_6 Depth=1
	s_or_b32 exec_lo, exec_lo, s86
.LBB72_58:                              ;   in Loop: Header=BB72_6 Depth=1
	s_or_b32 exec_lo, exec_lo, s85
	v_add_nc_u32_e32 v1, s84, v0
	s_mov_b32 s15, exec_lo
	v_cmpx_gt_u32_e64 s83, v1
	s_cbranch_execz .LBB72_62
; %bb.59:                               ;   in Loop: Header=BB72_6 Depth=1
	v_lshlrev_b32_e32 v3, 3, v1
	s_mov_b32 s16, 0
.LBB72_60:                              ;   Parent Loop BB72_6 Depth=1
                                        ; =>  This Inner Loop Header: Depth=2
	ds_read_b64 v[23:24], v3
	v_add_nc_u32_e32 v1, s46, v1
	v_add_nc_u32_e32 v3, s70, v3
	v_cmp_le_u32_e64 s10, s83, v1
	s_waitcnt lgkmcnt(0)
	v_cmp_o_f64_e32 vcc_lo, v[23:24], v[23:24]
	v_ashrrev_i32_e32 v4, 31, v24
	v_or_b32_e32 v14, 0x80000000, v4
	v_xor_b32_e32 v4, v4, v23
	v_xor_b32_e32 v14, v14, v24
	v_cndmask_b32_e32 v24, -1, v14, vcc_lo
	v_cndmask_b32_e32 v23, -1, v4, vcc_lo
	v_and_b32_e32 v26, v24, v22
	v_and_b32_e32 v25, v23, v21
	v_lshrrev_b64 v[23:24], s76, v[23:24]
	v_cmp_eq_u64_e32 vcc_lo, v[25:26], v[16:17]
	v_and_b32_e32 v14, 3, v23
	v_cmp_eq_u64_e64 s11, 0, v[14:15]
	v_cmp_eq_u64_e64 s12, 1, v[14:15]
	;; [unrolled: 1-line block ×4, first 2 shown]
	s_and_b32 s11, vcc_lo, s11
	v_cndmask_b32_e64 v4, 0, 1, s11
	s_and_b32 s11, vcc_lo, s12
	v_cndmask_b32_e64 v14, 0, 1, s11
	;; [unrolled: 2-line block ×3, first 2 shown]
	s_and_b32 s11, vcc_lo, s14
	v_cmp_ne_u32_e32 vcc_lo, 0, v4
	v_cndmask_b32_e64 v24, 0, 1, s11
	v_cmp_ne_u32_e64 s11, 0, v14
	v_cmp_ne_u32_e64 s12, 0, v23
	s_bcnt1_i32_b32 s14, vcc_lo
	v_cmp_ne_u32_e64 s13, 0, v24
	s_bcnt1_i32_b32 s11, s11
	s_bcnt1_i32_b32 s12, s12
	v_add_nc_u32_e32 v7, s14, v7
	v_add_nc_u32_e32 v8, s11, v8
	s_bcnt1_i32_b32 s13, s13
	v_add_nc_u32_e32 v9, s12, v9
	v_add_nc_u32_e32 v10, s13, v10
	s_or_b32 s16, s10, s16
	s_andn2_b32 exec_lo, exec_lo, s16
	s_cbranch_execnz .LBB72_60
; %bb.61:                               ;   in Loop: Header=BB72_6 Depth=1
	s_or_b32 exec_lo, exec_lo, s16
.LBB72_62:                              ;   in Loop: Header=BB72_6 Depth=1
	s_or_b32 exec_lo, exec_lo, s15
	s_lshl_b32 s10, s72, 7
	s_and_saveexec_b32 s11, s0
	s_cbranch_execnz .LBB72_36
	s_branch .LBB72_37
.LBB72_63:                              ;   in Loop: Header=BB72_6 Depth=1
	v_mov_b32_e32 v1, 0
	s_mov_b32 s12, 0
	s_andn2_b32 vcc_lo, exec_lo, s63
	s_cbranch_vccnz .LBB72_66
.LBB72_64:                              ;   in Loop: Header=BB72_6 Depth=1
	s_lshl_b32 s13, s72, 9
	s_lshl_b32 s12, s12, 4
	v_add3_u32 v3, s13, s12, v39
	s_mov_b32 s12, s61
.LBB72_65:                              ;   Parent Loop BB72_6 Depth=1
                                        ; =>  This Inner Loop Header: Depth=2
	ds_read_b32 v4, v3
	v_add_nc_u32_e32 v3, 16, v3
	s_add_i32 s12, s12, -1
	s_cmp_lg_u32 s12, 0
	s_waitcnt lgkmcnt(0)
	v_add_nc_u32_e32 v1, v4, v1
	s_cbranch_scc1 .LBB72_65
.LBB72_66:                              ;   in Loop: Header=BB72_6 Depth=1
	v_add_lshl_u32 v3, s10, v28, 2
	ds_write_b32 v3, v1 offset:3072
.LBB72_67:                              ;   in Loop: Header=BB72_6 Depth=1
	s_or_b32 exec_lo, exec_lo, s11
	s_lshl_b32 s10, s10, 2
	s_waitcnt lgkmcnt(0)
	v_mov_b32_e32 v1, s10
	s_barrier
	buffer_gl0_inv
	v_cmp_eq_u32_e64 s10, 1, v40
	s_lshl_b64 s[12:13], 3, s76
	ds_read_b128 v[7:10], v1 offset:3072
	s_mov_b32 s24, -1
	s_not_b64 s[14:15], s[12:13]
	s_mov_b32 s16, 0
	s_andn2_b32 vcc_lo, exec_lo, s54
	s_mov_b32 s21, 0
	s_mov_b32 s11, 0
                                        ; implicit-def: $sgpr22
                                        ; implicit-def: $sgpr23
                                        ; implicit-def: $vgpr42
                                        ; implicit-def: $vgpr41
                                        ; implicit-def: $vgpr25_vgpr26
                                        ; implicit-def: $vgpr23_vgpr24
	s_waitcnt lgkmcnt(0)
	v_readfirstlane_b32 s17, v7
	v_readfirstlane_b32 s18, v8
	;; [unrolled: 1-line block ×4, first 2 shown]
                                        ; implicit-def: $vgpr9_vgpr10
	s_cbranch_vccnz .LBB72_236
; %bb.68:                               ;   in Loop: Header=BB72_6 Depth=1
	s_cmp_eq_u32 s17, 1
	v_mov_b32_e32 v26, v17
	v_mov_b32_e32 v24, v22
	;; [unrolled: 1-line block ×6, first 2 shown]
	s_cselect_b32 s11, -1, 0
	s_mov_b32 s27, -1
	s_and_b32 s26, s11, s10
                                        ; implicit-def: $sgpr23
                                        ; implicit-def: $sgpr22
	s_and_saveexec_b32 s11, s26
	s_cbranch_execz .LBB72_99
; %bb.69:                               ;   in Loop: Header=BB72_6 Depth=1
	ds_read_b32 v1, v15 offset:4096
	s_waitcnt lgkmcnt(0)
	s_barrier
	buffer_gl0_inv
	v_readfirstlane_b32 s24, v1
	s_and_saveexec_b32 s21, s6
; %bb.70:                               ;   in Loop: Header=BB72_6 Depth=1
	v_mov_b32_e32 v14, v15
	ds_write_b64 v32, v[14:15]
; %bb.71:                               ;   in Loop: Header=BB72_6 Depth=1
	s_or_b32 exec_lo, exec_lo, s21
	v_and_b32_e32 v26, s15, v17
	v_and_b32_e32 v25, s14, v16
	v_or_b32_e32 v24, s13, v22
	v_or_b32_e32 v23, s12, v21
	s_mov_b32 s22, -1
	s_mov_b32 s23, 0
	s_cmp_eq_u32 s24, 0
	s_mov_b32 s21, 0
	s_mov_b32 s25, -1
	s_waitcnt lgkmcnt(0)
	s_barrier
	buffer_gl0_inv
                                        ; implicit-def: $vgpr9_vgpr10
	s_cbranch_scc1 .LBB72_86
; %bb.72:                               ;   in Loop: Header=BB72_6 Depth=1
	s_add_i32 s21, s24, s60
                                        ; implicit-def: $vgpr9_vgpr10
	s_mul_hi_u32 s25, s21, s66
	s_mul_i32 s25, s25, s46
	s_sub_i32 s25, s21, s25
	s_sub_i32 s27, s25, s46
	s_cmp_ge_u32 s25, s46
	s_cselect_b32 s25, s27, s25
	s_sub_i32 s27, s25, s46
	s_cmp_ge_u32 s25, s46
	s_cselect_b32 s25, s27, s25
	s_mov_b32 s27, exec_lo
	s_sub_i32 s28, s21, s25
	s_mov_b32 s25, 0
	s_mov_b32 s21, 0
	v_cmpx_gt_u32_e64 s28, v0
	s_cbranch_execz .LBB72_85
; %bb.73:                               ;   in Loop: Header=BB72_6 Depth=1
	v_mov_b32_e32 v14, v30
	v_mov_b32_e32 v41, v0
                                        ; implicit-def: $sgpr29
	s_inst_prefetch 0x1
	s_branch .LBB72_77
	.p2align	6
.LBB72_74:                              ;   in Loop: Header=BB72_77 Depth=2
	s_or_b32 exec_lo, exec_lo, s83
	s_waitcnt lgkmcnt(0)
	s_barrier
	buffer_gl0_inv
	ds_read_b128 v[7:10], v15 offset:3072
	s_waitcnt lgkmcnt(0)
	s_barrier
	buffer_gl0_inv
	v_cmp_neq_f64_e32 vcc_lo, 0, v[7:8]
	s_cbranch_vccnz .LBB72_80
; %bb.75:                               ;   in Loop: Header=BB72_77 Depth=2
	v_add_nc_u32_e32 v41, s46, v41
	v_add_nc_u32_e32 v14, s70, v14
	s_mov_b32 s83, 0
	v_cmp_le_u32_e32 vcc_lo, s28, v41
	s_orn2_b32 s84, vcc_lo, exec_lo
.LBB72_76:                              ;   in Loop: Header=BB72_77 Depth=2
	s_and_b32 s84, exec_lo, s84
	s_or_b32 s21, s84, s21
	s_andn2_b32 s29, s29, exec_lo
	s_and_b32 s83, s83, exec_lo
	s_or_b32 s29, s29, s83
	s_andn2_b32 exec_lo, exec_lo, s21
	s_cbranch_execz .LBB72_84
.LBB72_77:                              ;   Parent Loop BB72_6 Depth=1
                                        ; =>  This Inner Loop Header: Depth=2
	s_mov_b32 s83, exec_lo
	v_cmpx_gt_u32_e64 s24, v41
	s_cbranch_execz .LBB72_74
; %bb.78:                               ;   in Loop: Header=BB72_77 Depth=2
	ds_read_b64 v[3:4], v14
	s_waitcnt lgkmcnt(0)
	v_cmp_o_f64_e32 vcc_lo, v[3:4], v[3:4]
	v_ashrrev_i32_e32 v1, 31, v4
	v_or_b32_e32 v7, 0x80000000, v1
	v_xor_b32_e32 v1, v1, v3
	v_xor_b32_e32 v7, v7, v4
	v_cndmask_b32_e32 v7, -1, v7, vcc_lo
	v_cndmask_b32_e32 v1, -1, v1, vcc_lo
	v_and_b32_e32 v8, v7, v24
	v_and_b32_e32 v7, v1, v23
	v_cmp_eq_u64_e32 vcc_lo, v[7:8], v[25:26]
	s_and_b32 exec_lo, exec_lo, vcc_lo
	s_cbranch_execz .LBB72_74
; %bb.79:                               ;   in Loop: Header=BB72_77 Depth=2
	v_mov_b32_e32 v1, v15
	ds_write_b128 v15, v[1:4] offset:3072
	s_branch .LBB72_74
.LBB72_80:                              ;   in Loop: Header=BB72_77 Depth=2
	s_mov_b32 s84, -1
	s_mov_b32 s83, -1
                                        ; implicit-def: $vgpr41
                                        ; implicit-def: $vgpr14
	s_branch .LBB72_76
.LBB72_81:                              ;   in Loop: Header=BB72_6 Depth=1
	s_or_b32 exec_lo, exec_lo, s13
	s_waitcnt lgkmcnt(0)
	s_barrier
	buffer_gl0_inv
	s_and_saveexec_b32 s10, s3
	s_cbranch_execz .LBB72_83
; %bb.82:                               ;   in Loop: Header=BB72_6 Depth=1
	ds_read_b32 v1, v15 offset:4104
	s_waitcnt lgkmcnt(0)
	ds_write_b32 v15, v1 offset:4096
.LBB72_83:                              ;   in Loop: Header=BB72_6 Depth=1
	s_or_b32 exec_lo, exec_lo, s10
	s_waitcnt lgkmcnt(0)
	s_mov_b32 s10, -1
	s_barrier
	s_and_b32 vcc_lo, exec_lo, s12
	s_cbranch_vccnz .LBB72_22
	s_branch .LBB72_31
.LBB72_84:                              ;   in Loop: Header=BB72_6 Depth=1
	s_inst_prefetch 0x2
	s_or_b32 exec_lo, exec_lo, s21
	s_and_b32 s21, s29, exec_lo
.LBB72_85:                              ;   in Loop: Header=BB72_6 Depth=1
	s_or_b32 exec_lo, exec_lo, s27
.LBB72_86:                              ;   in Loop: Header=BB72_6 Depth=1
	s_and_b32 vcc_lo, exec_lo, s25
	s_cbranch_vccz .LBB72_98
; %bb.87:                               ;   in Loop: Header=BB72_6 Depth=1
                                        ; implicit-def: $vgpr9_vgpr10
	s_and_saveexec_b32 s22, s9
	s_cbranch_execz .LBB72_97
; %bb.88:                               ;   in Loop: Header=BB72_6 Depth=1
	v_mov_b32_e32 v14, v13
	v_mov_b32_e32 v41, v0
	s_mov_b32 s24, 0
                                        ; implicit-def: $sgpr23
	s_branch .LBB72_92
.LBB72_89:                              ;   in Loop: Header=BB72_92 Depth=2
	s_or_b32 exec_lo, exec_lo, s25
	s_waitcnt lgkmcnt(0)
	s_barrier
	buffer_gl0_inv
	ds_read_b128 v[7:10], v15 offset:3072
	s_waitcnt lgkmcnt(0)
	s_barrier
	buffer_gl0_inv
	v_cmp_neq_f64_e32 vcc_lo, 0, v[7:8]
	s_cbranch_vccnz .LBB72_95
; %bb.90:                               ;   in Loop: Header=BB72_92 Depth=2
	v_add_nc_u32_e32 v41, s46, v41
	v_add_nc_u32_e32 v14, s48, v14
	s_mov_b32 s25, 0
	v_cmp_le_u32_e32 vcc_lo, s67, v41
	s_orn2_b32 s27, vcc_lo, exec_lo
.LBB72_91:                              ;   in Loop: Header=BB72_92 Depth=2
	s_and_b32 s27, exec_lo, s27
	s_or_b32 s24, s27, s24
	s_andn2_b32 s23, s23, exec_lo
	s_and_b32 s25, s25, exec_lo
	s_or_b32 s23, s23, s25
	s_andn2_b32 exec_lo, exec_lo, s24
	s_cbranch_execz .LBB72_96
.LBB72_92:                              ;   Parent Loop BB72_6 Depth=1
                                        ; =>  This Inner Loop Header: Depth=2
	s_mov_b32 s25, exec_lo
	v_cmpx_gt_u32_e64 s36, v41
	s_cbranch_execz .LBB72_89
; %bb.93:                               ;   in Loop: Header=BB72_92 Depth=2
	v_lshlrev_b64 v[3:4], 3, v[14:15]
	v_add_co_u32 v3, vcc_lo, s31, v3
	v_add_co_ci_u32_e64 v4, null, s33, v4, vcc_lo
	global_load_dwordx2 v[3:4], v[3:4], off
	s_waitcnt vmcnt(0)
	v_cmp_o_f64_e32 vcc_lo, v[3:4], v[3:4]
	v_ashrrev_i32_e32 v1, 31, v4
	v_or_b32_e32 v7, 0x80000000, v1
	v_xor_b32_e32 v1, v1, v3
	v_xor_b32_e32 v7, v7, v4
	v_cndmask_b32_e32 v7, -1, v7, vcc_lo
	v_cndmask_b32_e32 v1, -1, v1, vcc_lo
	v_and_b32_e32 v8, v7, v24
	v_and_b32_e32 v7, v1, v23
	v_cmp_eq_u64_e32 vcc_lo, v[7:8], v[25:26]
	s_and_b32 exec_lo, exec_lo, vcc_lo
	s_cbranch_execz .LBB72_89
; %bb.94:                               ;   in Loop: Header=BB72_92 Depth=2
	v_mov_b32_e32 v1, v15
	ds_write_b128 v15, v[1:4] offset:3072
	s_branch .LBB72_89
.LBB72_95:                              ;   in Loop: Header=BB72_92 Depth=2
	s_mov_b32 s27, -1
	s_mov_b32 s25, -1
                                        ; implicit-def: $vgpr41
	s_branch .LBB72_91
.LBB72_96:                              ;   in Loop: Header=BB72_6 Depth=1
	s_or_b32 exec_lo, exec_lo, s24
	s_andn2_b32 s21, s21, exec_lo
	s_and_b32 s23, s23, exec_lo
	s_or_b32 s21, s21, s23
.LBB72_97:                              ;   in Loop: Header=BB72_6 Depth=1
	s_or_b32 exec_lo, exec_lo, s22
	s_mov_b32 s22, 0
	s_mov_b32 s23, -1
.LBB72_98:                              ;   in Loop: Header=BB72_6 Depth=1
	s_orn2_b32 s27, s21, exec_lo
.LBB72_99:                              ;   in Loop: Header=BB72_6 Depth=1
	s_or_b32 exec_lo, exec_lo, s11
	s_mov_b32 s24, 0
	s_mov_b32 s21, 0
	;; [unrolled: 1-line block ×3, first 2 shown]
                                        ; implicit-def: $vgpr42
                                        ; implicit-def: $vgpr41
	s_and_saveexec_b32 s25, s27
	s_cbranch_execz .LBB72_235
; %bb.100:                              ;   in Loop: Header=BB72_6 Depth=1
	v_mov_b32_e32 v42, 1
	v_mov_b32_e32 v41, 1
	s_xor_b32 s21, s26, -1
	s_mov_b32 s28, 0
	s_and_saveexec_b32 s11, s21
	s_cbranch_execz .LBB72_109
; %bb.101:                              ;   in Loop: Header=BB72_6 Depth=1
	s_mov_b32 s21, exec_lo
	v_cmpx_ge_u32_e64 s17, v40
	s_xor_b32 s21, exec_lo, s21
	s_cbranch_execz .LBB72_106
; %bb.102:                              ;   in Loop: Header=BB72_6 Depth=1
	ds_read_b32 v1, v15 offset:4096
	v_and_b32_e32 v26, s15, v26
	v_and_b32_e32 v25, s14, v25
	v_or_b32_e32 v24, s13, v24
	v_or_b32_e32 v23, s12, v23
	s_waitcnt lgkmcnt(0)
	v_cmp_ne_u32_e32 vcc_lo, 0, v1
	s_cbranch_vccnz .LBB72_106
; %bb.103:                              ;   in Loop: Header=BB72_6 Depth=1
	s_and_saveexec_b32 s26, s3
; %bb.104:                              ;   in Loop: Header=BB72_6 Depth=1
	v_mov_b32_e32 v1, s17
	ds_write_b32 v15, v1 offset:4100
; %bb.105:                              ;   in Loop: Header=BB72_6 Depth=1
	s_or_b32 exec_lo, exec_lo, s26
	s_waitcnt lgkmcnt(0)
	s_barrier
	buffer_gl0_inv
.LBB72_106:                             ;   in Loop: Header=BB72_6 Depth=1
	s_or_saveexec_b32 s21, s21
	v_mov_b32_e32 v41, 8
	v_mov_b32_e32 v42, v40
	s_mov_b32 s26, 0
	s_xor_b32 exec_lo, exec_lo, s21
; %bb.107:                              ;   in Loop: Header=BB72_6 Depth=1
	v_subrev_nc_u32_e32 v42, s17, v40
	v_mov_b32_e32 v41, 0
	s_mov_b32 s26, exec_lo
; %bb.108:                              ;   in Loop: Header=BB72_6 Depth=1
	s_or_b32 exec_lo, exec_lo, s21
	s_and_b32 s28, s26, exec_lo
.LBB72_109:                             ;   in Loop: Header=BB72_6 Depth=1
	s_or_b32 exec_lo, exec_lo, s11
	s_mov_b32 s27, -1
                                        ; implicit-def: $sgpr21
                                        ; implicit-def: $sgpr26
	s_and_saveexec_b32 s11, s28
	s_xor_b32 s11, exec_lo, s11
	s_cbranch_execz .LBB72_232
; %bb.110:                              ;   in Loop: Header=BB72_6 Depth=1
	v_cmp_eq_u32_e32 vcc_lo, 1, v42
	s_cmp_eq_u32 s18, 1
	s_mov_b32 s29, -1
	s_cselect_b32 s21, -1, 0
                                        ; implicit-def: $sgpr26
	s_and_b32 s28, s21, vcc_lo
                                        ; implicit-def: $sgpr21
	s_and_saveexec_b32 s27, s28
	s_cbranch_execz .LBB72_138
; %bb.111:                              ;   in Loop: Header=BB72_6 Depth=1
	ds_read_b32 v1, v15 offset:4096
	s_waitcnt lgkmcnt(0)
	s_barrier
	buffer_gl0_inv
	v_readfirstlane_b32 s83, v1
	s_and_saveexec_b32 s21, s6
; %bb.112:                              ;   in Loop: Header=BB72_6 Depth=1
	v_mov_b32_e32 v14, v15
	ds_write_b64 v32, v[14:15]
; %bb.113:                              ;   in Loop: Header=BB72_6 Depth=1
	s_or_b32 exec_lo, exec_lo, s21
	v_and_b32_e32 v1, s15, v26
	v_and_b32_e32 v3, s14, v25
	s_lshl_b64 s[84:85], 1, s76
	v_or_b32_e32 v24, s13, v24
	v_or_b32_e32 v23, s12, v23
	;; [unrolled: 1-line block ×4, first 2 shown]
	s_mov_b32 s21, -1
	s_mov_b32 s26, 0
	s_cmp_eq_u32 s83, 0
	s_mov_b32 s29, 0
	s_mov_b32 s84, -1
	s_waitcnt lgkmcnt(0)
	s_barrier
	buffer_gl0_inv
                                        ; implicit-def: $vgpr9_vgpr10
	s_cbranch_scc1 .LBB72_125
; %bb.114:                              ;   in Loop: Header=BB72_6 Depth=1
	s_add_i32 s29, s83, s60
                                        ; implicit-def: $vgpr9_vgpr10
	s_mul_hi_u32 s84, s29, s66
	s_mul_i32 s84, s84, s46
	s_sub_i32 s84, s29, s84
	s_sub_i32 s85, s84, s46
	s_cmp_ge_u32 s84, s46
	s_cselect_b32 s84, s85, s84
	s_sub_i32 s85, s84, s46
	s_cmp_ge_u32 s84, s46
	s_cselect_b32 s84, s85, s84
	s_mov_b32 s85, exec_lo
	s_sub_i32 s86, s29, s84
	s_mov_b32 s84, 0
	s_mov_b32 s29, 0
	v_cmpx_gt_u32_e64 s86, v0
	s_cbranch_execz .LBB72_124
; %bb.115:                              ;   in Loop: Header=BB72_6 Depth=1
	v_mov_b32_e32 v14, v30
	v_mov_b32_e32 v43, v0
                                        ; implicit-def: $sgpr87
	s_inst_prefetch 0x1
	s_branch .LBB72_119
	.p2align	6
.LBB72_116:                             ;   in Loop: Header=BB72_119 Depth=2
	s_or_b32 exec_lo, exec_lo, s88
	s_waitcnt lgkmcnt(0)
	s_barrier
	buffer_gl0_inv
	ds_read_b128 v[7:10], v15 offset:3072
	s_waitcnt lgkmcnt(0)
	s_barrier
	buffer_gl0_inv
	v_cmp_neq_f64_e32 vcc_lo, 0, v[7:8]
	s_cbranch_vccnz .LBB72_122
; %bb.117:                              ;   in Loop: Header=BB72_119 Depth=2
	v_add_nc_u32_e32 v43, s46, v43
	v_add_nc_u32_e32 v14, s70, v14
	s_mov_b32 s88, 0
	v_cmp_le_u32_e32 vcc_lo, s86, v43
	s_orn2_b32 s89, vcc_lo, exec_lo
.LBB72_118:                             ;   in Loop: Header=BB72_119 Depth=2
	s_and_b32 s89, exec_lo, s89
	s_or_b32 s29, s89, s29
	s_andn2_b32 s87, s87, exec_lo
	s_and_b32 s88, s88, exec_lo
	s_or_b32 s87, s87, s88
	s_andn2_b32 exec_lo, exec_lo, s29
	s_cbranch_execz .LBB72_123
.LBB72_119:                             ;   Parent Loop BB72_6 Depth=1
                                        ; =>  This Inner Loop Header: Depth=2
	s_mov_b32 s88, exec_lo
	v_cmpx_gt_u32_e64 s83, v43
	s_cbranch_execz .LBB72_116
; %bb.120:                              ;   in Loop: Header=BB72_119 Depth=2
	ds_read_b64 v[3:4], v14
	s_waitcnt lgkmcnt(0)
	v_cmp_o_f64_e32 vcc_lo, v[3:4], v[3:4]
	v_ashrrev_i32_e32 v1, 31, v4
	v_or_b32_e32 v7, 0x80000000, v1
	v_xor_b32_e32 v1, v1, v3
	v_xor_b32_e32 v7, v7, v4
	v_cndmask_b32_e32 v7, -1, v7, vcc_lo
	v_cndmask_b32_e32 v1, -1, v1, vcc_lo
	v_and_b32_e32 v8, v7, v24
	v_and_b32_e32 v7, v1, v23
	v_cmp_eq_u64_e32 vcc_lo, v[7:8], v[25:26]
	s_and_b32 exec_lo, exec_lo, vcc_lo
	s_cbranch_execz .LBB72_116
; %bb.121:                              ;   in Loop: Header=BB72_119 Depth=2
	v_mov_b32_e32 v1, v15
	ds_write_b128 v15, v[1:4] offset:3072
	s_branch .LBB72_116
.LBB72_122:                             ;   in Loop: Header=BB72_119 Depth=2
	s_mov_b32 s89, -1
	s_mov_b32 s88, -1
                                        ; implicit-def: $vgpr43
                                        ; implicit-def: $vgpr14
	s_branch .LBB72_118
.LBB72_123:                             ;   in Loop: Header=BB72_6 Depth=1
	s_inst_prefetch 0x2
	s_or_b32 exec_lo, exec_lo, s29
	s_and_b32 s29, s87, exec_lo
.LBB72_124:                             ;   in Loop: Header=BB72_6 Depth=1
	s_or_b32 exec_lo, exec_lo, s85
.LBB72_125:                             ;   in Loop: Header=BB72_6 Depth=1
	s_and_b32 vcc_lo, exec_lo, s84
	s_cbranch_vccz .LBB72_137
; %bb.126:                              ;   in Loop: Header=BB72_6 Depth=1
                                        ; implicit-def: $vgpr9_vgpr10
	s_and_saveexec_b32 s21, s9
	s_cbranch_execz .LBB72_136
; %bb.127:                              ;   in Loop: Header=BB72_6 Depth=1
	v_mov_b32_e32 v14, v13
	v_mov_b32_e32 v43, v0
	s_mov_b32 s26, 0
                                        ; implicit-def: $sgpr83
	s_branch .LBB72_131
.LBB72_128:                             ;   in Loop: Header=BB72_131 Depth=2
	s_or_b32 exec_lo, exec_lo, s84
	s_waitcnt lgkmcnt(0)
	s_barrier
	buffer_gl0_inv
	ds_read_b128 v[7:10], v15 offset:3072
	s_waitcnt lgkmcnt(0)
	s_barrier
	buffer_gl0_inv
	v_cmp_eq_f64_e32 vcc_lo, 0, v[7:8]
	s_cbranch_vccz .LBB72_134
; %bb.129:                              ;   in Loop: Header=BB72_131 Depth=2
	v_add_nc_u32_e32 v43, s46, v43
	v_add_nc_u32_e32 v14, s48, v14
	s_mov_b32 s84, 0
	v_cmp_le_u32_e32 vcc_lo, s67, v43
	s_orn2_b32 s85, vcc_lo, exec_lo
.LBB72_130:                             ;   in Loop: Header=BB72_131 Depth=2
	s_and_b32 s85, exec_lo, s85
	s_or_b32 s26, s85, s26
	s_andn2_b32 s83, s83, exec_lo
	s_and_b32 s84, s84, exec_lo
	s_or_b32 s83, s83, s84
	s_andn2_b32 exec_lo, exec_lo, s26
	s_cbranch_execz .LBB72_135
.LBB72_131:                             ;   Parent Loop BB72_6 Depth=1
                                        ; =>  This Inner Loop Header: Depth=2
	s_mov_b32 s84, exec_lo
	v_cmpx_gt_u32_e64 s36, v43
	s_cbranch_execz .LBB72_128
; %bb.132:                              ;   in Loop: Header=BB72_131 Depth=2
	v_lshlrev_b64 v[3:4], 3, v[14:15]
	v_add_co_u32 v3, vcc_lo, s31, v3
	v_add_co_ci_u32_e64 v4, null, s33, v4, vcc_lo
	global_load_dwordx2 v[3:4], v[3:4], off
	s_waitcnt vmcnt(0)
	v_cmp_o_f64_e32 vcc_lo, v[3:4], v[3:4]
	v_ashrrev_i32_e32 v1, 31, v4
	v_or_b32_e32 v7, 0x80000000, v1
	v_xor_b32_e32 v1, v1, v3
	v_xor_b32_e32 v7, v7, v4
	v_cndmask_b32_e32 v7, -1, v7, vcc_lo
	v_cndmask_b32_e32 v1, -1, v1, vcc_lo
	v_and_b32_e32 v8, v7, v24
	v_and_b32_e32 v7, v1, v23
	v_cmp_eq_u64_e32 vcc_lo, v[7:8], v[25:26]
	s_and_b32 exec_lo, exec_lo, vcc_lo
	s_cbranch_execz .LBB72_128
; %bb.133:                              ;   in Loop: Header=BB72_131 Depth=2
	v_mov_b32_e32 v1, v15
	ds_write_b128 v15, v[1:4] offset:3072
	s_branch .LBB72_128
.LBB72_134:                             ;   in Loop: Header=BB72_131 Depth=2
	s_mov_b32 s85, -1
	s_mov_b32 s84, -1
                                        ; implicit-def: $vgpr43
	s_branch .LBB72_130
.LBB72_135:                             ;   in Loop: Header=BB72_6 Depth=1
	s_or_b32 exec_lo, exec_lo, s26
	s_andn2_b32 s26, s29, exec_lo
	s_and_b32 s29, s83, exec_lo
	s_or_b32 s29, s26, s29
.LBB72_136:                             ;   in Loop: Header=BB72_6 Depth=1
	s_or_b32 exec_lo, exec_lo, s21
	s_mov_b32 s21, 0
	s_mov_b32 s26, -1
.LBB72_137:                             ;   in Loop: Header=BB72_6 Depth=1
	s_orn2_b32 s29, s29, exec_lo
.LBB72_138:                             ;   in Loop: Header=BB72_6 Depth=1
	s_or_b32 exec_lo, exec_lo, s27
	s_mov_b32 s83, 0
	s_and_saveexec_b32 s27, s29
	s_cbranch_execz .LBB72_231
; %bb.139:                              ;   in Loop: Header=BB72_6 Depth=1
	v_mov_b32_e32 v43, 1
	v_mov_b32_e32 v41, 1
	s_xor_b32 s29, s28, -1
	s_mov_b32 s85, 0
	s_and_saveexec_b32 s28, s29
	s_cbranch_execz .LBB72_148
; %bb.140:                              ;   in Loop: Header=BB72_6 Depth=1
	s_mov_b32 s29, exec_lo
	v_cmpx_ge_u32_e64 s18, v42
	s_xor_b32 s29, exec_lo, s29
	s_cbranch_execz .LBB72_145
; %bb.141:                              ;   in Loop: Header=BB72_6 Depth=1
	ds_read_b32 v1, v15 offset:4096
	v_and_b32_e32 v3, s15, v26
	v_and_b32_e32 v4, s14, v25
	s_lshl_b64 s[84:85], 1, s76
	v_or_b32_e32 v24, s13, v24
	v_or_b32_e32 v23, s12, v23
	;; [unrolled: 1-line block ×4, first 2 shown]
	s_waitcnt lgkmcnt(0)
	v_cmp_ne_u32_e32 vcc_lo, 0, v1
	s_cbranch_vccnz .LBB72_145
; %bb.142:                              ;   in Loop: Header=BB72_6 Depth=1
	s_and_saveexec_b32 s83, s3
; %bb.143:                              ;   in Loop: Header=BB72_6 Depth=1
	v_mov_b32_e32 v1, s18
	ds_write_b32 v15, v1 offset:4100
; %bb.144:                              ;   in Loop: Header=BB72_6 Depth=1
	s_or_b32 exec_lo, exec_lo, s83
	s_waitcnt lgkmcnt(0)
	s_barrier
	buffer_gl0_inv
.LBB72_145:                             ;   in Loop: Header=BB72_6 Depth=1
	s_or_saveexec_b32 s29, s29
	v_mov_b32_e32 v41, 8
	s_mov_b32 s83, 0
	s_xor_b32 exec_lo, exec_lo, s29
; %bb.146:                              ;   in Loop: Header=BB72_6 Depth=1
	v_subrev_nc_u32_e32 v42, s18, v42
	v_mov_b32_e32 v41, 0
	s_mov_b32 s83, exec_lo
; %bb.147:                              ;   in Loop: Header=BB72_6 Depth=1
	s_or_b32 exec_lo, exec_lo, s29
	v_mov_b32_e32 v43, v42
	s_and_b32 s85, s83, exec_lo
.LBB72_148:                             ;   in Loop: Header=BB72_6 Depth=1
	s_or_b32 exec_lo, exec_lo, s28
	s_mov_b32 s84, -1
                                        ; implicit-def: $sgpr29
                                        ; implicit-def: $sgpr83
	s_and_saveexec_b32 s28, s85
	s_cbranch_execz .LBB72_230
; %bb.149:                              ;   in Loop: Header=BB72_6 Depth=1
	v_cmp_eq_u32_e32 vcc_lo, 1, v43
	s_cmp_eq_u32 s19, 1
	s_mov_b32 s86, -1
	s_cselect_b32 s29, -1, 0
                                        ; implicit-def: $sgpr83
	s_and_b32 s85, s29, vcc_lo
                                        ; implicit-def: $sgpr29
	s_and_saveexec_b32 s84, s85
	s_cbranch_execz .LBB72_177
; %bb.150:                              ;   in Loop: Header=BB72_6 Depth=1
	ds_read_b32 v1, v15 offset:4096
	s_waitcnt lgkmcnt(0)
	s_barrier
	buffer_gl0_inv
	v_readfirstlane_b32 s87, v1
	s_and_saveexec_b32 s29, s6
; %bb.151:                              ;   in Loop: Header=BB72_6 Depth=1
	v_mov_b32_e32 v14, v15
	ds_write_b64 v32, v[14:15]
; %bb.152:                              ;   in Loop: Header=BB72_6 Depth=1
	s_or_b32 exec_lo, exec_lo, s29
	v_and_b32_e32 v1, s15, v26
	v_and_b32_e32 v3, s14, v25
	s_lshl_b64 s[88:89], 2, s76
	v_or_b32_e32 v24, s13, v24
	v_or_b32_e32 v23, s12, v23
	;; [unrolled: 1-line block ×4, first 2 shown]
	s_mov_b32 s29, -1
	s_mov_b32 s83, 0
	s_cmp_eq_u32 s87, 0
	s_mov_b32 s86, 0
	s_mov_b32 s88, -1
	s_waitcnt lgkmcnt(0)
	s_barrier
	buffer_gl0_inv
                                        ; implicit-def: $vgpr9_vgpr10
	s_cbranch_scc1 .LBB72_164
; %bb.153:                              ;   in Loop: Header=BB72_6 Depth=1
	s_add_i32 s86, s87, s60
                                        ; implicit-def: $vgpr9_vgpr10
	s_mul_hi_u32 s88, s86, s66
	s_mul_i32 s88, s88, s46
	s_sub_i32 s88, s86, s88
	s_sub_i32 s89, s88, s46
	s_cmp_ge_u32 s88, s46
	s_cselect_b32 s88, s89, s88
	s_sub_i32 s89, s88, s46
	s_cmp_ge_u32 s88, s46
	s_cselect_b32 s88, s89, s88
	s_mov_b32 s89, exec_lo
	s_sub_i32 s90, s86, s88
	s_mov_b32 s88, 0
	s_mov_b32 s86, 0
	v_cmpx_gt_u32_e64 s90, v0
	s_cbranch_execz .LBB72_163
; %bb.154:                              ;   in Loop: Header=BB72_6 Depth=1
	v_mov_b32_e32 v14, v30
	v_mov_b32_e32 v42, v0
                                        ; implicit-def: $sgpr91
	s_inst_prefetch 0x1
	s_branch .LBB72_158
	.p2align	6
.LBB72_155:                             ;   in Loop: Header=BB72_158 Depth=2
	s_or_b32 exec_lo, exec_lo, s92
	s_waitcnt lgkmcnt(0)
	s_barrier
	buffer_gl0_inv
	ds_read_b128 v[7:10], v15 offset:3072
	s_waitcnt lgkmcnt(0)
	s_barrier
	buffer_gl0_inv
	v_cmp_neq_f64_e32 vcc_lo, 0, v[7:8]
	s_cbranch_vccnz .LBB72_161
; %bb.156:                              ;   in Loop: Header=BB72_158 Depth=2
	v_add_nc_u32_e32 v42, s46, v42
	v_add_nc_u32_e32 v14, s70, v14
	s_mov_b32 s92, 0
	v_cmp_le_u32_e32 vcc_lo, s90, v42
	s_orn2_b32 s93, vcc_lo, exec_lo
.LBB72_157:                             ;   in Loop: Header=BB72_158 Depth=2
	s_and_b32 s93, exec_lo, s93
	s_or_b32 s86, s93, s86
	s_andn2_b32 s91, s91, exec_lo
	s_and_b32 s92, s92, exec_lo
	s_or_b32 s91, s91, s92
	s_andn2_b32 exec_lo, exec_lo, s86
	s_cbranch_execz .LBB72_162
.LBB72_158:                             ;   Parent Loop BB72_6 Depth=1
                                        ; =>  This Inner Loop Header: Depth=2
	s_mov_b32 s92, exec_lo
	v_cmpx_gt_u32_e64 s87, v42
	s_cbranch_execz .LBB72_155
; %bb.159:                              ;   in Loop: Header=BB72_158 Depth=2
	ds_read_b64 v[3:4], v14
	s_waitcnt lgkmcnt(0)
	v_cmp_o_f64_e32 vcc_lo, v[3:4], v[3:4]
	v_ashrrev_i32_e32 v1, 31, v4
	v_or_b32_e32 v7, 0x80000000, v1
	v_xor_b32_e32 v1, v1, v3
	v_xor_b32_e32 v7, v7, v4
	v_cndmask_b32_e32 v7, -1, v7, vcc_lo
	v_cndmask_b32_e32 v1, -1, v1, vcc_lo
	v_and_b32_e32 v8, v7, v24
	v_and_b32_e32 v7, v1, v23
	v_cmp_eq_u64_e32 vcc_lo, v[7:8], v[25:26]
	s_and_b32 exec_lo, exec_lo, vcc_lo
	s_cbranch_execz .LBB72_155
; %bb.160:                              ;   in Loop: Header=BB72_158 Depth=2
	v_mov_b32_e32 v1, v15
	ds_write_b128 v15, v[1:4] offset:3072
	s_branch .LBB72_155
.LBB72_161:                             ;   in Loop: Header=BB72_158 Depth=2
	s_mov_b32 s93, -1
	s_mov_b32 s92, -1
                                        ; implicit-def: $vgpr42
                                        ; implicit-def: $vgpr14
	s_branch .LBB72_157
.LBB72_162:                             ;   in Loop: Header=BB72_6 Depth=1
	s_inst_prefetch 0x2
	s_or_b32 exec_lo, exec_lo, s86
	s_and_b32 s86, s91, exec_lo
.LBB72_163:                             ;   in Loop: Header=BB72_6 Depth=1
	s_or_b32 exec_lo, exec_lo, s89
.LBB72_164:                             ;   in Loop: Header=BB72_6 Depth=1
	s_and_b32 vcc_lo, exec_lo, s88
	s_cbranch_vccz .LBB72_176
; %bb.165:                              ;   in Loop: Header=BB72_6 Depth=1
                                        ; implicit-def: $vgpr9_vgpr10
	s_and_saveexec_b32 s29, s9
	s_cbranch_execz .LBB72_175
; %bb.166:                              ;   in Loop: Header=BB72_6 Depth=1
	v_mov_b32_e32 v14, v13
	v_mov_b32_e32 v42, v0
	s_mov_b32 s83, 0
                                        ; implicit-def: $sgpr87
	s_branch .LBB72_170
.LBB72_167:                             ;   in Loop: Header=BB72_170 Depth=2
	s_or_b32 exec_lo, exec_lo, s88
	s_waitcnt lgkmcnt(0)
	s_barrier
	buffer_gl0_inv
	ds_read_b128 v[7:10], v15 offset:3072
	s_waitcnt lgkmcnt(0)
	s_barrier
	buffer_gl0_inv
	v_cmp_eq_f64_e32 vcc_lo, 0, v[7:8]
	s_cbranch_vccz .LBB72_173
; %bb.168:                              ;   in Loop: Header=BB72_170 Depth=2
	v_add_nc_u32_e32 v42, s46, v42
	v_add_nc_u32_e32 v14, s48, v14
	s_mov_b32 s88, 0
	v_cmp_le_u32_e32 vcc_lo, s67, v42
	s_orn2_b32 s89, vcc_lo, exec_lo
.LBB72_169:                             ;   in Loop: Header=BB72_170 Depth=2
	s_and_b32 s89, exec_lo, s89
	s_or_b32 s83, s89, s83
	s_andn2_b32 s87, s87, exec_lo
	s_and_b32 s88, s88, exec_lo
	s_or_b32 s87, s87, s88
	s_andn2_b32 exec_lo, exec_lo, s83
	s_cbranch_execz .LBB72_174
.LBB72_170:                             ;   Parent Loop BB72_6 Depth=1
                                        ; =>  This Inner Loop Header: Depth=2
	s_mov_b32 s88, exec_lo
	v_cmpx_gt_u32_e64 s36, v42
	s_cbranch_execz .LBB72_167
; %bb.171:                              ;   in Loop: Header=BB72_170 Depth=2
	v_lshlrev_b64 v[3:4], 3, v[14:15]
	v_add_co_u32 v3, vcc_lo, s31, v3
	v_add_co_ci_u32_e64 v4, null, s33, v4, vcc_lo
	global_load_dwordx2 v[3:4], v[3:4], off
	s_waitcnt vmcnt(0)
	v_cmp_o_f64_e32 vcc_lo, v[3:4], v[3:4]
	v_ashrrev_i32_e32 v1, 31, v4
	v_or_b32_e32 v7, 0x80000000, v1
	v_xor_b32_e32 v1, v1, v3
	v_xor_b32_e32 v7, v7, v4
	v_cndmask_b32_e32 v7, -1, v7, vcc_lo
	v_cndmask_b32_e32 v1, -1, v1, vcc_lo
	v_and_b32_e32 v8, v7, v24
	v_and_b32_e32 v7, v1, v23
	v_cmp_eq_u64_e32 vcc_lo, v[7:8], v[25:26]
	s_and_b32 exec_lo, exec_lo, vcc_lo
	s_cbranch_execz .LBB72_167
; %bb.172:                              ;   in Loop: Header=BB72_170 Depth=2
	v_mov_b32_e32 v1, v15
	ds_write_b128 v15, v[1:4] offset:3072
	s_branch .LBB72_167
.LBB72_173:                             ;   in Loop: Header=BB72_170 Depth=2
	s_mov_b32 s89, -1
	s_mov_b32 s88, -1
                                        ; implicit-def: $vgpr42
	s_branch .LBB72_169
.LBB72_174:                             ;   in Loop: Header=BB72_6 Depth=1
	s_or_b32 exec_lo, exec_lo, s83
	s_andn2_b32 s83, s86, exec_lo
	s_and_b32 s86, s87, exec_lo
	s_or_b32 s86, s83, s86
.LBB72_175:                             ;   in Loop: Header=BB72_6 Depth=1
	s_or_b32 exec_lo, exec_lo, s29
	s_mov_b32 s29, 0
	s_mov_b32 s83, -1
.LBB72_176:                             ;   in Loop: Header=BB72_6 Depth=1
	s_orn2_b32 s86, s86, exec_lo
.LBB72_177:                             ;   in Loop: Header=BB72_6 Depth=1
	s_or_b32 exec_lo, exec_lo, s84
	s_mov_b32 s87, 0
	s_and_saveexec_b32 s84, s86
	s_cbranch_execz .LBB72_229
; %bb.178:                              ;   in Loop: Header=BB72_6 Depth=1
	v_mov_b32_e32 v42, 1
	v_mov_b32_e32 v41, 1
	s_xor_b32 s86, s85, -1
	s_mov_b32 s89, 0
	s_and_saveexec_b32 s85, s86
	s_cbranch_execz .LBB72_187
; %bb.179:                              ;   in Loop: Header=BB72_6 Depth=1
	s_mov_b32 s86, exec_lo
	v_cmpx_ge_u32_e64 s19, v43
	s_xor_b32 s86, exec_lo, s86
	s_cbranch_execz .LBB72_184
; %bb.180:                              ;   in Loop: Header=BB72_6 Depth=1
	ds_read_b32 v1, v15 offset:4096
	v_and_b32_e32 v3, s15, v26
	v_and_b32_e32 v4, s14, v25
	s_lshl_b64 s[88:89], 2, s76
	v_or_b32_e32 v24, s13, v24
	v_or_b32_e32 v23, s12, v23
	v_or_b32_e32 v26, s89, v3
	v_or_b32_e32 v25, s88, v4
	s_waitcnt lgkmcnt(0)
	v_cmp_ne_u32_e32 vcc_lo, 0, v1
	s_cbranch_vccnz .LBB72_184
; %bb.181:                              ;   in Loop: Header=BB72_6 Depth=1
	s_and_saveexec_b32 s87, s3
; %bb.182:                              ;   in Loop: Header=BB72_6 Depth=1
	v_mov_b32_e32 v1, s19
	ds_write_b32 v15, v1 offset:4100
; %bb.183:                              ;   in Loop: Header=BB72_6 Depth=1
	s_or_b32 exec_lo, exec_lo, s87
	s_waitcnt lgkmcnt(0)
	s_barrier
	buffer_gl0_inv
.LBB72_184:                             ;   in Loop: Header=BB72_6 Depth=1
	s_or_saveexec_b32 s86, s86
	v_mov_b32_e32 v41, 8
	s_mov_b32 s87, 0
	s_xor_b32 exec_lo, exec_lo, s86
; %bb.185:                              ;   in Loop: Header=BB72_6 Depth=1
	v_subrev_nc_u32_e32 v43, s19, v43
	v_mov_b32_e32 v41, 0
	s_mov_b32 s87, exec_lo
; %bb.186:                              ;   in Loop: Header=BB72_6 Depth=1
	s_or_b32 exec_lo, exec_lo, s86
	v_mov_b32_e32 v42, v43
	s_and_b32 s89, s87, exec_lo
.LBB72_187:                             ;   in Loop: Header=BB72_6 Depth=1
	s_or_b32 exec_lo, exec_lo, s85
	s_mov_b32 s86, -1
                                        ; implicit-def: $sgpr88
                                        ; implicit-def: $sgpr87
	s_and_saveexec_b32 s85, s89
	s_cbranch_execz .LBB72_228
; %bb.188:                              ;   in Loop: Header=BB72_6 Depth=1
	v_cmp_eq_u32_e32 vcc_lo, 1, v42
	s_cmp_eq_u32 s20, 1
	s_mov_b32 s90, -1
	s_cselect_b32 s86, -1, 0
                                        ; implicit-def: $sgpr88
                                        ; implicit-def: $sgpr87
	s_and_b32 s86, s86, vcc_lo
	s_and_saveexec_b32 s89, s86
	s_cbranch_execz .LBB72_216
; %bb.189:                              ;   in Loop: Header=BB72_6 Depth=1
	ds_read_b32 v1, v15 offset:4096
	s_waitcnt lgkmcnt(0)
	s_barrier
	buffer_gl0_inv
	v_readfirstlane_b32 s91, v1
	s_and_saveexec_b32 s87, s6
; %bb.190:                              ;   in Loop: Header=BB72_6 Depth=1
	v_mov_b32_e32 v14, v15
	ds_write_b64 v32, v[14:15]
; %bb.191:                              ;   in Loop: Header=BB72_6 Depth=1
	s_or_b32 exec_lo, exec_lo, s87
	v_or_b32_e32 v26, s13, v26
	v_or_b32_e32 v25, s12, v25
	;; [unrolled: 1-line block ×4, first 2 shown]
	s_mov_b32 s87, -1
	s_mov_b32 s88, 0
	s_cmp_eq_u32 s91, 0
	s_mov_b32 s90, 0
	s_mov_b32 s92, -1
	s_waitcnt lgkmcnt(0)
	s_barrier
	buffer_gl0_inv
                                        ; implicit-def: $vgpr9_vgpr10
	s_cbranch_scc1 .LBB72_203
; %bb.192:                              ;   in Loop: Header=BB72_6 Depth=1
	s_add_i32 s90, s91, s60
                                        ; implicit-def: $vgpr9_vgpr10
	s_mul_hi_u32 s92, s90, s66
	s_mul_i32 s92, s92, s46
	s_sub_i32 s92, s90, s92
	s_sub_i32 s93, s92, s46
	s_cmp_ge_u32 s92, s46
	s_cselect_b32 s92, s93, s92
	s_sub_i32 s93, s92, s46
	s_cmp_ge_u32 s92, s46
	s_cselect_b32 s92, s93, s92
	s_mov_b32 s93, exec_lo
	s_sub_i32 s94, s90, s92
	s_mov_b32 s92, 0
	s_mov_b32 s90, 0
	v_cmpx_gt_u32_e64 s94, v0
	s_cbranch_execz .LBB72_202
; %bb.193:                              ;   in Loop: Header=BB72_6 Depth=1
	v_mov_b32_e32 v14, v30
	v_mov_b32_e32 v43, v0
                                        ; implicit-def: $sgpr95
	s_inst_prefetch 0x1
	s_branch .LBB72_197
	.p2align	6
.LBB72_194:                             ;   in Loop: Header=BB72_197 Depth=2
	s_or_b32 exec_lo, exec_lo, s96
	s_waitcnt lgkmcnt(0)
	s_barrier
	buffer_gl0_inv
	ds_read_b128 v[7:10], v15 offset:3072
	s_waitcnt lgkmcnt(0)
	s_barrier
	buffer_gl0_inv
	v_cmp_neq_f64_e32 vcc_lo, 0, v[7:8]
	s_cbranch_vccnz .LBB72_200
; %bb.195:                              ;   in Loop: Header=BB72_197 Depth=2
	v_add_nc_u32_e32 v43, s46, v43
	v_add_nc_u32_e32 v14, s70, v14
	s_mov_b32 s96, 0
	v_cmp_le_u32_e32 vcc_lo, s94, v43
	s_orn2_b32 s97, vcc_lo, exec_lo
.LBB72_196:                             ;   in Loop: Header=BB72_197 Depth=2
	s_and_b32 s97, exec_lo, s97
	s_or_b32 s90, s97, s90
	s_andn2_b32 s95, s95, exec_lo
	s_and_b32 s96, s96, exec_lo
	s_or_b32 s95, s95, s96
	s_andn2_b32 exec_lo, exec_lo, s90
	s_cbranch_execz .LBB72_201
.LBB72_197:                             ;   Parent Loop BB72_6 Depth=1
                                        ; =>  This Inner Loop Header: Depth=2
	s_mov_b32 s96, exec_lo
	v_cmpx_gt_u32_e64 s91, v43
	s_cbranch_execz .LBB72_194
; %bb.198:                              ;   in Loop: Header=BB72_197 Depth=2
	ds_read_b64 v[3:4], v14
	s_waitcnt lgkmcnt(0)
	v_cmp_o_f64_e32 vcc_lo, v[3:4], v[3:4]
	v_ashrrev_i32_e32 v1, 31, v4
	v_or_b32_e32 v7, 0x80000000, v1
	v_xor_b32_e32 v1, v1, v3
	v_xor_b32_e32 v7, v7, v4
	v_cndmask_b32_e32 v7, -1, v7, vcc_lo
	v_cndmask_b32_e32 v1, -1, v1, vcc_lo
	v_and_b32_e32 v8, v7, v24
	v_and_b32_e32 v7, v1, v23
	v_cmp_eq_u64_e32 vcc_lo, v[7:8], v[25:26]
	s_and_b32 exec_lo, exec_lo, vcc_lo
	s_cbranch_execz .LBB72_194
; %bb.199:                              ;   in Loop: Header=BB72_197 Depth=2
	v_mov_b32_e32 v1, v15
	ds_write_b128 v15, v[1:4] offset:3072
	s_branch .LBB72_194
.LBB72_200:                             ;   in Loop: Header=BB72_197 Depth=2
	s_mov_b32 s97, -1
	s_mov_b32 s96, -1
                                        ; implicit-def: $vgpr43
                                        ; implicit-def: $vgpr14
	s_branch .LBB72_196
.LBB72_201:                             ;   in Loop: Header=BB72_6 Depth=1
	s_inst_prefetch 0x2
	s_or_b32 exec_lo, exec_lo, s90
	s_and_b32 s90, s95, exec_lo
.LBB72_202:                             ;   in Loop: Header=BB72_6 Depth=1
	s_or_b32 exec_lo, exec_lo, s93
.LBB72_203:                             ;   in Loop: Header=BB72_6 Depth=1
	s_and_b32 vcc_lo, exec_lo, s92
	s_cbranch_vccz .LBB72_215
; %bb.204:                              ;   in Loop: Header=BB72_6 Depth=1
                                        ; implicit-def: $vgpr9_vgpr10
	s_and_saveexec_b32 s87, s9
	s_cbranch_execz .LBB72_214
; %bb.205:                              ;   in Loop: Header=BB72_6 Depth=1
	v_mov_b32_e32 v14, v13
	v_mov_b32_e32 v43, v0
	s_mov_b32 s88, 0
                                        ; implicit-def: $sgpr91
	s_branch .LBB72_209
.LBB72_206:                             ;   in Loop: Header=BB72_209 Depth=2
	s_or_b32 exec_lo, exec_lo, s92
	s_waitcnt lgkmcnt(0)
	s_barrier
	buffer_gl0_inv
	ds_read_b128 v[7:10], v15 offset:3072
	s_waitcnt lgkmcnt(0)
	s_barrier
	buffer_gl0_inv
	v_cmp_eq_f64_e32 vcc_lo, 0, v[7:8]
	s_cbranch_vccz .LBB72_212
; %bb.207:                              ;   in Loop: Header=BB72_209 Depth=2
	v_add_nc_u32_e32 v43, s46, v43
	v_add_nc_u32_e32 v14, s48, v14
	s_mov_b32 s92, 0
	v_cmp_le_u32_e32 vcc_lo, s67, v43
	s_orn2_b32 s93, vcc_lo, exec_lo
.LBB72_208:                             ;   in Loop: Header=BB72_209 Depth=2
	s_and_b32 s93, exec_lo, s93
	s_or_b32 s88, s93, s88
	s_andn2_b32 s91, s91, exec_lo
	s_and_b32 s92, s92, exec_lo
	s_or_b32 s91, s91, s92
	s_andn2_b32 exec_lo, exec_lo, s88
	s_cbranch_execz .LBB72_213
.LBB72_209:                             ;   Parent Loop BB72_6 Depth=1
                                        ; =>  This Inner Loop Header: Depth=2
	s_mov_b32 s92, exec_lo
	v_cmpx_gt_u32_e64 s36, v43
	s_cbranch_execz .LBB72_206
; %bb.210:                              ;   in Loop: Header=BB72_209 Depth=2
	v_lshlrev_b64 v[3:4], 3, v[14:15]
	v_add_co_u32 v3, vcc_lo, s31, v3
	v_add_co_ci_u32_e64 v4, null, s33, v4, vcc_lo
	global_load_dwordx2 v[3:4], v[3:4], off
	s_waitcnt vmcnt(0)
	v_cmp_o_f64_e32 vcc_lo, v[3:4], v[3:4]
	v_ashrrev_i32_e32 v1, 31, v4
	v_or_b32_e32 v7, 0x80000000, v1
	v_xor_b32_e32 v1, v1, v3
	v_xor_b32_e32 v7, v7, v4
	v_cndmask_b32_e32 v7, -1, v7, vcc_lo
	v_cndmask_b32_e32 v1, -1, v1, vcc_lo
	v_and_b32_e32 v8, v7, v24
	v_and_b32_e32 v7, v1, v23
	v_cmp_eq_u64_e32 vcc_lo, v[7:8], v[25:26]
	s_and_b32 exec_lo, exec_lo, vcc_lo
	s_cbranch_execz .LBB72_206
; %bb.211:                              ;   in Loop: Header=BB72_209 Depth=2
	v_mov_b32_e32 v1, v15
	ds_write_b128 v15, v[1:4] offset:3072
	s_branch .LBB72_206
.LBB72_212:                             ;   in Loop: Header=BB72_209 Depth=2
	s_mov_b32 s93, -1
	s_mov_b32 s92, -1
                                        ; implicit-def: $vgpr43
	s_branch .LBB72_208
.LBB72_213:                             ;   in Loop: Header=BB72_6 Depth=1
	s_or_b32 exec_lo, exec_lo, s88
	s_andn2_b32 s88, s90, exec_lo
	s_and_b32 s90, s91, exec_lo
	s_or_b32 s90, s88, s90
.LBB72_214:                             ;   in Loop: Header=BB72_6 Depth=1
	s_or_b32 exec_lo, exec_lo, s87
	s_mov_b32 s87, 0
	s_mov_b32 s88, -1
.LBB72_215:                             ;   in Loop: Header=BB72_6 Depth=1
	s_orn2_b32 s90, s90, exec_lo
.LBB72_216:                             ;   in Loop: Header=BB72_6 Depth=1
	s_or_b32 exec_lo, exec_lo, s89
	s_mov_b32 s91, 0
	s_and_saveexec_b32 s89, s90
	s_cbranch_execz .LBB72_227
; %bb.217:                              ;   in Loop: Header=BB72_6 Depth=1
	v_mov_b32_e32 v41, 1
	v_mov_b32_e32 v1, 1
	s_xor_b32 s90, s86, -1
	s_and_saveexec_b32 s86, s90
	s_cbranch_execz .LBB72_226
; %bb.218:                              ;   in Loop: Header=BB72_6 Depth=1
	s_mov_b32 s90, exec_lo
	v_cmpx_ge_u32_e64 s20, v42
	s_xor_b32 s90, exec_lo, s90
	s_cbranch_execz .LBB72_223
; %bb.219:                              ;   in Loop: Header=BB72_6 Depth=1
	ds_read_b32 v1, v15 offset:4096
	v_or_b32_e32 v26, s13, v26
	v_or_b32_e32 v25, s12, v25
	;; [unrolled: 1-line block ×4, first 2 shown]
	s_waitcnt lgkmcnt(0)
	v_cmp_ne_u32_e32 vcc_lo, 0, v1
	s_cbranch_vccnz .LBB72_223
; %bb.220:                              ;   in Loop: Header=BB72_6 Depth=1
	s_and_saveexec_b32 s91, s3
; %bb.221:                              ;   in Loop: Header=BB72_6 Depth=1
	v_mov_b32_e32 v1, s20
	ds_write_b32 v15, v1 offset:4100
; %bb.222:                              ;   in Loop: Header=BB72_6 Depth=1
	s_or_b32 exec_lo, exec_lo, s91
	s_waitcnt lgkmcnt(0)
	s_barrier
	buffer_gl0_inv
.LBB72_223:                             ;   in Loop: Header=BB72_6 Depth=1
	s_andn2_saveexec_b32 s90, s90
; %bb.224:                              ;   in Loop: Header=BB72_6 Depth=1
	v_subrev_nc_u32_e32 v42, s20, v42
; %bb.225:                              ;   in Loop: Header=BB72_6 Depth=1
	s_or_b32 exec_lo, exec_lo, s90
	v_mov_b32_e32 v41, 8
	v_mov_b32_e32 v1, v42
.LBB72_226:                             ;   in Loop: Header=BB72_6 Depth=1
	s_or_b32 exec_lo, exec_lo, s86
	v_mov_b32_e32 v42, v1
	s_mov_b32 s91, exec_lo
.LBB72_227:                             ;   in Loop: Header=BB72_6 Depth=1
	s_or_b32 exec_lo, exec_lo, s89
	s_orn2_b32 s86, s91, exec_lo
.LBB72_228:                             ;   in Loop: Header=BB72_6 Depth=1
	s_or_b32 exec_lo, exec_lo, s85
	v_mov_b32_e32 v43, v42
	s_andn2_b32 s83, s83, exec_lo
	s_and_b32 s85, s88, exec_lo
	s_andn2_b32 s29, s29, exec_lo
	s_and_b32 s87, s87, exec_lo
	s_or_b32 s83, s83, s85
	s_or_b32 s29, s29, s87
	s_and_b32 s87, s86, exec_lo
.LBB72_229:                             ;   in Loop: Header=BB72_6 Depth=1
	s_or_b32 exec_lo, exec_lo, s84
	s_orn2_b32 s84, s87, exec_lo
.LBB72_230:                             ;   in Loop: Header=BB72_6 Depth=1
	s_or_b32 exec_lo, exec_lo, s28
	v_mov_b32_e32 v42, v43
	s_andn2_b32 s26, s26, exec_lo
	s_and_b32 s28, s83, exec_lo
	s_andn2_b32 s21, s21, exec_lo
	s_and_b32 s29, s29, exec_lo
	s_or_b32 s26, s26, s28
	s_or_b32 s21, s21, s29
	s_and_b32 s83, s84, exec_lo
.LBB72_231:                             ;   in Loop: Header=BB72_6 Depth=1
	s_or_b32 exec_lo, exec_lo, s27
	s_orn2_b32 s27, s83, exec_lo
.LBB72_232:                             ;   in Loop: Header=BB72_6 Depth=1
	s_or_b32 exec_lo, exec_lo, s11
	s_mov_b32 s28, 0
	s_mov_b32 s29, 0
	s_and_saveexec_b32 s11, s27
	s_xor_b32 s27, exec_lo, s11
; %bb.233:                              ;   in Loop: Header=BB72_6 Depth=1
	v_cmp_ne_u32_e32 vcc_lo, 8, v41
	v_cmp_eq_u32_e64 s11, 8, v41
	s_and_b32 s29, vcc_lo, exec_lo
	s_and_b32 s28, s11, exec_lo
; %bb.234:                              ;   in Loop: Header=BB72_6 Depth=1
	s_or_b32 exec_lo, exec_lo, s27
	s_andn2_b32 s11, s23, exec_lo
	s_and_b32 s23, s26, exec_lo
	s_andn2_b32 s22, s22, exec_lo
	s_and_b32 s21, s21, exec_lo
	s_or_b32 s23, s11, s23
	s_or_b32 s22, s22, s21
	s_and_b32 s11, s29, exec_lo
	s_and_b32 s21, s28, exec_lo
.LBB72_235:                             ;   in Loop: Header=BB72_6 Depth=1
	s_or_b32 exec_lo, exec_lo, s25
.LBB72_236:                             ;   in Loop: Header=BB72_6 Depth=1
	s_and_b32 vcc_lo, exec_lo, s24
	s_cbranch_vccz .LBB72_250
; %bb.237:                              ;   in Loop: Header=BB72_6 Depth=1
	s_cmp_eq_u32 s20, 1
	s_mov_b32 s23, -1
	s_cselect_b32 s16, -1, 0
                                        ; implicit-def: $sgpr24
	s_and_b32 s10, s16, s10
                                        ; implicit-def: $sgpr16
	s_and_saveexec_b32 s22, s10
	s_cbranch_execz .LBB72_266
; %bb.238:                              ;   in Loop: Header=BB72_6 Depth=1
	ds_read_b32 v1, v15 offset:4096
	s_waitcnt lgkmcnt(0)
	s_barrier
	buffer_gl0_inv
	v_readfirstlane_b32 s25, v1
	s_and_saveexec_b32 s16, s6
; %bb.239:                              ;   in Loop: Header=BB72_6 Depth=1
	v_mov_b32_e32 v14, v15
	ds_write_b64 v32, v[14:15]
; %bb.240:                              ;   in Loop: Header=BB72_6 Depth=1
	s_or_b32 exec_lo, exec_lo, s16
	v_or_b32_e32 v17, s13, v17
	v_or_b32_e32 v16, s12, v16
	;; [unrolled: 1-line block ×4, first 2 shown]
	s_mov_b32 s16, -1
	s_mov_b32 s24, 0
	s_cmp_eq_u32 s25, 0
	s_mov_b32 s23, 0
	s_mov_b32 s26, -1
	s_waitcnt lgkmcnt(0)
	s_barrier
	buffer_gl0_inv
                                        ; implicit-def: $vgpr5_vgpr6
	s_cbranch_scc1 .LBB72_253
; %bb.241:                              ;   in Loop: Header=BB72_6 Depth=1
	s_add_i32 s23, s25, s60
                                        ; implicit-def: $vgpr5_vgpr6
	s_mul_hi_u32 s26, s23, s66
	s_mul_i32 s26, s26, s46
	s_sub_i32 s26, s23, s26
	s_sub_i32 s27, s26, s46
	s_cmp_ge_u32 s26, s46
	s_cselect_b32 s26, s27, s26
	s_sub_i32 s27, s26, s46
	s_cmp_ge_u32 s26, s46
	s_cselect_b32 s26, s27, s26
	s_mov_b32 s27, exec_lo
	s_sub_i32 s28, s23, s26
	s_mov_b32 s26, 0
	s_mov_b32 s23, 0
	v_cmpx_gt_u32_e64 s28, v0
	s_cbranch_execz .LBB72_252
; %bb.242:                              ;   in Loop: Header=BB72_6 Depth=1
	v_mov_b32_e32 v7, v30
	v_mov_b32_e32 v8, v0
                                        ; implicit-def: $sgpr29
	s_inst_prefetch 0x1
	s_branch .LBB72_246
	.p2align	6
.LBB72_243:                             ;   in Loop: Header=BB72_246 Depth=2
	s_or_b32 exec_lo, exec_lo, s83
	s_waitcnt lgkmcnt(0)
	s_barrier
	buffer_gl0_inv
	ds_read_b128 v[3:6], v15 offset:3072
	s_waitcnt lgkmcnt(0)
	s_barrier
	buffer_gl0_inv
	v_cmp_neq_f64_e32 vcc_lo, 0, v[3:4]
	s_cbranch_vccnz .LBB72_249
; %bb.244:                              ;   in Loop: Header=BB72_246 Depth=2
	v_add_nc_u32_e32 v8, s46, v8
	v_add_nc_u32_e32 v7, s70, v7
	s_mov_b32 s83, 0
	v_cmp_le_u32_e32 vcc_lo, s28, v8
	s_orn2_b32 s84, vcc_lo, exec_lo
.LBB72_245:                             ;   in Loop: Header=BB72_246 Depth=2
	s_and_b32 s84, exec_lo, s84
	s_or_b32 s23, s84, s23
	s_andn2_b32 s29, s29, exec_lo
	s_and_b32 s83, s83, exec_lo
	s_or_b32 s29, s29, s83
	s_andn2_b32 exec_lo, exec_lo, s23
	s_cbranch_execz .LBB72_251
.LBB72_246:                             ;   Parent Loop BB72_6 Depth=1
                                        ; =>  This Inner Loop Header: Depth=2
	s_mov_b32 s83, exec_lo
	v_cmpx_gt_u32_e64 s25, v8
	s_cbranch_execz .LBB72_243
; %bb.247:                              ;   in Loop: Header=BB72_246 Depth=2
	ds_read_b64 v[3:4], v7
	s_waitcnt lgkmcnt(0)
	v_cmp_o_f64_e32 vcc_lo, v[3:4], v[3:4]
	v_ashrrev_i32_e32 v1, 31, v4
	v_or_b32_e32 v5, 0x80000000, v1
	v_xor_b32_e32 v1, v1, v3
	v_xor_b32_e32 v5, v5, v4
	v_cndmask_b32_e32 v5, -1, v5, vcc_lo
	v_cndmask_b32_e32 v1, -1, v1, vcc_lo
	v_and_b32_e32 v6, v5, v22
	v_and_b32_e32 v5, v1, v21
	v_cmp_eq_u64_e32 vcc_lo, v[5:6], v[16:17]
	s_and_b32 exec_lo, exec_lo, vcc_lo
	s_cbranch_execz .LBB72_243
; %bb.248:                              ;   in Loop: Header=BB72_246 Depth=2
	v_mov_b32_e32 v1, v15
	ds_write_b128 v15, v[1:4] offset:3072
	s_branch .LBB72_243
.LBB72_249:                             ;   in Loop: Header=BB72_246 Depth=2
	s_mov_b32 s84, -1
	s_mov_b32 s83, -1
                                        ; implicit-def: $vgpr8
                                        ; implicit-def: $vgpr7
	s_branch .LBB72_245
.LBB72_250:                             ;   in Loop: Header=BB72_6 Depth=1
	v_mov_b32_e32 v16, v25
	v_mov_b32_e32 v21, v23
	;; [unrolled: 1-line block ×6, first 2 shown]
	s_mov_b32 s24, 0
	s_and_saveexec_b32 s10, s21
	s_cbranch_execnz .LBB72_403
	s_branch .LBB72_404
.LBB72_251:                             ;   in Loop: Header=BB72_6 Depth=1
	s_inst_prefetch 0x2
	s_or_b32 exec_lo, exec_lo, s23
	s_and_b32 s23, s29, exec_lo
.LBB72_252:                             ;   in Loop: Header=BB72_6 Depth=1
	s_or_b32 exec_lo, exec_lo, s27
.LBB72_253:                             ;   in Loop: Header=BB72_6 Depth=1
	s_and_b32 vcc_lo, exec_lo, s26
	s_cbranch_vccz .LBB72_265
; %bb.254:                              ;   in Loop: Header=BB72_6 Depth=1
                                        ; implicit-def: $vgpr5_vgpr6
	s_and_saveexec_b32 s16, s9
	s_cbranch_execz .LBB72_264
; %bb.255:                              ;   in Loop: Header=BB72_6 Depth=1
	v_mov_b32_e32 v14, v13
	v_mov_b32_e32 v7, v0
	s_mov_b32 s25, 0
                                        ; implicit-def: $sgpr24
	s_branch .LBB72_259
.LBB72_256:                             ;   in Loop: Header=BB72_259 Depth=2
	s_or_b32 exec_lo, exec_lo, s26
	s_waitcnt lgkmcnt(0)
	s_barrier
	buffer_gl0_inv
	ds_read_b128 v[3:6], v15 offset:3072
	s_waitcnt lgkmcnt(0)
	s_barrier
	buffer_gl0_inv
	v_cmp_neq_f64_e32 vcc_lo, 0, v[3:4]
	s_cbranch_vccnz .LBB72_262
; %bb.257:                              ;   in Loop: Header=BB72_259 Depth=2
	v_add_nc_u32_e32 v7, s46, v7
	v_add_nc_u32_e32 v14, s48, v14
	s_mov_b32 s26, 0
	v_cmp_le_u32_e32 vcc_lo, s67, v7
	s_orn2_b32 s27, vcc_lo, exec_lo
.LBB72_258:                             ;   in Loop: Header=BB72_259 Depth=2
	s_and_b32 s27, exec_lo, s27
	s_or_b32 s25, s27, s25
	s_andn2_b32 s24, s24, exec_lo
	s_and_b32 s26, s26, exec_lo
	s_or_b32 s24, s24, s26
	s_andn2_b32 exec_lo, exec_lo, s25
	s_cbranch_execz .LBB72_263
.LBB72_259:                             ;   Parent Loop BB72_6 Depth=1
                                        ; =>  This Inner Loop Header: Depth=2
	s_mov_b32 s26, exec_lo
	v_cmpx_gt_u32_e64 s36, v7
	s_cbranch_execz .LBB72_256
; %bb.260:                              ;   in Loop: Header=BB72_259 Depth=2
	v_lshlrev_b64 v[3:4], 3, v[14:15]
	v_add_co_u32 v3, vcc_lo, s31, v3
	v_add_co_ci_u32_e64 v4, null, s33, v4, vcc_lo
	global_load_dwordx2 v[3:4], v[3:4], off
	s_waitcnt vmcnt(0)
	v_cmp_o_f64_e32 vcc_lo, v[3:4], v[3:4]
	v_ashrrev_i32_e32 v1, 31, v4
	v_or_b32_e32 v5, 0x80000000, v1
	v_xor_b32_e32 v1, v1, v3
	v_xor_b32_e32 v5, v5, v4
	v_cndmask_b32_e32 v5, -1, v5, vcc_lo
	v_cndmask_b32_e32 v1, -1, v1, vcc_lo
	v_and_b32_e32 v6, v5, v22
	v_and_b32_e32 v5, v1, v21
	v_cmp_eq_u64_e32 vcc_lo, v[5:6], v[16:17]
	s_and_b32 exec_lo, exec_lo, vcc_lo
	s_cbranch_execz .LBB72_256
; %bb.261:                              ;   in Loop: Header=BB72_259 Depth=2
	v_mov_b32_e32 v1, v15
	ds_write_b128 v15, v[1:4] offset:3072
	s_branch .LBB72_256
.LBB72_262:                             ;   in Loop: Header=BB72_259 Depth=2
	s_mov_b32 s27, -1
	s_mov_b32 s26, -1
                                        ; implicit-def: $vgpr7
	s_branch .LBB72_258
.LBB72_263:                             ;   in Loop: Header=BB72_6 Depth=1
	s_or_b32 exec_lo, exec_lo, s25
	s_andn2_b32 s23, s23, exec_lo
	s_and_b32 s24, s24, exec_lo
	s_or_b32 s23, s23, s24
.LBB72_264:                             ;   in Loop: Header=BB72_6 Depth=1
	s_or_b32 exec_lo, exec_lo, s16
	s_mov_b32 s16, 0
	s_mov_b32 s24, -1
.LBB72_265:                             ;   in Loop: Header=BB72_6 Depth=1
	s_orn2_b32 s23, s23, exec_lo
.LBB72_266:                             ;   in Loop: Header=BB72_6 Depth=1
	s_or_b32 exec_lo, exec_lo, s22
                                        ; implicit-def: $vgpr42
                                        ; implicit-def: $vgpr41
	s_and_saveexec_b32 s22, s23
	s_cbranch_execz .LBB72_402
; %bb.267:                              ;   in Loop: Header=BB72_6 Depth=1
	v_mov_b32_e32 v42, 1
	v_mov_b32_e32 v41, 1
	s_xor_b32 s23, s10, -1
	s_mov_b32 s26, 0
	s_and_saveexec_b32 s10, s23
	s_cbranch_execz .LBB72_276
; %bb.268:                              ;   in Loop: Header=BB72_6 Depth=1
	s_mov_b32 s23, exec_lo
	v_cmpx_ge_u32_e64 s20, v40
	s_xor_b32 s23, exec_lo, s23
	s_cbranch_execz .LBB72_273
; %bb.269:                              ;   in Loop: Header=BB72_6 Depth=1
	ds_read_b32 v1, v15 offset:4096
	v_or_b32_e32 v17, s13, v17
	v_or_b32_e32 v16, s12, v16
	;; [unrolled: 1-line block ×4, first 2 shown]
	s_waitcnt lgkmcnt(0)
	v_cmp_ne_u32_e32 vcc_lo, 0, v1
	s_cbranch_vccnz .LBB72_273
; %bb.270:                              ;   in Loop: Header=BB72_6 Depth=1
	s_and_saveexec_b32 s25, s3
; %bb.271:                              ;   in Loop: Header=BB72_6 Depth=1
	v_mov_b32_e32 v1, s20
	ds_write_b32 v15, v1 offset:4100
; %bb.272:                              ;   in Loop: Header=BB72_6 Depth=1
	s_or_b32 exec_lo, exec_lo, s25
	s_waitcnt lgkmcnt(0)
	s_barrier
	buffer_gl0_inv
.LBB72_273:                             ;   in Loop: Header=BB72_6 Depth=1
	s_or_saveexec_b32 s23, s23
	v_mov_b32_e32 v41, 5
	s_mov_b32 s25, 0
	s_xor_b32 exec_lo, exec_lo, s23
; %bb.274:                              ;   in Loop: Header=BB72_6 Depth=1
	v_subrev_nc_u32_e32 v40, s20, v40
	v_mov_b32_e32 v41, 0
	s_mov_b32 s25, exec_lo
; %bb.275:                              ;   in Loop: Header=BB72_6 Depth=1
	s_or_b32 exec_lo, exec_lo, s23
	v_mov_b32_e32 v42, v40
	s_and_b32 s26, s25, exec_lo
.LBB72_276:                             ;   in Loop: Header=BB72_6 Depth=1
	s_or_b32 exec_lo, exec_lo, s10
	s_mov_b32 s25, -1
                                        ; implicit-def: $sgpr20
                                        ; implicit-def: $sgpr23
	s_and_saveexec_b32 s10, s26
	s_xor_b32 s10, exec_lo, s10
	s_cbranch_execz .LBB72_399
; %bb.277:                              ;   in Loop: Header=BB72_6 Depth=1
	v_cmp_eq_u32_e32 vcc_lo, 1, v42
	s_cmp_eq_u32 s19, 1
	s_mov_b32 s27, -1
	s_cselect_b32 s20, -1, 0
                                        ; implicit-def: $sgpr23
	s_and_b32 s26, s20, vcc_lo
                                        ; implicit-def: $sgpr20
	s_and_saveexec_b32 s25, s26
	s_cbranch_execz .LBB72_305
; %bb.278:                              ;   in Loop: Header=BB72_6 Depth=1
	ds_read_b32 v1, v15 offset:4096
	s_waitcnt lgkmcnt(0)
	s_barrier
	buffer_gl0_inv
	v_readfirstlane_b32 s28, v1
	s_and_saveexec_b32 s20, s6
; %bb.279:                              ;   in Loop: Header=BB72_6 Depth=1
	v_mov_b32_e32 v14, v15
	ds_write_b64 v32, v[14:15]
; %bb.280:                              ;   in Loop: Header=BB72_6 Depth=1
	s_or_b32 exec_lo, exec_lo, s20
	v_and_b32_e32 v1, s15, v17
	v_and_b32_e32 v3, s14, v16
	s_lshl_b64 s[84:85], 2, s76
	v_or_b32_e32 v22, s13, v22
	v_or_b32_e32 v21, s12, v21
	;; [unrolled: 1-line block ×4, first 2 shown]
	s_mov_b32 s20, -1
	s_mov_b32 s23, 0
	s_cmp_eq_u32 s28, 0
	s_mov_b32 s27, 0
	s_mov_b32 s29, -1
	s_waitcnt lgkmcnt(0)
	s_barrier
	buffer_gl0_inv
                                        ; implicit-def: $vgpr5_vgpr6
	s_cbranch_scc1 .LBB72_292
; %bb.281:                              ;   in Loop: Header=BB72_6 Depth=1
	s_add_i32 s27, s28, s60
                                        ; implicit-def: $vgpr5_vgpr6
	s_mul_hi_u32 s29, s27, s66
	s_mul_i32 s29, s29, s46
	s_sub_i32 s29, s27, s29
	s_sub_i32 s83, s29, s46
	s_cmp_ge_u32 s29, s46
	s_cselect_b32 s29, s83, s29
	s_sub_i32 s83, s29, s46
	s_cmp_ge_u32 s29, s46
	s_cselect_b32 s29, s83, s29
	s_mov_b32 s83, exec_lo
	s_sub_i32 s84, s27, s29
	s_mov_b32 s29, 0
	s_mov_b32 s27, 0
	v_cmpx_gt_u32_e64 s84, v0
	s_cbranch_execz .LBB72_291
; %bb.282:                              ;   in Loop: Header=BB72_6 Depth=1
	v_mov_b32_e32 v7, v30
	v_mov_b32_e32 v8, v0
                                        ; implicit-def: $sgpr85
	s_inst_prefetch 0x1
	s_branch .LBB72_286
	.p2align	6
.LBB72_283:                             ;   in Loop: Header=BB72_286 Depth=2
	s_or_b32 exec_lo, exec_lo, s86
	s_waitcnt lgkmcnt(0)
	s_barrier
	buffer_gl0_inv
	ds_read_b128 v[3:6], v15 offset:3072
	s_waitcnt lgkmcnt(0)
	s_barrier
	buffer_gl0_inv
	v_cmp_neq_f64_e32 vcc_lo, 0, v[3:4]
	s_cbranch_vccnz .LBB72_289
; %bb.284:                              ;   in Loop: Header=BB72_286 Depth=2
	v_add_nc_u32_e32 v8, s46, v8
	v_add_nc_u32_e32 v7, s70, v7
	s_mov_b32 s86, 0
	v_cmp_le_u32_e32 vcc_lo, s84, v8
	s_orn2_b32 s87, vcc_lo, exec_lo
.LBB72_285:                             ;   in Loop: Header=BB72_286 Depth=2
	s_and_b32 s87, exec_lo, s87
	s_or_b32 s27, s87, s27
	s_andn2_b32 s85, s85, exec_lo
	s_and_b32 s86, s86, exec_lo
	s_or_b32 s85, s85, s86
	s_andn2_b32 exec_lo, exec_lo, s27
	s_cbranch_execz .LBB72_290
.LBB72_286:                             ;   Parent Loop BB72_6 Depth=1
                                        ; =>  This Inner Loop Header: Depth=2
	s_mov_b32 s86, exec_lo
	v_cmpx_gt_u32_e64 s28, v8
	s_cbranch_execz .LBB72_283
; %bb.287:                              ;   in Loop: Header=BB72_286 Depth=2
	ds_read_b64 v[3:4], v7
	s_waitcnt lgkmcnt(0)
	v_cmp_o_f64_e32 vcc_lo, v[3:4], v[3:4]
	v_ashrrev_i32_e32 v1, 31, v4
	v_or_b32_e32 v5, 0x80000000, v1
	v_xor_b32_e32 v1, v1, v3
	v_xor_b32_e32 v5, v5, v4
	v_cndmask_b32_e32 v5, -1, v5, vcc_lo
	v_cndmask_b32_e32 v1, -1, v1, vcc_lo
	v_and_b32_e32 v6, v5, v22
	v_and_b32_e32 v5, v1, v21
	v_cmp_eq_u64_e32 vcc_lo, v[5:6], v[16:17]
	s_and_b32 exec_lo, exec_lo, vcc_lo
	s_cbranch_execz .LBB72_283
; %bb.288:                              ;   in Loop: Header=BB72_286 Depth=2
	v_mov_b32_e32 v1, v15
	ds_write_b128 v15, v[1:4] offset:3072
	s_branch .LBB72_283
.LBB72_289:                             ;   in Loop: Header=BB72_286 Depth=2
	s_mov_b32 s87, -1
	s_mov_b32 s86, -1
                                        ; implicit-def: $vgpr8
                                        ; implicit-def: $vgpr7
	s_branch .LBB72_285
.LBB72_290:                             ;   in Loop: Header=BB72_6 Depth=1
	s_inst_prefetch 0x2
	s_or_b32 exec_lo, exec_lo, s27
	s_and_b32 s27, s85, exec_lo
.LBB72_291:                             ;   in Loop: Header=BB72_6 Depth=1
	s_or_b32 exec_lo, exec_lo, s83
.LBB72_292:                             ;   in Loop: Header=BB72_6 Depth=1
	s_and_b32 vcc_lo, exec_lo, s29
	s_cbranch_vccz .LBB72_304
; %bb.293:                              ;   in Loop: Header=BB72_6 Depth=1
                                        ; implicit-def: $vgpr5_vgpr6
	s_and_saveexec_b32 s20, s9
	s_cbranch_execz .LBB72_303
; %bb.294:                              ;   in Loop: Header=BB72_6 Depth=1
	v_mov_b32_e32 v14, v13
	v_mov_b32_e32 v7, v0
	s_mov_b32 s23, 0
                                        ; implicit-def: $sgpr28
	s_branch .LBB72_298
.LBB72_295:                             ;   in Loop: Header=BB72_298 Depth=2
	s_or_b32 exec_lo, exec_lo, s29
	s_waitcnt lgkmcnt(0)
	s_barrier
	buffer_gl0_inv
	ds_read_b128 v[3:6], v15 offset:3072
	s_waitcnt lgkmcnt(0)
	s_barrier
	buffer_gl0_inv
	v_cmp_eq_f64_e32 vcc_lo, 0, v[3:4]
	s_cbranch_vccz .LBB72_301
; %bb.296:                              ;   in Loop: Header=BB72_298 Depth=2
	v_add_nc_u32_e32 v7, s46, v7
	v_add_nc_u32_e32 v14, s48, v14
	s_mov_b32 s29, 0
	v_cmp_le_u32_e32 vcc_lo, s67, v7
	s_orn2_b32 s83, vcc_lo, exec_lo
.LBB72_297:                             ;   in Loop: Header=BB72_298 Depth=2
	s_and_b32 s83, exec_lo, s83
	s_or_b32 s23, s83, s23
	s_andn2_b32 s28, s28, exec_lo
	s_and_b32 s29, s29, exec_lo
	s_or_b32 s28, s28, s29
	s_andn2_b32 exec_lo, exec_lo, s23
	s_cbranch_execz .LBB72_302
.LBB72_298:                             ;   Parent Loop BB72_6 Depth=1
                                        ; =>  This Inner Loop Header: Depth=2
	s_mov_b32 s29, exec_lo
	v_cmpx_gt_u32_e64 s36, v7
	s_cbranch_execz .LBB72_295
; %bb.299:                              ;   in Loop: Header=BB72_298 Depth=2
	v_lshlrev_b64 v[3:4], 3, v[14:15]
	v_add_co_u32 v3, vcc_lo, s31, v3
	v_add_co_ci_u32_e64 v4, null, s33, v4, vcc_lo
	global_load_dwordx2 v[3:4], v[3:4], off
	s_waitcnt vmcnt(0)
	v_cmp_o_f64_e32 vcc_lo, v[3:4], v[3:4]
	v_ashrrev_i32_e32 v1, 31, v4
	v_or_b32_e32 v5, 0x80000000, v1
	v_xor_b32_e32 v1, v1, v3
	v_xor_b32_e32 v5, v5, v4
	v_cndmask_b32_e32 v5, -1, v5, vcc_lo
	v_cndmask_b32_e32 v1, -1, v1, vcc_lo
	v_and_b32_e32 v6, v5, v22
	v_and_b32_e32 v5, v1, v21
	v_cmp_eq_u64_e32 vcc_lo, v[5:6], v[16:17]
	s_and_b32 exec_lo, exec_lo, vcc_lo
	s_cbranch_execz .LBB72_295
; %bb.300:                              ;   in Loop: Header=BB72_298 Depth=2
	v_mov_b32_e32 v1, v15
	ds_write_b128 v15, v[1:4] offset:3072
	s_branch .LBB72_295
.LBB72_301:                             ;   in Loop: Header=BB72_298 Depth=2
	s_mov_b32 s83, -1
	s_mov_b32 s29, -1
                                        ; implicit-def: $vgpr7
	s_branch .LBB72_297
.LBB72_302:                             ;   in Loop: Header=BB72_6 Depth=1
	s_or_b32 exec_lo, exec_lo, s23
	s_andn2_b32 s23, s27, exec_lo
	s_and_b32 s27, s28, exec_lo
	s_or_b32 s27, s23, s27
.LBB72_303:                             ;   in Loop: Header=BB72_6 Depth=1
	s_or_b32 exec_lo, exec_lo, s20
	s_mov_b32 s20, 0
	s_mov_b32 s23, -1
.LBB72_304:                             ;   in Loop: Header=BB72_6 Depth=1
	s_orn2_b32 s27, s27, exec_lo
.LBB72_305:                             ;   in Loop: Header=BB72_6 Depth=1
	s_or_b32 exec_lo, exec_lo, s25
	s_mov_b32 s28, 0
	s_and_saveexec_b32 s25, s27
	s_cbranch_execz .LBB72_398
; %bb.306:                              ;   in Loop: Header=BB72_6 Depth=1
	v_mov_b32_e32 v7, 1
	v_mov_b32_e32 v41, 1
	s_xor_b32 s27, s26, -1
	s_mov_b32 s29, 0
	s_and_saveexec_b32 s26, s27
	s_cbranch_execz .LBB72_315
; %bb.307:                              ;   in Loop: Header=BB72_6 Depth=1
	s_mov_b32 s27, exec_lo
	v_cmpx_ge_u32_e64 s19, v42
	s_xor_b32 s27, exec_lo, s27
	s_cbranch_execz .LBB72_312
; %bb.308:                              ;   in Loop: Header=BB72_6 Depth=1
	ds_read_b32 v1, v15 offset:4096
	v_and_b32_e32 v3, s15, v17
	v_and_b32_e32 v4, s14, v16
	s_lshl_b64 s[28:29], 2, s76
	v_or_b32_e32 v22, s13, v22
	v_or_b32_e32 v21, s12, v21
	;; [unrolled: 1-line block ×4, first 2 shown]
	s_waitcnt lgkmcnt(0)
	v_cmp_ne_u32_e32 vcc_lo, 0, v1
	s_cbranch_vccnz .LBB72_312
; %bb.309:                              ;   in Loop: Header=BB72_6 Depth=1
	s_and_saveexec_b32 s28, s3
; %bb.310:                              ;   in Loop: Header=BB72_6 Depth=1
	v_mov_b32_e32 v1, s19
	ds_write_b32 v15, v1 offset:4100
; %bb.311:                              ;   in Loop: Header=BB72_6 Depth=1
	s_or_b32 exec_lo, exec_lo, s28
	s_waitcnt lgkmcnt(0)
	s_barrier
	buffer_gl0_inv
.LBB72_312:                             ;   in Loop: Header=BB72_6 Depth=1
	s_or_saveexec_b32 s27, s27
	v_mov_b32_e32 v41, 5
	s_mov_b32 s28, 0
	s_xor_b32 exec_lo, exec_lo, s27
; %bb.313:                              ;   in Loop: Header=BB72_6 Depth=1
	v_subrev_nc_u32_e32 v42, s19, v42
	v_mov_b32_e32 v41, 0
	s_mov_b32 s28, exec_lo
; %bb.314:                              ;   in Loop: Header=BB72_6 Depth=1
	s_or_b32 exec_lo, exec_lo, s27
	v_mov_b32_e32 v7, v42
	s_and_b32 s29, s28, exec_lo
.LBB72_315:                             ;   in Loop: Header=BB72_6 Depth=1
	s_or_b32 exec_lo, exec_lo, s26
	s_mov_b32 s28, -1
                                        ; implicit-def: $sgpr26
                                        ; implicit-def: $sgpr27
	s_and_saveexec_b32 s19, s29
	s_cbranch_execz .LBB72_397
; %bb.316:                              ;   in Loop: Header=BB72_6 Depth=1
	v_cmp_eq_u32_e32 vcc_lo, 1, v7
	s_cmp_eq_u32 s18, 1
	s_mov_b32 s83, -1
	s_cselect_b32 s26, -1, 0
                                        ; implicit-def: $sgpr27
	s_and_b32 s29, s26, vcc_lo
                                        ; implicit-def: $sgpr26
	s_and_saveexec_b32 s28, s29
	s_cbranch_execz .LBB72_344
; %bb.317:                              ;   in Loop: Header=BB72_6 Depth=1
	ds_read_b32 v1, v15 offset:4096
	s_waitcnt lgkmcnt(0)
	s_barrier
	buffer_gl0_inv
	v_readfirstlane_b32 s84, v1
	s_and_saveexec_b32 s26, s6
; %bb.318:                              ;   in Loop: Header=BB72_6 Depth=1
	v_mov_b32_e32 v14, v15
	ds_write_b64 v32, v[14:15]
; %bb.319:                              ;   in Loop: Header=BB72_6 Depth=1
	s_or_b32 exec_lo, exec_lo, s26
	v_and_b32_e32 v1, s15, v17
	v_and_b32_e32 v3, s14, v16
	s_lshl_b64 s[26:27], 1, s76
	v_or_b32_e32 v22, s13, v22
	v_or_b32_e32 v21, s12, v21
	;; [unrolled: 1-line block ×4, first 2 shown]
	s_mov_b32 s26, -1
	s_mov_b32 s27, 0
	s_cmp_eq_u32 s84, 0
	s_mov_b32 s83, 0
	s_mov_b32 s85, -1
	s_waitcnt lgkmcnt(0)
	s_barrier
	buffer_gl0_inv
                                        ; implicit-def: $vgpr5_vgpr6
	s_cbranch_scc1 .LBB72_331
; %bb.320:                              ;   in Loop: Header=BB72_6 Depth=1
	s_add_i32 s83, s84, s60
                                        ; implicit-def: $vgpr5_vgpr6
	s_mul_hi_u32 s85, s83, s66
	s_mul_i32 s85, s85, s46
	s_sub_i32 s85, s83, s85
	s_sub_i32 s86, s85, s46
	s_cmp_ge_u32 s85, s46
	s_cselect_b32 s85, s86, s85
	s_sub_i32 s86, s85, s46
	s_cmp_ge_u32 s85, s46
	s_cselect_b32 s85, s86, s85
	s_mov_b32 s86, exec_lo
	s_sub_i32 s87, s83, s85
	s_mov_b32 s85, 0
	s_mov_b32 s83, 0
	v_cmpx_gt_u32_e64 s87, v0
	s_cbranch_execz .LBB72_330
; %bb.321:                              ;   in Loop: Header=BB72_6 Depth=1
	v_mov_b32_e32 v8, v30
	v_mov_b32_e32 v9, v0
                                        ; implicit-def: $sgpr88
	s_inst_prefetch 0x1
	s_branch .LBB72_325
	.p2align	6
.LBB72_322:                             ;   in Loop: Header=BB72_325 Depth=2
	s_or_b32 exec_lo, exec_lo, s89
	s_waitcnt lgkmcnt(0)
	s_barrier
	buffer_gl0_inv
	ds_read_b128 v[3:6], v15 offset:3072
	s_waitcnt lgkmcnt(0)
	s_barrier
	buffer_gl0_inv
	v_cmp_neq_f64_e32 vcc_lo, 0, v[3:4]
	s_cbranch_vccnz .LBB72_328
; %bb.323:                              ;   in Loop: Header=BB72_325 Depth=2
	v_add_nc_u32_e32 v9, s46, v9
	v_add_nc_u32_e32 v8, s70, v8
	s_mov_b32 s89, 0
	v_cmp_le_u32_e32 vcc_lo, s87, v9
	s_orn2_b32 s90, vcc_lo, exec_lo
.LBB72_324:                             ;   in Loop: Header=BB72_325 Depth=2
	s_and_b32 s90, exec_lo, s90
	s_or_b32 s83, s90, s83
	s_andn2_b32 s88, s88, exec_lo
	s_and_b32 s89, s89, exec_lo
	s_or_b32 s88, s88, s89
	s_andn2_b32 exec_lo, exec_lo, s83
	s_cbranch_execz .LBB72_329
.LBB72_325:                             ;   Parent Loop BB72_6 Depth=1
                                        ; =>  This Inner Loop Header: Depth=2
	s_mov_b32 s89, exec_lo
	v_cmpx_gt_u32_e64 s84, v9
	s_cbranch_execz .LBB72_322
; %bb.326:                              ;   in Loop: Header=BB72_325 Depth=2
	ds_read_b64 v[3:4], v8
	s_waitcnt lgkmcnt(0)
	v_cmp_o_f64_e32 vcc_lo, v[3:4], v[3:4]
	v_ashrrev_i32_e32 v1, 31, v4
	v_or_b32_e32 v5, 0x80000000, v1
	v_xor_b32_e32 v1, v1, v3
	v_xor_b32_e32 v5, v5, v4
	v_cndmask_b32_e32 v5, -1, v5, vcc_lo
	v_cndmask_b32_e32 v1, -1, v1, vcc_lo
	v_and_b32_e32 v6, v5, v22
	v_and_b32_e32 v5, v1, v21
	v_cmp_eq_u64_e32 vcc_lo, v[5:6], v[16:17]
	s_and_b32 exec_lo, exec_lo, vcc_lo
	s_cbranch_execz .LBB72_322
; %bb.327:                              ;   in Loop: Header=BB72_325 Depth=2
	v_mov_b32_e32 v1, v15
	ds_write_b128 v15, v[1:4] offset:3072
	s_branch .LBB72_322
.LBB72_328:                             ;   in Loop: Header=BB72_325 Depth=2
	s_mov_b32 s90, -1
	s_mov_b32 s89, -1
                                        ; implicit-def: $vgpr9
                                        ; implicit-def: $vgpr8
	s_branch .LBB72_324
.LBB72_329:                             ;   in Loop: Header=BB72_6 Depth=1
	s_inst_prefetch 0x2
	s_or_b32 exec_lo, exec_lo, s83
	s_and_b32 s83, s88, exec_lo
.LBB72_330:                             ;   in Loop: Header=BB72_6 Depth=1
	s_or_b32 exec_lo, exec_lo, s86
.LBB72_331:                             ;   in Loop: Header=BB72_6 Depth=1
	s_and_b32 vcc_lo, exec_lo, s85
	s_cbranch_vccz .LBB72_343
; %bb.332:                              ;   in Loop: Header=BB72_6 Depth=1
                                        ; implicit-def: $vgpr5_vgpr6
	s_and_saveexec_b32 s26, s9
	s_cbranch_execz .LBB72_342
; %bb.333:                              ;   in Loop: Header=BB72_6 Depth=1
	v_mov_b32_e32 v14, v13
	v_mov_b32_e32 v8, v0
	s_mov_b32 s27, 0
                                        ; implicit-def: $sgpr84
	s_branch .LBB72_337
.LBB72_334:                             ;   in Loop: Header=BB72_337 Depth=2
	s_or_b32 exec_lo, exec_lo, s85
	s_waitcnt lgkmcnt(0)
	s_barrier
	buffer_gl0_inv
	ds_read_b128 v[3:6], v15 offset:3072
	s_waitcnt lgkmcnt(0)
	s_barrier
	buffer_gl0_inv
	v_cmp_eq_f64_e32 vcc_lo, 0, v[3:4]
	s_cbranch_vccz .LBB72_340
; %bb.335:                              ;   in Loop: Header=BB72_337 Depth=2
	v_add_nc_u32_e32 v8, s46, v8
	v_add_nc_u32_e32 v14, s48, v14
	s_mov_b32 s85, 0
	v_cmp_le_u32_e32 vcc_lo, s67, v8
	s_orn2_b32 s86, vcc_lo, exec_lo
.LBB72_336:                             ;   in Loop: Header=BB72_337 Depth=2
	s_and_b32 s86, exec_lo, s86
	s_or_b32 s27, s86, s27
	s_andn2_b32 s84, s84, exec_lo
	s_and_b32 s85, s85, exec_lo
	s_or_b32 s84, s84, s85
	s_andn2_b32 exec_lo, exec_lo, s27
	s_cbranch_execz .LBB72_341
.LBB72_337:                             ;   Parent Loop BB72_6 Depth=1
                                        ; =>  This Inner Loop Header: Depth=2
	s_mov_b32 s85, exec_lo
	v_cmpx_gt_u32_e64 s36, v8
	s_cbranch_execz .LBB72_334
; %bb.338:                              ;   in Loop: Header=BB72_337 Depth=2
	v_lshlrev_b64 v[3:4], 3, v[14:15]
	v_add_co_u32 v3, vcc_lo, s31, v3
	v_add_co_ci_u32_e64 v4, null, s33, v4, vcc_lo
	global_load_dwordx2 v[3:4], v[3:4], off
	s_waitcnt vmcnt(0)
	v_cmp_o_f64_e32 vcc_lo, v[3:4], v[3:4]
	v_ashrrev_i32_e32 v1, 31, v4
	v_or_b32_e32 v5, 0x80000000, v1
	v_xor_b32_e32 v1, v1, v3
	v_xor_b32_e32 v5, v5, v4
	v_cndmask_b32_e32 v5, -1, v5, vcc_lo
	v_cndmask_b32_e32 v1, -1, v1, vcc_lo
	v_and_b32_e32 v6, v5, v22
	v_and_b32_e32 v5, v1, v21
	v_cmp_eq_u64_e32 vcc_lo, v[5:6], v[16:17]
	s_and_b32 exec_lo, exec_lo, vcc_lo
	s_cbranch_execz .LBB72_334
; %bb.339:                              ;   in Loop: Header=BB72_337 Depth=2
	v_mov_b32_e32 v1, v15
	ds_write_b128 v15, v[1:4] offset:3072
	s_branch .LBB72_334
.LBB72_340:                             ;   in Loop: Header=BB72_337 Depth=2
	s_mov_b32 s86, -1
	s_mov_b32 s85, -1
                                        ; implicit-def: $vgpr8
	s_branch .LBB72_336
.LBB72_341:                             ;   in Loop: Header=BB72_6 Depth=1
	s_or_b32 exec_lo, exec_lo, s27
	s_andn2_b32 s27, s83, exec_lo
	s_and_b32 s83, s84, exec_lo
	s_or_b32 s83, s27, s83
.LBB72_342:                             ;   in Loop: Header=BB72_6 Depth=1
	s_or_b32 exec_lo, exec_lo, s26
	s_mov_b32 s26, 0
	s_mov_b32 s27, -1
.LBB72_343:                             ;   in Loop: Header=BB72_6 Depth=1
	s_orn2_b32 s83, s83, exec_lo
.LBB72_344:                             ;   in Loop: Header=BB72_6 Depth=1
	s_or_b32 exec_lo, exec_lo, s28
	s_mov_b32 s84, 0
	s_and_saveexec_b32 s28, s83
	s_cbranch_execz .LBB72_396
; %bb.345:                              ;   in Loop: Header=BB72_6 Depth=1
	v_mov_b32_e32 v8, 1
	v_mov_b32_e32 v41, 1
	s_xor_b32 s83, s29, -1
	s_mov_b32 s85, 0
	s_and_saveexec_b32 s29, s83
	s_cbranch_execz .LBB72_354
; %bb.346:                              ;   in Loop: Header=BB72_6 Depth=1
	s_mov_b32 s83, exec_lo
	v_cmpx_ge_u32_e64 s18, v7
	s_xor_b32 s83, exec_lo, s83
	s_cbranch_execz .LBB72_351
; %bb.347:                              ;   in Loop: Header=BB72_6 Depth=1
	ds_read_b32 v1, v15 offset:4096
	v_and_b32_e32 v3, s15, v17
	v_and_b32_e32 v4, s14, v16
	s_lshl_b64 s[84:85], 1, s76
	v_or_b32_e32 v22, s13, v22
	v_or_b32_e32 v21, s12, v21
	;; [unrolled: 1-line block ×4, first 2 shown]
	s_waitcnt lgkmcnt(0)
	v_cmp_ne_u32_e32 vcc_lo, 0, v1
	s_cbranch_vccnz .LBB72_351
; %bb.348:                              ;   in Loop: Header=BB72_6 Depth=1
	s_and_saveexec_b32 s84, s3
; %bb.349:                              ;   in Loop: Header=BB72_6 Depth=1
	v_mov_b32_e32 v1, s18
	ds_write_b32 v15, v1 offset:4100
; %bb.350:                              ;   in Loop: Header=BB72_6 Depth=1
	s_or_b32 exec_lo, exec_lo, s84
	s_waitcnt lgkmcnt(0)
	s_barrier
	buffer_gl0_inv
.LBB72_351:                             ;   in Loop: Header=BB72_6 Depth=1
	s_or_saveexec_b32 s83, s83
	v_mov_b32_e32 v41, 5
	s_mov_b32 s84, 0
	s_xor_b32 exec_lo, exec_lo, s83
; %bb.352:                              ;   in Loop: Header=BB72_6 Depth=1
	v_subrev_nc_u32_e32 v7, s18, v7
	v_mov_b32_e32 v41, 0
	s_mov_b32 s84, exec_lo
; %bb.353:                              ;   in Loop: Header=BB72_6 Depth=1
	s_or_b32 exec_lo, exec_lo, s83
	v_mov_b32_e32 v8, v7
	s_and_b32 s85, s84, exec_lo
.LBB72_354:                             ;   in Loop: Header=BB72_6 Depth=1
	s_or_b32 exec_lo, exec_lo, s29
	s_mov_b32 s29, -1
                                        ; implicit-def: $sgpr84
                                        ; implicit-def: $sgpr83
	s_and_saveexec_b32 s18, s85
	s_cbranch_execz .LBB72_395
; %bb.355:                              ;   in Loop: Header=BB72_6 Depth=1
	v_cmp_eq_u32_e32 vcc_lo, 1, v8
	s_cmp_eq_u32 s17, 1
	s_mov_b32 s86, -1
	s_cselect_b32 s29, -1, 0
                                        ; implicit-def: $sgpr84
                                        ; implicit-def: $sgpr83
	s_and_b32 s29, s29, vcc_lo
	s_and_saveexec_b32 s85, s29
	s_cbranch_execz .LBB72_383
; %bb.356:                              ;   in Loop: Header=BB72_6 Depth=1
	ds_read_b32 v1, v15 offset:4096
	s_waitcnt lgkmcnt(0)
	s_barrier
	buffer_gl0_inv
	v_readfirstlane_b32 s87, v1
	s_and_saveexec_b32 s83, s6
; %bb.357:                              ;   in Loop: Header=BB72_6 Depth=1
	v_mov_b32_e32 v14, v15
	ds_write_b64 v32, v[14:15]
; %bb.358:                              ;   in Loop: Header=BB72_6 Depth=1
	s_or_b32 exec_lo, exec_lo, s83
	v_and_b32_e32 v17, s15, v17
	v_and_b32_e32 v16, s14, v16
	v_or_b32_e32 v22, s13, v22
	v_or_b32_e32 v21, s12, v21
	s_mov_b32 s83, -1
	s_mov_b32 s84, 0
	s_cmp_eq_u32 s87, 0
	s_mov_b32 s86, 0
	s_mov_b32 s88, -1
	s_waitcnt lgkmcnt(0)
	s_barrier
	buffer_gl0_inv
                                        ; implicit-def: $vgpr5_vgpr6
	s_cbranch_scc1 .LBB72_370
; %bb.359:                              ;   in Loop: Header=BB72_6 Depth=1
	s_add_i32 s86, s87, s60
                                        ; implicit-def: $vgpr5_vgpr6
	s_mul_hi_u32 s88, s86, s66
	s_mul_i32 s88, s88, s46
	s_sub_i32 s88, s86, s88
	s_sub_i32 s89, s88, s46
	s_cmp_ge_u32 s88, s46
	s_cselect_b32 s88, s89, s88
	s_sub_i32 s89, s88, s46
	s_cmp_ge_u32 s88, s46
	s_cselect_b32 s88, s89, s88
	s_mov_b32 s89, exec_lo
	s_sub_i32 s90, s86, s88
	s_mov_b32 s88, 0
	s_mov_b32 s86, 0
	v_cmpx_gt_u32_e64 s90, v0
	s_cbranch_execz .LBB72_369
; %bb.360:                              ;   in Loop: Header=BB72_6 Depth=1
	v_mov_b32_e32 v7, v30
	v_mov_b32_e32 v9, v0
                                        ; implicit-def: $sgpr91
	s_inst_prefetch 0x1
	s_branch .LBB72_364
	.p2align	6
.LBB72_361:                             ;   in Loop: Header=BB72_364 Depth=2
	s_or_b32 exec_lo, exec_lo, s92
	s_waitcnt lgkmcnt(0)
	s_barrier
	buffer_gl0_inv
	ds_read_b128 v[3:6], v15 offset:3072
	s_waitcnt lgkmcnt(0)
	s_barrier
	buffer_gl0_inv
	v_cmp_neq_f64_e32 vcc_lo, 0, v[3:4]
	s_cbranch_vccnz .LBB72_367
; %bb.362:                              ;   in Loop: Header=BB72_364 Depth=2
	v_add_nc_u32_e32 v9, s46, v9
	v_add_nc_u32_e32 v7, s70, v7
	s_mov_b32 s92, 0
	v_cmp_le_u32_e32 vcc_lo, s90, v9
	s_orn2_b32 s93, vcc_lo, exec_lo
.LBB72_363:                             ;   in Loop: Header=BB72_364 Depth=2
	s_and_b32 s93, exec_lo, s93
	s_or_b32 s86, s93, s86
	s_andn2_b32 s91, s91, exec_lo
	s_and_b32 s92, s92, exec_lo
	s_or_b32 s91, s91, s92
	s_andn2_b32 exec_lo, exec_lo, s86
	s_cbranch_execz .LBB72_368
.LBB72_364:                             ;   Parent Loop BB72_6 Depth=1
                                        ; =>  This Inner Loop Header: Depth=2
	s_mov_b32 s92, exec_lo
	v_cmpx_gt_u32_e64 s87, v9
	s_cbranch_execz .LBB72_361
; %bb.365:                              ;   in Loop: Header=BB72_364 Depth=2
	ds_read_b64 v[3:4], v7
	s_waitcnt lgkmcnt(0)
	v_cmp_o_f64_e32 vcc_lo, v[3:4], v[3:4]
	v_ashrrev_i32_e32 v1, 31, v4
	v_or_b32_e32 v5, 0x80000000, v1
	v_xor_b32_e32 v1, v1, v3
	v_xor_b32_e32 v5, v5, v4
	v_cndmask_b32_e32 v5, -1, v5, vcc_lo
	v_cndmask_b32_e32 v1, -1, v1, vcc_lo
	v_and_b32_e32 v6, v5, v22
	v_and_b32_e32 v5, v1, v21
	v_cmp_eq_u64_e32 vcc_lo, v[5:6], v[16:17]
	s_and_b32 exec_lo, exec_lo, vcc_lo
	s_cbranch_execz .LBB72_361
; %bb.366:                              ;   in Loop: Header=BB72_364 Depth=2
	v_mov_b32_e32 v1, v15
	ds_write_b128 v15, v[1:4] offset:3072
	s_branch .LBB72_361
.LBB72_367:                             ;   in Loop: Header=BB72_364 Depth=2
	s_mov_b32 s93, -1
	s_mov_b32 s92, -1
                                        ; implicit-def: $vgpr9
                                        ; implicit-def: $vgpr7
	s_branch .LBB72_363
.LBB72_368:                             ;   in Loop: Header=BB72_6 Depth=1
	s_inst_prefetch 0x2
	s_or_b32 exec_lo, exec_lo, s86
	s_and_b32 s86, s91, exec_lo
.LBB72_369:                             ;   in Loop: Header=BB72_6 Depth=1
	s_or_b32 exec_lo, exec_lo, s89
.LBB72_370:                             ;   in Loop: Header=BB72_6 Depth=1
	s_and_b32 vcc_lo, exec_lo, s88
	s_cbranch_vccz .LBB72_382
; %bb.371:                              ;   in Loop: Header=BB72_6 Depth=1
                                        ; implicit-def: $vgpr5_vgpr6
	s_and_saveexec_b32 s83, s9
	s_cbranch_execz .LBB72_381
; %bb.372:                              ;   in Loop: Header=BB72_6 Depth=1
	v_mov_b32_e32 v14, v13
	v_mov_b32_e32 v7, v0
	s_mov_b32 s84, 0
                                        ; implicit-def: $sgpr87
	s_branch .LBB72_376
.LBB72_373:                             ;   in Loop: Header=BB72_376 Depth=2
	s_or_b32 exec_lo, exec_lo, s88
	s_waitcnt lgkmcnt(0)
	s_barrier
	buffer_gl0_inv
	ds_read_b128 v[3:6], v15 offset:3072
	s_waitcnt lgkmcnt(0)
	s_barrier
	buffer_gl0_inv
	v_cmp_eq_f64_e32 vcc_lo, 0, v[3:4]
	s_cbranch_vccz .LBB72_379
; %bb.374:                              ;   in Loop: Header=BB72_376 Depth=2
	v_add_nc_u32_e32 v7, s46, v7
	v_add_nc_u32_e32 v14, s48, v14
	s_mov_b32 s88, 0
	v_cmp_le_u32_e32 vcc_lo, s67, v7
	s_orn2_b32 s89, vcc_lo, exec_lo
.LBB72_375:                             ;   in Loop: Header=BB72_376 Depth=2
	s_and_b32 s89, exec_lo, s89
	s_or_b32 s84, s89, s84
	s_andn2_b32 s87, s87, exec_lo
	s_and_b32 s88, s88, exec_lo
	s_or_b32 s87, s87, s88
	s_andn2_b32 exec_lo, exec_lo, s84
	s_cbranch_execz .LBB72_380
.LBB72_376:                             ;   Parent Loop BB72_6 Depth=1
                                        ; =>  This Inner Loop Header: Depth=2
	s_mov_b32 s88, exec_lo
	v_cmpx_gt_u32_e64 s36, v7
	s_cbranch_execz .LBB72_373
; %bb.377:                              ;   in Loop: Header=BB72_376 Depth=2
	v_lshlrev_b64 v[3:4], 3, v[14:15]
	v_add_co_u32 v3, vcc_lo, s31, v3
	v_add_co_ci_u32_e64 v4, null, s33, v4, vcc_lo
	global_load_dwordx2 v[3:4], v[3:4], off
	s_waitcnt vmcnt(0)
	v_cmp_o_f64_e32 vcc_lo, v[3:4], v[3:4]
	v_ashrrev_i32_e32 v1, 31, v4
	v_or_b32_e32 v5, 0x80000000, v1
	v_xor_b32_e32 v1, v1, v3
	v_xor_b32_e32 v5, v5, v4
	v_cndmask_b32_e32 v5, -1, v5, vcc_lo
	v_cndmask_b32_e32 v1, -1, v1, vcc_lo
	v_and_b32_e32 v6, v5, v22
	v_and_b32_e32 v5, v1, v21
	v_cmp_eq_u64_e32 vcc_lo, v[5:6], v[16:17]
	s_and_b32 exec_lo, exec_lo, vcc_lo
	s_cbranch_execz .LBB72_373
; %bb.378:                              ;   in Loop: Header=BB72_376 Depth=2
	v_mov_b32_e32 v1, v15
	ds_write_b128 v15, v[1:4] offset:3072
	s_branch .LBB72_373
.LBB72_379:                             ;   in Loop: Header=BB72_376 Depth=2
	s_mov_b32 s89, -1
	s_mov_b32 s88, -1
                                        ; implicit-def: $vgpr7
	s_branch .LBB72_375
.LBB72_380:                             ;   in Loop: Header=BB72_6 Depth=1
	s_or_b32 exec_lo, exec_lo, s84
	s_andn2_b32 s84, s86, exec_lo
	s_and_b32 s86, s87, exec_lo
	s_or_b32 s86, s84, s86
.LBB72_381:                             ;   in Loop: Header=BB72_6 Depth=1
	s_or_b32 exec_lo, exec_lo, s83
	s_mov_b32 s83, 0
	s_mov_b32 s84, -1
.LBB72_382:                             ;   in Loop: Header=BB72_6 Depth=1
	s_orn2_b32 s86, s86, exec_lo
.LBB72_383:                             ;   in Loop: Header=BB72_6 Depth=1
	s_or_b32 exec_lo, exec_lo, s85
	s_mov_b32 s87, 0
	s_and_saveexec_b32 s85, s86
	s_cbranch_execz .LBB72_394
; %bb.384:                              ;   in Loop: Header=BB72_6 Depth=1
	v_mov_b32_e32 v41, 1
	v_mov_b32_e32 v1, 1
	s_xor_b32 s86, s29, -1
	s_and_saveexec_b32 s29, s86
	s_cbranch_execz .LBB72_393
; %bb.385:                              ;   in Loop: Header=BB72_6 Depth=1
	s_mov_b32 s86, exec_lo
	v_cmpx_ge_u32_e64 s17, v8
	s_xor_b32 s86, exec_lo, s86
	s_cbranch_execz .LBB72_390
; %bb.386:                              ;   in Loop: Header=BB72_6 Depth=1
	ds_read_b32 v1, v15 offset:4096
	v_and_b32_e32 v17, s15, v17
	v_and_b32_e32 v16, s14, v16
	v_or_b32_e32 v22, s13, v22
	v_or_b32_e32 v21, s12, v21
	s_waitcnt lgkmcnt(0)
	v_cmp_ne_u32_e32 vcc_lo, 0, v1
	s_cbranch_vccnz .LBB72_390
; %bb.387:                              ;   in Loop: Header=BB72_6 Depth=1
	s_and_saveexec_b32 s12, s3
; %bb.388:                              ;   in Loop: Header=BB72_6 Depth=1
	v_mov_b32_e32 v1, s17
	ds_write_b32 v15, v1 offset:4100
; %bb.389:                              ;   in Loop: Header=BB72_6 Depth=1
	s_or_b32 exec_lo, exec_lo, s12
	s_waitcnt lgkmcnt(0)
	s_barrier
	buffer_gl0_inv
.LBB72_390:                             ;   in Loop: Header=BB72_6 Depth=1
	s_andn2_saveexec_b32 s12, s86
; %bb.391:                              ;   in Loop: Header=BB72_6 Depth=1
	v_subrev_nc_u32_e32 v8, s17, v8
; %bb.392:                              ;   in Loop: Header=BB72_6 Depth=1
	s_or_b32 exec_lo, exec_lo, s12
	v_mov_b32_e32 v41, 5
	v_mov_b32_e32 v1, v8
.LBB72_393:                             ;   in Loop: Header=BB72_6 Depth=1
	s_or_b32 exec_lo, exec_lo, s29
	v_mov_b32_e32 v8, v1
	s_mov_b32 s87, exec_lo
.LBB72_394:                             ;   in Loop: Header=BB72_6 Depth=1
	s_or_b32 exec_lo, exec_lo, s85
	s_orn2_b32 s29, s87, exec_lo
.LBB72_395:                             ;   in Loop: Header=BB72_6 Depth=1
	s_or_b32 exec_lo, exec_lo, s18
	s_andn2_b32 s12, s27, exec_lo
	s_and_b32 s13, s84, exec_lo
	s_andn2_b32 s14, s26, exec_lo
	s_and_b32 s15, s83, exec_lo
	v_mov_b32_e32 v7, v8
	s_or_b32 s27, s12, s13
	s_or_b32 s26, s14, s15
	s_and_b32 s84, s29, exec_lo
.LBB72_396:                             ;   in Loop: Header=BB72_6 Depth=1
	s_or_b32 exec_lo, exec_lo, s28
	s_orn2_b32 s28, s84, exec_lo
.LBB72_397:                             ;   in Loop: Header=BB72_6 Depth=1
	s_or_b32 exec_lo, exec_lo, s19
	s_andn2_b32 s12, s23, exec_lo
	s_and_b32 s13, s27, exec_lo
	s_andn2_b32 s14, s20, exec_lo
	s_and_b32 s15, s26, exec_lo
	v_mov_b32_e32 v42, v7
	s_or_b32 s23, s12, s13
	s_or_b32 s20, s14, s15
	s_and_b32 s28, s28, exec_lo
.LBB72_398:                             ;   in Loop: Header=BB72_6 Depth=1
	s_or_b32 exec_lo, exec_lo, s25
	s_orn2_b32 s25, s28, exec_lo
.LBB72_399:                             ;   in Loop: Header=BB72_6 Depth=1
	s_or_b32 exec_lo, exec_lo, s10
	s_mov_b32 s10, s21
	s_mov_b32 s12, s11
	s_and_saveexec_b32 s13, s25
; %bb.400:                              ;   in Loop: Header=BB72_6 Depth=1
	v_cmp_ne_u32_e32 vcc_lo, 5, v41
	v_cmp_eq_u32_e64 s10, 5, v41
	s_andn2_b32 s12, s11, exec_lo
	s_andn2_b32 s14, s21, exec_lo
	s_and_b32 s15, vcc_lo, exec_lo
	s_and_b32 s10, s10, exec_lo
	s_or_b32 s12, s12, s15
	s_or_b32 s10, s14, s10
; %bb.401:                              ;   in Loop: Header=BB72_6 Depth=1
	s_or_b32 exec_lo, exec_lo, s13
	s_andn2_b32 s13, s24, exec_lo
	s_and_b32 s14, s23, exec_lo
	s_andn2_b32 s15, s16, exec_lo
	s_and_b32 s16, s20, exec_lo
	s_or_b32 s24, s13, s14
	s_andn2_b32 s11, s11, exec_lo
	s_and_b32 s12, s12, exec_lo
	s_andn2_b32 s13, s21, exec_lo
	s_and_b32 s10, s10, exec_lo
	s_or_b32 s16, s15, s16
	s_or_b32 s11, s11, s12
	s_or_b32 s21, s13, s10
.LBB72_402:                             ;   in Loop: Header=BB72_6 Depth=1
	s_or_b32 exec_lo, exec_lo, s22
	s_mov_b32 s22, 0
	s_mov_b32 s23, 0
	s_and_saveexec_b32 s10, s21
.LBB72_403:                             ;   in Loop: Header=BB72_6 Depth=1
	v_mov_b32_e32 v41, 0
	s_or_b32 s11, s11, exec_lo
.LBB72_404:                             ;   in Loop: Header=BB72_6 Depth=1
	s_or_b32 exec_lo, exec_lo, s10
	s_andn2_b32 s10, s80, exec_lo
	s_and_b32 s13, s24, exec_lo
	s_andn2_b32 s14, s78, exec_lo
	s_and_b32 s15, s16, exec_lo
	v_mov_b32_e32 v40, v42
	s_or_b32 s80, s10, s13
	s_or_b32 s78, s14, s15
	s_andn2_b32 s10, s82, exec_lo
	s_and_b32 s13, s23, exec_lo
	s_andn2_b32 s14, s81, exec_lo
	s_and_b32 s15, s22, exec_lo
	s_mov_b32 s12, -1
	s_andn2_b32 s79, s79, exec_lo
	s_or_b32 s82, s10, s13
	s_or_b32 s81, s14, s15
	s_and_saveexec_b32 s10, s11
	s_xor_b32 s10, exec_lo, s10
	s_cbranch_execz .LBB72_5
; %bb.405:                              ;   in Loop: Header=BB72_6 Depth=1
	s_mov_b32 s11, -1
	s_mov_b32 s13, exec_lo
	v_cmpx_eq_u32_e32 0, v41
	s_cbranch_execz .LBB72_4
; %bb.406:                              ;   in Loop: Header=BB72_6 Depth=1
	s_xor_b32 s72, s72, 1
	s_add_i32 s14, s76, -2
	s_cmp_eq_u32 s76, 0
	s_mov_b32 s76, s14
	s_cselect_b32 s11, -1, 0
	s_xor_b32 s12, exec_lo, -1
	s_orn2_b32 s11, s11, exec_lo
	s_branch .LBB72_4
.LBB72_407:
	s_or_b32 exec_lo, exec_lo, s47
	s_xor_b32 s7, s77, -1
	s_xor_b32 s12, s74, -1
	;; [unrolled: 1-line block ×5, first 2 shown]
	s_mov_b32 s9, 0
	s_and_saveexec_b32 s10, s8
	s_xor_b32 s8, exec_lo, s10
	s_cbranch_execnz .LBB72_412
; %bb.408:
	s_andn2_saveexec_b32 s0, s8
	s_cbranch_execnz .LBB72_431
.LBB72_409:
	s_or_b32 exec_lo, exec_lo, s0
	s_and_saveexec_b32 s0, s9
.LBB72_410:
	; divergent unreachable
.LBB72_411:
	s_endpgm
.LBB72_412:
	s_mov_b32 s10, 0
	s_and_saveexec_b32 s9, s11
	s_xor_b32 s9, exec_lo, s9
	s_cbranch_execz .LBB72_429
; %bb.413:
	s_mov_b32 s11, 0
	s_and_saveexec_b32 s10, s12
	s_xor_b32 s10, exec_lo, s10
	s_cbranch_execz .LBB72_427
; %bb.414:
	;; [unrolled: 5-line block ×3, first 2 shown]
	s_and_saveexec_b32 s7, s6
	s_xor_b32 s6, exec_lo, s7
; %bb.416:
	v_lshrrev_b32_e32 v1, 31, v17
	v_add_co_u32 v1, s7, v1, -1
	v_add_co_ci_u32_e64 v2, null, 0, -1, s7
	v_xor_b32_e32 v5, v1, v16
	v_or_b32_e32 v2, 0x80000000, v2
	v_xor_b32_e32 v6, v2, v17
; %bb.417:
	s_or_b32 exec_lo, exec_lo, s6
	s_and_saveexec_b32 s6, s3
; %bb.418:
	v_mov_b32_e32 v1, 0
	ds_write_b32 v1, v1 offset:4108
; %bb.419:
	s_or_b32 exec_lo, exec_lo, s6
	v_mov_b32_e32 v7, 0
	v_mov_b32_e32 v8, 0
	s_waitcnt lgkmcnt(0)
	s_barrier
	buffer_gl0_inv
	s_and_saveexec_b32 s3, s2
	s_cbranch_execz .LBB72_421
; %bb.420:
	global_load_dwordx2 v[7:8], v[11:12], off
.LBB72_421:
	s_or_b32 exec_lo, exec_lo, s3
	s_mul_i32 s3, s53, s51
	s_add_i32 s12, s36, 31
	s_sub_i32 s3, s49, s3
	s_andn2_b32 s12, s12, 31
	s_add_i32 s6, s53, 1
	s_sub_i32 s7, s3, s51
	s_cmp_ge_u32 s3, s51
	v_cmp_o_f64_e32 vcc_lo, v[5:6], v[5:6]
	s_cselect_b32 s6, s6, s53
	s_cselect_b32 s3, s7, s3
	s_add_i32 s7, s6, 1
	s_cmp_ge_u32 s3, s51
	v_ashrrev_i32_e32 v1, 31, v6
	s_cselect_b32 s3, s7, s6
	s_mul_i32 s7, s52, s50
	s_mul_i32 s6, s3, s51
	;; [unrolled: 1-line block ×3, first 2 shown]
	s_sub_i32 s6, s49, s6
	v_or_b32_e32 v2, 0x80000000, v1
	s_mul_i32 s6, s6, s45
	v_xor_b32_e32 v1, v1, v5
	s_add_i32 s6, s3, s6
	s_sub_i32 s3, s49, s7
	s_add_i32 s7, s52, 1
	s_sub_i32 s13, s3, s50
	s_cmp_ge_u32 s3, s50
	v_xor_b32_e32 v2, v2, v6
	s_cselect_b32 s7, s7, s52
	s_cselect_b32 s3, s13, s3
	s_add_i32 s13, s7, 1
	s_cmp_ge_u32 s3, s50
	v_cndmask_b32_e32 v3, -1, v2, vcc_lo
	s_cselect_b32 s3, s13, s7
	s_clause 0x1
	s_load_dword s13, s[4:5], 0x1c8
	s_load_dword s5, s[4:5], 0x2a8
	s_mul_i32 s4, s3, s50
	s_mov_b32 s7, 0
	s_sub_i32 s4, s49, s4
	s_mul_i32 s3, s3, s42
	s_mul_i32 s4, s4, s43
	s_lshl_b64 s[14:15], s[6:7], 3
	s_add_i32 s16, s3, s4
	s_mov_b32 s17, s7
	s_add_u32 s6, s34, s14
	v_cndmask_b32_e32 v2, -1, v1, vcc_lo
	s_addc_u32 s14, s35, s15
	s_lshl_b64 s[16:17], s[16:17], 3
	v_cmp_gt_u32_e32 vcc_lo, s12, v0
	s_add_u32 s15, s40, s16
	s_mov_b32 s18, -1
	s_addc_u32 s16, s41, s17
	s_mov_b32 s3, 0
	s_and_saveexec_b32 s17, vcc_lo
	s_cbranch_execnz .LBB72_432
; %bb.422:
	s_or_b32 exec_lo, exec_lo, s17
	s_and_saveexec_b32 s4, s18
	s_cbranch_execnz .LBB72_449
.LBB72_423:
	s_or_b32 exec_lo, exec_lo, s4
	s_and_saveexec_b32 s0, s3
	s_xor_b32 s0, exec_lo, s0
	s_cbranch_execnz .LBB72_474
.LBB72_424:
	s_or_b32 exec_lo, exec_lo, s0
	s_and_b32 s12, s7, exec_lo
.LBB72_425:
	s_andn2_saveexec_b32 s0, s11
	s_cbranch_execnz .LBB72_476
.LBB72_426:
	s_or_b32 exec_lo, exec_lo, s0
	s_and_b32 s11, s12, exec_lo
.LBB72_427:
	s_andn2_saveexec_b32 s0, s10
	s_cbranch_execnz .LBB72_475
.LBB72_428:
	s_or_b32 exec_lo, exec_lo, s0
	s_and_b32 s10, s11, exec_lo
.LBB72_429:
	s_andn2_saveexec_b32 s0, s9
	s_cbranch_execnz .LBB72_470
.LBB72_430:
	s_or_b32 exec_lo, exec_lo, s0
	s_and_b32 s9, s10, exec_lo
	s_andn2_saveexec_b32 s0, s8
	s_cbranch_execz .LBB72_409
.LBB72_431:
	s_or_b32 s9, s9, exec_lo
	s_trap 2
	s_or_b32 exec_lo, exec_lo, s0
	s_and_saveexec_b32 s0, s9
	s_cbranch_execnz .LBB72_410
	s_branch .LBB72_411
.LBB72_432:
	v_add_nc_u32_e32 v1, s46, v0
	v_mov_b32_e32 v5, 0
	v_mov_b32_e32 v13, v0
	s_mov_b32 s18, 0
                                        ; implicit-def: $sgpr19
                                        ; implicit-def: $vgpr6
	v_mul_lo_u32 v4, s30, v1
	s_branch .LBB72_434
.LBB72_433:                             ;   in Loop: Header=BB72_434 Depth=1
	s_or_b32 exec_lo, exec_lo, s21
	s_xor_b32 s3, s20, -1
	s_and_b32 s4, exec_lo, s4
	s_waitcnt vmcnt(0)
	v_mov_b32_e32 v7, v9
	v_mov_b32_e32 v8, v10
	s_or_b32 s18, s4, s18
	v_mov_b32_e32 v13, v1
	s_andn2_b32 s4, s19, exec_lo
	s_and_b32 s3, s3, exec_lo
	s_or_b32 s19, s4, s3
	s_andn2_b32 exec_lo, exec_lo, s18
	s_cbranch_execz .LBB72_448
.LBB72_434:                             ; =>This Inner Loop Header: Depth=1
	v_mov_b32_e32 v9, 0
	v_add_nc_u32_e32 v1, s46, v13
	v_mov_b32_e32 v10, 0
	s_mov_b32 s4, exec_lo
	v_cmpx_gt_u32_e64 s36, v1
	s_cbranch_execz .LBB72_436
; %bb.435:                              ;   in Loop: Header=BB72_434 Depth=1
	v_lshlrev_b64 v[9:10], 3, v[4:5]
	v_add_co_u32 v9, s3, s31, v9
	v_add_co_ci_u32_e64 v10, null, s33, v10, s3
	global_load_dwordx2 v[9:10], v[9:10], off
.LBB72_436:                             ;   in Loop: Header=BB72_434 Depth=1
	s_or_b32 exec_lo, exec_lo, s4
	s_mov_b32 s20, 0
	s_mov_b32 s4, exec_lo
	v_cmpx_gt_u32_e64 s36, v13
	s_cbranch_execz .LBB72_438
; %bb.437:                              ;   in Loop: Header=BB72_434 Depth=1
	s_waitcnt vmcnt(0)
	v_cmp_o_f64_e64 s3, v[7:8], v[7:8]
	v_ashrrev_i32_e32 v14, 31, v8
	v_or_b32_e32 v15, 0x80000000, v14
	v_xor_b32_e32 v14, v14, v7
	v_xor_b32_e32 v15, v15, v8
	v_cndmask_b32_e64 v15, -1, v15, s3
	v_cndmask_b32_e64 v14, -1, v14, s3
	v_cmp_gt_u64_e64 s3, v[14:15], v[2:3]
	v_cndmask_b32_e64 v16, 0, 1, s3
	v_cmp_lt_u64_e64 s3, v[14:15], v[2:3]
	v_cndmask_b32_e64 v14, 0, 1, s3
	v_cndmask_b32_e64 v14, v14, v16, s1
	v_and_b32_e32 v14, 1, v14
	v_cmp_eq_u32_e64 s3, 1, v14
	s_and_b32 s20, s3, exec_lo
.LBB72_438:                             ;   in Loop: Header=BB72_434 Depth=1
	s_or_b32 exec_lo, exec_lo, s4
	v_cndmask_b32_e64 v14, 0, 1, s20
	v_cmp_ne_u32_e64 s3, 0, v14
	s_cmp_lg_u32 s3, 0
	s_cselect_b32 s4, -1, 0
	s_and_b32 s4, s0, s4
	s_and_saveexec_b32 s21, s4
	s_cbranch_execz .LBB72_442
; %bb.439:                              ;   in Loop: Header=BB72_434 Depth=1
	s_mov_b32 s24, exec_lo
	s_bcnt1_i32_b32 s22, s3
	s_waitcnt lgkmcnt(0)
	v_mbcnt_lo_u32_b32 v6, s24, 0
	s_mov_b32 s23, exec_lo
                                        ; implicit-def: $vgpr14
	v_cmpx_eq_u32_e32 0, v6
; %bb.440:                              ;   in Loop: Header=BB72_434 Depth=1
	s_bcnt1_i32_b32 s4, s24
	s_mul_i32 s4, s22, s4
	v_mov_b32_e32 v14, s4
	ds_add_rtn_u32 v14, v5, v14 offset:4108
; %bb.441:                              ;   in Loop: Header=BB72_434 Depth=1
	s_or_b32 exec_lo, exec_lo, s23
	s_waitcnt lgkmcnt(0)
	v_readfirstlane_b32 s4, v14
	v_mad_u32_u24 v6, s22, v6, s4
.LBB72_442:                             ;   in Loop: Header=BB72_434 Depth=1
	s_or_b32 exec_lo, exec_lo, s21
	s_waitcnt lgkmcnt(0)
	ds_bpermute_b32 v6, v5, v6
	s_mov_b32 s4, -1
	s_mov_b32 s22, -1
	s_and_saveexec_b32 s21, s20
	s_cbranch_execz .LBB72_446
; %bb.443:                              ;   in Loop: Header=BB72_434 Depth=1
	v_and_b32_e32 v14, s3, v27
	s_mov_b32 s20, 0
	s_mov_b32 s22, exec_lo
	s_waitcnt lgkmcnt(0)
	v_bcnt_u32_b32 v14, v14, v6
	v_cmpx_gt_u32_e64 s37, v14
	s_cbranch_execz .LBB72_445
; %bb.444:                              ;   in Loop: Header=BB72_434 Depth=1
	v_mul_lo_u32 v15, v14, s13
	v_mul_lo_u32 v17, v14, s5
	v_mov_b32_e32 v16, v5
	v_mov_b32_e32 v18, v5
	v_mov_b32_e32 v14, v5
	s_mov_b32 s20, exec_lo
	v_lshlrev_b64 v[15:16], 3, v[15:16]
	v_lshlrev_b64 v[17:18], 3, v[17:18]
	v_add_co_u32 v15, s3, s6, v15
	v_add_co_ci_u32_e64 v16, null, s14, v16, s3
	v_add_co_u32 v17, s3, s15, v17
	v_add_co_ci_u32_e64 v18, null, s16, v18, s3
	s_waitcnt vmcnt(0)
	global_store_dwordx2 v[15:16], v[7:8], off
	global_store_dwordx2 v[17:18], v[13:14], off
.LBB72_445:                             ;   in Loop: Header=BB72_434 Depth=1
	s_or_b32 exec_lo, exec_lo, s22
	s_orn2_b32 s22, s20, exec_lo
.LBB72_446:                             ;   in Loop: Header=BB72_434 Depth=1
	s_or_b32 exec_lo, exec_lo, s21
	s_mov_b32 s20, -1
	s_and_saveexec_b32 s21, s22
	s_cbranch_execz .LBB72_433
; %bb.447:                              ;   in Loop: Header=BB72_434 Depth=1
	v_cmp_le_u32_e64 s3, s12, v1
	v_add_nc_u32_e32 v4, s48, v4
	s_xor_b32 s20, exec_lo, -1
	s_orn2_b32 s4, s3, exec_lo
	s_branch .LBB72_433
.LBB72_448:
	s_or_b32 exec_lo, exec_lo, s18
	s_mov_b32 s3, exec_lo
	s_orn2_b32 s18, s19, exec_lo
	s_or_b32 exec_lo, exec_lo, s17
	s_and_saveexec_b32 s4, s18
	s_cbranch_execz .LBB72_423
.LBB72_449:
	s_waitcnt vmcnt(0)
	v_mov_b32_e32 v8, 0
	v_mov_b32_e32 v9, 0
	s_waitcnt lgkmcnt(0)
	s_waitcnt_vscnt null, 0x0
	s_barrier
	buffer_gl0_inv
	s_and_saveexec_b32 s1, s2
	s_cbranch_execz .LBB72_451
; %bb.450:
	global_load_dwordx2 v[8:9], v[11:12], off
.LBB72_451:
	s_or_b32 exec_lo, exec_lo, s1
	s_mov_b32 s1, 0
	s_and_saveexec_b32 s2, vcc_lo
	s_cbranch_execz .LBB72_473
; %bb.452:
	v_add_nc_u32_e32 v1, s46, v0
	v_mov_b32_e32 v5, 0
	s_mov_b32 s7, 0
                                        ; implicit-def: $sgpr17
                                        ; implicit-def: $vgpr11
	v_mul_lo_u32 v4, s30, v1
	s_branch .LBB72_455
.LBB72_453:                             ;   in Loop: Header=BB72_455 Depth=1
	s_or_b32 exec_lo, exec_lo, s18
	s_orn2_b32 s20, s21, exec_lo
	s_orn2_b32 s19, s19, exec_lo
.LBB72_454:                             ;   in Loop: Header=BB72_455 Depth=1
	s_or_b32 exec_lo, exec_lo, s1
	s_xor_b32 s1, s20, -1
	s_and_b32 s18, exec_lo, s19
	s_waitcnt vmcnt(0)
	v_mov_b32_e32 v9, v7
	v_mov_b32_e32 v0, v10
	s_or_b32 s7, s18, s7
	v_mov_b32_e32 v8, v6
	s_andn2_b32 s17, s17, exec_lo
	s_and_b32 s1, s1, exec_lo
	s_or_b32 s17, s17, s1
	s_andn2_b32 exec_lo, exec_lo, s7
	s_cbranch_execz .LBB72_471
.LBB72_455:                             ; =>This Inner Loop Header: Depth=1
	v_mov_b32_e32 v6, 0
	v_add_nc_u32_e32 v10, s46, v0
	v_mov_b32_e32 v7, 0
	s_mov_b32 s1, exec_lo
	v_cmpx_gt_u32_e64 s36, v10
	s_cbranch_execz .LBB72_457
; %bb.456:                              ;   in Loop: Header=BB72_455 Depth=1
	v_lshlrev_b64 v[6:7], 3, v[4:5]
	v_add_co_u32 v6, vcc_lo, s31, v6
	v_add_co_ci_u32_e64 v7, null, s33, v7, vcc_lo
	global_load_dwordx2 v[6:7], v[6:7], off
.LBB72_457:                             ;   in Loop: Header=BB72_455 Depth=1
	s_or_b32 exec_lo, exec_lo, s1
	s_mov_b32 s18, 0
	s_mov_b32 s1, exec_lo
	v_cmpx_gt_u32_e64 s36, v0
	s_cbranch_execz .LBB72_459
; %bb.458:                              ;   in Loop: Header=BB72_455 Depth=1
	s_waitcnt vmcnt(0)
	v_cmp_o_f64_e32 vcc_lo, v[8:9], v[8:9]
	v_ashrrev_i32_e32 v1, 31, v9
	v_or_b32_e32 v12, 0x80000000, v1
	v_xor_b32_e32 v1, v1, v8
	v_xor_b32_e32 v12, v12, v9
	v_cndmask_b32_e32 v13, -1, v12, vcc_lo
	v_cndmask_b32_e32 v12, -1, v1, vcc_lo
	v_cmp_eq_u64_e32 vcc_lo, v[12:13], v[2:3]
	s_and_b32 s18, vcc_lo, exec_lo
.LBB72_459:                             ;   in Loop: Header=BB72_455 Depth=1
	s_or_b32 exec_lo, exec_lo, s1
	v_cndmask_b32_e64 v1, 0, 1, s18
	v_cmp_ne_u32_e32 vcc_lo, 0, v1
	s_cmp_lg_u32 vcc_lo, 0
	s_cselect_b32 s1, -1, 0
	s_and_b32 s1, s0, s1
	s_and_saveexec_b32 s19, s1
	s_cbranch_execz .LBB72_463
; %bb.460:                              ;   in Loop: Header=BB72_455 Depth=1
	s_mov_b32 s22, exec_lo
	s_bcnt1_i32_b32 s20, vcc_lo
	v_mbcnt_lo_u32_b32 v1, s22, 0
	s_mov_b32 s21, exec_lo
                                        ; implicit-def: $vgpr11
	v_cmpx_eq_u32_e32 0, v1
; %bb.461:                              ;   in Loop: Header=BB72_455 Depth=1
	s_bcnt1_i32_b32 s1, s22
	s_mul_i32 s1, s20, s1
	v_mov_b32_e32 v11, s1
	ds_add_rtn_u32 v11, v5, v11 offset:4108
; %bb.462:                              ;   in Loop: Header=BB72_455 Depth=1
	s_or_b32 exec_lo, exec_lo, s21
	s_waitcnt lgkmcnt(0)
	v_readfirstlane_b32 s1, v11
	v_mad_u32_u24 v11, s20, v1, s1
.LBB72_463:                             ;   in Loop: Header=BB72_455 Depth=1
	s_or_b32 exec_lo, exec_lo, s19
	ds_bpermute_b32 v11, v5, v11
	s_cmp_eq_u32 vcc_lo, 0
	s_mov_b32 s19, -1
	s_cselect_b32 s20, -1, 0
	s_waitcnt lgkmcnt(0)
	v_cmp_gt_u32_e64 s1, s37, v11
	s_or_b32 s21, s20, s1
	s_mov_b32 s20, -1
	s_and_saveexec_b32 s1, s21
	s_cbranch_execz .LBB72_454
; %bb.464:                              ;   in Loop: Header=BB72_455 Depth=1
	v_and_b32_e32 v1, vcc_lo, v27
	v_sub_nc_u32_e32 v12, s37, v11
	s_mov_b32 s21, -1
	v_bcnt_u32_b32 v1, v1, 0
	v_bcnt_u32_b32 v1, 0, v1
	v_cmp_gt_u32_e32 vcc_lo, v12, v1
	s_and_b32 s22, s18, vcc_lo
	s_and_saveexec_b32 s18, s22
	s_cbranch_execz .LBB72_468
; %bb.465:                              ;   in Loop: Header=BB72_455 Depth=1
	v_add_nc_u32_e32 v1, v11, v1
	s_mov_b32 s20, 0
	s_mov_b32 s21, exec_lo
	v_cmpx_gt_u32_e64 s37, v1
	s_cbranch_execz .LBB72_467
; %bb.466:                              ;   in Loop: Header=BB72_455 Depth=1
	v_mul_lo_u32 v12, v1, s13
	v_mul_lo_u32 v14, v1, s5
	v_mov_b32_e32 v13, v5
	v_mov_b32_e32 v15, v5
	;; [unrolled: 1-line block ×3, first 2 shown]
	s_mov_b32 s20, exec_lo
	v_lshlrev_b64 v[12:13], 3, v[12:13]
	v_lshlrev_b64 v[14:15], 3, v[14:15]
	v_add_co_u32 v12, vcc_lo, s6, v12
	v_add_co_ci_u32_e64 v13, null, s14, v13, vcc_lo
	v_add_co_u32 v14, vcc_lo, s15, v14
	v_add_co_ci_u32_e64 v15, null, s16, v15, vcc_lo
	s_waitcnt vmcnt(0)
	global_store_dwordx2 v[12:13], v[8:9], off
	global_store_dwordx2 v[14:15], v[0:1], off
.LBB72_467:                             ;   in Loop: Header=BB72_455 Depth=1
	s_or_b32 exec_lo, exec_lo, s21
	s_xor_b32 s21, exec_lo, -1
	s_orn2_b32 s20, s20, exec_lo
.LBB72_468:                             ;   in Loop: Header=BB72_455 Depth=1
	s_or_b32 exec_lo, exec_lo, s18
	s_and_saveexec_b32 s18, s20
	s_cbranch_execz .LBB72_453
; %bb.469:                              ;   in Loop: Header=BB72_455 Depth=1
	v_cmp_le_u32_e32 vcc_lo, s12, v10
	v_add_nc_u32_e32 v4, s48, v4
	s_or_b32 s21, s21, exec_lo
	s_orn2_b32 s19, vcc_lo, exec_lo
	s_branch .LBB72_453
.LBB72_470:
	s_or_b32 s10, s10, exec_lo
	s_trap 2
	s_branch .LBB72_430
.LBB72_471:
	s_or_b32 exec_lo, exec_lo, s7
	s_mov_b32 s0, 0
	s_and_saveexec_b32 s1, s17
	s_xor_b32 s1, exec_lo, s1
	s_cbranch_execnz .LBB72_477
.LBB72_472:
	s_or_b32 exec_lo, exec_lo, s1
	s_and_b32 s1, s0, exec_lo
.LBB72_473:
	s_or_b32 exec_lo, exec_lo, s2
	s_and_b32 s7, s1, exec_lo
	s_andn2_b32 s3, s3, exec_lo
	s_or_b32 exec_lo, exec_lo, s4
	s_and_saveexec_b32 s0, s3
	s_xor_b32 s0, exec_lo, s0
	s_cbranch_execz .LBB72_424
.LBB72_474:
	s_or_b32 s7, s7, exec_lo
	s_trap 2
	s_branch .LBB72_424
.LBB72_475:
	s_or_b32 s11, s11, exec_lo
	s_trap 2
	s_branch .LBB72_428
.LBB72_476:
	s_or_b32 s12, s12, exec_lo
	s_trap 2
	s_branch .LBB72_426
.LBB72_477:
	s_mov_b32 s0, exec_lo
	s_trap 2
	s_branch .LBB72_472
	.section	.rodata,"a",@progbits
	.p2align	6, 0x0
	.amdhsa_kernel _ZN2at6native6sbtopk10gatherTopKIdjLi2ELb0EEEvNS_4cuda6detail10TensorInfoIKT_T0_EES8_S8_bS8_S8_NS5_IS6_S8_EES8_NS5_IlS8_EES8_PS6_
		.amdhsa_group_segment_fixed_size 4112
		.amdhsa_private_segment_fixed_size 0
		.amdhsa_kernarg_size 952
		.amdhsa_user_sgpr_count 6
		.amdhsa_user_sgpr_private_segment_buffer 1
		.amdhsa_user_sgpr_dispatch_ptr 0
		.amdhsa_user_sgpr_queue_ptr 0
		.amdhsa_user_sgpr_kernarg_segment_ptr 1
		.amdhsa_user_sgpr_dispatch_id 0
		.amdhsa_user_sgpr_flat_scratch_init 0
		.amdhsa_user_sgpr_private_segment_size 0
		.amdhsa_wavefront_size32 1
		.amdhsa_uses_dynamic_stack 0
		.amdhsa_system_sgpr_private_segment_wavefront_offset 0
		.amdhsa_system_sgpr_workgroup_id_x 1
		.amdhsa_system_sgpr_workgroup_id_y 1
		.amdhsa_system_sgpr_workgroup_id_z 1
		.amdhsa_system_sgpr_workgroup_info 0
		.amdhsa_system_vgpr_workitem_id 0
		.amdhsa_next_free_vgpr 55
		.amdhsa_next_free_sgpr 98
		.amdhsa_reserve_vcc 1
		.amdhsa_reserve_flat_scratch 0
		.amdhsa_float_round_mode_32 0
		.amdhsa_float_round_mode_16_64 0
		.amdhsa_float_denorm_mode_32 3
		.amdhsa_float_denorm_mode_16_64 3
		.amdhsa_dx10_clamp 1
		.amdhsa_ieee_mode 1
		.amdhsa_fp16_overflow 0
		.amdhsa_workgroup_processor_mode 1
		.amdhsa_memory_ordered 1
		.amdhsa_forward_progress 1
		.amdhsa_shared_vgpr_count 0
		.amdhsa_exception_fp_ieee_invalid_op 0
		.amdhsa_exception_fp_denorm_src 0
		.amdhsa_exception_fp_ieee_div_zero 0
		.amdhsa_exception_fp_ieee_overflow 0
		.amdhsa_exception_fp_ieee_underflow 0
		.amdhsa_exception_fp_ieee_inexact 0
		.amdhsa_exception_int_div_zero 0
	.end_amdhsa_kernel
	.section	.text._ZN2at6native6sbtopk10gatherTopKIdjLi2ELb0EEEvNS_4cuda6detail10TensorInfoIKT_T0_EES8_S8_bS8_S8_NS5_IS6_S8_EES8_NS5_IlS8_EES8_PS6_,"axG",@progbits,_ZN2at6native6sbtopk10gatherTopKIdjLi2ELb0EEEvNS_4cuda6detail10TensorInfoIKT_T0_EES8_S8_bS8_S8_NS5_IS6_S8_EES8_NS5_IlS8_EES8_PS6_,comdat
.Lfunc_end72:
	.size	_ZN2at6native6sbtopk10gatherTopKIdjLi2ELb0EEEvNS_4cuda6detail10TensorInfoIKT_T0_EES8_S8_bS8_S8_NS5_IS6_S8_EES8_NS5_IlS8_EES8_PS6_, .Lfunc_end72-_ZN2at6native6sbtopk10gatherTopKIdjLi2ELb0EEEvNS_4cuda6detail10TensorInfoIKT_T0_EES8_S8_bS8_S8_NS5_IS6_S8_EES8_NS5_IlS8_EES8_PS6_
                                        ; -- End function
	.set _ZN2at6native6sbtopk10gatherTopKIdjLi2ELb0EEEvNS_4cuda6detail10TensorInfoIKT_T0_EES8_S8_bS8_S8_NS5_IS6_S8_EES8_NS5_IlS8_EES8_PS6_.num_vgpr, 55
	.set _ZN2at6native6sbtopk10gatherTopKIdjLi2ELb0EEEvNS_4cuda6detail10TensorInfoIKT_T0_EES8_S8_bS8_S8_NS5_IS6_S8_EES8_NS5_IlS8_EES8_PS6_.num_agpr, 0
	.set _ZN2at6native6sbtopk10gatherTopKIdjLi2ELb0EEEvNS_4cuda6detail10TensorInfoIKT_T0_EES8_S8_bS8_S8_NS5_IS6_S8_EES8_NS5_IlS8_EES8_PS6_.numbered_sgpr, 98
	.set _ZN2at6native6sbtopk10gatherTopKIdjLi2ELb0EEEvNS_4cuda6detail10TensorInfoIKT_T0_EES8_S8_bS8_S8_NS5_IS6_S8_EES8_NS5_IlS8_EES8_PS6_.num_named_barrier, 0
	.set _ZN2at6native6sbtopk10gatherTopKIdjLi2ELb0EEEvNS_4cuda6detail10TensorInfoIKT_T0_EES8_S8_bS8_S8_NS5_IS6_S8_EES8_NS5_IlS8_EES8_PS6_.private_seg_size, 0
	.set _ZN2at6native6sbtopk10gatherTopKIdjLi2ELb0EEEvNS_4cuda6detail10TensorInfoIKT_T0_EES8_S8_bS8_S8_NS5_IS6_S8_EES8_NS5_IlS8_EES8_PS6_.uses_vcc, 1
	.set _ZN2at6native6sbtopk10gatherTopKIdjLi2ELb0EEEvNS_4cuda6detail10TensorInfoIKT_T0_EES8_S8_bS8_S8_NS5_IS6_S8_EES8_NS5_IlS8_EES8_PS6_.uses_flat_scratch, 0
	.set _ZN2at6native6sbtopk10gatherTopKIdjLi2ELb0EEEvNS_4cuda6detail10TensorInfoIKT_T0_EES8_S8_bS8_S8_NS5_IS6_S8_EES8_NS5_IlS8_EES8_PS6_.has_dyn_sized_stack, 0
	.set _ZN2at6native6sbtopk10gatherTopKIdjLi2ELb0EEEvNS_4cuda6detail10TensorInfoIKT_T0_EES8_S8_bS8_S8_NS5_IS6_S8_EES8_NS5_IlS8_EES8_PS6_.has_recursion, 0
	.set _ZN2at6native6sbtopk10gatherTopKIdjLi2ELb0EEEvNS_4cuda6detail10TensorInfoIKT_T0_EES8_S8_bS8_S8_NS5_IS6_S8_EES8_NS5_IlS8_EES8_PS6_.has_indirect_call, 0
	.section	.AMDGPU.csdata,"",@progbits
; Kernel info:
; codeLenInByte = 15388
; TotalNumSgprs: 100
; NumVgprs: 55
; ScratchSize: 0
; MemoryBound: 0
; FloatMode: 240
; IeeeMode: 1
; LDSByteSize: 4112 bytes/workgroup (compile time only)
; SGPRBlocks: 0
; VGPRBlocks: 6
; NumSGPRsForWavesPerEU: 100
; NumVGPRsForWavesPerEU: 55
; Occupancy: 16
; WaveLimiterHint : 1
; COMPUTE_PGM_RSRC2:SCRATCH_EN: 0
; COMPUTE_PGM_RSRC2:USER_SGPR: 6
; COMPUTE_PGM_RSRC2:TRAP_HANDLER: 0
; COMPUTE_PGM_RSRC2:TGID_X_EN: 1
; COMPUTE_PGM_RSRC2:TGID_Y_EN: 1
; COMPUTE_PGM_RSRC2:TGID_Z_EN: 1
; COMPUTE_PGM_RSRC2:TIDIG_COMP_CNT: 0
	.section	.text._ZN2at6native6mbtopk23computeBlockDigitCountsIdjmLi3EEEvNS_4cuda6detail10TensorInfoIKT_T0_EEjPjjS8_iijT1_PSB_Ps,"axG",@progbits,_ZN2at6native6mbtopk23computeBlockDigitCountsIdjmLi3EEEvNS_4cuda6detail10TensorInfoIKT_T0_EEjPjjS8_iijT1_PSB_Ps,comdat
	.protected	_ZN2at6native6mbtopk23computeBlockDigitCountsIdjmLi3EEEvNS_4cuda6detail10TensorInfoIKT_T0_EEjPjjS8_iijT1_PSB_Ps ; -- Begin function _ZN2at6native6mbtopk23computeBlockDigitCountsIdjmLi3EEEvNS_4cuda6detail10TensorInfoIKT_T0_EEjPjjS8_iijT1_PSB_Ps
	.globl	_ZN2at6native6mbtopk23computeBlockDigitCountsIdjmLi3EEEvNS_4cuda6detail10TensorInfoIKT_T0_EEjPjjS8_iijT1_PSB_Ps
	.p2align	8
	.type	_ZN2at6native6mbtopk23computeBlockDigitCountsIdjmLi3EEEvNS_4cuda6detail10TensorInfoIKT_T0_EEjPjjS8_iijT1_PSB_Ps,@function
_ZN2at6native6mbtopk23computeBlockDigitCountsIdjmLi3EEEvNS_4cuda6detail10TensorInfoIKT_T0_EEjPjjS8_iijT1_PSB_Ps: ; @_ZN2at6native6mbtopk23computeBlockDigitCountsIdjmLi3EEEvNS_4cuda6detail10TensorInfoIKT_T0_EEjPjjS8_iijT1_PSB_Ps
; %bb.0:
	s_clause 0x2
	s_load_dword s18, s[4:5], 0xf8
	s_load_dwordx4 s[0:3], s[4:5], 0xe8
	s_load_dwordx2 s[10:11], s[4:5], 0x118
	s_mov_b32 s15, 0
	s_waitcnt lgkmcnt(0)
	v_cvt_f32_u32_e32 v1, s18
	s_mul_i32 s8, s11, s8
	s_sub_i32 s11, 0, s18
	s_add_i32 s7, s8, s7
	v_rcp_iflag_f32_e32 v1, v1
	s_mul_i32 s16, s7, s10
	s_add_i32 s16, s16, s6
	v_mul_f32_e32 v1, 0x4f7ffffe, v1
	v_cvt_u32_f32_e32 v1, v1
	v_readfirstlane_b32 s9, v1
	s_mul_i32 s11, s11, s9
	s_mul_hi_u32 s7, s9, s11
	s_add_i32 s9, s9, s7
	s_mul_hi_u32 s6, s16, s9
	s_mul_i32 s7, s6, s18
	s_add_i32 s8, s6, 1
	s_sub_i32 s7, s16, s7
	s_sub_i32 s9, s7, s18
	s_cmp_ge_u32 s7, s18
	s_cselect_b32 s6, s8, s6
	s_cselect_b32 s7, s9, s7
	s_add_i32 s8, s6, 1
	s_cmp_ge_u32 s7, s18
	s_cselect_b32 s14, s8, s6
	s_cmp_ge_u32 s14, s0
	s_cbranch_scc1 .LBB73_21
; %bb.1:
	s_clause 0x1
	s_load_dwordx2 s[12:13], s[4:5], 0xc
	s_load_dwordx4 s[8:11], s[4:5], 0x100
	s_lshl_b64 s[6:7], s[14:15], 3
	v_cmp_gt_u32_e32 vcc_lo, 0x100, v0
	v_lshlrev_b32_e32 v5, 2, v0
	s_waitcnt lgkmcnt(0)
	v_cvt_f32_u32_e32 v1, s13
	v_cvt_f32_u32_e32 v2, s12
	s_add_u32 s10, s10, s6
	s_addc_u32 s11, s11, s7
	s_sub_i32 s6, 0, s13
	v_rcp_iflag_f32_e32 v1, v1
	v_rcp_iflag_f32_e32 v2, v2
	v_mul_f32_e32 v1, 0x4f7ffffe, v1
	v_cvt_u32_f32_e32 v1, v1
	v_readfirstlane_b32 s0, v1
	v_mul_f32_e32 v1, 0x4f7ffffe, v2
	s_mul_i32 s15, s6, s0
	s_load_dwordx2 s[6:7], s[4:5], 0x110
	s_mul_hi_u32 s15, s0, s15
	v_cvt_u32_f32_e32 v1, v1
	s_add_i32 s0, s0, s15
	s_mul_hi_u32 s0, s14, s0
	v_readfirstlane_b32 s20, v1
	s_mul_i32 s15, s0, s13
	s_add_i32 s17, s0, 1
	s_sub_i32 s15, s14, s15
	s_sub_i32 s19, s15, s13
	s_cmp_ge_u32 s15, s13
	s_cselect_b32 s0, s17, s0
	s_cselect_b32 s15, s19, s15
	s_add_i32 s17, s0, 1
	s_cmp_ge_u32 s15, s13
	s_cselect_b32 s0, s17, s0
	s_and_saveexec_b32 s15, vcc_lo
; %bb.2:
	v_mov_b32_e32 v1, 0
	ds_write_b32 v5, v1
; %bb.3:
	s_or_b32 exec_lo, exec_lo, s15
	s_load_dword s17, s[4:5], 0xd8
	s_mul_i32 s15, s14, s18
	s_waitcnt lgkmcnt(0)
	s_sub_i32 s15, s16, s15
	s_barrier
	s_mul_i32 s19, s3, s15
	s_add_i32 s15, s15, 1
	s_lshl_b32 s19, s19, 8
	buffer_gl0_inv
	s_sub_i32 s21, s17, s19
	s_add_u32 s22, s21, 0xff
	s_addc_u32 s23, 0, 0
	s_lshr_b64 s[22:23], s[22:23], 8
	s_cmp_lt_u32 s15, s18
	s_mov_b32 s15, 0
	s_cselect_b32 s3, s3, s22
	s_cmp_lt_i32 s3, 1
	s_cbranch_scc1 .LBB73_19
; %bb.4:
	s_sub_i32 s18, 0, s12
	s_mul_i32 s13, s0, s13
	s_mul_i32 s18, s18, s20
	s_sub_i32 s13, s14, s13
	s_mul_hi_u32 s18, s20, s18
	v_add_nc_u32_e32 v6, s19, v0
	s_add_i32 s18, s20, s18
	s_clause 0x1
	s_load_dwordx4 s[20:23], s[4:5], 0x6c
	s_load_dwordx2 s[24:25], s[4:5], 0x0
	s_mul_hi_u32 s18, s0, s18
	s_waitcnt lgkmcnt(0)
	s_mul_i32 s23, s18, s12
	s_sub_i32 s14, s0, s23
	s_add_i32 s23, s18, 1
	s_sub_i32 s26, s14, s12
	s_cmp_ge_u32 s14, s12
	s_cselect_b32 s18, s23, s18
	s_cselect_b32 s4, s26, s14
	s_add_i32 s14, s18, 1
	s_cmp_ge_u32 s4, s12
	s_load_dwordx2 s[4:5], s[10:11], 0x0
	s_cselect_b32 s10, s14, s18
	s_mul_i32 s11, s10, s12
	s_sub_i32 s0, s0, s11
	s_mul_i32 s13, s13, s22
	s_mul_i32 s0, s0, s21
	;; [unrolled: 1-line block ×3, first 2 shown]
	s_add_i32 s0, s0, s13
	s_add_i32 s14, s0, s10
	s_lshl_b64 s[10:11], s[14:15], 3
	s_add_u32 s10, s24, s10
	s_addc_u32 s11, s25, s11
	s_and_b32 s2, s2, 0xff
	s_cmp_eq_u32 s3, 1
	s_cbranch_scc1 .LBB73_14
; %bb.5:
	v_add_nc_u32_e32 v1, 0x100, v6
	v_mul_lo_u32 v7, s1, v6
	v_mov_b32_e32 v2, 0
	v_mov_b32_e32 v9, 1
	;; [unrolled: 1-line block ×3, first 2 shown]
	v_mul_lo_u32 v8, s1, v1
	v_mov_b32_e32 v11, v6
	s_and_b32 s12, s3, 0x7ffffffe
	s_lshl_b32 s13, s1, 9
	s_mov_b32 s14, 0
	s_branch .LBB73_7
.LBB73_6:                               ;   in Loop: Header=BB73_7 Depth=1
	s_or_b32 exec_lo, exec_lo, s18
	v_add_nc_u32_e32 v11, 0x200, v11
	s_add_i32 s15, s15, 2
	s_add_i32 s14, s14, s13
	s_cmp_eq_u32 s12, s15
	s_cbranch_scc1 .LBB73_13
.LBB73_7:                               ; =>This Inner Loop Header: Depth=1
	s_mov_b32 s18, exec_lo
	v_cmpx_gt_u32_e64 s17, v11
	s_cbranch_execz .LBB73_10
; %bb.8:                                ;   in Loop: Header=BB73_7 Depth=1
	v_add_nc_u32_e32 v1, s14, v7
	v_lshlrev_b64 v[3:4], 3, v[1:2]
	v_add_co_u32 v3, s0, s10, v3
	v_add_co_ci_u32_e64 v4, null, s11, v4, s0
	global_load_dwordx2 v[3:4], v[3:4], off
	s_waitcnt vmcnt(0)
	v_cmp_o_f64_e64 s0, v[3:4], v[3:4]
	v_ashrrev_i32_e32 v1, 31, v4
	v_or_b32_e32 v12, 0x80000000, v1
	v_xor_b32_e32 v1, v1, v3
	v_xor_b32_e32 v12, v12, v4
	v_cndmask_b32_e64 v4, -1, v12, s0
	v_cndmask_b32_e64 v3, -1, v1, s0
	s_waitcnt lgkmcnt(0)
	v_xor_b32_e32 v1, s5, v4
	v_xor_b32_e32 v12, s4, v3
	v_and_b32_e32 v13, s9, v1
	v_and_b32_e32 v12, s8, v12
	v_cmp_eq_u64_e64 s0, 0, v[12:13]
	s_and_b32 exec_lo, exec_lo, s0
; %bb.9:                                ;   in Loop: Header=BB73_7 Depth=1
	v_lshrrev_b64 v[3:4], s2, v[3:4]
	v_lshlrev_b32_sdwa v1, v10, v3 dst_sel:DWORD dst_unused:UNUSED_PAD src0_sel:DWORD src1_sel:BYTE_0
	ds_add_u32 v1, v9
.LBB73_10:                              ;   in Loop: Header=BB73_7 Depth=1
	s_or_b32 exec_lo, exec_lo, s18
	v_add_nc_u32_e32 v1, 0x100, v11
	s_mov_b32 s18, exec_lo
	v_cmpx_gt_u32_e64 s17, v1
	s_cbranch_execz .LBB73_6
; %bb.11:                               ;   in Loop: Header=BB73_7 Depth=1
	v_add_nc_u32_e32 v1, s14, v8
	v_lshlrev_b64 v[3:4], 3, v[1:2]
	v_add_co_u32 v3, s0, s10, v3
	v_add_co_ci_u32_e64 v4, null, s11, v4, s0
	global_load_dwordx2 v[3:4], v[3:4], off
	s_waitcnt vmcnt(0)
	v_cmp_o_f64_e64 s0, v[3:4], v[3:4]
	v_ashrrev_i32_e32 v1, 31, v4
	v_or_b32_e32 v12, 0x80000000, v1
	v_xor_b32_e32 v1, v1, v3
	v_xor_b32_e32 v12, v12, v4
	v_cndmask_b32_e64 v4, -1, v12, s0
	v_cndmask_b32_e64 v3, -1, v1, s0
	s_waitcnt lgkmcnt(0)
	v_xor_b32_e32 v1, s5, v4
	v_xor_b32_e32 v12, s4, v3
	v_and_b32_e32 v13, s9, v1
	v_and_b32_e32 v12, s8, v12
	v_cmp_eq_u64_e64 s0, 0, v[12:13]
	s_and_b32 exec_lo, exec_lo, s0
	s_cbranch_execz .LBB73_6
; %bb.12:                               ;   in Loop: Header=BB73_7 Depth=1
	v_lshrrev_b64 v[3:4], s2, v[3:4]
	v_lshlrev_b32_sdwa v1, v10, v3 dst_sel:DWORD dst_unused:UNUSED_PAD src0_sel:DWORD src1_sel:BYTE_0
	ds_add_u32 v1, v9
	s_branch .LBB73_6
.LBB73_13:
	s_lshl_b32 s15, s12, 8
.LBB73_14:
	s_bitcmp0_b32 s3, 0
	s_cbranch_scc1 .LBB73_19
; %bb.15:
	v_add_nc_u32_e32 v1, s15, v6
	s_mov_b32 s3, exec_lo
	v_cmpx_gt_u32_e64 s17, v1
	s_cbranch_execz .LBB73_18
; %bb.16:
	v_mul_lo_u32 v1, v1, s1
	v_mov_b32_e32 v2, 0
	v_lshlrev_b64 v[1:2], 3, v[1:2]
	v_add_co_u32 v1, s0, s10, v1
	v_add_co_ci_u32_e64 v2, null, s11, v2, s0
	global_load_dwordx2 v[1:2], v[1:2], off
	s_waitcnt vmcnt(0)
	v_cmp_o_f64_e64 s0, v[1:2], v[1:2]
	v_ashrrev_i32_e32 v3, 31, v2
	v_or_b32_e32 v4, 0x80000000, v3
	v_xor_b32_e32 v1, v3, v1
	v_xor_b32_e32 v4, v4, v2
	v_cndmask_b32_e64 v2, -1, v4, s0
	v_cndmask_b32_e64 v1, -1, v1, s0
	s_waitcnt lgkmcnt(0)
	v_xor_b32_e32 v3, s5, v2
	v_xor_b32_e32 v6, s4, v1
	v_and_b32_e32 v4, s9, v3
	v_and_b32_e32 v3, s8, v6
	v_cmp_eq_u64_e64 s0, 0, v[3:4]
	s_and_b32 exec_lo, exec_lo, s0
	s_cbranch_execz .LBB73_18
; %bb.17:
	v_lshrrev_b64 v[1:2], s2, v[1:2]
	v_mov_b32_e32 v2, 2
	v_lshlrev_b32_sdwa v1, v2, v1 dst_sel:DWORD dst_unused:UNUSED_PAD src0_sel:DWORD src1_sel:BYTE_0
	v_mov_b32_e32 v2, 1
	ds_add_u32 v1, v2
.LBB73_18:
	s_or_b32 exec_lo, exec_lo, s3
.LBB73_19:
	s_waitcnt lgkmcnt(0)
	s_barrier
	buffer_gl0_inv
	s_and_saveexec_b32 s0, vcc_lo
	s_cbranch_execz .LBB73_21
; %bb.20:
	ds_read_b32 v2, v5
	v_lshl_or_b32 v0, s16, 8, v0
	v_mov_b32_e32 v1, 0
	v_lshlrev_b64 v[0:1], 1, v[0:1]
	v_add_co_u32 v0, vcc_lo, s6, v0
	v_add_co_ci_u32_e64 v1, null, s7, v1, vcc_lo
	s_waitcnt lgkmcnt(0)
	global_store_short v[0:1], v2, off
.LBB73_21:
	s_endpgm
	.section	.rodata,"a",@progbits
	.p2align	6, 0x0
	.amdhsa_kernel _ZN2at6native6mbtopk23computeBlockDigitCountsIdjmLi3EEEvNS_4cuda6detail10TensorInfoIKT_T0_EEjPjjS8_iijT1_PSB_Ps
		.amdhsa_group_segment_fixed_size 1024
		.amdhsa_private_segment_fixed_size 0
		.amdhsa_kernarg_size 536
		.amdhsa_user_sgpr_count 6
		.amdhsa_user_sgpr_private_segment_buffer 1
		.amdhsa_user_sgpr_dispatch_ptr 0
		.amdhsa_user_sgpr_queue_ptr 0
		.amdhsa_user_sgpr_kernarg_segment_ptr 1
		.amdhsa_user_sgpr_dispatch_id 0
		.amdhsa_user_sgpr_flat_scratch_init 0
		.amdhsa_user_sgpr_private_segment_size 0
		.amdhsa_wavefront_size32 1
		.amdhsa_uses_dynamic_stack 0
		.amdhsa_system_sgpr_private_segment_wavefront_offset 0
		.amdhsa_system_sgpr_workgroup_id_x 1
		.amdhsa_system_sgpr_workgroup_id_y 1
		.amdhsa_system_sgpr_workgroup_id_z 1
		.amdhsa_system_sgpr_workgroup_info 0
		.amdhsa_system_vgpr_workitem_id 0
		.amdhsa_next_free_vgpr 14
		.amdhsa_next_free_sgpr 27
		.amdhsa_reserve_vcc 1
		.amdhsa_reserve_flat_scratch 0
		.amdhsa_float_round_mode_32 0
		.amdhsa_float_round_mode_16_64 0
		.amdhsa_float_denorm_mode_32 3
		.amdhsa_float_denorm_mode_16_64 3
		.amdhsa_dx10_clamp 1
		.amdhsa_ieee_mode 1
		.amdhsa_fp16_overflow 0
		.amdhsa_workgroup_processor_mode 1
		.amdhsa_memory_ordered 1
		.amdhsa_forward_progress 1
		.amdhsa_shared_vgpr_count 0
		.amdhsa_exception_fp_ieee_invalid_op 0
		.amdhsa_exception_fp_denorm_src 0
		.amdhsa_exception_fp_ieee_div_zero 0
		.amdhsa_exception_fp_ieee_overflow 0
		.amdhsa_exception_fp_ieee_underflow 0
		.amdhsa_exception_fp_ieee_inexact 0
		.amdhsa_exception_int_div_zero 0
	.end_amdhsa_kernel
	.section	.text._ZN2at6native6mbtopk23computeBlockDigitCountsIdjmLi3EEEvNS_4cuda6detail10TensorInfoIKT_T0_EEjPjjS8_iijT1_PSB_Ps,"axG",@progbits,_ZN2at6native6mbtopk23computeBlockDigitCountsIdjmLi3EEEvNS_4cuda6detail10TensorInfoIKT_T0_EEjPjjS8_iijT1_PSB_Ps,comdat
.Lfunc_end73:
	.size	_ZN2at6native6mbtopk23computeBlockDigitCountsIdjmLi3EEEvNS_4cuda6detail10TensorInfoIKT_T0_EEjPjjS8_iijT1_PSB_Ps, .Lfunc_end73-_ZN2at6native6mbtopk23computeBlockDigitCountsIdjmLi3EEEvNS_4cuda6detail10TensorInfoIKT_T0_EEjPjjS8_iijT1_PSB_Ps
                                        ; -- End function
	.set _ZN2at6native6mbtopk23computeBlockDigitCountsIdjmLi3EEEvNS_4cuda6detail10TensorInfoIKT_T0_EEjPjjS8_iijT1_PSB_Ps.num_vgpr, 14
	.set _ZN2at6native6mbtopk23computeBlockDigitCountsIdjmLi3EEEvNS_4cuda6detail10TensorInfoIKT_T0_EEjPjjS8_iijT1_PSB_Ps.num_agpr, 0
	.set _ZN2at6native6mbtopk23computeBlockDigitCountsIdjmLi3EEEvNS_4cuda6detail10TensorInfoIKT_T0_EEjPjjS8_iijT1_PSB_Ps.numbered_sgpr, 27
	.set _ZN2at6native6mbtopk23computeBlockDigitCountsIdjmLi3EEEvNS_4cuda6detail10TensorInfoIKT_T0_EEjPjjS8_iijT1_PSB_Ps.num_named_barrier, 0
	.set _ZN2at6native6mbtopk23computeBlockDigitCountsIdjmLi3EEEvNS_4cuda6detail10TensorInfoIKT_T0_EEjPjjS8_iijT1_PSB_Ps.private_seg_size, 0
	.set _ZN2at6native6mbtopk23computeBlockDigitCountsIdjmLi3EEEvNS_4cuda6detail10TensorInfoIKT_T0_EEjPjjS8_iijT1_PSB_Ps.uses_vcc, 1
	.set _ZN2at6native6mbtopk23computeBlockDigitCountsIdjmLi3EEEvNS_4cuda6detail10TensorInfoIKT_T0_EEjPjjS8_iijT1_PSB_Ps.uses_flat_scratch, 0
	.set _ZN2at6native6mbtopk23computeBlockDigitCountsIdjmLi3EEEvNS_4cuda6detail10TensorInfoIKT_T0_EEjPjjS8_iijT1_PSB_Ps.has_dyn_sized_stack, 0
	.set _ZN2at6native6mbtopk23computeBlockDigitCountsIdjmLi3EEEvNS_4cuda6detail10TensorInfoIKT_T0_EEjPjjS8_iijT1_PSB_Ps.has_recursion, 0
	.set _ZN2at6native6mbtopk23computeBlockDigitCountsIdjmLi3EEEvNS_4cuda6detail10TensorInfoIKT_T0_EEjPjjS8_iijT1_PSB_Ps.has_indirect_call, 0
	.section	.AMDGPU.csdata,"",@progbits
; Kernel info:
; codeLenInByte = 1272
; TotalNumSgprs: 29
; NumVgprs: 14
; ScratchSize: 0
; MemoryBound: 0
; FloatMode: 240
; IeeeMode: 1
; LDSByteSize: 1024 bytes/workgroup (compile time only)
; SGPRBlocks: 0
; VGPRBlocks: 1
; NumSGPRsForWavesPerEU: 29
; NumVGPRsForWavesPerEU: 14
; Occupancy: 16
; WaveLimiterHint : 1
; COMPUTE_PGM_RSRC2:SCRATCH_EN: 0
; COMPUTE_PGM_RSRC2:USER_SGPR: 6
; COMPUTE_PGM_RSRC2:TRAP_HANDLER: 0
; COMPUTE_PGM_RSRC2:TGID_X_EN: 1
; COMPUTE_PGM_RSRC2:TGID_Y_EN: 1
; COMPUTE_PGM_RSRC2:TGID_Z_EN: 1
; COMPUTE_PGM_RSRC2:TIDIG_COMP_CNT: 0
	.section	.text._ZN2at6native6mbtopk10gatherTopKIdjLi3EEEvNS_4cuda6detail10TensorInfoIKT_T0_EES8_S8_bjS8_NS5_IS6_S8_EES8_NS5_IlS8_EES8_jjPS6_PjSD_j,"axG",@progbits,_ZN2at6native6mbtopk10gatherTopKIdjLi3EEEvNS_4cuda6detail10TensorInfoIKT_T0_EES8_S8_bjS8_NS5_IS6_S8_EES8_NS5_IlS8_EES8_jjPS6_PjSD_j,comdat
	.protected	_ZN2at6native6mbtopk10gatherTopKIdjLi3EEEvNS_4cuda6detail10TensorInfoIKT_T0_EES8_S8_bjS8_NS5_IS6_S8_EES8_NS5_IlS8_EES8_jjPS6_PjSD_j ; -- Begin function _ZN2at6native6mbtopk10gatherTopKIdjLi3EEEvNS_4cuda6detail10TensorInfoIKT_T0_EES8_S8_bjS8_NS5_IS6_S8_EES8_NS5_IlS8_EES8_jjPS6_PjSD_j
	.globl	_ZN2at6native6mbtopk10gatherTopKIdjLi3EEEvNS_4cuda6detail10TensorInfoIKT_T0_EES8_S8_bjS8_NS5_IS6_S8_EES8_NS5_IlS8_EES8_jjPS6_PjSD_j
	.p2align	8
	.type	_ZN2at6native6mbtopk10gatherTopKIdjLi3EEEvNS_4cuda6detail10TensorInfoIKT_T0_EES8_S8_bjS8_NS5_IS6_S8_EES8_NS5_IlS8_EES8_jjPS6_PjSD_j,@function
_ZN2at6native6mbtopk10gatherTopKIdjLi3EEEvNS_4cuda6detail10TensorInfoIKT_T0_EES8_S8_bjS8_NS5_IS6_S8_EES8_NS5_IlS8_EES8_jjPS6_PjSD_j: ; @_ZN2at6native6mbtopk10gatherTopKIdjLi3EEEvNS_4cuda6detail10TensorInfoIKT_T0_EES8_S8_bjS8_NS5_IS6_S8_EES8_NS5_IlS8_EES8_jjPS6_PjSD_j
; %bb.0:
	s_clause 0x1
	s_load_dwordx2 s[0:1], s[4:5], 0x2d8
	s_load_dword s2, s[4:5], 0x2d0
	s_waitcnt lgkmcnt(0)
	s_mul_i32 s1, s1, s8
	s_add_i32 s1, s1, s7
	s_mul_i32 s0, s1, s0
	s_add_i32 s0, s0, s6
	s_cmp_ge_u32 s0, s2
	s_cbranch_scc1 .LBB74_40
; %bb.1:
	s_clause 0x6
	s_load_dwordx8 s[8:15], s[4:5], 0x2a8
	s_load_dwordx2 s[38:39], s[4:5], 0xc
	s_load_dwordx2 s[36:37], s[4:5], 0xfc
	;; [unrolled: 1-line block ×4, first 2 shown]
	s_load_dwordx4 s[20:23], s[4:5], 0x15c
	s_load_dwordx2 s[2:3], s[4:5], 0x1d0
	s_mov_b32 s41, 0
	s_waitcnt lgkmcnt(0)
	v_cvt_f32_u32_e32 v1, s10
	v_cvt_f32_u32_e32 v2, s39
	s_sub_i32 s1, 0, s10
	v_cvt_f32_u32_e32 v4, s37
	v_cvt_f32_u32_e32 v3, s38
	v_rcp_iflag_f32_e32 v1, v1
	v_rcp_iflag_f32_e32 v2, v2
	v_cvt_f32_u32_e32 v5, s36
	v_rcp_iflag_f32_e32 v4, v4
	v_rcp_iflag_f32_e32 v3, v3
	;; [unrolled: 3-line block ×3, first 2 shown]
	v_mul_f32_e32 v1, 0x4f7ffffe, v1
	v_mul_f32_e32 v2, 0x4f7ffffe, v2
	;; [unrolled: 1-line block ×3, first 2 shown]
	v_cvt_u32_f32_e32 v1, v1
	v_cvt_u32_f32_e32 v2, v2
	;; [unrolled: 1-line block ×3, first 2 shown]
	v_readfirstlane_b32 s11, v1
	v_readfirstlane_b32 s18, v2
	v_mul_f32_e32 v2, 0x4f7ffffe, v4
	v_mul_f32_e32 v4, 0x4f7ffffe, v5
	;; [unrolled: 1-line block ×3, first 2 shown]
	s_mul_i32 s1, s1, s11
	v_cvt_f32_u32_e32 v1, s34
	s_mul_hi_u32 s1, s11, s1
	v_cvt_u32_f32_e32 v2, v2
	s_add_i32 s11, s11, s1
	s_mul_hi_u32 s1, s0, s11
	v_rcp_iflag_f32_e32 v1, v1
	s_mul_i32 s11, s1, s10
	s_add_i32 s16, s1, 1
	s_sub_i32 s11, s0, s11
	s_sub_i32 s17, s11, s10
	s_cmp_ge_u32 s11, s10
	s_cselect_b32 s1, s16, s1
	s_cselect_b32 s11, s17, s11
	s_add_i32 s16, s1, 1
	s_cmp_ge_u32 s11, s10
	v_mul_f32_e32 v1, 0x4f7ffffe, v1
	s_cselect_b32 s40, s16, s1
	s_sub_i32 s1, 0, s39
	s_mul_i32 s28, s40, s10
	s_mul_i32 s1, s1, s18
	s_sub_i32 s11, s0, s28
	s_mul_hi_u32 s1, s18, s1
	v_cvt_u32_f32_e32 v1, v1
	s_add_i32 s18, s18, s1
	s_mul_hi_u32 s1, s40, s18
	v_readfirstlane_b32 s18, v2
	s_mul_i32 s16, s1, s39
	v_cvt_u32_f32_e32 v2, v4
	s_sub_i32 s0, s40, s16
	s_add_i32 s16, s1, 1
	s_sub_i32 s17, s0, s39
	s_cmp_ge_u32 s0, s39
	v_readfirstlane_b32 s24, v1
	s_cselect_b32 s1, s16, s1
	s_cselect_b32 s0, s17, s0
	s_add_i32 s16, s1, 1
	s_cmp_ge_u32 s0, s39
	s_cselect_b32 s50, s16, s1
	s_sub_i32 s0, 0, s37
	v_readfirstlane_b32 s1, v3
	s_mul_i32 s0, s0, s18
	s_sub_i32 s16, 0, s38
	s_mul_hi_u32 s0, s18, s0
	v_cvt_u32_f32_e32 v3, v5
	s_add_i32 s18, s18, s0
	s_mul_i32 s16, s16, s1
	s_mul_hi_u32 s0, s40, s18
	s_mul_hi_u32 s16, s1, s16
	s_mul_i32 s17, s0, s37
	s_add_i32 s29, s1, s16
	s_sub_i32 s1, s40, s17
	s_add_i32 s16, s0, 1
	s_sub_i32 s17, s1, s37
	s_cmp_ge_u32 s1, s37
	v_readfirstlane_b32 s18, v3
	s_cselect_b32 s0, s16, s0
	s_cselect_b32 s1, s17, s1
	s_add_i32 s16, s0, 1
	s_cmp_ge_u32 s1, s37
	v_readfirstlane_b32 s1, v2
	s_cselect_b32 s33, s16, s0
	s_sub_i32 s0, 0, s35
	s_sub_i32 s16, 0, s36
	s_mul_i32 s0, s0, s18
	s_mul_i32 s16, s16, s1
	s_mul_hi_u32 s0, s18, s0
	s_mul_hi_u32 s16, s1, s16
	s_add_i32 s18, s18, s0
	s_add_i32 s30, s1, s16
	s_mul_hi_u32 s0, s40, s18
	s_mul_hi_u32 s51, s50, s29
	s_mul_i32 s17, s0, s35
	s_add_i32 s16, s0, 1
	s_sub_i32 s1, s40, s17
	s_sub_i32 s17, s1, s35
	s_cmp_ge_u32 s1, s35
	s_cselect_b32 s0, s16, s0
	s_cselect_b32 s1, s17, s1
	s_add_i32 s16, s0, 1
	s_cmp_ge_u32 s1, s35
	s_cselect_b32 s23, s16, s0
	s_sub_i32 s0, 0, s34
	s_load_dwordx4 s[16:19], s[4:5], 0x23c
	s_mul_i32 s0, s0, s24
	s_waitcnt lgkmcnt(0)
	s_mul_hi_u32 s19, s24, s0
	s_lshl_b64 s[0:1], s[40:41], 3
	s_add_i32 s19, s24, s19
	s_add_u32 s0, s12, s0
	s_addc_u32 s1, s13, s1
	s_clause 0x1
	s_load_dwordx2 s[44:45], s[4:5], 0xf0
	s_load_dwordx4 s[24:27], s[4:5], 0x6c
	s_load_dwordx2 s[42:43], s[0:1], 0x0
	v_cmp_ne_u32_e64 s0, 0, v0
	v_cmp_eq_u32_e64 s1, 0, v0
	s_waitcnt lgkmcnt(0)
	s_mul_hi_u32 s27, s33, s30
	s_mul_hi_u32 s19, s23, s19
	s_and_saveexec_b32 s52, s1
	s_cbranch_execz .LBB74_17
; %bb.2:
	s_load_dwordx2 s[12:13], s[4:5], 0x2c8
	s_mov_b32 s29, s41
	s_lshl_b64 s[46:47], s[28:29], 2
	s_add_u32 s28, s14, s46
	s_addc_u32 s29, s15, s47
	s_waitcnt lgkmcnt(0)
	s_add_u32 s30, s12, s46
	s_addc_u32 s31, s13, s47
	s_cmp_lt_u32 s10, 4
	s_cbranch_scc1 .LBB74_14
; %bb.3:
	s_mov_b32 s53, s41
	s_mov_b32 s54, s41
	;; [unrolled: 1-line block ×3, first 2 shown]
.LBB74_4:                               ; =>This Inner Loop Header: Depth=1
	s_add_u32 s28, s14, s46
	s_addc_u32 s29, s15, s47
	s_add_u32 s48, s12, s46
	s_load_dwordx4 s[28:31], s[28:29], 0x0
	s_addc_u32 s49, s13, s47
	s_cmp_ge_u32 s55, s11
	s_cbranch_scc0 .LBB74_11
; %bb.5:                                ;   in Loop: Header=BB74_4 Depth=1
	s_add_i32 s56, s55, 1
	s_cmp_ge_u32 s56, s11
	s_cbranch_scc0 .LBB74_12
.LBB74_6:                               ;   in Loop: Header=BB74_4 Depth=1
	s_add_i32 s56, s56, 1
	s_cmp_ge_u32 s56, s11
	s_cbranch_scc0 .LBB74_13
.LBB74_7:                               ;   in Loop: Header=BB74_4 Depth=1
	s_add_i32 s56, s56, 1
	s_cmp_ge_u32 s56, s11
	s_cbranch_scc1 .LBB74_9
.LBB74_8:                               ;   in Loop: Header=BB74_4 Depth=1
	s_load_dword s48, s[48:49], 0xc
	s_waitcnt lgkmcnt(0)
	s_add_i32 s41, s41, s31
	s_add_i32 s53, s48, s53
.LBB74_9:                               ;   in Loop: Header=BB74_4 Depth=1
	s_waitcnt lgkmcnt(0)
	s_add_i32 s28, s28, s54
	s_add_i32 s28, s28, s29
	;; [unrolled: 1-line block ×4, first 2 shown]
	s_add_u32 s14, s14, 16
	s_addc_u32 s15, s15, 0
	s_add_u32 s12, s12, 16
	s_addc_u32 s13, s13, 0
	s_add_i32 s49, s56, 4
	s_add_u32 s30, s12, s46
	s_addc_u32 s31, s13, s47
	s_add_u32 s28, s14, s46
	s_addc_u32 s29, s15, s47
	s_add_i32 s48, s56, 1
	s_cmp_ge_u32 s49, s10
	s_cbranch_scc1 .LBB74_15
; %bb.10:                               ;   in Loop: Header=BB74_4 Depth=1
	s_mov_b32 s55, s48
	s_branch .LBB74_4
.LBB74_11:                              ;   in Loop: Header=BB74_4 Depth=1
	s_load_dword s56, s[48:49], 0x0
	s_waitcnt lgkmcnt(0)
	s_add_i32 s41, s28, s41
	s_add_i32 s53, s56, s53
	;; [unrolled: 1-line block ×3, first 2 shown]
	s_cmp_ge_u32 s56, s11
	s_cbranch_scc1 .LBB74_6
.LBB74_12:                              ;   in Loop: Header=BB74_4 Depth=1
	s_load_dword s57, s[48:49], 0x4
	s_waitcnt lgkmcnt(0)
	s_add_i32 s41, s41, s29
	s_add_i32 s53, s57, s53
	s_add_i32 s56, s56, 1
	s_cmp_ge_u32 s56, s11
	s_cbranch_scc1 .LBB74_7
.LBB74_13:                              ;   in Loop: Header=BB74_4 Depth=1
	s_load_dword s57, s[48:49], 0x8
	s_waitcnt lgkmcnt(0)
	s_add_i32 s41, s41, s30
	s_add_i32 s53, s57, s53
	;; [unrolled: 1-line block ×3, first 2 shown]
	s_cmp_ge_u32 s56, s11
	s_cbranch_scc0 .LBB74_8
	s_branch .LBB74_9
.LBB74_14:
	s_mov_b32 s53, 0
	s_mov_b32 s54, 0
	;; [unrolled: 1-line block ×3, first 2 shown]
	s_cmp_ge_u32 s12, s10
	s_cbranch_scc0 .LBB74_38
	s_branch .LBB74_16
.LBB74_15:
	s_add_i32 s12, s55, 4
	s_cmp_ge_u32 s12, s10
	s_cbranch_scc0 .LBB74_38
.LBB74_16:
	v_mov_b32_e32 v1, s53
	v_mov_b32_e32 v2, s54
	;; [unrolled: 1-line block ×4, first 2 shown]
	ds_write_b96 v4, v[1:3] offset:1056
.LBB74_17:
	s_or_b32 exec_lo, exec_lo, s52
	s_load_dwordx4 s[12:15], s[4:5], 0xd8
	s_waitcnt lgkmcnt(0)
	s_mul_i32 s15, s9, s11
	s_add_i32 s11, s11, 1
	s_lshl_b32 s28, s15, 8
	s_barrier
	buffer_gl0_inv
	s_sub_i32 s15, s12, s28
	s_add_u32 s30, s15, 0xff
	s_addc_u32 s31, 0, 0
	s_lshr_b64 s[30:31], s[30:31], 8
	s_cmp_lt_u32 s11, s10
	s_mov_b32 s11, 0
	s_cselect_b32 s9, s9, s30
	s_cmp_eq_u32 s9, 0
	s_cbranch_scc1 .LBB74_40
; %bb.18:
	s_mul_i32 s15, s51, s38
	s_mul_i32 s10, s50, s39
	s_sub_i32 s15, s50, s15
	s_sub_i32 s10, s40, s10
	s_add_i32 s29, s51, 1
	s_sub_i32 s30, s15, s38
	s_cmp_ge_u32 s15, s38
	s_mul_i32 s10, s10, s26
	s_cselect_b32 s29, s29, s51
	s_cselect_b32 s15, s30, s15
	s_add_i32 s30, s29, 1
	s_cmp_ge_u32 s15, s38
	s_mul_i32 s15, s33, s37
	s_cselect_b32 s29, s30, s29
	s_mul_i32 s30, s27, s36
	s_mul_i32 s31, s29, s38
	s_mul_i32 s29, s29, s24
	s_sub_i32 s26, s50, s31
	s_sub_i32 s24, s33, s30
	s_mul_i32 s25, s26, s25
	s_sub_i32 s15, s40, s15
	s_add_i32 s10, s25, s10
	s_add_i32 s25, s27, 1
	;; [unrolled: 1-line block ×3, first 2 shown]
	s_sub_i32 s26, s24, s36
	s_cmp_ge_u32 s24, s36
	s_mul_i32 s15, s15, s22
	s_cselect_b32 s25, s25, s27
	s_cselect_b32 s24, s26, s24
	s_add_i32 s26, s25, 1
	s_cmp_ge_u32 s24, s36
	s_mul_i32 s27, s19, s34
	s_cselect_b32 s24, s26, s25
	s_mul_i32 s25, s23, s35
	s_mul_i32 s26, s24, s36
	;; [unrolled: 1-line block ×3, first 2 shown]
	s_sub_i32 s26, s33, s26
	s_add_i32 s22, s19, 1
	s_mul_i32 s21, s26, s21
	v_mov_b32_e32 v5, 0
	s_add_i32 s15, s21, s15
	s_sub_i32 s21, s40, s25
	s_add_i32 s20, s15, s24
	s_sub_i32 s15, s23, s27
	s_mul_i32 s21, s21, s18
	s_sub_i32 s24, s15, s34
	s_cmp_ge_u32 s15, s34
	ds_read_b96 v[1:3], v5 offset:1056
	s_cselect_b32 s19, s22, s19
	s_cselect_b32 s15, s24, s15
	s_add_i32 s22, s19, 1
	s_cmp_ge_u32 s15, s34
	v_lshrrev_b32_e32 v4, 3, v0
	s_cselect_b32 s15, s22, s19
	v_cmp_o_f64_e64 s22, s[42:43], s[42:43]
	s_mul_i32 s19, s15, s34
	s_mul_i32 s15, s15, s16
	s_sub_i32 s19, s23, s19
	v_add_nc_u32_e32 v6, -1, v0
	s_mul_i32 s17, s19, s17
	s_mov_b32 s19, s11
	s_add_i32 s18, s17, s21
	s_lshl_b64 s[16:17], s[10:11], 3
	s_add_i32 s18, s18, s15
	s_mov_b32 s21, s11
	s_add_u32 s10, s6, s16
	s_addc_u32 s15, s7, s17
	s_lshl_b64 s[6:7], s[20:21], 3
	v_and_b32_e32 v4, 28, v4
	s_add_u32 s16, s44, s6
	s_addc_u32 s11, s45, s7
	s_lshl_b64 s[6:7], s[18:19], 3
	s_clause 0x1
	s_load_dword s19, s[4:5], 0xe8
	s_load_dword s4, s[4:5], 0x1c8
	v_lshrrev_b32_e32 v7, 3, v6
	s_add_u32 s17, s2, s6
	s_addc_u32 s18, s3, s7
	s_ashr_i32 s2, s43, 31
	s_waitcnt lgkmcnt(0)
	v_add_nc_u32_e32 v8, v1, v2
	v_lshl_add_u32 v9, v0, 2, v4
	v_and_b32_e32 v4, 0x1ffffffc, v7
	v_add_nc_u32_e32 v1, s28, v0
	s_or_b32 s3, s2, 0x80000000
	v_and_b32_e32 v2, 0xfc, v0
	s_xor_b64 s[2:3], s[2:3], s[42:43]
	v_lshlrev_b32_e32 v7, 5, v0
	v_mbcnt_lo_u32_b32 v10, -1, 0
	s_and_b32 s6, s22, exec_lo
	s_cselect_b32 s6, s2, -1
	v_cmp_gt_u32_e64 s2, 32, v0
	v_lshl_add_u32 v0, v6, 2, v4
	v_add_nc_u32_e32 v11, v2, v7
	v_mul_lo_u32 v4, s19, v1
	v_and_b32_e32 v12, 15, v10
	v_bfe_i32 v13, v10, 4, 1
	v_add_nc_u32_e32 v14, -1, v10
	s_cselect_b32 s7, s3, -1
	s_bitcmp1_b32 s14, 0
                                        ; implicit-def: $vgpr6_vgpr7
	s_cselect_b32 s3, -1, 0
	s_lshl_b32 s5, s19, 8
	s_branch .LBB74_21
.LBB74_19:                              ;   in Loop: Header=BB74_21 Depth=1
	s_or_b32 exec_lo, exec_lo, s14
	v_add_nc_u32_e32 v8, v17, v8
.LBB74_20:                              ;   in Loop: Header=BB74_21 Depth=1
	v_add_nc_u32_e32 v3, v16, v3
	v_add_nc_u32_e32 v4, s5, v4
	;; [unrolled: 1-line block ×3, first 2 shown]
	s_add_i32 s9, s9, -1
	s_cmp_lg_u32 s9, 0
	s_cbranch_scc0 .LBB74_40
.LBB74_21:                              ; =>This Inner Loop Header: Depth=1
	v_mov_b32_e32 v2, 0
	v_mov_b32_e32 v15, 0
	s_mov_b32 s14, exec_lo
	v_cmpx_gt_u32_e64 s12, v1
	s_cbranch_execz .LBB74_23
; %bb.22:                               ;   in Loop: Header=BB74_21 Depth=1
	v_lshlrev_b64 v[6:7], 3, v[4:5]
	v_add_co_u32 v6, vcc_lo, s10, v6
	v_add_co_ci_u32_e64 v7, null, s15, v7, vcc_lo
	global_load_dwordx2 v[6:7], v[6:7], off
	s_waitcnt vmcnt(0)
	v_cmp_o_f64_e32 vcc_lo, v[6:7], v[6:7]
	v_ashrrev_i32_e32 v2, 31, v7
	v_or_b32_e32 v15, 0x80000000, v2
	v_xor_b32_e32 v2, v2, v6
	v_xor_b32_e32 v15, v15, v7
	v_cndmask_b32_e32 v16, -1, v15, vcc_lo
	v_cndmask_b32_e32 v15, -1, v2, vcc_lo
	v_cmp_lt_u64_e32 vcc_lo, s[6:7], v[15:16]
	v_cndmask_b32_e64 v2, 0, 1, vcc_lo
	v_cmp_gt_u64_e32 vcc_lo, s[6:7], v[15:16]
	v_cndmask_b32_e64 v17, 0, 1, vcc_lo
	v_cmp_eq_u64_e32 vcc_lo, s[6:7], v[15:16]
	v_cndmask_b32_e64 v2, v17, v2, s3
	v_cndmask_b32_e64 v15, 0, 1, vcc_lo
	v_and_b32_e32 v2, 1, v2
.LBB74_23:                              ;   in Loop: Header=BB74_21 Depth=1
	s_or_b32 exec_lo, exec_lo, s14
	ds_write_b32 v9, v2
	s_waitcnt lgkmcnt(0)
	s_barrier
	buffer_gl0_inv
	s_and_saveexec_b32 s14, s2
	s_cbranch_execz .LBB74_25
; %bb.24:                               ;   in Loop: Header=BB74_21 Depth=1
	ds_read2_b32 v[16:17], v11 offset1:1
	ds_read2_b32 v[18:19], v11 offset0:2 offset1:3
	ds_read2_b32 v[20:21], v11 offset0:4 offset1:5
	;; [unrolled: 1-line block ×3, first 2 shown]
	v_cmp_ne_u32_e32 vcc_lo, 0, v12
	; wave barrier
	s_waitcnt lgkmcnt(3)
	v_add_nc_u32_e32 v17, v17, v16
	s_waitcnt lgkmcnt(2)
	v_add3_u32 v17, v17, v18, v19
	s_waitcnt lgkmcnt(1)
	v_add3_u32 v17, v17, v20, v21
	s_waitcnt lgkmcnt(0)
	v_add3_u32 v17, v17, v22, v23
	v_mov_b32_dpp v18, v17 row_shr:1 row_mask:0xf bank_mask:0xf
	v_cndmask_b32_e32 v18, 0, v18, vcc_lo
	v_cmp_lt_u32_e32 vcc_lo, 1, v12
	v_add_nc_u32_e32 v17, v18, v17
	v_mov_b32_dpp v18, v17 row_shr:2 row_mask:0xf bank_mask:0xf
	v_cndmask_b32_e32 v18, 0, v18, vcc_lo
	v_cmp_lt_u32_e32 vcc_lo, 3, v12
	v_add_nc_u32_e32 v17, v17, v18
	;; [unrolled: 4-line block ×3, first 2 shown]
	v_mov_b32_dpp v18, v17 row_shr:8 row_mask:0xf bank_mask:0xf
	v_cndmask_b32_e32 v18, 0, v18, vcc_lo
	v_cmp_gt_i32_e32 vcc_lo, 0, v14
	v_add_nc_u32_e32 v17, v17, v18
	v_cndmask_b32_e32 v19, v14, v10, vcc_lo
	ds_swizzle_b32 v18, v17 offset:swizzle(BROADCAST,32,15)
	v_lshlrev_b32_e32 v19, 2, v19
	s_waitcnt lgkmcnt(0)
	v_and_b32_e32 v18, v13, v18
	v_add_nc_u32_e32 v17, v17, v18
	ds_bpermute_b32 v17, v19, v17
	s_waitcnt lgkmcnt(0)
	v_add_nc_u32_e32 v16, v17, v16
	v_cndmask_b32_e64 v22, v16, v2, s1
	ds_write_b32 v11, v22
	; wave barrier
	ds_read2_b32 v[16:17], v11 offset0:1 offset1:2
	ds_read2_b32 v[18:19], v11 offset0:3 offset1:4
	;; [unrolled: 1-line block ×3, first 2 shown]
	ds_read_b32 v23, v11 offset:28
	s_waitcnt lgkmcnt(3)
	v_add_nc_u32_e32 v16, v16, v22
	v_add_nc_u32_e32 v17, v17, v16
	s_waitcnt lgkmcnt(2)
	v_add_nc_u32_e32 v18, v18, v17
	v_add_nc_u32_e32 v19, v19, v18
	;; [unrolled: 3-line block ×3, first 2 shown]
	s_waitcnt lgkmcnt(0)
	v_add_nc_u32_e32 v22, v23, v21
	ds_write2_b32 v11, v16, v17 offset0:1 offset1:2
	ds_write2_b32 v11, v18, v19 offset0:3 offset1:4
	;; [unrolled: 1-line block ×3, first 2 shown]
	ds_write_b32 v11, v22 offset:28
.LBB74_25:                              ;   in Loop: Header=BB74_21 Depth=1
	s_or_b32 exec_lo, exec_lo, s14
	v_mov_b32_e32 v17, 0
	s_waitcnt lgkmcnt(0)
	s_barrier
	buffer_gl0_inv
	s_and_saveexec_b32 s14, s0
; %bb.26:                               ;   in Loop: Header=BB74_21 Depth=1
	ds_read_b32 v17, v0
; %bb.27:                               ;   in Loop: Header=BB74_21 Depth=1
	s_or_b32 exec_lo, exec_lo, s14
	ds_read_b32 v16, v5 offset:1048
	s_mov_b32 s14, exec_lo
	s_waitcnt lgkmcnt(0)
	s_barrier
	buffer_gl0_inv
	v_cmpx_ne_u32_e32 0, v2
	s_cbranch_execz .LBB74_29
; %bb.28:                               ;   in Loop: Header=BB74_21 Depth=1
	v_add_nc_u32_e32 v2, v17, v3
	v_mov_b32_e32 v18, v5
	v_mov_b32_e32 v20, v5
	v_mul_lo_u32 v17, v2, s4
	v_mul_lo_u32 v19, v2, s8
	v_mov_b32_e32 v2, v5
	v_lshlrev_b64 v[17:18], 3, v[17:18]
	v_lshlrev_b64 v[19:20], 3, v[19:20]
	v_add_co_u32 v17, vcc_lo, s16, v17
	v_add_co_ci_u32_e64 v18, null, s11, v18, vcc_lo
	v_add_co_u32 v19, vcc_lo, s17, v19
	v_add_co_ci_u32_e64 v20, null, s18, v20, vcc_lo
	global_store_dwordx2 v[17:18], v[6:7], off
	global_store_dwordx2 v[19:20], v[1:2], off
.LBB74_29:                              ;   in Loop: Header=BB74_21 Depth=1
	s_or_b32 exec_lo, exec_lo, s14
	v_cmp_le_u32_e32 vcc_lo, s13, v8
	s_cbranch_vccnz .LBB74_20
; %bb.30:                               ;   in Loop: Header=BB74_21 Depth=1
	ds_write_b32 v9, v15
	s_waitcnt lgkmcnt(0)
	s_waitcnt_vscnt null, 0x0
	s_barrier
	buffer_gl0_inv
	s_and_saveexec_b32 s14, s2
	s_cbranch_execz .LBB74_32
; %bb.31:                               ;   in Loop: Header=BB74_21 Depth=1
	ds_read2_b32 v[17:18], v11 offset1:1
	ds_read2_b32 v[19:20], v11 offset0:2 offset1:3
	ds_read2_b32 v[21:22], v11 offset0:4 offset1:5
	;; [unrolled: 1-line block ×3, first 2 shown]
	v_cmp_ne_u32_e32 vcc_lo, 0, v12
	; wave barrier
	s_waitcnt lgkmcnt(3)
	v_add_nc_u32_e32 v2, v18, v17
	s_waitcnt lgkmcnt(2)
	v_add3_u32 v2, v2, v19, v20
	s_waitcnt lgkmcnt(1)
	v_add3_u32 v2, v2, v21, v22
	;; [unrolled: 2-line block ×3, first 2 shown]
	v_mov_b32_dpp v18, v2 row_shr:1 row_mask:0xf bank_mask:0xf
	v_cndmask_b32_e32 v18, 0, v18, vcc_lo
	v_cmp_lt_u32_e32 vcc_lo, 1, v12
	v_add_nc_u32_e32 v2, v18, v2
	v_mov_b32_dpp v18, v2 row_shr:2 row_mask:0xf bank_mask:0xf
	v_cndmask_b32_e32 v18, 0, v18, vcc_lo
	v_cmp_lt_u32_e32 vcc_lo, 3, v12
	v_add_nc_u32_e32 v2, v2, v18
	;; [unrolled: 4-line block ×3, first 2 shown]
	v_mov_b32_dpp v18, v2 row_shr:8 row_mask:0xf bank_mask:0xf
	v_cndmask_b32_e32 v18, 0, v18, vcc_lo
	v_cmp_gt_i32_e32 vcc_lo, 0, v14
	v_add_nc_u32_e32 v2, v2, v18
	v_cndmask_b32_e32 v19, v14, v10, vcc_lo
	ds_swizzle_b32 v18, v2 offset:swizzle(BROADCAST,32,15)
	v_lshlrev_b32_e32 v19, 2, v19
	s_waitcnt lgkmcnt(0)
	v_and_b32_e32 v18, v13, v18
	v_add_nc_u32_e32 v2, v2, v18
	ds_bpermute_b32 v2, v19, v2
	s_waitcnt lgkmcnt(0)
	v_add_nc_u32_e32 v2, v2, v17
	v_cndmask_b32_e64 v2, v2, v15, s1
	ds_write_b32 v11, v2
	; wave barrier
	ds_read2_b32 v[17:18], v11 offset0:1 offset1:2
	ds_read2_b32 v[19:20], v11 offset0:3 offset1:4
	;; [unrolled: 1-line block ×3, first 2 shown]
	ds_read_b32 v23, v11 offset:28
	s_waitcnt lgkmcnt(3)
	v_add_nc_u32_e32 v2, v17, v2
	v_add_nc_u32_e32 v17, v18, v2
	s_waitcnt lgkmcnt(2)
	v_add_nc_u32_e32 v18, v19, v17
	v_add_nc_u32_e32 v19, v20, v18
	;; [unrolled: 3-line block ×3, first 2 shown]
	s_waitcnt lgkmcnt(0)
	v_add_nc_u32_e32 v22, v23, v21
	ds_write2_b32 v11, v2, v17 offset0:1 offset1:2
	ds_write2_b32 v11, v18, v19 offset0:3 offset1:4
	;; [unrolled: 1-line block ×3, first 2 shown]
	ds_write_b32 v11, v22 offset:28
.LBB74_32:                              ;   in Loop: Header=BB74_21 Depth=1
	s_or_b32 exec_lo, exec_lo, s14
	v_mov_b32_e32 v2, 0
	s_waitcnt lgkmcnt(0)
	s_barrier
	buffer_gl0_inv
	s_and_saveexec_b32 s14, s0
; %bb.33:                               ;   in Loop: Header=BB74_21 Depth=1
	ds_read_b32 v2, v0
; %bb.34:                               ;   in Loop: Header=BB74_21 Depth=1
	s_or_b32 exec_lo, exec_lo, s14
	ds_read_b32 v17, v5 offset:1048
	s_mov_b32 s14, exec_lo
	s_waitcnt lgkmcnt(0)
	s_barrier
	buffer_gl0_inv
	v_cmpx_ne_u32_e32 0, v15
	s_cbranch_execz .LBB74_19
; %bb.35:                               ;   in Loop: Header=BB74_21 Depth=1
	v_add_nc_u32_e32 v2, v2, v8
	v_cmp_gt_u32_e32 vcc_lo, s13, v2
	s_and_b32 exec_lo, exec_lo, vcc_lo
	s_cbranch_execz .LBB74_19
; %bb.36:                               ;   in Loop: Header=BB74_21 Depth=1
	v_mul_lo_u32 v18, v2, s4
	v_mul_lo_u32 v20, v2, s8
	v_mov_b32_e32 v19, v5
	v_mov_b32_e32 v21, v5
	;; [unrolled: 1-line block ×3, first 2 shown]
	v_lshlrev_b64 v[18:19], 3, v[18:19]
	v_lshlrev_b64 v[20:21], 3, v[20:21]
	v_add_co_u32 v18, vcc_lo, s16, v18
	v_add_co_ci_u32_e64 v19, null, s11, v19, vcc_lo
	v_add_co_u32 v20, vcc_lo, s17, v20
	v_add_co_ci_u32_e64 v21, null, s18, v21, vcc_lo
	global_store_dwordx2 v[18:19], v[6:7], off
	global_store_dwordx2 v[20:21], v[1:2], off
	s_branch .LBB74_19
	.p2align	6
.LBB74_37:                              ;   in Loop: Header=BB74_38 Depth=1
	s_add_u32 s28, s28, 4
	s_addc_u32 s29, s29, 0
	s_waitcnt lgkmcnt(0)
	s_add_i32 s54, s13, s54
	s_add_u32 s30, s30, 4
	s_addc_u32 s31, s31, 0
	s_add_i32 s12, s12, 1
	s_cmp_lt_u32 s12, s10
	s_cbranch_scc0 .LBB74_16
.LBB74_38:                              ; =>This Inner Loop Header: Depth=1
	s_load_dword s13, s[28:29], 0x0
	s_cmp_ge_u32 s12, s11
	s_cbranch_scc1 .LBB74_37
; %bb.39:                               ;   in Loop: Header=BB74_38 Depth=1
	s_load_dword s14, s[30:31], 0x0
	s_waitcnt lgkmcnt(0)
	s_add_i32 s41, s13, s41
	s_add_i32 s53, s14, s53
	s_branch .LBB74_37
.LBB74_40:
	s_endpgm
	.section	.rodata,"a",@progbits
	.p2align	6, 0x0
	.amdhsa_kernel _ZN2at6native6mbtopk10gatherTopKIdjLi3EEEvNS_4cuda6detail10TensorInfoIKT_T0_EES8_S8_bjS8_NS5_IS6_S8_EES8_NS5_IlS8_EES8_jjPS6_PjSD_j
		.amdhsa_group_segment_fixed_size 1068
		.amdhsa_private_segment_fixed_size 0
		.amdhsa_kernarg_size 984
		.amdhsa_user_sgpr_count 6
		.amdhsa_user_sgpr_private_segment_buffer 1
		.amdhsa_user_sgpr_dispatch_ptr 0
		.amdhsa_user_sgpr_queue_ptr 0
		.amdhsa_user_sgpr_kernarg_segment_ptr 1
		.amdhsa_user_sgpr_dispatch_id 0
		.amdhsa_user_sgpr_flat_scratch_init 0
		.amdhsa_user_sgpr_private_segment_size 0
		.amdhsa_wavefront_size32 1
		.amdhsa_uses_dynamic_stack 0
		.amdhsa_system_sgpr_private_segment_wavefront_offset 0
		.amdhsa_system_sgpr_workgroup_id_x 1
		.amdhsa_system_sgpr_workgroup_id_y 1
		.amdhsa_system_sgpr_workgroup_id_z 1
		.amdhsa_system_sgpr_workgroup_info 0
		.amdhsa_system_vgpr_workitem_id 0
		.amdhsa_next_free_vgpr 25
		.amdhsa_next_free_sgpr 58
		.amdhsa_reserve_vcc 1
		.amdhsa_reserve_flat_scratch 0
		.amdhsa_float_round_mode_32 0
		.amdhsa_float_round_mode_16_64 0
		.amdhsa_float_denorm_mode_32 3
		.amdhsa_float_denorm_mode_16_64 3
		.amdhsa_dx10_clamp 1
		.amdhsa_ieee_mode 1
		.amdhsa_fp16_overflow 0
		.amdhsa_workgroup_processor_mode 1
		.amdhsa_memory_ordered 1
		.amdhsa_forward_progress 1
		.amdhsa_shared_vgpr_count 0
		.amdhsa_exception_fp_ieee_invalid_op 0
		.amdhsa_exception_fp_denorm_src 0
		.amdhsa_exception_fp_ieee_div_zero 0
		.amdhsa_exception_fp_ieee_overflow 0
		.amdhsa_exception_fp_ieee_underflow 0
		.amdhsa_exception_fp_ieee_inexact 0
		.amdhsa_exception_int_div_zero 0
	.end_amdhsa_kernel
	.section	.text._ZN2at6native6mbtopk10gatherTopKIdjLi3EEEvNS_4cuda6detail10TensorInfoIKT_T0_EES8_S8_bjS8_NS5_IS6_S8_EES8_NS5_IlS8_EES8_jjPS6_PjSD_j,"axG",@progbits,_ZN2at6native6mbtopk10gatherTopKIdjLi3EEEvNS_4cuda6detail10TensorInfoIKT_T0_EES8_S8_bjS8_NS5_IS6_S8_EES8_NS5_IlS8_EES8_jjPS6_PjSD_j,comdat
.Lfunc_end74:
	.size	_ZN2at6native6mbtopk10gatherTopKIdjLi3EEEvNS_4cuda6detail10TensorInfoIKT_T0_EES8_S8_bjS8_NS5_IS6_S8_EES8_NS5_IlS8_EES8_jjPS6_PjSD_j, .Lfunc_end74-_ZN2at6native6mbtopk10gatherTopKIdjLi3EEEvNS_4cuda6detail10TensorInfoIKT_T0_EES8_S8_bjS8_NS5_IS6_S8_EES8_NS5_IlS8_EES8_jjPS6_PjSD_j
                                        ; -- End function
	.set _ZN2at6native6mbtopk10gatherTopKIdjLi3EEEvNS_4cuda6detail10TensorInfoIKT_T0_EES8_S8_bjS8_NS5_IS6_S8_EES8_NS5_IlS8_EES8_jjPS6_PjSD_j.num_vgpr, 25
	.set _ZN2at6native6mbtopk10gatherTopKIdjLi3EEEvNS_4cuda6detail10TensorInfoIKT_T0_EES8_S8_bjS8_NS5_IS6_S8_EES8_NS5_IlS8_EES8_jjPS6_PjSD_j.num_agpr, 0
	.set _ZN2at6native6mbtopk10gatherTopKIdjLi3EEEvNS_4cuda6detail10TensorInfoIKT_T0_EES8_S8_bjS8_NS5_IS6_S8_EES8_NS5_IlS8_EES8_jjPS6_PjSD_j.numbered_sgpr, 58
	.set _ZN2at6native6mbtopk10gatherTopKIdjLi3EEEvNS_4cuda6detail10TensorInfoIKT_T0_EES8_S8_bjS8_NS5_IS6_S8_EES8_NS5_IlS8_EES8_jjPS6_PjSD_j.num_named_barrier, 0
	.set _ZN2at6native6mbtopk10gatherTopKIdjLi3EEEvNS_4cuda6detail10TensorInfoIKT_T0_EES8_S8_bjS8_NS5_IS6_S8_EES8_NS5_IlS8_EES8_jjPS6_PjSD_j.private_seg_size, 0
	.set _ZN2at6native6mbtopk10gatherTopKIdjLi3EEEvNS_4cuda6detail10TensorInfoIKT_T0_EES8_S8_bjS8_NS5_IS6_S8_EES8_NS5_IlS8_EES8_jjPS6_PjSD_j.uses_vcc, 1
	.set _ZN2at6native6mbtopk10gatherTopKIdjLi3EEEvNS_4cuda6detail10TensorInfoIKT_T0_EES8_S8_bjS8_NS5_IS6_S8_EES8_NS5_IlS8_EES8_jjPS6_PjSD_j.uses_flat_scratch, 0
	.set _ZN2at6native6mbtopk10gatherTopKIdjLi3EEEvNS_4cuda6detail10TensorInfoIKT_T0_EES8_S8_bjS8_NS5_IS6_S8_EES8_NS5_IlS8_EES8_jjPS6_PjSD_j.has_dyn_sized_stack, 0
	.set _ZN2at6native6mbtopk10gatherTopKIdjLi3EEEvNS_4cuda6detail10TensorInfoIKT_T0_EES8_S8_bjS8_NS5_IS6_S8_EES8_NS5_IlS8_EES8_jjPS6_PjSD_j.has_recursion, 0
	.set _ZN2at6native6mbtopk10gatherTopKIdjLi3EEEvNS_4cuda6detail10TensorInfoIKT_T0_EES8_S8_bjS8_NS5_IS6_S8_EES8_NS5_IlS8_EES8_jjPS6_PjSD_j.has_indirect_call, 0
	.section	.AMDGPU.csdata,"",@progbits
; Kernel info:
; codeLenInByte = 2960
; TotalNumSgprs: 60
; NumVgprs: 25
; ScratchSize: 0
; MemoryBound: 0
; FloatMode: 240
; IeeeMode: 1
; LDSByteSize: 1068 bytes/workgroup (compile time only)
; SGPRBlocks: 0
; VGPRBlocks: 3
; NumSGPRsForWavesPerEU: 60
; NumVGPRsForWavesPerEU: 25
; Occupancy: 16
; WaveLimiterHint : 1
; COMPUTE_PGM_RSRC2:SCRATCH_EN: 0
; COMPUTE_PGM_RSRC2:USER_SGPR: 6
; COMPUTE_PGM_RSRC2:TRAP_HANDLER: 0
; COMPUTE_PGM_RSRC2:TGID_X_EN: 1
; COMPUTE_PGM_RSRC2:TGID_Y_EN: 1
; COMPUTE_PGM_RSRC2:TGID_Z_EN: 1
; COMPUTE_PGM_RSRC2:TIDIG_COMP_CNT: 0
	.section	.text._ZN2at6native6sbtopk10gatherTopKIdjLi3ELb0EEEvNS_4cuda6detail10TensorInfoIKT_T0_EES8_S8_bS8_S8_NS5_IS6_S8_EES8_NS5_IlS8_EES8_PS6_,"axG",@progbits,_ZN2at6native6sbtopk10gatherTopKIdjLi3ELb0EEEvNS_4cuda6detail10TensorInfoIKT_T0_EES8_S8_bS8_S8_NS5_IS6_S8_EES8_NS5_IlS8_EES8_PS6_,comdat
	.protected	_ZN2at6native6sbtopk10gatherTopKIdjLi3ELb0EEEvNS_4cuda6detail10TensorInfoIKT_T0_EES8_S8_bS8_S8_NS5_IS6_S8_EES8_NS5_IlS8_EES8_PS6_ ; -- Begin function _ZN2at6native6sbtopk10gatherTopKIdjLi3ELb0EEEvNS_4cuda6detail10TensorInfoIKT_T0_EES8_S8_bS8_S8_NS5_IS6_S8_EES8_NS5_IlS8_EES8_PS6_
	.globl	_ZN2at6native6sbtopk10gatherTopKIdjLi3ELb0EEEvNS_4cuda6detail10TensorInfoIKT_T0_EES8_S8_bS8_S8_NS5_IS6_S8_EES8_NS5_IlS8_EES8_PS6_
	.p2align	8
	.type	_ZN2at6native6sbtopk10gatherTopKIdjLi3ELb0EEEvNS_4cuda6detail10TensorInfoIKT_T0_EES8_S8_bS8_S8_NS5_IS6_S8_EES8_NS5_IlS8_EES8_PS6_,@function
_ZN2at6native6sbtopk10gatherTopKIdjLi3ELb0EEEvNS_4cuda6detail10TensorInfoIKT_T0_EES8_S8_bS8_S8_NS5_IS6_S8_EES8_NS5_IlS8_EES8_PS6_: ; @_ZN2at6native6sbtopk10gatherTopKIdjLi3ELb0EEEvNS_4cuda6detail10TensorInfoIKT_T0_EES8_S8_bS8_S8_NS5_IS6_S8_EES8_NS5_IlS8_EES8_PS6_
; %bb.0:
	s_clause 0x1
	s_load_dwordx2 s[12:13], s[4:5], 0x2b8
	s_load_dwordx4 s[36:39], s[4:5], 0xd8
	s_add_u32 s10, s4, 0x2b8
	s_addc_u32 s11, s5, 0
	s_waitcnt lgkmcnt(0)
	s_mul_i32 s0, s13, s8
	s_add_i32 s0, s0, s7
	s_mul_i32 s56, s0, s12
	s_add_i32 s56, s56, s6
	s_cmp_ge_u32 s56, s39
	s_cbranch_scc1 .LBB75_411
; %bb.1:
	s_clause 0x8
	s_load_dwordx2 s[14:15], s[4:5], 0xc
	s_load_dwordx2 s[52:53], s[4:5], 0xfc
	;; [unrolled: 1-line block ×4, first 2 shown]
	s_load_dwordx4 s[40:43], s[4:5], 0x23c
	s_load_dwordx2 s[34:35], s[4:5], 0x1d0
	s_load_dwordx2 s[48:49], s[4:5], 0xf0
	s_load_dword s30, s[4:5], 0xe8
	s_load_dwordx4 s[0:3], s[4:5], 0x6c
	s_mov_b32 s55, 0
	s_waitcnt lgkmcnt(0)
	v_cvt_f32_u32_e32 v1, s15
	v_cvt_f32_u32_e32 v3, s53
	;; [unrolled: 1-line block ×3, first 2 shown]
	s_sub_i32 s3, 0, s15
	v_cvt_f32_u32_e32 v5, s51
	v_rcp_iflag_f32_e32 v1, v1
	v_rcp_iflag_f32_e32 v3, v3
	;; [unrolled: 1-line block ×3, first 2 shown]
	v_cvt_f32_u32_e32 v4, s52
	v_rcp_iflag_f32_e32 v5, v5
	v_cvt_f32_u32_e32 v6, s50
	v_rcp_iflag_f32_e32 v4, v4
	v_mul_f32_e32 v1, 0x4f7ffffe, v1
	v_mul_f32_e32 v3, 0x4f7ffffe, v3
	;; [unrolled: 1-line block ×4, first 2 shown]
	v_cvt_u32_f32_e32 v1, v1
	v_cvt_u32_f32_e32 v3, v3
	;; [unrolled: 1-line block ×3, first 2 shown]
	v_mul_f32_e32 v4, 0x4f7ffffe, v4
	v_readfirstlane_b32 s7, v1
	v_readfirstlane_b32 s17, v3
	v_rcp_iflag_f32_e32 v1, v6
	v_cvt_u32_f32_e32 v3, v4
	s_mul_i32 s3, s3, s7
	s_mul_hi_u32 s3, s7, s3
	s_add_i32 s7, s7, s3
	s_mul_hi_u32 s3, s56, s7
	v_mul_f32_e32 v1, 0x4f7ffffe, v1
	s_mul_i32 s7, s3, s15
	s_add_i32 s13, s3, 1
	s_sub_i32 s7, s56, s7
	v_cvt_u32_f32_e32 v1, v1
	s_sub_i32 s16, s7, s15
	s_cmp_ge_u32 s7, s15
	s_cselect_b32 s3, s13, s3
	s_cselect_b32 s7, s16, s7
	s_add_i32 s13, s3, 1
	s_cmp_ge_u32 s7, s15
	v_readfirstlane_b32 s20, v1
	s_cselect_b32 s7, s13, s3
	s_sub_i32 s3, 0, s53
	v_readfirstlane_b32 s13, v2
	s_mul_i32 s3, s3, s17
	s_sub_i32 s16, 0, s14
	s_mul_hi_u32 s3, s17, s3
	v_cvt_u32_f32_e32 v2, v5
	s_add_i32 s17, s17, s3
	s_mul_i32 s16, s16, s13
	s_mul_hi_u32 s3, s56, s17
	s_mul_hi_u32 s16, s13, s16
	s_mul_i32 s17, s3, s53
	s_add_i32 s13, s13, s16
	s_sub_i32 s16, s56, s17
	s_add_i32 s17, s3, 1
	s_sub_i32 s18, s16, s53
	s_cmp_ge_u32 s16, s53
	v_readfirstlane_b32 s19, v2
	s_cselect_b32 s3, s17, s3
	s_cselect_b32 s16, s18, s16
	s_add_i32 s17, s3, 1
	s_cmp_ge_u32 s16, s53
	v_readfirstlane_b32 s16, v3
	s_cselect_b32 s58, s17, s3
	s_sub_i32 s3, 0, s51
	s_sub_i32 s17, 0, s52
	s_mul_i32 s3, s3, s19
	s_mul_i32 s17, s17, s16
	s_mul_hi_u32 s3, s19, s3
	s_mul_hi_u32 s17, s16, s17
	s_add_i32 s19, s19, s3
	s_add_i32 s16, s16, s17
	s_mul_hi_u32 s3, s56, s19
	s_mul_hi_u32 s13, s7, s13
	s_mul_i32 s18, s3, s51
	s_mul_hi_u32 s60, s58, s16
	s_sub_i32 s17, s56, s18
	s_add_i32 s18, s3, 1
	s_sub_i32 s19, s17, s51
	s_cmp_ge_u32 s17, s51
	s_cselect_b32 s3, s18, s3
	s_cselect_b32 s17, s19, s17
	s_add_i32 s18, s3, 1
	s_cmp_ge_u32 s17, s51
	s_cselect_b32 s57, s18, s3
	s_sub_i32 s3, 0, s50
	s_mul_i32 s3, s3, s20
	s_mul_hi_u32 s17, s20, s3
	v_cmp_eq_u32_e64 s3, 0, v0
	s_add_i32 s20, s20, s17
	s_mul_hi_u32 s59, s57, s20
	s_and_saveexec_b32 s16, s3
	s_cbranch_execz .LBB75_3
; %bb.2:
	v_mov_b32_e32 v1, 0
	v_mov_b32_e32 v2, s36
	;; [unrolled: 1-line block ×3, first 2 shown]
	ds_write_b96 v1, v[1:3] offset:4096
.LBB75_3:
	s_or_b32 exec_lo, exec_lo, s16
	s_mul_i32 s16, s13, s14
	s_mul_i32 s15, s7, s15
	s_sub_i32 s16, s7, s16
	s_sub_i32 s15, s56, s15
	s_add_i32 s17, s13, 1
	s_sub_i32 s18, s16, s14
	s_cmp_ge_u32 s16, s14
	s_waitcnt lgkmcnt(0)
	s_cselect_b32 s13, s17, s13
	s_cselect_b32 s16, s18, s16
	s_add_i32 s17, s13, 1
	s_cmp_ge_u32 s16, s14
	s_barrier
	buffer_gl0_inv
	s_load_dword s16, s[10:11], 0xc
	s_cselect_b32 s13, s17, s13
	s_mul_i32 s15, s15, s2
	s_mul_i32 s14, s13, s14
	s_mul_i32 s13, s13, s0
	s_sub_i32 s7, s7, s14
	v_mbcnt_lo_u32_b32 v28, -1, 0
	s_mul_i32 s1, s7, s1
	v_cmp_gt_u32_e32 vcc_lo, 32, v0
	s_add_i32 s0, s1, s15
	v_mov_b32_e32 v15, 0
	s_add_i32 s54, s0, s13
	v_mul_lo_u32 v13, s30, v0
	s_lshl_b64 s[0:1], s[54:55], 3
	v_lshlrev_b32_e32 v29, 2, v0
	s_add_u32 s31, s8, s0
	s_addc_u32 s33, s9, s1
	s_bitcmp1_b32 s38, 0
	v_cmp_gt_i32_e64 s0, 4, v28
	s_cselect_b32 s1, -1, 0
	s_waitcnt lgkmcnt(0)
	s_and_b32 s43, s16, 0xffff
	s_xor_b32 s54, s1, -1
	s_lshl_b32 s61, s43, 2
	s_bfe_u32 s2, s43, 0x80008
	v_cvt_f32_u32_e32 v1, s61
	s_lshl_b32 s62, s2, 3
	s_bfe_u32 s2, s16, 0xb0005
	s_and_b32 s63, vcc_lo, s0
	s_cmpk_gt_u32 s36, 0x180
	v_rcp_iflag_f32_e32 v1, v1
	s_cselect_b32 s64, -1, 0
	s_cmp_gt_u32 s43, 31
	v_cvt_f32_u32_e32 v3, s43
	s_cselect_b32 s65, -1, 0
	s_add_i32 s66, s43, -1
	v_mov_b32_e32 v14, v15
	s_add_i32 s9, s66, s36
	s_cmp_lt_u32 s6, s12
	v_rcp_iflag_f32_e32 v3, v3
	v_mul_f32_e32 v1, 0x4f7ffffe, v1
	s_cselect_b32 s0, 12, 18
	v_lshlrev_b32_e32 v30, 3, v0
	s_add_u32 s38, s10, s0
	s_addc_u32 s39, s11, 0
	s_add_i32 s2, s2, -1
	v_cvt_u32_f32_e32 v1, v1
	s_and_b32 s0, s2, 0xffff
	s_bfe_u32 s67, s43, 0x30005
	s_cmp_gt_u32 s0, 6
	v_mad_u64_u32 v[20:21], null, s30, v29, s[30:31]
	v_readfirstlane_b32 s2, v1
	s_cselect_b32 s68, -1, 0
	s_cmp_lg_u32 s67, 0
	v_lshlrev_b64 v[1:2], 3, v[13:14]
	s_cselect_b32 s69, -1, 0
	s_sub_i32 s0, 0, s61
	v_mov_b32_e32 v16, 0
	s_mul_i32 s0, s0, s2
	v_mov_b32_e32 v5, 0
	s_mul_hi_u32 s6, s2, s0
	v_add_co_u32 v11, vcc_lo, s31, v1
	s_add_i32 s70, s2, s6
	v_mul_f32_e32 v1, 0x4f7ffffe, v3
	s_mul_hi_u32 s6, s36, s70
	v_add_co_ci_u32_e64 v12, null, s33, v2, vcc_lo
	s_mul_i32 s6, s6, s61
	v_cvt_u32_f32_e32 v1, v1
	s_sub_i32 s7, s36, s6
	v_or_b32_e32 v3, 3, v29
	s_sub_i32 s8, s7, s61
	s_cmp_ge_u32 s7, s61
	v_readfirstlane_b32 s10, v1
	s_cselect_b32 s7, s8, s7
	v_lshlrev_b64 v[1:2], v28, -1
	s_sub_i32 s8, s7, s61
	s_cmp_ge_u32 s7, s61
	v_mul_lo_u32 v35, s30, v3
	s_cselect_b32 s11, s8, s7
	s_sub_i32 s7, 0, s43
	s_sub_i32 s71, s36, s11
	s_mul_i32 s7, s7, s10
	v_add_nc_u32_e32 v31, s71, v0
	v_not_b32_e32 v27, v1
	v_lshrrev_b32_e32 v1, 1, v0
	s_mul_hi_u32 s7, s10, s7
	s_movk_i32 s8, 0x1f0
	v_mul_lo_u32 v14, v31, s30
	s_add_i32 s72, s10, s7
	v_and_or_b32 v33, v1, s8, 0xc00
	s_mul_hi_u32 s7, s9, s72
	v_mov_b32_e32 v21, 0
	s_mul_i32 s7, s7, s43
	v_cmp_eq_u32_e64 s0, 0, v28
	s_sub_i32 s7, s9, s7
	v_lshlrev_b64 v[1:2], 3, v[14:15]
	s_sub_i32 s10, s7, s43
	s_cmp_ge_u32 s7, s43
	v_cmp_gt_u32_e64 s2, s36, v0
	s_cselect_b32 s8, s10, s7
	v_cmp_gt_u32_e64 s6, 2, v0
	v_add_co_u32 v18, vcc_lo, s31, v1
	v_add3_u32 v1, s43, s36, v0
	v_add_co_ci_u32_e64 v19, null, s33, v2, vcc_lo
	v_or_b32_e32 v2, 2, v29
	s_sub_i32 s10, s8, s43
	v_subrev_nc_u32_e32 v1, s11, v1
	s_cmp_ge_u32 s8, s43
	v_add_nc_u32_e32 v32, 0xc00, v30
	s_cselect_b32 s10, s10, s8
	v_mul_lo_u32 v34, s30, v2
	v_mul_lo_u32 v37, s30, v1
	s_sub_i32 s73, s9, s10
	v_cmp_gt_u32_e64 s7, s71, v29
	v_cmp_gt_u32_e64 s8, s36, v31
	;; [unrolled: 1-line block ×3, first 2 shown]
	v_lshlrev_b32_e32 v36, 2, v13
	v_lshlrev_b32_e32 v38, 5, v0
	v_lshl_or_b32 v39, v28, 2, 0xc00
	v_mov_b32_e32 v17, 0
	v_mov_b32_e32 v6, 0
	;; [unrolled: 1-line block ×5, first 2 shown]
	s_mul_i32 s47, s30, s43
	s_lshl_b32 s75, s43, 5
	s_lshl_b32 s74, s47, 2
	s_lshl_b32 s76, s43, 3
	s_mov_b32 s82, 62
	s_mov_b32 s78, 0
                                        ; implicit-def: $sgpr77
                                        ; implicit-def: $sgpr81
                                        ; implicit-def: $sgpr80
                                        ; implicit-def: $sgpr83
                                        ; implicit-def: $sgpr79
                                        ; implicit-def: $sgpr87
                                        ; implicit-def: $sgpr88
                                        ; implicit-def: $sgpr84
                                        ; implicit-def: $sgpr86
                                        ; implicit-def: $sgpr85
	s_branch .LBB75_6
.LBB75_4:                               ;   in Loop: Header=BB75_6 Depth=1
	s_or_b32 exec_lo, exec_lo, s13
	v_mov_b32_e32 v40, v42
	s_andn2_b32 s13, s85, exec_lo
	s_and_b32 s12, s12, exec_lo
	s_andn2_b32 s86, s86, exec_lo
	s_or_b32 s85, s13, s12
	s_andn2_b32 s84, s84, exec_lo
	s_andn2_b32 s88, s88, exec_lo
	;; [unrolled: 1-line block ×3, first 2 shown]
	s_orn2_b32 s12, s11, exec_lo
.LBB75_5:                               ;   in Loop: Header=BB75_6 Depth=1
	s_or_b32 exec_lo, exec_lo, s10
	s_and_b32 s10, exec_lo, s12
	s_or_b32 s55, s10, s55
	s_andn2_b32 s10, s79, exec_lo
	s_and_b32 s11, s85, exec_lo
	s_andn2_b32 s12, s83, exec_lo
	s_or_b32 s79, s10, s11
	s_and_b32 s10, s86, exec_lo
	s_andn2_b32 s11, s80, exec_lo
	s_and_b32 s13, s84, exec_lo
	s_or_b32 s83, s12, s10
	s_or_b32 s80, s11, s13
	s_andn2_b32 s10, s81, exec_lo
	s_and_b32 s11, s88, exec_lo
	s_andn2_b32 s12, s77, exec_lo
	s_and_b32 s13, s87, exec_lo
	s_or_b32 s81, s10, s11
	s_or_b32 s77, s12, s13
	s_andn2_b32 exec_lo, exec_lo, s55
	s_cbranch_execz .LBB75_407
.LBB75_6:                               ; =>This Loop Header: Depth=1
                                        ;     Child Loop BB75_12 Depth 2
                                        ;     Child Loop BB75_25 Depth 2
	;; [unrolled: 1-line block ×24, first 2 shown]
	ds_read_b64 v[3:4], v15 offset:4096
	s_waitcnt lgkmcnt(0)
	v_readfirstlane_b32 s89, v3
	s_cmp_lg_u32 s89, 0
	s_cbranch_scc1 .LBB75_33
; %bb.7:                                ;   in Loop: Header=BB75_6 Depth=1
	s_and_b32 vcc_lo, exec_lo, s64
	s_cbranch_vccz .LBB75_20
; %bb.8:                                ;   in Loop: Header=BB75_6 Depth=1
	v_cmp_gt_u32_e32 vcc_lo, 0x181, v4
	s_mov_b32 s12, 0
	s_mov_b32 s10, 0
	s_cbranch_vccz .LBB75_21
; %bb.9:                                ;   in Loop: Header=BB75_6 Depth=1
	s_and_saveexec_b32 s13, s2
	s_cbranch_execz .LBB75_81
; %bb.10:                               ;   in Loop: Header=BB75_6 Depth=1
	global_load_ushort v1, v15, s[38:39]
	global_load_dwordx2 v[3:4], v[11:12], off
	v_mov_b32_e32 v10, v0
	s_mov_b32 s14, 0
	s_waitcnt vmcnt(1)
	v_add_nc_u32_e32 v7, v0, v1
	v_mul_lo_u32 v9, s30, v1
	v_mul_lo_u32 v14, s30, v7
	s_branch .LBB75_12
.LBB75_11:                              ;   in Loop: Header=BB75_12 Depth=2
	s_or_b32 exec_lo, exec_lo, s11
	v_mov_b32_e32 v3, v7
	v_add_nc_u32_e32 v14, v14, v9
	v_mov_b32_e32 v4, v8
	s_andn2_b32 exec_lo, exec_lo, s14
	s_cbranch_execz .LBB75_81
.LBB75_12:                              ;   Parent Loop BB75_6 Depth=1
                                        ; =>  This Inner Loop Header: Depth=2
	v_mov_b32_e32 v7, 0
	v_add_nc_u32_e32 v10, v10, v1
	v_mov_b32_e32 v8, 0
	s_mov_b32 s11, exec_lo
	v_cmp_le_u32_e32 vcc_lo, s36, v10
	v_cmpx_gt_u32_e64 s36, v10
	s_cbranch_execz .LBB75_14
; %bb.13:                               ;   in Loop: Header=BB75_12 Depth=2
	v_lshlrev_b64 v[7:8], 3, v[14:15]
	v_add_co_u32 v7, s10, s31, v7
	v_add_co_ci_u32_e64 v8, null, s33, v8, s10
	global_load_dwordx2 v[7:8], v[7:8], off
.LBB75_14:                              ;   in Loop: Header=BB75_12 Depth=2
	s_or_b32 exec_lo, exec_lo, s11
	s_waitcnt vmcnt(0)
	v_cmp_o_f64_e64 s10, v[3:4], v[3:4]
	s_waitcnt lgkmcnt(0)
	v_ashrrev_i32_e32 v23, 31, v4
	v_or_b32_e32 v24, 0x80000000, v23
	v_xor_b32_e32 v23, v23, v3
	v_xor_b32_e32 v24, v24, v4
	v_cndmask_b32_e64 v24, -1, v24, s10
	v_cndmask_b32_e64 v23, -1, v23, s10
	v_and_b32_e32 v24, v24, v22
	v_and_b32_e32 v23, v23, v21
	v_cmp_eq_u64_e64 s10, v[23:24], v[16:17]
	v_mov_b32_e32 v23, 0
	s_cmp_lg_u32 s10, 0
	s_cselect_b32 s11, -1, 0
	s_and_b32 s11, s0, s11
	s_and_saveexec_b32 s15, s11
	s_cbranch_execz .LBB75_18
; %bb.15:                               ;   in Loop: Header=BB75_12 Depth=2
	s_mov_b32 s18, exec_lo
	s_bcnt1_i32_b32 s16, s10
	v_mbcnt_lo_u32_b32 v23, s18, 0
	s_mov_b32 s17, exec_lo
                                        ; implicit-def: $vgpr24
	v_cmpx_eq_u32_e32 0, v23
; %bb.16:                               ;   in Loop: Header=BB75_12 Depth=2
	s_bcnt1_i32_b32 s11, s18
	s_mul_i32 s11, s16, s11
	v_mov_b32_e32 v24, s11
	ds_add_rtn_u32 v24, v15, v24 offset:4104
; %bb.17:                               ;   in Loop: Header=BB75_12 Depth=2
	s_or_b32 exec_lo, exec_lo, s17
	s_waitcnt lgkmcnt(0)
	v_readfirstlane_b32 s11, v24
	v_mad_u32_u24 v23, s16, v23, s11
.LBB75_18:                              ;   in Loop: Header=BB75_12 Depth=2
	s_or_b32 exec_lo, exec_lo, s15
	ds_bpermute_b32 v23, v15, v23
	s_and_b32 s11, exec_lo, vcc_lo
	s_or_b32 s14, s11, s14
	s_and_saveexec_b32 s11, s10
	s_cbranch_execz .LBB75_11
; %bb.19:                               ;   in Loop: Header=BB75_12 Depth=2
	v_and_b32_e32 v24, s10, v27
	v_bcnt_u32_b32 v24, v24, 0
	v_lshlrev_b32_e32 v24, 3, v24
	s_waitcnt lgkmcnt(0)
	v_lshl_add_u32 v23, v23, 3, v24
	ds_write_b64 v23, v[3:4]
	s_branch .LBB75_11
.LBB75_20:                              ;   in Loop: Header=BB75_6 Depth=1
	s_mov_b32 s12, -1
	s_mov_b32 s10, 0
.LBB75_21:                              ;   in Loop: Header=BB75_6 Depth=1
	s_and_b32 vcc_lo, exec_lo, s12
	s_cbranch_vccz .LBB75_31
.LBB75_22:                              ;   in Loop: Header=BB75_6 Depth=1
	s_and_saveexec_b32 s10, s2
	s_cbranch_execz .LBB75_28
; %bb.23:                               ;   in Loop: Header=BB75_6 Depth=1
	global_load_ushort v1, v15, s[38:39]
	global_load_dwordx2 v[3:4], v[11:12], off
	v_mov_b32_e32 v9, v0
	s_mov_b32 s11, exec_lo
	s_waitcnt vmcnt(1)
	v_add_nc_u32_e32 v7, v0, v1
	v_cmpx_gt_u32_e64 s36, v7
	s_cbranch_execz .LBB75_27
; %bb.24:                               ;   in Loop: Header=BB75_6 Depth=1
	v_mul_lo_u32 v14, s30, v7
	v_mul_lo_u32 v10, s30, v1
	v_lshlrev_b32_e32 v23, 3, v1
	v_mov_b32_e32 v24, v30
	v_mov_b32_e32 v9, v0
	s_mov_b32 s12, 0
	.p2align	6
.LBB75_25:                              ;   Parent Loop BB75_6 Depth=1
                                        ; =>  This Inner Loop Header: Depth=2
	v_lshlrev_b64 v[7:8], 3, v[14:15]
	v_add_nc_u32_e32 v9, v9, v1
	s_waitcnt vmcnt(0)
	ds_write_b64 v24, v[3:4]
	v_add_nc_u32_e32 v24, v24, v23
	v_add_nc_u32_e32 v14, v14, v10
	;; [unrolled: 1-line block ×3, first 2 shown]
	v_add_co_u32 v7, vcc_lo, s31, v7
	v_add_co_ci_u32_e64 v8, null, s33, v8, vcc_lo
	v_cmp_le_u32_e32 vcc_lo, s36, v25
	global_load_dwordx2 v[7:8], v[7:8], off
	s_or_b32 s12, vcc_lo, s12
	s_waitcnt vmcnt(0)
	v_mov_b32_e32 v3, v7
	v_mov_b32_e32 v4, v8
	s_andn2_b32 exec_lo, exec_lo, s12
	s_cbranch_execnz .LBB75_25
; %bb.26:                               ;   in Loop: Header=BB75_6 Depth=1
	s_or_b32 exec_lo, exec_lo, s12
	v_mov_b32_e32 v3, v7
	v_mov_b32_e32 v4, v8
.LBB75_27:                              ;   in Loop: Header=BB75_6 Depth=1
	s_or_b32 exec_lo, exec_lo, s11
	v_lshlrev_b32_e32 v1, 3, v9
	s_waitcnt vmcnt(0)
	ds_write_b64 v1, v[3:4]
.LBB75_28:                              ;   in Loop: Header=BB75_6 Depth=1
	s_or_b32 exec_lo, exec_lo, s10
	s_waitcnt lgkmcnt(0)
	s_barrier
	buffer_gl0_inv
	s_and_saveexec_b32 s10, s3
; %bb.29:                               ;   in Loop: Header=BB75_6 Depth=1
	v_mov_b32_e32 v1, s36
	ds_write_b32 v15, v1 offset:4096
; %bb.30:                               ;   in Loop: Header=BB75_6 Depth=1
	s_or_b32 exec_lo, exec_lo, s10
	s_mov_b32 s10, -1
	s_waitcnt lgkmcnt(0)
	s_barrier
.LBB75_31:                              ;   in Loop: Header=BB75_6 Depth=1
	s_and_b32 vcc_lo, exec_lo, s10
	s_mov_b32 s89, 0
	s_cbranch_vccz .LBB75_33
; %bb.32:                               ;   in Loop: Header=BB75_6 Depth=1
	buffer_gl0_inv
	ds_read_b32 v1, v15 offset:4096
	s_waitcnt lgkmcnt(0)
	v_readfirstlane_b32 s89, v1
.LBB75_33:                              ;   in Loop: Header=BB75_6 Depth=1
	s_cmp_lt_i32 s89, 1
	s_mov_b32 s10, -1
                                        ; implicit-def: $vgpr7
	s_cbranch_scc1 .LBB75_43
; %bb.34:                               ;   in Loop: Header=BB75_6 Depth=1
	s_and_b32 vcc_lo, exec_lo, s10
	s_cbranch_vccnz .LBB75_54
.LBB75_35:                              ;   in Loop: Header=BB75_6 Depth=1
	s_lshl_b32 s10, s78, 7
	s_and_saveexec_b32 s11, s0
.LBB75_36:                              ;   in Loop: Header=BB75_6 Depth=1
	v_lshl_add_u32 v1, s10, 2, v33
	ds_write_b128 v1, v[7:10]
.LBB75_37:                              ;   in Loop: Header=BB75_6 Depth=1
	s_or_b32 exec_lo, exec_lo, s11
	s_waitcnt lgkmcnt(0)
	s_barrier
	buffer_gl0_inv
	s_and_saveexec_b32 s11, s63
	s_cbranch_execz .LBB75_67
; %bb.38:                               ;   in Loop: Header=BB75_6 Depth=1
	v_mov_b32_e32 v1, 0
	s_andn2_b32 vcc_lo, exec_lo, s65
	s_cbranch_vccnz .LBB75_66
; %bb.39:                               ;   in Loop: Header=BB75_6 Depth=1
	s_andn2_b32 vcc_lo, exec_lo, s68
	s_cbranch_vccnz .LBB75_63
; %bb.40:                               ;   in Loop: Header=BB75_6 Depth=1
	v_lshl_add_u32 v3, s78, 9, v39
	v_mov_b32_e32 v1, 0
	s_mov_b32 s12, 0
	.p2align	6
.LBB75_41:                              ;   Parent Loop BB75_6 Depth=1
                                        ; =>  This Inner Loop Header: Depth=2
	ds_read2_b32 v[7:8], v3 offset1:4
	ds_read2_b32 v[9:10], v3 offset0:8 offset1:12
	ds_read2_b32 v[23:24], v3 offset0:16 offset1:20
	;; [unrolled: 1-line block ×3, first 2 shown]
	v_add_nc_u32_e32 v3, 0x80, v3
	s_add_i32 s12, s12, 8
	s_cmp_eq_u32 s62, s12
	s_waitcnt lgkmcnt(3)
	v_add3_u32 v1, v7, v1, v8
	s_waitcnt lgkmcnt(2)
	v_add3_u32 v1, v9, v1, v10
	;; [unrolled: 2-line block ×4, first 2 shown]
	s_cbranch_scc0 .LBB75_41
; %bb.42:                               ;   in Loop: Header=BB75_6 Depth=1
	s_mov_b32 s12, s62
	s_andn2_b32 vcc_lo, exec_lo, s69
	s_cbranch_vccz .LBB75_64
	s_branch .LBB75_66
.LBB75_43:                              ;   in Loop: Header=BB75_6 Depth=1
	v_mov_b32_e32 v7, 0
	v_mov_b32_e32 v8, 0
	;; [unrolled: 1-line block ×4, first 2 shown]
	s_and_saveexec_b32 s24, s7
	s_cbranch_execz .LBB75_47
; %bb.44:                               ;   in Loop: Header=BB75_6 Depth=1
	v_mov_b32_e32 v1, v29
	s_mov_b32 s25, 0
	s_mov_b32 s26, 0
	;; [unrolled: 1-line block ×6, first 2 shown]
.LBB75_45:                              ;   Parent Loop BB75_6 Depth=1
                                        ; =>  This Inner Loop Header: Depth=2
	v_add_nc_u32_e32 v14, s26, v36
	v_mov_b32_e32 v25, v15
	v_mov_b32_e32 v42, v15
	;; [unrolled: 1-line block ×3, first 2 shown]
	v_add_nc_u32_e32 v1, s61, v1
	v_lshlrev_b64 v[3:4], 3, v[14:15]
	v_add_nc_u32_e32 v14, s26, v20
	v_lshlrev_b64 v[7:8], 3, v[14:15]
	v_add_nc_u32_e32 v14, s26, v34
	v_add_co_u32 v3, vcc_lo, s31, v3
	v_add_co_ci_u32_e64 v4, null, s33, v4, vcc_lo
	v_lshlrev_b64 v[9:10], 3, v[14:15]
	v_add_nc_u32_e32 v14, s26, v35
	v_add_co_u32 v7, vcc_lo, s31, v7
	global_load_dwordx2 v[3:4], v[3:4], off
	v_add_co_ci_u32_e64 v8, null, s33, v8, vcc_lo
	v_lshlrev_b64 v[23:24], 3, v[14:15]
	v_add_co_u32 v9, vcc_lo, s31, v9
	v_add_co_ci_u32_e64 v10, null, s33, v10, vcc_lo
	s_clause 0x1
	global_load_dwordx2 v[7:8], v[7:8], off
	global_load_dwordx2 v[9:10], v[9:10], off
	v_add_co_u32 v23, vcc_lo, s31, v23
	v_add_co_ci_u32_e64 v24, null, s33, v24, vcc_lo
	v_cmp_le_u32_e32 vcc_lo, s71, v1
	s_add_i32 s26, s26, s74
	global_load_dwordx2 v[23:24], v[23:24], off
	s_waitcnt vmcnt(3)
	v_cmp_o_f64_e64 s10, v[3:4], v[3:4]
	v_ashrrev_i32_e32 v14, 31, v4
	v_or_b32_e32 v41, 0x80000000, v14
	v_xor_b32_e32 v14, v14, v3
	s_waitcnt vmcnt(2)
	v_cmp_o_f64_e64 s11, v[7:8], v[7:8]
	s_waitcnt vmcnt(1)
	v_cmp_o_f64_e64 s12, v[9:10], v[9:10]
	v_xor_b32_e32 v41, v41, v4
	v_ashrrev_i32_e32 v44, 31, v10
	v_ashrrev_i32_e32 v43, 31, v8
	v_or_b32_e32 v3, 0x80000000, v44
	s_waitcnt vmcnt(0)
	v_cmp_o_f64_e64 s13, v[23:24], v[23:24]
	v_or_b32_e32 v45, 0x80000000, v43
	v_xor_b32_e32 v43, v43, v7
	v_xor_b32_e32 v47, v44, v9
	v_cndmask_b32_e64 v4, -1, v41, s10
	v_ashrrev_i32_e32 v41, 31, v24
	v_xor_b32_e32 v3, v3, v10
	v_xor_b32_e32 v45, v45, v8
	v_and_b32_e32 v10, v4, v22
	v_or_b32_e32 v7, 0x80000000, v41
	v_xor_b32_e32 v41, v41, v23
	v_cndmask_b32_e64 v8, -1, v45, s11
	v_cndmask_b32_e64 v23, -1, v47, s12
	v_xor_b32_e32 v7, v7, v24
	v_cndmask_b32_e64 v24, -1, v3, s12
	v_cndmask_b32_e64 v3, -1, v14, s10
	v_and_b32_e32 v44, v8, v22
	v_and_b32_e32 v47, v23, v21
	;; [unrolled: 1-line block ×4, first 2 shown]
	v_lshrrev_b64 v[3:4], s82, v[3:4]
	v_cndmask_b32_e64 v46, -1, v7, s13
	v_cndmask_b32_e64 v7, -1, v43, s11
	;; [unrolled: 1-line block ×3, first 2 shown]
	v_cmp_eq_u64_e64 s10, v[9:10], v[16:17]
	v_cmp_eq_u64_e64 s16, v[47:48], v[16:17]
	v_and_b32_e32 v14, 3, v3
	v_and_b32_e32 v43, v7, v21
	v_lshrrev_b64 v[7:8], s82, v[7:8]
	v_lshrrev_b64 v[3:4], s82, v[23:24]
	v_and_b32_e32 v49, v46, v22
	v_cmp_eq_u64_e64 s12, 0, v[14:15]
	v_cmp_eq_u64_e64 s13, 1, v[14:15]
	;; [unrolled: 1-line block ×3, first 2 shown]
	v_and_b32_e32 v24, 3, v7
	v_cmp_eq_u64_e64 s15, 3, v[14:15]
	v_cmp_eq_u64_e64 s11, v[43:44], v[16:17]
	s_and_b32 s12, s10, s12
	v_and_b32_e32 v41, 3, v3
	v_cmp_eq_u64_e64 s17, 0, v[24:25]
	v_cmp_eq_u64_e64 s18, 1, v[24:25]
	;; [unrolled: 1-line block ×3, first 2 shown]
	v_lshrrev_b64 v[7:8], s82, v[45:46]
	v_cndmask_b32_e64 v3, 0, 1, s12
	s_and_b32 s12, s10, s13
	v_cmp_eq_u64_e64 s20, 3, v[24:25]
	v_cndmask_b32_e64 v4, 0, 1, s12
	s_and_b32 s12, s10, s14
	s_and_b32 s10, s10, s15
	v_cndmask_b32_e64 v8, 0, 1, s12
	v_cmp_eq_u64_e64 s12, 0, v[41:42]
	v_cmp_eq_u64_e64 s13, 1, v[41:42]
	v_cndmask_b32_e64 v9, 0, 1, s10
	s_and_b32 s17, s11, s17
	s_and_b32 s18, s11, s18
	;; [unrolled: 1-line block ×3, first 2 shown]
	v_and_b32_e32 v48, v45, v21
	v_and_b32_e32 v25, 3, v7
	v_cmp_eq_u64_e64 s14, 2, v[41:42]
	v_cmp_eq_u64_e64 s15, 3, v[41:42]
	v_cmp_ne_u32_e64 s21, 0, v3
	v_cndmask_b32_e64 v3, 0, 1, s17
	v_cmp_ne_u32_e64 s17, 0, v4
	v_cndmask_b32_e64 v4, 0, 1, s18
	v_cndmask_b32_e64 v7, 0, 1, s19
	s_and_b32 s11, s11, s20
	v_cmp_ne_u32_e64 s18, 0, v8
	v_cndmask_b32_e64 v8, 0, 1, s11
	v_cmp_ne_u32_e64 s19, 0, v9
	s_and_b32 s12, s16, s12
	s_and_b32 s13, s16, s13
	v_cmp_eq_u64_e64 s10, v[48:49], v[16:17]
	v_cmp_eq_u64_e64 s11, 0, v[25:26]
	;; [unrolled: 1-line block ×5, first 2 shown]
	s_bcnt1_i32_b32 s44, s21
	v_cmp_ne_u32_e64 s21, 0, v3
	v_cndmask_b32_e64 v3, 0, 1, s12
	v_cmp_ne_u32_e64 s12, 0, v4
	v_cndmask_b32_e64 v4, 0, 1, s13
	v_cmp_ne_u32_e64 s13, 0, v7
	s_and_b32 s14, s16, s14
	s_and_b32 s15, s16, s15
	v_cndmask_b32_e64 v7, 0, 1, s14
	v_cmp_ne_u32_e64 s14, 0, v8
	v_cndmask_b32_e64 v8, 0, 1, s15
	s_bcnt1_i32_b32 s19, s19
	s_and_b32 s11, s10, s11
	s_add_i32 s19, s19, s27
	s_bcnt1_i32_b32 s27, s12
	s_and_b32 s12, s10, s20
	s_bcnt1_i32_b32 s20, s13
	s_and_b32 s13, s10, s22
	s_and_b32 s10, s10, s23
	v_cmp_ne_u32_e64 s15, 0, v3
	v_cndmask_b32_e64 v3, 0, 1, s11
	v_cmp_ne_u32_e64 s11, 0, v4
	v_cndmask_b32_e64 v4, 0, 1, s12
	v_cmp_ne_u32_e64 s12, 0, v7
	v_cndmask_b32_e64 v7, 0, 1, s13
	v_cmp_ne_u32_e64 s13, 0, v8
	v_cndmask_b32_e64 v8, 0, 1, s10
	s_bcnt1_i32_b32 s18, s18
	s_add_i32 s16, s44, s90
	s_add_i32 s18, s18, s28
	s_bcnt1_i32_b32 s21, s21
	s_bcnt1_i32_b32 s14, s14
	;; [unrolled: 1-line block ×3, first 2 shown]
	s_add_i32 s16, s16, s21
	s_add_i32 s18, s18, s20
	;; [unrolled: 1-line block ×3, first 2 shown]
	v_cmp_ne_u32_e64 s10, 0, v3
	s_bcnt1_i32_b32 s19, s11
	v_cmp_ne_u32_e64 s11, 0, v4
	s_bcnt1_i32_b32 s20, s12
	;; [unrolled: 2-line block ×3, first 2 shown]
	v_cmp_ne_u32_e64 s13, 0, v8
	s_add_i32 s17, s17, s29
	s_bcnt1_i32_b32 s15, s15
	s_add_i32 s17, s17, s27
	s_add_i32 s15, s16, s15
	;; [unrolled: 1-line block ×5, first 2 shown]
	s_bcnt1_i32_b32 s10, s10
	s_bcnt1_i32_b32 s11, s11
	;; [unrolled: 1-line block ×4, first 2 shown]
	s_add_i32 s90, s15, s10
	s_add_i32 s29, s16, s11
	;; [unrolled: 1-line block ×4, first 2 shown]
	v_mov_b32_e32 v7, s90
	v_mov_b32_e32 v8, s29
	;; [unrolled: 1-line block ×4, first 2 shown]
	s_or_b32 s25, vcc_lo, s25
	s_andn2_b32 exec_lo, exec_lo, s25
	s_cbranch_execnz .LBB75_45
; %bb.46:                               ;   in Loop: Header=BB75_6 Depth=1
	s_or_b32 exec_lo, exec_lo, s25
.LBB75_47:                              ;   in Loop: Header=BB75_6 Depth=1
	s_or_b32 exec_lo, exec_lo, s24
	s_and_saveexec_b32 s14, s8
	s_cbranch_execz .LBB75_53
; %bb.48:                               ;   in Loop: Header=BB75_6 Depth=1
	global_load_dwordx2 v[25:26], v[18:19], off
	v_mov_b32_e32 v3, v37
	v_mov_b32_e32 v1, v31
	s_mov_b32 s15, 0
	s_branch .LBB75_50
.LBB75_49:                              ;   in Loop: Header=BB75_50 Depth=2
	s_or_b32 exec_lo, exec_lo, s11
	s_waitcnt vmcnt(0)
	v_cmp_o_f64_e64 s10, v[25:26], v[25:26]
	v_ashrrev_i32_e32 v4, 31, v26
	s_and_b32 s12, exec_lo, vcc_lo
	v_add_nc_u32_e32 v3, s47, v3
	s_or_b32 s15, s12, s15
	v_or_b32_e32 v14, 0x80000000, v4
	v_xor_b32_e32 v4, v4, v25
	v_xor_b32_e32 v14, v14, v26
	v_cndmask_b32_e64 v26, -1, v14, s10
	v_cndmask_b32_e64 v25, -1, v4, s10
	v_lshrrev_b64 v[41:42], s82, v[25:26]
	v_and_b32_e32 v26, v26, v22
	v_and_b32_e32 v25, v25, v21
	;; [unrolled: 1-line block ×3, first 2 shown]
	v_cmp_eq_u64_e64 s10, v[25:26], v[16:17]
	v_cmp_eq_u64_e64 s11, 0, v[14:15]
	v_cmp_eq_u64_e32 vcc_lo, 1, v[14:15]
	v_cmp_eq_u64_e64 s12, 2, v[14:15]
	v_cmp_eq_u64_e64 s13, 3, v[14:15]
	s_and_b32 s11, s10, s11
	v_cndmask_b32_e64 v4, 0, 1, s11
	s_and_b32 s11, s10, vcc_lo
	v_cndmask_b32_e64 v14, 0, 1, s11
	s_and_b32 s11, s10, s12
	s_and_b32 s10, s10, s13
	v_cndmask_b32_e64 v25, 0, 1, s11
	v_cndmask_b32_e64 v26, 0, 1, s10
	v_cmp_ne_u32_e32 vcc_lo, 0, v4
	v_cmp_ne_u32_e64 s10, 0, v14
	v_cmp_ne_u32_e64 s11, 0, v25
	;; [unrolled: 1-line block ×3, first 2 shown]
	s_bcnt1_i32_b32 s13, vcc_lo
	s_bcnt1_i32_b32 s10, s10
	v_mov_b32_e32 v26, v24
	s_bcnt1_i32_b32 s11, s11
	s_bcnt1_i32_b32 s12, s12
	v_add_nc_u32_e32 v7, s13, v7
	v_add_nc_u32_e32 v8, s10, v8
	;; [unrolled: 1-line block ×4, first 2 shown]
	v_mov_b32_e32 v25, v23
	s_andn2_b32 exec_lo, exec_lo, s15
	s_cbranch_execz .LBB75_52
.LBB75_50:                              ;   Parent Loop BB75_6 Depth=1
                                        ; =>  This Inner Loop Header: Depth=2
	v_mov_b32_e32 v23, 0
	v_add_nc_u32_e32 v1, s43, v1
	v_mov_b32_e32 v24, 0
	s_mov_b32 s11, exec_lo
	v_cmp_le_u32_e32 vcc_lo, s36, v1
	v_cmpx_gt_u32_e64 s36, v1
	s_cbranch_execz .LBB75_49
; %bb.51:                               ;   in Loop: Header=BB75_50 Depth=2
	v_mov_b32_e32 v4, v15
	v_lshlrev_b64 v[23:24], 3, v[3:4]
	v_add_co_u32 v23, s10, s31, v23
	v_add_co_ci_u32_e64 v24, null, s33, v24, s10
	global_load_dwordx2 v[23:24], v[23:24], off
	s_branch .LBB75_49
.LBB75_52:                              ;   in Loop: Header=BB75_6 Depth=1
	s_or_b32 exec_lo, exec_lo, s15
.LBB75_53:                              ;   in Loop: Header=BB75_6 Depth=1
	s_or_b32 exec_lo, exec_lo, s14
	s_branch .LBB75_35
.LBB75_54:                              ;   in Loop: Header=BB75_6 Depth=1
	s_mul_hi_u32 s10, s89, s70
	v_mov_b32_e32 v7, 0
	s_mul_i32 s10, s10, s61
	v_mov_b32_e32 v8, 0
	s_sub_i32 s10, s89, s10
	v_mov_b32_e32 v9, 0
	s_sub_i32 s11, s10, s61
	s_cmp_ge_u32 s10, s61
	v_mov_b32_e32 v10, 0
	s_cselect_b32 s10, s11, s10
	s_mov_b32 s91, exec_lo
	s_sub_i32 s11, s10, s61
	s_cmp_ge_u32 s10, s61
	s_cselect_b32 s10, s11, s10
	s_sub_i32 s90, s89, s10
	v_cmpx_gt_u32_e64 s90, v29
	s_cbranch_execz .LBB75_58
; %bb.55:                               ;   in Loop: Header=BB75_6 Depth=1
	v_mov_b32_e32 v1, v38
	v_mov_b32_e32 v3, v29
	s_mov_b32 s92, 0
	s_mov_b32 s93, 0
	;; [unrolled: 1-line block ×5, first 2 shown]
.LBB75_56:                              ;   Parent Loop BB75_6 Depth=1
                                        ; =>  This Inner Loop Header: Depth=2
	ds_read_b128 v[7:10], v1
	ds_read_b128 v[23:26], v1 offset:16
	v_mov_b32_e32 v42, v15
	v_mov_b32_e32 v44, v15
	;; [unrolled: 1-line block ×3, first 2 shown]
	v_add_nc_u32_e32 v3, s61, v3
	v_add_nc_u32_e32 v1, s75, v1
	v_cmp_le_u32_e32 vcc_lo, s90, v3
	s_waitcnt lgkmcnt(1)
	v_cmp_o_f64_e64 s10, v[7:8], v[7:8]
	v_cmp_o_f64_e64 s11, v[9:10], v[9:10]
	s_waitcnt lgkmcnt(0)
	v_cmp_o_f64_e64 s12, v[23:24], v[23:24]
	v_cmp_o_f64_e64 s13, v[25:26], v[25:26]
	v_ashrrev_i32_e32 v4, 31, v8
	v_ashrrev_i32_e32 v14, 31, v10
	;; [unrolled: 1-line block ×4, first 2 shown]
	v_or_b32_e32 v45, 0x80000000, v4
	v_or_b32_e32 v47, 0x80000000, v14
	;; [unrolled: 1-line block ×4, first 2 shown]
	v_xor_b32_e32 v4, v4, v7
	v_xor_b32_e32 v45, v45, v8
	;; [unrolled: 1-line block ×8, first 2 shown]
	v_cndmask_b32_e64 v8, -1, v45, s10
	v_cndmask_b32_e64 v10, -1, v7, s11
	;; [unrolled: 1-line block ×7, first 2 shown]
	v_and_b32_e32 v48, v8, v22
	v_and_b32_e32 v47, v7, v21
	v_lshrrev_b64 v[7:8], s82, v[7:8]
	v_cndmask_b32_e64 v25, -1, v43, s13
	v_and_b32_e32 v49, v9, v21
	v_lshrrev_b64 v[8:9], s82, v[9:10]
	v_and_b32_e32 v50, v10, v22
	v_lshrrev_b64 v[9:10], s82, v[23:24]
	v_and_b32_e32 v52, v24, v22
	v_and_b32_e32 v51, v23, v21
	v_lshrrev_b64 v[23:24], s82, v[25:26]
	v_and_b32_e32 v14, 3, v7
	v_and_b32_e32 v41, 3, v8
	;; [unrolled: 1-line block ×3, first 2 shown]
	v_cmp_eq_u64_e64 s10, v[47:48], v[16:17]
	v_and_b32_e32 v54, v26, v22
	v_cmp_eq_u64_e64 s14, 0, v[14:15]
	v_and_b32_e32 v53, v25, v21
	v_and_b32_e32 v45, 3, v23
	v_cmp_eq_u64_e64 s11, v[49:50], v[16:17]
	v_cmp_eq_u64_e64 s15, 0, v[41:42]
	v_cmp_eq_u64_e64 s12, v[51:52], v[16:17]
	v_cmp_eq_u64_e64 s16, 0, v[43:44]
	v_cmp_eq_u64_e64 s13, v[53:54], v[16:17]
	v_cmp_eq_u64_e64 s17, 0, v[45:46]
	s_and_b32 s14, s10, s14
	v_cmp_eq_u64_e64 s18, 1, v[14:15]
	v_cndmask_b32_e64 v4, 0, 1, s14
	s_and_b32 s14, s11, s15
	v_cmp_eq_u64_e64 s19, 1, v[41:42]
	v_cndmask_b32_e64 v7, 0, 1, s14
	;; [unrolled: 3-line block ×4, first 2 shown]
	s_and_b32 s14, s10, s18
	v_cmp_eq_u64_e64 s22, 2, v[14:15]
	v_cmp_eq_u64_e64 s26, 3, v[14:15]
	v_cndmask_b32_e64 v10, 0, 1, s14
	s_and_b32 s14, s11, s19
	v_cmp_eq_u64_e64 s23, 2, v[41:42]
	v_cmp_eq_u64_e64 s27, 3, v[41:42]
	v_cndmask_b32_e64 v14, 0, 1, s14
	;; [unrolled: 4-line block ×4, first 2 shown]
	s_and_b32 s14, s10, s22
	s_and_b32 s10, s10, s26
	v_cndmask_b32_e64 v25, 0, 1, s14
	s_and_b32 s14, s11, s23
	v_cndmask_b32_e64 v43, 0, 1, s10
	;; [unrolled: 2-line block ×7, first 2 shown]
	v_cndmask_b32_e64 v46, 0, 1, s10
	v_cmp_ne_u32_e64 s10, 0, v4
	v_cmp_ne_u32_e64 s14, 0, v10
	;; [unrolled: 1-line block ×12, first 2 shown]
	s_bcnt1_i32_b32 s10, s10
	s_bcnt1_i32_b32 s14, s14
	;; [unrolled: 1-line block ×4, first 2 shown]
	v_cmp_ne_u32_e64 s13, 0, v9
	v_cmp_ne_u32_e64 s17, 0, v24
	;; [unrolled: 1-line block ×4, first 2 shown]
	s_bcnt1_i32_b32 s11, s11
	s_bcnt1_i32_b32 s15, s15
	s_bcnt1_i32_b32 s19, s19
	s_bcnt1_i32_b32 s23, s23
	s_add_i32 s10, s10, s96
	s_add_i32 s14, s14, s95
	s_add_i32 s18, s18, s94
	s_add_i32 s22, s22, s93
	s_bcnt1_i32_b32 s12, s12
	s_bcnt1_i32_b32 s16, s16
	s_bcnt1_i32_b32 s20, s20
	s_bcnt1_i32_b32 s24, s24
	s_add_i32 s10, s10, s11
	s_add_i32 s11, s14, s15
	s_add_i32 s14, s18, s19
	s_add_i32 s15, s22, s23
	s_bcnt1_i32_b32 s13, s13
	s_bcnt1_i32_b32 s17, s17
	s_bcnt1_i32_b32 s21, s21
	s_bcnt1_i32_b32 s25, s25
	s_add_i32 s10, s10, s12
	s_add_i32 s11, s11, s16
	s_add_i32 s12, s14, s20
	s_add_i32 s14, s15, s24
	s_add_i32 s96, s10, s13
	s_add_i32 s95, s11, s17
	;; [unrolled: 1-line block ×4, first 2 shown]
	v_mov_b32_e32 v7, s96
	v_mov_b32_e32 v8, s95
	;; [unrolled: 1-line block ×4, first 2 shown]
	s_or_b32 s92, vcc_lo, s92
	s_andn2_b32 exec_lo, exec_lo, s92
	s_cbranch_execnz .LBB75_56
; %bb.57:                               ;   in Loop: Header=BB75_6 Depth=1
	s_or_b32 exec_lo, exec_lo, s92
.LBB75_58:                              ;   in Loop: Header=BB75_6 Depth=1
	s_or_b32 exec_lo, exec_lo, s91
	v_add_nc_u32_e32 v1, s90, v0
	s_mov_b32 s15, exec_lo
	v_cmpx_gt_u32_e64 s89, v1
	s_cbranch_execz .LBB75_62
; %bb.59:                               ;   in Loop: Header=BB75_6 Depth=1
	v_lshlrev_b32_e32 v3, 3, v1
	s_mov_b32 s16, 0
.LBB75_60:                              ;   Parent Loop BB75_6 Depth=1
                                        ; =>  This Inner Loop Header: Depth=2
	ds_read_b64 v[23:24], v3
	v_add_nc_u32_e32 v1, s43, v1
	v_add_nc_u32_e32 v3, s76, v3
	v_cmp_le_u32_e64 s10, s89, v1
	s_waitcnt lgkmcnt(0)
	v_cmp_o_f64_e32 vcc_lo, v[23:24], v[23:24]
	v_ashrrev_i32_e32 v4, 31, v24
	v_or_b32_e32 v14, 0x80000000, v4
	v_xor_b32_e32 v4, v4, v23
	v_xor_b32_e32 v14, v14, v24
	v_cndmask_b32_e32 v24, -1, v14, vcc_lo
	v_cndmask_b32_e32 v23, -1, v4, vcc_lo
	v_and_b32_e32 v26, v24, v22
	v_and_b32_e32 v25, v23, v21
	v_lshrrev_b64 v[23:24], s82, v[23:24]
	v_cmp_eq_u64_e32 vcc_lo, v[25:26], v[16:17]
	v_and_b32_e32 v14, 3, v23
	v_cmp_eq_u64_e64 s11, 0, v[14:15]
	v_cmp_eq_u64_e64 s12, 1, v[14:15]
	;; [unrolled: 1-line block ×4, first 2 shown]
	s_and_b32 s11, vcc_lo, s11
	v_cndmask_b32_e64 v4, 0, 1, s11
	s_and_b32 s11, vcc_lo, s12
	v_cndmask_b32_e64 v14, 0, 1, s11
	;; [unrolled: 2-line block ×3, first 2 shown]
	s_and_b32 s11, vcc_lo, s14
	v_cmp_ne_u32_e32 vcc_lo, 0, v4
	v_cndmask_b32_e64 v24, 0, 1, s11
	v_cmp_ne_u32_e64 s11, 0, v14
	v_cmp_ne_u32_e64 s12, 0, v23
	s_bcnt1_i32_b32 s14, vcc_lo
	v_cmp_ne_u32_e64 s13, 0, v24
	s_bcnt1_i32_b32 s11, s11
	s_bcnt1_i32_b32 s12, s12
	v_add_nc_u32_e32 v7, s14, v7
	v_add_nc_u32_e32 v8, s11, v8
	s_bcnt1_i32_b32 s13, s13
	v_add_nc_u32_e32 v9, s12, v9
	v_add_nc_u32_e32 v10, s13, v10
	s_or_b32 s16, s10, s16
	s_andn2_b32 exec_lo, exec_lo, s16
	s_cbranch_execnz .LBB75_60
; %bb.61:                               ;   in Loop: Header=BB75_6 Depth=1
	s_or_b32 exec_lo, exec_lo, s16
.LBB75_62:                              ;   in Loop: Header=BB75_6 Depth=1
	s_or_b32 exec_lo, exec_lo, s15
	s_lshl_b32 s10, s78, 7
	s_and_saveexec_b32 s11, s0
	s_cbranch_execnz .LBB75_36
	s_branch .LBB75_37
.LBB75_63:                              ;   in Loop: Header=BB75_6 Depth=1
	v_mov_b32_e32 v1, 0
	s_mov_b32 s12, 0
	s_andn2_b32 vcc_lo, exec_lo, s69
	s_cbranch_vccnz .LBB75_66
.LBB75_64:                              ;   in Loop: Header=BB75_6 Depth=1
	s_lshl_b32 s13, s78, 9
	s_lshl_b32 s12, s12, 4
	v_add3_u32 v3, s13, s12, v39
	s_mov_b32 s12, s67
.LBB75_65:                              ;   Parent Loop BB75_6 Depth=1
                                        ; =>  This Inner Loop Header: Depth=2
	ds_read_b32 v4, v3
	v_add_nc_u32_e32 v3, 16, v3
	s_add_i32 s12, s12, -1
	s_cmp_lg_u32 s12, 0
	s_waitcnt lgkmcnt(0)
	v_add_nc_u32_e32 v1, v4, v1
	s_cbranch_scc1 .LBB75_65
.LBB75_66:                              ;   in Loop: Header=BB75_6 Depth=1
	v_add_lshl_u32 v3, s10, v28, 2
	ds_write_b32 v3, v1 offset:3072
.LBB75_67:                              ;   in Loop: Header=BB75_6 Depth=1
	s_or_b32 exec_lo, exec_lo, s11
	s_lshl_b32 s10, s10, 2
	s_waitcnt lgkmcnt(0)
	v_mov_b32_e32 v1, s10
	s_barrier
	buffer_gl0_inv
	v_cmp_eq_u32_e64 s10, 1, v40
	s_lshl_b64 s[12:13], 3, s82
	ds_read_b128 v[7:10], v1 offset:3072
	s_mov_b32 s24, -1
	s_not_b64 s[14:15], s[12:13]
	s_mov_b32 s16, 0
	s_andn2_b32 vcc_lo, exec_lo, s54
	s_mov_b32 s21, 0
	s_mov_b32 s11, 0
                                        ; implicit-def: $sgpr22
                                        ; implicit-def: $sgpr23
                                        ; implicit-def: $vgpr42
                                        ; implicit-def: $vgpr41
                                        ; implicit-def: $vgpr25_vgpr26
                                        ; implicit-def: $vgpr23_vgpr24
	s_waitcnt lgkmcnt(0)
	v_readfirstlane_b32 s17, v7
	v_readfirstlane_b32 s18, v8
	v_readfirstlane_b32 s19, v9
	v_readfirstlane_b32 s20, v10
                                        ; implicit-def: $vgpr9_vgpr10
	s_cbranch_vccnz .LBB75_236
; %bb.68:                               ;   in Loop: Header=BB75_6 Depth=1
	s_cmp_eq_u32 s17, 1
	v_mov_b32_e32 v26, v17
	v_mov_b32_e32 v24, v22
	;; [unrolled: 1-line block ×6, first 2 shown]
	s_cselect_b32 s11, -1, 0
	s_mov_b32 s27, -1
	s_and_b32 s26, s11, s10
                                        ; implicit-def: $sgpr23
                                        ; implicit-def: $sgpr22
	s_and_saveexec_b32 s11, s26
	s_cbranch_execz .LBB75_99
; %bb.69:                               ;   in Loop: Header=BB75_6 Depth=1
	ds_read_b32 v1, v15 offset:4096
	s_waitcnt lgkmcnt(0)
	s_barrier
	buffer_gl0_inv
	v_readfirstlane_b32 s24, v1
	s_and_saveexec_b32 s21, s6
; %bb.70:                               ;   in Loop: Header=BB75_6 Depth=1
	v_mov_b32_e32 v14, v15
	ds_write_b64 v32, v[14:15]
; %bb.71:                               ;   in Loop: Header=BB75_6 Depth=1
	s_or_b32 exec_lo, exec_lo, s21
	v_and_b32_e32 v26, s15, v17
	v_and_b32_e32 v25, s14, v16
	v_or_b32_e32 v24, s13, v22
	v_or_b32_e32 v23, s12, v21
	s_mov_b32 s22, -1
	s_mov_b32 s23, 0
	s_cmp_eq_u32 s24, 0
	s_mov_b32 s21, 0
	s_mov_b32 s25, -1
	s_waitcnt lgkmcnt(0)
	s_barrier
	buffer_gl0_inv
                                        ; implicit-def: $vgpr9_vgpr10
	s_cbranch_scc1 .LBB75_86
; %bb.72:                               ;   in Loop: Header=BB75_6 Depth=1
	s_add_i32 s21, s24, s66
                                        ; implicit-def: $vgpr9_vgpr10
	s_mul_hi_u32 s25, s21, s72
	s_mul_i32 s25, s25, s43
	s_sub_i32 s25, s21, s25
	s_sub_i32 s27, s25, s43
	s_cmp_ge_u32 s25, s43
	s_cselect_b32 s25, s27, s25
	s_sub_i32 s27, s25, s43
	s_cmp_ge_u32 s25, s43
	s_cselect_b32 s25, s27, s25
	s_mov_b32 s27, exec_lo
	s_sub_i32 s28, s21, s25
	s_mov_b32 s25, 0
	s_mov_b32 s21, 0
	v_cmpx_gt_u32_e64 s28, v0
	s_cbranch_execz .LBB75_85
; %bb.73:                               ;   in Loop: Header=BB75_6 Depth=1
	v_mov_b32_e32 v14, v30
	v_mov_b32_e32 v41, v0
                                        ; implicit-def: $sgpr29
	s_inst_prefetch 0x1
	s_branch .LBB75_77
	.p2align	6
.LBB75_74:                              ;   in Loop: Header=BB75_77 Depth=2
	s_or_b32 exec_lo, exec_lo, s44
	s_waitcnt lgkmcnt(0)
	s_barrier
	buffer_gl0_inv
	ds_read_b128 v[7:10], v15 offset:3072
	s_waitcnt lgkmcnt(0)
	s_barrier
	buffer_gl0_inv
	v_cmp_neq_f64_e32 vcc_lo, 0, v[7:8]
	s_cbranch_vccnz .LBB75_80
; %bb.75:                               ;   in Loop: Header=BB75_77 Depth=2
	v_add_nc_u32_e32 v41, s43, v41
	v_add_nc_u32_e32 v14, s76, v14
	s_mov_b32 s44, 0
	v_cmp_le_u32_e32 vcc_lo, s28, v41
	s_orn2_b32 s45, vcc_lo, exec_lo
.LBB75_76:                              ;   in Loop: Header=BB75_77 Depth=2
	s_and_b32 s45, exec_lo, s45
	s_or_b32 s21, s45, s21
	s_andn2_b32 s29, s29, exec_lo
	s_and_b32 s44, s44, exec_lo
	s_or_b32 s29, s29, s44
	s_andn2_b32 exec_lo, exec_lo, s21
	s_cbranch_execz .LBB75_84
.LBB75_77:                              ;   Parent Loop BB75_6 Depth=1
                                        ; =>  This Inner Loop Header: Depth=2
	s_mov_b32 s44, exec_lo
	v_cmpx_gt_u32_e64 s24, v41
	s_cbranch_execz .LBB75_74
; %bb.78:                               ;   in Loop: Header=BB75_77 Depth=2
	ds_read_b64 v[3:4], v14
	s_waitcnt lgkmcnt(0)
	v_cmp_o_f64_e32 vcc_lo, v[3:4], v[3:4]
	v_ashrrev_i32_e32 v1, 31, v4
	v_or_b32_e32 v7, 0x80000000, v1
	v_xor_b32_e32 v1, v1, v3
	v_xor_b32_e32 v7, v7, v4
	v_cndmask_b32_e32 v7, -1, v7, vcc_lo
	v_cndmask_b32_e32 v1, -1, v1, vcc_lo
	v_and_b32_e32 v8, v7, v24
	v_and_b32_e32 v7, v1, v23
	v_cmp_eq_u64_e32 vcc_lo, v[7:8], v[25:26]
	s_and_b32 exec_lo, exec_lo, vcc_lo
	s_cbranch_execz .LBB75_74
; %bb.79:                               ;   in Loop: Header=BB75_77 Depth=2
	v_mov_b32_e32 v1, v15
	ds_write_b128 v15, v[1:4] offset:3072
	s_branch .LBB75_74
.LBB75_80:                              ;   in Loop: Header=BB75_77 Depth=2
	s_mov_b32 s45, -1
	s_mov_b32 s44, -1
                                        ; implicit-def: $vgpr41
                                        ; implicit-def: $vgpr14
	s_branch .LBB75_76
.LBB75_81:                              ;   in Loop: Header=BB75_6 Depth=1
	s_or_b32 exec_lo, exec_lo, s13
	s_waitcnt lgkmcnt(0)
	s_barrier
	buffer_gl0_inv
	s_and_saveexec_b32 s10, s3
	s_cbranch_execz .LBB75_83
; %bb.82:                               ;   in Loop: Header=BB75_6 Depth=1
	ds_read_b32 v1, v15 offset:4104
	s_waitcnt lgkmcnt(0)
	ds_write_b32 v15, v1 offset:4096
.LBB75_83:                              ;   in Loop: Header=BB75_6 Depth=1
	s_or_b32 exec_lo, exec_lo, s10
	s_waitcnt lgkmcnt(0)
	s_mov_b32 s10, -1
	s_barrier
	s_and_b32 vcc_lo, exec_lo, s12
	s_cbranch_vccnz .LBB75_22
	s_branch .LBB75_31
.LBB75_84:                              ;   in Loop: Header=BB75_6 Depth=1
	s_inst_prefetch 0x2
	s_or_b32 exec_lo, exec_lo, s21
	s_and_b32 s21, s29, exec_lo
.LBB75_85:                              ;   in Loop: Header=BB75_6 Depth=1
	s_or_b32 exec_lo, exec_lo, s27
.LBB75_86:                              ;   in Loop: Header=BB75_6 Depth=1
	s_and_b32 vcc_lo, exec_lo, s25
	s_cbranch_vccz .LBB75_98
; %bb.87:                               ;   in Loop: Header=BB75_6 Depth=1
                                        ; implicit-def: $vgpr9_vgpr10
	s_and_saveexec_b32 s22, s9
	s_cbranch_execz .LBB75_97
; %bb.88:                               ;   in Loop: Header=BB75_6 Depth=1
	v_mov_b32_e32 v14, v13
	v_mov_b32_e32 v41, v0
	s_mov_b32 s24, 0
                                        ; implicit-def: $sgpr23
	s_branch .LBB75_92
.LBB75_89:                              ;   in Loop: Header=BB75_92 Depth=2
	s_or_b32 exec_lo, exec_lo, s25
	s_waitcnt lgkmcnt(0)
	s_barrier
	buffer_gl0_inv
	ds_read_b128 v[7:10], v15 offset:3072
	s_waitcnt lgkmcnt(0)
	s_barrier
	buffer_gl0_inv
	v_cmp_neq_f64_e32 vcc_lo, 0, v[7:8]
	s_cbranch_vccnz .LBB75_95
; %bb.90:                               ;   in Loop: Header=BB75_92 Depth=2
	v_add_nc_u32_e32 v41, s43, v41
	v_add_nc_u32_e32 v14, s47, v14
	s_mov_b32 s25, 0
	v_cmp_le_u32_e32 vcc_lo, s73, v41
	s_orn2_b32 s27, vcc_lo, exec_lo
.LBB75_91:                              ;   in Loop: Header=BB75_92 Depth=2
	s_and_b32 s27, exec_lo, s27
	s_or_b32 s24, s27, s24
	s_andn2_b32 s23, s23, exec_lo
	s_and_b32 s25, s25, exec_lo
	s_or_b32 s23, s23, s25
	s_andn2_b32 exec_lo, exec_lo, s24
	s_cbranch_execz .LBB75_96
.LBB75_92:                              ;   Parent Loop BB75_6 Depth=1
                                        ; =>  This Inner Loop Header: Depth=2
	s_mov_b32 s25, exec_lo
	v_cmpx_gt_u32_e64 s36, v41
	s_cbranch_execz .LBB75_89
; %bb.93:                               ;   in Loop: Header=BB75_92 Depth=2
	v_lshlrev_b64 v[3:4], 3, v[14:15]
	v_add_co_u32 v3, vcc_lo, s31, v3
	v_add_co_ci_u32_e64 v4, null, s33, v4, vcc_lo
	global_load_dwordx2 v[3:4], v[3:4], off
	s_waitcnt vmcnt(0)
	v_cmp_o_f64_e32 vcc_lo, v[3:4], v[3:4]
	v_ashrrev_i32_e32 v1, 31, v4
	v_or_b32_e32 v7, 0x80000000, v1
	v_xor_b32_e32 v1, v1, v3
	v_xor_b32_e32 v7, v7, v4
	v_cndmask_b32_e32 v7, -1, v7, vcc_lo
	v_cndmask_b32_e32 v1, -1, v1, vcc_lo
	v_and_b32_e32 v8, v7, v24
	v_and_b32_e32 v7, v1, v23
	v_cmp_eq_u64_e32 vcc_lo, v[7:8], v[25:26]
	s_and_b32 exec_lo, exec_lo, vcc_lo
	s_cbranch_execz .LBB75_89
; %bb.94:                               ;   in Loop: Header=BB75_92 Depth=2
	v_mov_b32_e32 v1, v15
	ds_write_b128 v15, v[1:4] offset:3072
	s_branch .LBB75_89
.LBB75_95:                              ;   in Loop: Header=BB75_92 Depth=2
	s_mov_b32 s27, -1
	s_mov_b32 s25, -1
                                        ; implicit-def: $vgpr41
	s_branch .LBB75_91
.LBB75_96:                              ;   in Loop: Header=BB75_6 Depth=1
	s_or_b32 exec_lo, exec_lo, s24
	s_andn2_b32 s21, s21, exec_lo
	s_and_b32 s23, s23, exec_lo
	s_or_b32 s21, s21, s23
.LBB75_97:                              ;   in Loop: Header=BB75_6 Depth=1
	s_or_b32 exec_lo, exec_lo, s22
	s_mov_b32 s22, 0
	s_mov_b32 s23, -1
.LBB75_98:                              ;   in Loop: Header=BB75_6 Depth=1
	s_orn2_b32 s27, s21, exec_lo
.LBB75_99:                              ;   in Loop: Header=BB75_6 Depth=1
	s_or_b32 exec_lo, exec_lo, s11
	s_mov_b32 s24, 0
	s_mov_b32 s21, 0
	;; [unrolled: 1-line block ×3, first 2 shown]
                                        ; implicit-def: $vgpr42
                                        ; implicit-def: $vgpr41
	s_and_saveexec_b32 s25, s27
	s_cbranch_execz .LBB75_235
; %bb.100:                              ;   in Loop: Header=BB75_6 Depth=1
	v_mov_b32_e32 v42, 1
	v_mov_b32_e32 v41, 1
	s_xor_b32 s21, s26, -1
	s_mov_b32 s28, 0
	s_and_saveexec_b32 s11, s21
	s_cbranch_execz .LBB75_109
; %bb.101:                              ;   in Loop: Header=BB75_6 Depth=1
	s_mov_b32 s21, exec_lo
	v_cmpx_ge_u32_e64 s17, v40
	s_xor_b32 s21, exec_lo, s21
	s_cbranch_execz .LBB75_106
; %bb.102:                              ;   in Loop: Header=BB75_6 Depth=1
	ds_read_b32 v1, v15 offset:4096
	v_and_b32_e32 v26, s15, v26
	v_and_b32_e32 v25, s14, v25
	v_or_b32_e32 v24, s13, v24
	v_or_b32_e32 v23, s12, v23
	s_waitcnt lgkmcnt(0)
	v_cmp_ne_u32_e32 vcc_lo, 0, v1
	s_cbranch_vccnz .LBB75_106
; %bb.103:                              ;   in Loop: Header=BB75_6 Depth=1
	s_and_saveexec_b32 s26, s3
; %bb.104:                              ;   in Loop: Header=BB75_6 Depth=1
	v_mov_b32_e32 v1, s17
	ds_write_b32 v15, v1 offset:4100
; %bb.105:                              ;   in Loop: Header=BB75_6 Depth=1
	s_or_b32 exec_lo, exec_lo, s26
	s_waitcnt lgkmcnt(0)
	s_barrier
	buffer_gl0_inv
.LBB75_106:                             ;   in Loop: Header=BB75_6 Depth=1
	s_or_saveexec_b32 s21, s21
	v_mov_b32_e32 v41, 8
	v_mov_b32_e32 v42, v40
	s_mov_b32 s26, 0
	s_xor_b32 exec_lo, exec_lo, s21
; %bb.107:                              ;   in Loop: Header=BB75_6 Depth=1
	v_subrev_nc_u32_e32 v42, s17, v40
	v_mov_b32_e32 v41, 0
	s_mov_b32 s26, exec_lo
; %bb.108:                              ;   in Loop: Header=BB75_6 Depth=1
	s_or_b32 exec_lo, exec_lo, s21
	s_and_b32 s28, s26, exec_lo
.LBB75_109:                             ;   in Loop: Header=BB75_6 Depth=1
	s_or_b32 exec_lo, exec_lo, s11
	s_mov_b32 s27, -1
                                        ; implicit-def: $sgpr21
                                        ; implicit-def: $sgpr26
	s_and_saveexec_b32 s11, s28
	s_xor_b32 s11, exec_lo, s11
	s_cbranch_execz .LBB75_232
; %bb.110:                              ;   in Loop: Header=BB75_6 Depth=1
	v_cmp_eq_u32_e32 vcc_lo, 1, v42
	s_cmp_eq_u32 s18, 1
	s_mov_b32 s29, -1
	s_cselect_b32 s21, -1, 0
                                        ; implicit-def: $sgpr26
	s_and_b32 s28, s21, vcc_lo
                                        ; implicit-def: $sgpr21
	s_and_saveexec_b32 s27, s28
	s_cbranch_execz .LBB75_138
; %bb.111:                              ;   in Loop: Header=BB75_6 Depth=1
	ds_read_b32 v1, v15 offset:4096
	s_waitcnt lgkmcnt(0)
	s_barrier
	buffer_gl0_inv
	v_readfirstlane_b32 s89, v1
	s_and_saveexec_b32 s21, s6
; %bb.112:                              ;   in Loop: Header=BB75_6 Depth=1
	v_mov_b32_e32 v14, v15
	ds_write_b64 v32, v[14:15]
; %bb.113:                              ;   in Loop: Header=BB75_6 Depth=1
	s_or_b32 exec_lo, exec_lo, s21
	v_and_b32_e32 v1, s15, v26
	v_and_b32_e32 v3, s14, v25
	s_lshl_b64 s[44:45], 1, s82
	v_or_b32_e32 v24, s13, v24
	v_or_b32_e32 v23, s12, v23
	;; [unrolled: 1-line block ×4, first 2 shown]
	s_mov_b32 s21, -1
	s_mov_b32 s26, 0
	s_cmp_eq_u32 s89, 0
	s_mov_b32 s29, 0
	s_mov_b32 s90, -1
	s_waitcnt lgkmcnt(0)
	s_barrier
	buffer_gl0_inv
                                        ; implicit-def: $vgpr9_vgpr10
	s_cbranch_scc1 .LBB75_125
; %bb.114:                              ;   in Loop: Header=BB75_6 Depth=1
	s_add_i32 s29, s89, s66
	s_mov_b32 s90, 0
	s_mul_hi_u32 s44, s29, s72
	s_mov_b32 s91, exec_lo
	s_mul_i32 s44, s44, s43
                                        ; implicit-def: $vgpr9_vgpr10
	s_sub_i32 s44, s29, s44
	s_sub_i32 s45, s44, s43
	s_cmp_ge_u32 s44, s43
	s_cselect_b32 s44, s45, s44
	s_sub_i32 s45, s44, s43
	s_cmp_ge_u32 s44, s43
	s_cselect_b32 s44, s45, s44
	s_sub_i32 s92, s29, s44
	s_mov_b32 s29, 0
	v_cmpx_gt_u32_e64 s92, v0
	s_cbranch_execz .LBB75_124
; %bb.115:                              ;   in Loop: Header=BB75_6 Depth=1
	v_mov_b32_e32 v14, v30
	v_mov_b32_e32 v43, v0
                                        ; implicit-def: $sgpr93
	s_inst_prefetch 0x1
	s_branch .LBB75_119
	.p2align	6
.LBB75_116:                             ;   in Loop: Header=BB75_119 Depth=2
	s_or_b32 exec_lo, exec_lo, s94
	s_waitcnt lgkmcnt(0)
	s_barrier
	buffer_gl0_inv
	ds_read_b128 v[7:10], v15 offset:3072
	s_waitcnt lgkmcnt(0)
	s_barrier
	buffer_gl0_inv
	v_cmp_neq_f64_e32 vcc_lo, 0, v[7:8]
	s_cbranch_vccnz .LBB75_122
; %bb.117:                              ;   in Loop: Header=BB75_119 Depth=2
	v_add_nc_u32_e32 v43, s43, v43
	v_add_nc_u32_e32 v14, s76, v14
	s_mov_b32 s44, 0
	v_cmp_le_u32_e32 vcc_lo, s92, v43
	s_orn2_b32 s45, vcc_lo, exec_lo
.LBB75_118:                             ;   in Loop: Header=BB75_119 Depth=2
	s_and_b32 s45, exec_lo, s45
	s_or_b32 s29, s45, s29
	s_andn2_b32 s45, s93, exec_lo
	s_and_b32 s44, s44, exec_lo
	s_or_b32 s93, s45, s44
	s_andn2_b32 exec_lo, exec_lo, s29
	s_cbranch_execz .LBB75_123
.LBB75_119:                             ;   Parent Loop BB75_6 Depth=1
                                        ; =>  This Inner Loop Header: Depth=2
	s_mov_b32 s94, exec_lo
	v_cmpx_gt_u32_e64 s89, v43
	s_cbranch_execz .LBB75_116
; %bb.120:                              ;   in Loop: Header=BB75_119 Depth=2
	ds_read_b64 v[3:4], v14
	s_waitcnt lgkmcnt(0)
	v_cmp_o_f64_e32 vcc_lo, v[3:4], v[3:4]
	v_ashrrev_i32_e32 v1, 31, v4
	v_or_b32_e32 v7, 0x80000000, v1
	v_xor_b32_e32 v1, v1, v3
	v_xor_b32_e32 v7, v7, v4
	v_cndmask_b32_e32 v7, -1, v7, vcc_lo
	v_cndmask_b32_e32 v1, -1, v1, vcc_lo
	v_and_b32_e32 v8, v7, v24
	v_and_b32_e32 v7, v1, v23
	v_cmp_eq_u64_e32 vcc_lo, v[7:8], v[25:26]
	s_and_b32 exec_lo, exec_lo, vcc_lo
	s_cbranch_execz .LBB75_116
; %bb.121:                              ;   in Loop: Header=BB75_119 Depth=2
	v_mov_b32_e32 v1, v15
	ds_write_b128 v15, v[1:4] offset:3072
	s_branch .LBB75_116
.LBB75_122:                             ;   in Loop: Header=BB75_119 Depth=2
	s_mov_b32 s45, -1
	s_mov_b32 s44, -1
                                        ; implicit-def: $vgpr43
                                        ; implicit-def: $vgpr14
	s_branch .LBB75_118
.LBB75_123:                             ;   in Loop: Header=BB75_6 Depth=1
	s_inst_prefetch 0x2
	s_or_b32 exec_lo, exec_lo, s29
	s_and_b32 s29, s93, exec_lo
.LBB75_124:                             ;   in Loop: Header=BB75_6 Depth=1
	s_or_b32 exec_lo, exec_lo, s91
.LBB75_125:                             ;   in Loop: Header=BB75_6 Depth=1
	s_and_b32 vcc_lo, exec_lo, s90
	s_cbranch_vccz .LBB75_137
; %bb.126:                              ;   in Loop: Header=BB75_6 Depth=1
                                        ; implicit-def: $vgpr9_vgpr10
	s_and_saveexec_b32 s21, s9
	s_cbranch_execz .LBB75_136
; %bb.127:                              ;   in Loop: Header=BB75_6 Depth=1
	v_mov_b32_e32 v14, v13
	v_mov_b32_e32 v43, v0
	s_mov_b32 s26, 0
                                        ; implicit-def: $sgpr89
	s_branch .LBB75_131
.LBB75_128:                             ;   in Loop: Header=BB75_131 Depth=2
	s_or_b32 exec_lo, exec_lo, s90
	s_waitcnt lgkmcnt(0)
	s_barrier
	buffer_gl0_inv
	ds_read_b128 v[7:10], v15 offset:3072
	s_waitcnt lgkmcnt(0)
	s_barrier
	buffer_gl0_inv
	v_cmp_eq_f64_e32 vcc_lo, 0, v[7:8]
	s_cbranch_vccz .LBB75_134
; %bb.129:                              ;   in Loop: Header=BB75_131 Depth=2
	v_add_nc_u32_e32 v43, s43, v43
	v_add_nc_u32_e32 v14, s47, v14
	s_mov_b32 s44, 0
	v_cmp_le_u32_e32 vcc_lo, s73, v43
	s_orn2_b32 s45, vcc_lo, exec_lo
.LBB75_130:                             ;   in Loop: Header=BB75_131 Depth=2
	s_and_b32 s45, exec_lo, s45
	s_or_b32 s26, s45, s26
	s_andn2_b32 s45, s89, exec_lo
	s_and_b32 s44, s44, exec_lo
	s_or_b32 s89, s45, s44
	s_andn2_b32 exec_lo, exec_lo, s26
	s_cbranch_execz .LBB75_135
.LBB75_131:                             ;   Parent Loop BB75_6 Depth=1
                                        ; =>  This Inner Loop Header: Depth=2
	s_mov_b32 s90, exec_lo
	v_cmpx_gt_u32_e64 s36, v43
	s_cbranch_execz .LBB75_128
; %bb.132:                              ;   in Loop: Header=BB75_131 Depth=2
	v_lshlrev_b64 v[3:4], 3, v[14:15]
	v_add_co_u32 v3, vcc_lo, s31, v3
	v_add_co_ci_u32_e64 v4, null, s33, v4, vcc_lo
	global_load_dwordx2 v[3:4], v[3:4], off
	s_waitcnt vmcnt(0)
	v_cmp_o_f64_e32 vcc_lo, v[3:4], v[3:4]
	v_ashrrev_i32_e32 v1, 31, v4
	v_or_b32_e32 v7, 0x80000000, v1
	v_xor_b32_e32 v1, v1, v3
	v_xor_b32_e32 v7, v7, v4
	v_cndmask_b32_e32 v7, -1, v7, vcc_lo
	v_cndmask_b32_e32 v1, -1, v1, vcc_lo
	v_and_b32_e32 v8, v7, v24
	v_and_b32_e32 v7, v1, v23
	v_cmp_eq_u64_e32 vcc_lo, v[7:8], v[25:26]
	s_and_b32 exec_lo, exec_lo, vcc_lo
	s_cbranch_execz .LBB75_128
; %bb.133:                              ;   in Loop: Header=BB75_131 Depth=2
	v_mov_b32_e32 v1, v15
	ds_write_b128 v15, v[1:4] offset:3072
	s_branch .LBB75_128
.LBB75_134:                             ;   in Loop: Header=BB75_131 Depth=2
	s_mov_b32 s45, -1
	s_mov_b32 s44, -1
                                        ; implicit-def: $vgpr43
	s_branch .LBB75_130
.LBB75_135:                             ;   in Loop: Header=BB75_6 Depth=1
	s_or_b32 exec_lo, exec_lo, s26
	s_andn2_b32 s26, s29, exec_lo
	s_and_b32 s29, s89, exec_lo
	s_or_b32 s29, s26, s29
.LBB75_136:                             ;   in Loop: Header=BB75_6 Depth=1
	s_or_b32 exec_lo, exec_lo, s21
	s_mov_b32 s21, 0
	s_mov_b32 s26, -1
.LBB75_137:                             ;   in Loop: Header=BB75_6 Depth=1
	s_orn2_b32 s29, s29, exec_lo
.LBB75_138:                             ;   in Loop: Header=BB75_6 Depth=1
	s_or_b32 exec_lo, exec_lo, s27
	s_mov_b32 s44, 0
	s_and_saveexec_b32 s27, s29
	s_cbranch_execz .LBB75_231
; %bb.139:                              ;   in Loop: Header=BB75_6 Depth=1
	v_mov_b32_e32 v43, 1
	v_mov_b32_e32 v41, 1
	s_xor_b32 s29, s28, -1
	s_and_saveexec_b32 s28, s29
	s_cbranch_execz .LBB75_148
; %bb.140:                              ;   in Loop: Header=BB75_6 Depth=1
	s_mov_b32 s29, exec_lo
	v_cmpx_ge_u32_e64 s18, v42
	s_xor_b32 s29, exec_lo, s29
	s_cbranch_execz .LBB75_145
; %bb.141:                              ;   in Loop: Header=BB75_6 Depth=1
	ds_read_b32 v1, v15 offset:4096
	v_and_b32_e32 v3, s15, v26
	v_and_b32_e32 v4, s14, v25
	s_lshl_b64 s[44:45], 1, s82
	v_or_b32_e32 v24, s13, v24
	v_or_b32_e32 v23, s12, v23
	;; [unrolled: 1-line block ×4, first 2 shown]
	s_waitcnt lgkmcnt(0)
	v_cmp_ne_u32_e32 vcc_lo, 0, v1
	s_cbranch_vccnz .LBB75_145
; %bb.142:                              ;   in Loop: Header=BB75_6 Depth=1
	s_and_saveexec_b32 s44, s3
; %bb.143:                              ;   in Loop: Header=BB75_6 Depth=1
	v_mov_b32_e32 v1, s18
	ds_write_b32 v15, v1 offset:4100
; %bb.144:                              ;   in Loop: Header=BB75_6 Depth=1
	s_or_b32 exec_lo, exec_lo, s44
	s_waitcnt lgkmcnt(0)
	s_barrier
	buffer_gl0_inv
.LBB75_145:                             ;   in Loop: Header=BB75_6 Depth=1
	s_or_saveexec_b32 s29, s29
	v_mov_b32_e32 v41, 8
	s_mov_b32 s44, 0
	s_xor_b32 exec_lo, exec_lo, s29
; %bb.146:                              ;   in Loop: Header=BB75_6 Depth=1
	v_subrev_nc_u32_e32 v42, s18, v42
	v_mov_b32_e32 v41, 0
	s_mov_b32 s44, exec_lo
; %bb.147:                              ;   in Loop: Header=BB75_6 Depth=1
	s_or_b32 exec_lo, exec_lo, s29
	v_mov_b32_e32 v43, v42
	s_and_b32 s44, s44, exec_lo
.LBB75_148:                             ;   in Loop: Header=BB75_6 Depth=1
	s_or_b32 exec_lo, exec_lo, s28
	s_mov_b32 s90, -1
                                        ; implicit-def: $sgpr29
                                        ; implicit-def: $sgpr89
	s_and_saveexec_b32 s28, s44
	s_cbranch_execz .LBB75_230
; %bb.149:                              ;   in Loop: Header=BB75_6 Depth=1
	v_cmp_eq_u32_e32 vcc_lo, 1, v43
	s_cmp_eq_u32 s19, 1
	s_mov_b32 s92, -1
	s_cselect_b32 s29, -1, 0
                                        ; implicit-def: $sgpr89
	s_and_b32 s91, s29, vcc_lo
                                        ; implicit-def: $sgpr29
	s_and_saveexec_b32 s90, s91
	s_cbranch_execz .LBB75_177
; %bb.150:                              ;   in Loop: Header=BB75_6 Depth=1
	ds_read_b32 v1, v15 offset:4096
	s_waitcnt lgkmcnt(0)
	s_barrier
	buffer_gl0_inv
	v_readfirstlane_b32 s93, v1
	s_and_saveexec_b32 s29, s6
; %bb.151:                              ;   in Loop: Header=BB75_6 Depth=1
	v_mov_b32_e32 v14, v15
	ds_write_b64 v32, v[14:15]
; %bb.152:                              ;   in Loop: Header=BB75_6 Depth=1
	s_or_b32 exec_lo, exec_lo, s29
	v_and_b32_e32 v1, s15, v26
	v_and_b32_e32 v3, s14, v25
	s_lshl_b64 s[44:45], 2, s82
	v_or_b32_e32 v24, s13, v24
	v_or_b32_e32 v23, s12, v23
	;; [unrolled: 1-line block ×4, first 2 shown]
	s_mov_b32 s29, -1
	s_mov_b32 s89, 0
	s_cmp_eq_u32 s93, 0
	s_mov_b32 s92, 0
	s_mov_b32 s94, -1
	s_waitcnt lgkmcnt(0)
	s_barrier
	buffer_gl0_inv
                                        ; implicit-def: $vgpr9_vgpr10
	s_cbranch_scc1 .LBB75_164
; %bb.153:                              ;   in Loop: Header=BB75_6 Depth=1
	s_add_i32 s44, s93, s66
	s_mov_b32 s94, 0
	s_mul_hi_u32 s45, s44, s72
	s_mov_b32 s95, exec_lo
	s_mul_i32 s45, s45, s43
                                        ; implicit-def: $vgpr9_vgpr10
	s_sub_i32 s45, s44, s45
	s_sub_i32 s46, s45, s43
	s_cmp_ge_u32 s45, s43
	s_cselect_b32 s45, s46, s45
	s_sub_i32 s46, s45, s43
	s_cmp_ge_u32 s45, s43
	s_cselect_b32 s45, s46, s45
	s_sub_i32 s96, s44, s45
	v_cmpx_gt_u32_e64 s96, v0
	s_cbranch_execz .LBB75_163
; %bb.154:                              ;   in Loop: Header=BB75_6 Depth=1
	v_mov_b32_e32 v14, v30
	v_mov_b32_e32 v42, v0
                                        ; implicit-def: $sgpr97
	s_inst_prefetch 0x1
	s_branch .LBB75_158
	.p2align	6
.LBB75_155:                             ;   in Loop: Header=BB75_158 Depth=2
	s_or_b32 exec_lo, exec_lo, s98
	s_waitcnt lgkmcnt(0)
	s_barrier
	buffer_gl0_inv
	ds_read_b128 v[7:10], v15 offset:3072
	s_waitcnt lgkmcnt(0)
	s_barrier
	buffer_gl0_inv
	v_cmp_neq_f64_e32 vcc_lo, 0, v[7:8]
	s_cbranch_vccnz .LBB75_161
; %bb.156:                              ;   in Loop: Header=BB75_158 Depth=2
	v_add_nc_u32_e32 v42, s43, v42
	v_add_nc_u32_e32 v14, s76, v14
	s_mov_b32 s44, 0
	v_cmp_le_u32_e32 vcc_lo, s96, v42
	s_orn2_b32 s45, vcc_lo, exec_lo
.LBB75_157:                             ;   in Loop: Header=BB75_158 Depth=2
	s_and_b32 s45, exec_lo, s45
	s_or_b32 s92, s45, s92
	s_andn2_b32 s45, s97, exec_lo
	s_and_b32 s44, s44, exec_lo
	s_or_b32 s97, s45, s44
	s_andn2_b32 exec_lo, exec_lo, s92
	s_cbranch_execz .LBB75_162
.LBB75_158:                             ;   Parent Loop BB75_6 Depth=1
                                        ; =>  This Inner Loop Header: Depth=2
	s_mov_b32 s98, exec_lo
	v_cmpx_gt_u32_e64 s93, v42
	s_cbranch_execz .LBB75_155
; %bb.159:                              ;   in Loop: Header=BB75_158 Depth=2
	ds_read_b64 v[3:4], v14
	s_waitcnt lgkmcnt(0)
	v_cmp_o_f64_e32 vcc_lo, v[3:4], v[3:4]
	v_ashrrev_i32_e32 v1, 31, v4
	v_or_b32_e32 v7, 0x80000000, v1
	v_xor_b32_e32 v1, v1, v3
	v_xor_b32_e32 v7, v7, v4
	v_cndmask_b32_e32 v7, -1, v7, vcc_lo
	v_cndmask_b32_e32 v1, -1, v1, vcc_lo
	v_and_b32_e32 v8, v7, v24
	v_and_b32_e32 v7, v1, v23
	v_cmp_eq_u64_e32 vcc_lo, v[7:8], v[25:26]
	s_and_b32 exec_lo, exec_lo, vcc_lo
	s_cbranch_execz .LBB75_155
; %bb.160:                              ;   in Loop: Header=BB75_158 Depth=2
	v_mov_b32_e32 v1, v15
	ds_write_b128 v15, v[1:4] offset:3072
	s_branch .LBB75_155
.LBB75_161:                             ;   in Loop: Header=BB75_158 Depth=2
	s_mov_b32 s45, -1
	s_mov_b32 s44, -1
                                        ; implicit-def: $vgpr42
                                        ; implicit-def: $vgpr14
	s_branch .LBB75_157
.LBB75_162:                             ;   in Loop: Header=BB75_6 Depth=1
	s_inst_prefetch 0x2
	s_or_b32 exec_lo, exec_lo, s92
	s_and_b32 s92, s97, exec_lo
.LBB75_163:                             ;   in Loop: Header=BB75_6 Depth=1
	s_or_b32 exec_lo, exec_lo, s95
.LBB75_164:                             ;   in Loop: Header=BB75_6 Depth=1
	s_and_b32 vcc_lo, exec_lo, s94
	s_cbranch_vccz .LBB75_176
; %bb.165:                              ;   in Loop: Header=BB75_6 Depth=1
                                        ; implicit-def: $vgpr9_vgpr10
	s_and_saveexec_b32 s29, s9
	s_cbranch_execz .LBB75_175
; %bb.166:                              ;   in Loop: Header=BB75_6 Depth=1
	v_mov_b32_e32 v14, v13
	v_mov_b32_e32 v42, v0
	s_mov_b32 s89, 0
                                        ; implicit-def: $sgpr93
	s_branch .LBB75_170
.LBB75_167:                             ;   in Loop: Header=BB75_170 Depth=2
	s_or_b32 exec_lo, exec_lo, s94
	s_waitcnt lgkmcnt(0)
	s_barrier
	buffer_gl0_inv
	ds_read_b128 v[7:10], v15 offset:3072
	s_waitcnt lgkmcnt(0)
	s_barrier
	buffer_gl0_inv
	v_cmp_eq_f64_e32 vcc_lo, 0, v[7:8]
	s_cbranch_vccz .LBB75_173
; %bb.168:                              ;   in Loop: Header=BB75_170 Depth=2
	v_add_nc_u32_e32 v42, s43, v42
	v_add_nc_u32_e32 v14, s47, v14
	s_mov_b32 s44, 0
	v_cmp_le_u32_e32 vcc_lo, s73, v42
	s_orn2_b32 s45, vcc_lo, exec_lo
.LBB75_169:                             ;   in Loop: Header=BB75_170 Depth=2
	s_and_b32 s45, exec_lo, s45
	s_or_b32 s89, s45, s89
	s_andn2_b32 s45, s93, exec_lo
	s_and_b32 s44, s44, exec_lo
	s_or_b32 s93, s45, s44
	s_andn2_b32 exec_lo, exec_lo, s89
	s_cbranch_execz .LBB75_174
.LBB75_170:                             ;   Parent Loop BB75_6 Depth=1
                                        ; =>  This Inner Loop Header: Depth=2
	s_mov_b32 s94, exec_lo
	v_cmpx_gt_u32_e64 s36, v42
	s_cbranch_execz .LBB75_167
; %bb.171:                              ;   in Loop: Header=BB75_170 Depth=2
	v_lshlrev_b64 v[3:4], 3, v[14:15]
	v_add_co_u32 v3, vcc_lo, s31, v3
	v_add_co_ci_u32_e64 v4, null, s33, v4, vcc_lo
	global_load_dwordx2 v[3:4], v[3:4], off
	s_waitcnt vmcnt(0)
	v_cmp_o_f64_e32 vcc_lo, v[3:4], v[3:4]
	v_ashrrev_i32_e32 v1, 31, v4
	v_or_b32_e32 v7, 0x80000000, v1
	v_xor_b32_e32 v1, v1, v3
	v_xor_b32_e32 v7, v7, v4
	v_cndmask_b32_e32 v7, -1, v7, vcc_lo
	v_cndmask_b32_e32 v1, -1, v1, vcc_lo
	v_and_b32_e32 v8, v7, v24
	v_and_b32_e32 v7, v1, v23
	v_cmp_eq_u64_e32 vcc_lo, v[7:8], v[25:26]
	s_and_b32 exec_lo, exec_lo, vcc_lo
	s_cbranch_execz .LBB75_167
; %bb.172:                              ;   in Loop: Header=BB75_170 Depth=2
	v_mov_b32_e32 v1, v15
	ds_write_b128 v15, v[1:4] offset:3072
	s_branch .LBB75_167
.LBB75_173:                             ;   in Loop: Header=BB75_170 Depth=2
	s_mov_b32 s45, -1
	s_mov_b32 s44, -1
                                        ; implicit-def: $vgpr42
	s_branch .LBB75_169
.LBB75_174:                             ;   in Loop: Header=BB75_6 Depth=1
	s_or_b32 exec_lo, exec_lo, s89
	s_andn2_b32 s44, s92, exec_lo
	s_and_b32 s45, s93, exec_lo
	s_or_b32 s92, s44, s45
.LBB75_175:                             ;   in Loop: Header=BB75_6 Depth=1
	s_or_b32 exec_lo, exec_lo, s29
	s_mov_b32 s29, 0
	s_mov_b32 s89, -1
.LBB75_176:                             ;   in Loop: Header=BB75_6 Depth=1
	s_orn2_b32 s92, s92, exec_lo
.LBB75_177:                             ;   in Loop: Header=BB75_6 Depth=1
	s_or_b32 exec_lo, exec_lo, s90
	s_mov_b32 s44, 0
	s_and_saveexec_b32 s90, s92
	s_cbranch_execz .LBB75_229
; %bb.178:                              ;   in Loop: Header=BB75_6 Depth=1
	v_mov_b32_e32 v42, 1
	v_mov_b32_e32 v41, 1
	s_xor_b32 s45, s91, -1
	s_and_saveexec_b32 s91, s45
	s_cbranch_execz .LBB75_187
; %bb.179:                              ;   in Loop: Header=BB75_6 Depth=1
	s_mov_b32 s44, exec_lo
	v_cmpx_ge_u32_e64 s19, v43
	s_xor_b32 s92, exec_lo, s44
	s_cbranch_execz .LBB75_184
; %bb.180:                              ;   in Loop: Header=BB75_6 Depth=1
	ds_read_b32 v1, v15 offset:4096
	v_and_b32_e32 v3, s15, v26
	v_and_b32_e32 v4, s14, v25
	s_lshl_b64 s[44:45], 2, s82
	v_or_b32_e32 v24, s13, v24
	v_or_b32_e32 v23, s12, v23
	;; [unrolled: 1-line block ×4, first 2 shown]
	s_waitcnt lgkmcnt(0)
	v_cmp_ne_u32_e32 vcc_lo, 0, v1
	s_cbranch_vccnz .LBB75_184
; %bb.181:                              ;   in Loop: Header=BB75_6 Depth=1
	s_and_saveexec_b32 s44, s3
; %bb.182:                              ;   in Loop: Header=BB75_6 Depth=1
	v_mov_b32_e32 v1, s19
	ds_write_b32 v15, v1 offset:4100
; %bb.183:                              ;   in Loop: Header=BB75_6 Depth=1
	s_or_b32 exec_lo, exec_lo, s44
	s_waitcnt lgkmcnt(0)
	s_barrier
	buffer_gl0_inv
.LBB75_184:                             ;   in Loop: Header=BB75_6 Depth=1
	s_or_saveexec_b32 s44, s92
	v_mov_b32_e32 v41, 8
	s_mov_b32 s45, 0
	s_xor_b32 exec_lo, exec_lo, s44
; %bb.185:                              ;   in Loop: Header=BB75_6 Depth=1
	v_subrev_nc_u32_e32 v43, s19, v43
	v_mov_b32_e32 v41, 0
	s_mov_b32 s45, exec_lo
; %bb.186:                              ;   in Loop: Header=BB75_6 Depth=1
	s_or_b32 exec_lo, exec_lo, s44
	v_mov_b32_e32 v42, v43
	s_and_b32 s44, s45, exec_lo
.LBB75_187:                             ;   in Loop: Header=BB75_6 Depth=1
	s_or_b32 exec_lo, exec_lo, s91
	s_mov_b32 s92, -1
                                        ; implicit-def: $sgpr94
                                        ; implicit-def: $sgpr93
	s_and_saveexec_b32 s91, s44
	s_cbranch_execz .LBB75_228
; %bb.188:                              ;   in Loop: Header=BB75_6 Depth=1
	v_cmp_eq_u32_e32 vcc_lo, 1, v42
	s_cmp_eq_u32 s20, 1
	s_mov_b32 s96, -1
	s_cselect_b32 s44, -1, 0
                                        ; implicit-def: $sgpr94
                                        ; implicit-def: $sgpr93
	s_and_b32 s92, s44, vcc_lo
	s_and_saveexec_b32 s95, s92
	s_cbranch_execz .LBB75_216
; %bb.189:                              ;   in Loop: Header=BB75_6 Depth=1
	ds_read_b32 v1, v15 offset:4096
	s_waitcnt lgkmcnt(0)
	s_barrier
	buffer_gl0_inv
	v_readfirstlane_b32 s97, v1
	s_and_saveexec_b32 s44, s6
; %bb.190:                              ;   in Loop: Header=BB75_6 Depth=1
	v_mov_b32_e32 v14, v15
	ds_write_b64 v32, v[14:15]
; %bb.191:                              ;   in Loop: Header=BB75_6 Depth=1
	s_or_b32 exec_lo, exec_lo, s44
	v_or_b32_e32 v26, s13, v26
	v_or_b32_e32 v25, s12, v25
	;; [unrolled: 1-line block ×4, first 2 shown]
	s_mov_b32 s93, -1
	s_mov_b32 s94, 0
	s_cmp_eq_u32 s97, 0
	s_mov_b32 s96, 0
	s_mov_b32 s98, -1
	s_waitcnt lgkmcnt(0)
	s_barrier
	buffer_gl0_inv
                                        ; implicit-def: $vgpr9_vgpr10
	s_cbranch_scc1 .LBB75_203
; %bb.192:                              ;   in Loop: Header=BB75_6 Depth=1
	s_add_i32 s44, s97, s66
	s_mov_b32 s98, 0
	s_mul_hi_u32 s45, s44, s72
	s_mov_b32 s99, exec_lo
	s_mul_i32 s45, s45, s43
                                        ; implicit-def: $vgpr9_vgpr10
	s_sub_i32 s45, s44, s45
	s_sub_i32 s46, s45, s43
	s_cmp_ge_u32 s45, s43
	s_cselect_b32 s45, s46, s45
	s_sub_i32 s46, s45, s43
	s_cmp_ge_u32 s45, s43
	s_cselect_b32 s45, s46, s45
	s_sub_i32 s104, s44, s45
	v_cmpx_gt_u32_e64 s104, v0
	s_cbranch_execz .LBB75_202
; %bb.193:                              ;   in Loop: Header=BB75_6 Depth=1
	v_mov_b32_e32 v14, v30
	v_mov_b32_e32 v43, v0
                                        ; implicit-def: $vcc_hi
	s_inst_prefetch 0x1
	s_branch .LBB75_197
	.p2align	6
.LBB75_194:                             ;   in Loop: Header=BB75_197 Depth=2
	s_or_b32 exec_lo, exec_lo, s44
	s_waitcnt lgkmcnt(0)
	s_barrier
	buffer_gl0_inv
	ds_read_b128 v[7:10], v15 offset:3072
	s_waitcnt lgkmcnt(0)
	s_barrier
	buffer_gl0_inv
	v_cmp_neq_f64_e32 vcc_lo, 0, v[7:8]
	s_cbranch_vccnz .LBB75_200
; %bb.195:                              ;   in Loop: Header=BB75_197 Depth=2
	v_add_nc_u32_e32 v43, s43, v43
	v_add_nc_u32_e32 v14, s76, v14
	s_mov_b32 s44, 0
	v_cmp_le_u32_e32 vcc_lo, s104, v43
	s_orn2_b32 s45, vcc_lo, exec_lo
.LBB75_196:                             ;   in Loop: Header=BB75_197 Depth=2
	s_and_b32 s45, exec_lo, s45
	s_or_b32 s96, s45, s96
	s_andn2_b32 s45, vcc_hi, exec_lo
	s_and_b32 s44, s44, exec_lo
	s_or_b32 vcc_hi, s45, s44
	s_andn2_b32 exec_lo, exec_lo, s96
	s_cbranch_execz .LBB75_201
.LBB75_197:                             ;   Parent Loop BB75_6 Depth=1
                                        ; =>  This Inner Loop Header: Depth=2
	s_mov_b32 s44, exec_lo
	v_cmpx_gt_u32_e64 s97, v43
	s_cbranch_execz .LBB75_194
; %bb.198:                              ;   in Loop: Header=BB75_197 Depth=2
	ds_read_b64 v[3:4], v14
	s_waitcnt lgkmcnt(0)
	v_cmp_o_f64_e32 vcc_lo, v[3:4], v[3:4]
	v_ashrrev_i32_e32 v1, 31, v4
	v_or_b32_e32 v7, 0x80000000, v1
	v_xor_b32_e32 v1, v1, v3
	v_xor_b32_e32 v7, v7, v4
	v_cndmask_b32_e32 v7, -1, v7, vcc_lo
	v_cndmask_b32_e32 v1, -1, v1, vcc_lo
	v_and_b32_e32 v8, v7, v24
	v_and_b32_e32 v7, v1, v23
	v_cmp_eq_u64_e32 vcc_lo, v[7:8], v[25:26]
	s_and_b32 exec_lo, exec_lo, vcc_lo
	s_cbranch_execz .LBB75_194
; %bb.199:                              ;   in Loop: Header=BB75_197 Depth=2
	v_mov_b32_e32 v1, v15
	ds_write_b128 v15, v[1:4] offset:3072
	s_branch .LBB75_194
.LBB75_200:                             ;   in Loop: Header=BB75_197 Depth=2
	s_mov_b32 s45, -1
	s_mov_b32 s44, -1
                                        ; implicit-def: $vgpr43
                                        ; implicit-def: $vgpr14
	s_branch .LBB75_196
.LBB75_201:                             ;   in Loop: Header=BB75_6 Depth=1
	s_inst_prefetch 0x2
	s_or_b32 exec_lo, exec_lo, s96
	s_and_b32 s96, vcc_hi, exec_lo
.LBB75_202:                             ;   in Loop: Header=BB75_6 Depth=1
	s_or_b32 exec_lo, exec_lo, s99
.LBB75_203:                             ;   in Loop: Header=BB75_6 Depth=1
	s_and_b32 vcc_lo, exec_lo, s98
	s_cbranch_vccz .LBB75_215
; %bb.204:                              ;   in Loop: Header=BB75_6 Depth=1
                                        ; implicit-def: $vgpr9_vgpr10
	s_and_saveexec_b32 s93, s9
	s_cbranch_execz .LBB75_214
; %bb.205:                              ;   in Loop: Header=BB75_6 Depth=1
	v_mov_b32_e32 v14, v13
	v_mov_b32_e32 v43, v0
	s_mov_b32 s94, 0
                                        ; implicit-def: $sgpr97
	s_branch .LBB75_209
.LBB75_206:                             ;   in Loop: Header=BB75_209 Depth=2
	s_or_b32 exec_lo, exec_lo, s98
	s_waitcnt lgkmcnt(0)
	s_barrier
	buffer_gl0_inv
	ds_read_b128 v[7:10], v15 offset:3072
	s_waitcnt lgkmcnt(0)
	s_barrier
	buffer_gl0_inv
	v_cmp_eq_f64_e32 vcc_lo, 0, v[7:8]
	s_cbranch_vccz .LBB75_212
; %bb.207:                              ;   in Loop: Header=BB75_209 Depth=2
	v_add_nc_u32_e32 v43, s43, v43
	v_add_nc_u32_e32 v14, s47, v14
	s_mov_b32 s44, 0
	v_cmp_le_u32_e32 vcc_lo, s73, v43
	s_orn2_b32 s45, vcc_lo, exec_lo
.LBB75_208:                             ;   in Loop: Header=BB75_209 Depth=2
	s_and_b32 s45, exec_lo, s45
	s_or_b32 s94, s45, s94
	s_andn2_b32 s45, s97, exec_lo
	s_and_b32 s44, s44, exec_lo
	s_or_b32 s97, s45, s44
	s_andn2_b32 exec_lo, exec_lo, s94
	s_cbranch_execz .LBB75_213
.LBB75_209:                             ;   Parent Loop BB75_6 Depth=1
                                        ; =>  This Inner Loop Header: Depth=2
	s_mov_b32 s98, exec_lo
	v_cmpx_gt_u32_e64 s36, v43
	s_cbranch_execz .LBB75_206
; %bb.210:                              ;   in Loop: Header=BB75_209 Depth=2
	v_lshlrev_b64 v[3:4], 3, v[14:15]
	v_add_co_u32 v3, vcc_lo, s31, v3
	v_add_co_ci_u32_e64 v4, null, s33, v4, vcc_lo
	global_load_dwordx2 v[3:4], v[3:4], off
	s_waitcnt vmcnt(0)
	v_cmp_o_f64_e32 vcc_lo, v[3:4], v[3:4]
	v_ashrrev_i32_e32 v1, 31, v4
	v_or_b32_e32 v7, 0x80000000, v1
	v_xor_b32_e32 v1, v1, v3
	v_xor_b32_e32 v7, v7, v4
	v_cndmask_b32_e32 v7, -1, v7, vcc_lo
	v_cndmask_b32_e32 v1, -1, v1, vcc_lo
	v_and_b32_e32 v8, v7, v24
	v_and_b32_e32 v7, v1, v23
	v_cmp_eq_u64_e32 vcc_lo, v[7:8], v[25:26]
	s_and_b32 exec_lo, exec_lo, vcc_lo
	s_cbranch_execz .LBB75_206
; %bb.211:                              ;   in Loop: Header=BB75_209 Depth=2
	v_mov_b32_e32 v1, v15
	ds_write_b128 v15, v[1:4] offset:3072
	s_branch .LBB75_206
.LBB75_212:                             ;   in Loop: Header=BB75_209 Depth=2
	s_mov_b32 s45, -1
	s_mov_b32 s44, -1
                                        ; implicit-def: $vgpr43
	s_branch .LBB75_208
.LBB75_213:                             ;   in Loop: Header=BB75_6 Depth=1
	s_or_b32 exec_lo, exec_lo, s94
	s_andn2_b32 s44, s96, exec_lo
	s_and_b32 s45, s97, exec_lo
	s_or_b32 s96, s44, s45
.LBB75_214:                             ;   in Loop: Header=BB75_6 Depth=1
	s_or_b32 exec_lo, exec_lo, s93
	s_mov_b32 s93, 0
	s_mov_b32 s94, -1
.LBB75_215:                             ;   in Loop: Header=BB75_6 Depth=1
	s_orn2_b32 s96, s96, exec_lo
.LBB75_216:                             ;   in Loop: Header=BB75_6 Depth=1
	s_or_b32 exec_lo, exec_lo, s95
	s_mov_b32 s44, 0
	s_and_saveexec_b32 s95, s96
	s_cbranch_execz .LBB75_227
; %bb.217:                              ;   in Loop: Header=BB75_6 Depth=1
	v_mov_b32_e32 v41, 1
	v_mov_b32_e32 v1, 1
	s_xor_b32 s44, s92, -1
	s_and_saveexec_b32 s92, s44
	s_cbranch_execz .LBB75_226
; %bb.218:                              ;   in Loop: Header=BB75_6 Depth=1
	s_mov_b32 s44, exec_lo
	v_cmpx_ge_u32_e64 s20, v42
	s_xor_b32 s96, exec_lo, s44
	s_cbranch_execz .LBB75_223
; %bb.219:                              ;   in Loop: Header=BB75_6 Depth=1
	ds_read_b32 v1, v15 offset:4096
	v_or_b32_e32 v26, s13, v26
	v_or_b32_e32 v25, s12, v25
	;; [unrolled: 1-line block ×4, first 2 shown]
	s_waitcnt lgkmcnt(0)
	v_cmp_ne_u32_e32 vcc_lo, 0, v1
	s_cbranch_vccnz .LBB75_223
; %bb.220:                              ;   in Loop: Header=BB75_6 Depth=1
	s_and_saveexec_b32 s44, s3
; %bb.221:                              ;   in Loop: Header=BB75_6 Depth=1
	v_mov_b32_e32 v1, s20
	ds_write_b32 v15, v1 offset:4100
; %bb.222:                              ;   in Loop: Header=BB75_6 Depth=1
	s_or_b32 exec_lo, exec_lo, s44
	s_waitcnt lgkmcnt(0)
	s_barrier
	buffer_gl0_inv
.LBB75_223:                             ;   in Loop: Header=BB75_6 Depth=1
	s_andn2_saveexec_b32 s44, s96
; %bb.224:                              ;   in Loop: Header=BB75_6 Depth=1
	v_subrev_nc_u32_e32 v42, s20, v42
; %bb.225:                              ;   in Loop: Header=BB75_6 Depth=1
	s_or_b32 exec_lo, exec_lo, s44
	v_mov_b32_e32 v41, 8
	v_mov_b32_e32 v1, v42
.LBB75_226:                             ;   in Loop: Header=BB75_6 Depth=1
	s_or_b32 exec_lo, exec_lo, s92
	v_mov_b32_e32 v42, v1
	s_mov_b32 s44, exec_lo
.LBB75_227:                             ;   in Loop: Header=BB75_6 Depth=1
	s_or_b32 exec_lo, exec_lo, s95
	s_orn2_b32 s92, s44, exec_lo
.LBB75_228:                             ;   in Loop: Header=BB75_6 Depth=1
	s_or_b32 exec_lo, exec_lo, s91
	v_mov_b32_e32 v43, v42
	s_andn2_b32 s44, s89, exec_lo
	s_and_b32 s45, s94, exec_lo
	s_andn2_b32 s29, s29, exec_lo
	s_and_b32 s46, s93, exec_lo
	s_or_b32 s89, s44, s45
	s_or_b32 s29, s29, s46
	s_and_b32 s44, s92, exec_lo
.LBB75_229:                             ;   in Loop: Header=BB75_6 Depth=1
	s_or_b32 exec_lo, exec_lo, s90
	s_orn2_b32 s90, s44, exec_lo
.LBB75_230:                             ;   in Loop: Header=BB75_6 Depth=1
	s_or_b32 exec_lo, exec_lo, s28
	v_mov_b32_e32 v42, v43
	s_andn2_b32 s26, s26, exec_lo
	s_and_b32 s28, s89, exec_lo
	s_andn2_b32 s21, s21, exec_lo
	s_and_b32 s29, s29, exec_lo
	s_or_b32 s26, s26, s28
	s_or_b32 s21, s21, s29
	s_and_b32 s44, s90, exec_lo
.LBB75_231:                             ;   in Loop: Header=BB75_6 Depth=1
	s_or_b32 exec_lo, exec_lo, s27
	s_orn2_b32 s27, s44, exec_lo
.LBB75_232:                             ;   in Loop: Header=BB75_6 Depth=1
	s_or_b32 exec_lo, exec_lo, s11
	s_mov_b32 s28, 0
	s_mov_b32 s29, 0
	s_and_saveexec_b32 s11, s27
	s_xor_b32 s27, exec_lo, s11
; %bb.233:                              ;   in Loop: Header=BB75_6 Depth=1
	v_cmp_ne_u32_e32 vcc_lo, 8, v41
	v_cmp_eq_u32_e64 s11, 8, v41
	s_and_b32 s29, vcc_lo, exec_lo
	s_and_b32 s28, s11, exec_lo
; %bb.234:                              ;   in Loop: Header=BB75_6 Depth=1
	s_or_b32 exec_lo, exec_lo, s27
	s_andn2_b32 s11, s23, exec_lo
	s_and_b32 s23, s26, exec_lo
	s_andn2_b32 s22, s22, exec_lo
	s_and_b32 s21, s21, exec_lo
	s_or_b32 s23, s11, s23
	s_or_b32 s22, s22, s21
	s_and_b32 s11, s29, exec_lo
	s_and_b32 s21, s28, exec_lo
.LBB75_235:                             ;   in Loop: Header=BB75_6 Depth=1
	s_or_b32 exec_lo, exec_lo, s25
.LBB75_236:                             ;   in Loop: Header=BB75_6 Depth=1
	s_and_b32 vcc_lo, exec_lo, s24
	s_cbranch_vccz .LBB75_250
; %bb.237:                              ;   in Loop: Header=BB75_6 Depth=1
	s_cmp_eq_u32 s20, 1
	s_mov_b32 s23, -1
	s_cselect_b32 s16, -1, 0
                                        ; implicit-def: $sgpr24
	s_and_b32 s10, s16, s10
                                        ; implicit-def: $sgpr16
	s_and_saveexec_b32 s22, s10
	s_cbranch_execz .LBB75_266
; %bb.238:                              ;   in Loop: Header=BB75_6 Depth=1
	ds_read_b32 v1, v15 offset:4096
	s_waitcnt lgkmcnt(0)
	s_barrier
	buffer_gl0_inv
	v_readfirstlane_b32 s25, v1
	s_and_saveexec_b32 s16, s6
; %bb.239:                              ;   in Loop: Header=BB75_6 Depth=1
	v_mov_b32_e32 v14, v15
	ds_write_b64 v32, v[14:15]
; %bb.240:                              ;   in Loop: Header=BB75_6 Depth=1
	s_or_b32 exec_lo, exec_lo, s16
	v_or_b32_e32 v17, s13, v17
	v_or_b32_e32 v16, s12, v16
	v_or_b32_e32 v22, s13, v22
	v_or_b32_e32 v21, s12, v21
	s_mov_b32 s16, -1
	s_mov_b32 s24, 0
	s_cmp_eq_u32 s25, 0
	s_mov_b32 s23, 0
	s_mov_b32 s26, -1
	s_waitcnt lgkmcnt(0)
	s_barrier
	buffer_gl0_inv
                                        ; implicit-def: $vgpr5_vgpr6
	s_cbranch_scc1 .LBB75_253
; %bb.241:                              ;   in Loop: Header=BB75_6 Depth=1
	s_add_i32 s23, s25, s66
                                        ; implicit-def: $vgpr5_vgpr6
	s_mul_hi_u32 s26, s23, s72
	s_mul_i32 s26, s26, s43
	s_sub_i32 s26, s23, s26
	s_sub_i32 s27, s26, s43
	s_cmp_ge_u32 s26, s43
	s_cselect_b32 s26, s27, s26
	s_sub_i32 s27, s26, s43
	s_cmp_ge_u32 s26, s43
	s_cselect_b32 s26, s27, s26
	s_mov_b32 s27, exec_lo
	s_sub_i32 s28, s23, s26
	s_mov_b32 s26, 0
	s_mov_b32 s23, 0
	v_cmpx_gt_u32_e64 s28, v0
	s_cbranch_execz .LBB75_252
; %bb.242:                              ;   in Loop: Header=BB75_6 Depth=1
	v_mov_b32_e32 v7, v30
	v_mov_b32_e32 v8, v0
                                        ; implicit-def: $sgpr29
	s_inst_prefetch 0x1
	s_branch .LBB75_246
	.p2align	6
.LBB75_243:                             ;   in Loop: Header=BB75_246 Depth=2
	s_or_b32 exec_lo, exec_lo, s89
	s_waitcnt lgkmcnt(0)
	s_barrier
	buffer_gl0_inv
	ds_read_b128 v[3:6], v15 offset:3072
	s_waitcnt lgkmcnt(0)
	s_barrier
	buffer_gl0_inv
	v_cmp_neq_f64_e32 vcc_lo, 0, v[3:4]
	s_cbranch_vccnz .LBB75_249
; %bb.244:                              ;   in Loop: Header=BB75_246 Depth=2
	v_add_nc_u32_e32 v8, s43, v8
	v_add_nc_u32_e32 v7, s76, v7
	s_mov_b32 s44, 0
	v_cmp_le_u32_e32 vcc_lo, s28, v8
	s_orn2_b32 s45, vcc_lo, exec_lo
.LBB75_245:                             ;   in Loop: Header=BB75_246 Depth=2
	s_and_b32 s45, exec_lo, s45
	s_or_b32 s23, s45, s23
	s_andn2_b32 s29, s29, exec_lo
	s_and_b32 s44, s44, exec_lo
	s_or_b32 s29, s29, s44
	s_andn2_b32 exec_lo, exec_lo, s23
	s_cbranch_execz .LBB75_251
.LBB75_246:                             ;   Parent Loop BB75_6 Depth=1
                                        ; =>  This Inner Loop Header: Depth=2
	s_mov_b32 s89, exec_lo
	v_cmpx_gt_u32_e64 s25, v8
	s_cbranch_execz .LBB75_243
; %bb.247:                              ;   in Loop: Header=BB75_246 Depth=2
	ds_read_b64 v[3:4], v7
	s_waitcnt lgkmcnt(0)
	v_cmp_o_f64_e32 vcc_lo, v[3:4], v[3:4]
	v_ashrrev_i32_e32 v1, 31, v4
	v_or_b32_e32 v5, 0x80000000, v1
	v_xor_b32_e32 v1, v1, v3
	v_xor_b32_e32 v5, v5, v4
	v_cndmask_b32_e32 v5, -1, v5, vcc_lo
	v_cndmask_b32_e32 v1, -1, v1, vcc_lo
	v_and_b32_e32 v6, v5, v22
	v_and_b32_e32 v5, v1, v21
	v_cmp_eq_u64_e32 vcc_lo, v[5:6], v[16:17]
	s_and_b32 exec_lo, exec_lo, vcc_lo
	s_cbranch_execz .LBB75_243
; %bb.248:                              ;   in Loop: Header=BB75_246 Depth=2
	v_mov_b32_e32 v1, v15
	ds_write_b128 v15, v[1:4] offset:3072
	s_branch .LBB75_243
.LBB75_249:                             ;   in Loop: Header=BB75_246 Depth=2
	s_mov_b32 s45, -1
	s_mov_b32 s44, -1
                                        ; implicit-def: $vgpr8
                                        ; implicit-def: $vgpr7
	s_branch .LBB75_245
.LBB75_250:                             ;   in Loop: Header=BB75_6 Depth=1
	v_mov_b32_e32 v16, v25
	v_mov_b32_e32 v21, v23
	v_mov_b32_e32 v5, v9
	v_mov_b32_e32 v17, v26
	v_mov_b32_e32 v22, v24
	v_mov_b32_e32 v6, v10
	s_mov_b32 s24, 0
	s_and_saveexec_b32 s10, s21
	s_cbranch_execnz .LBB75_403
	s_branch .LBB75_404
.LBB75_251:                             ;   in Loop: Header=BB75_6 Depth=1
	s_inst_prefetch 0x2
	s_or_b32 exec_lo, exec_lo, s23
	s_and_b32 s23, s29, exec_lo
.LBB75_252:                             ;   in Loop: Header=BB75_6 Depth=1
	s_or_b32 exec_lo, exec_lo, s27
.LBB75_253:                             ;   in Loop: Header=BB75_6 Depth=1
	s_and_b32 vcc_lo, exec_lo, s26
	s_cbranch_vccz .LBB75_265
; %bb.254:                              ;   in Loop: Header=BB75_6 Depth=1
                                        ; implicit-def: $vgpr5_vgpr6
	s_and_saveexec_b32 s16, s9
	s_cbranch_execz .LBB75_264
; %bb.255:                              ;   in Loop: Header=BB75_6 Depth=1
	v_mov_b32_e32 v14, v13
	v_mov_b32_e32 v7, v0
	s_mov_b32 s25, 0
                                        ; implicit-def: $sgpr24
	s_branch .LBB75_259
.LBB75_256:                             ;   in Loop: Header=BB75_259 Depth=2
	s_or_b32 exec_lo, exec_lo, s26
	s_waitcnt lgkmcnt(0)
	s_barrier
	buffer_gl0_inv
	ds_read_b128 v[3:6], v15 offset:3072
	s_waitcnt lgkmcnt(0)
	s_barrier
	buffer_gl0_inv
	v_cmp_neq_f64_e32 vcc_lo, 0, v[3:4]
	s_cbranch_vccnz .LBB75_262
; %bb.257:                              ;   in Loop: Header=BB75_259 Depth=2
	v_add_nc_u32_e32 v7, s43, v7
	v_add_nc_u32_e32 v14, s47, v14
	s_mov_b32 s26, 0
	v_cmp_le_u32_e32 vcc_lo, s73, v7
	s_orn2_b32 s27, vcc_lo, exec_lo
.LBB75_258:                             ;   in Loop: Header=BB75_259 Depth=2
	s_and_b32 s27, exec_lo, s27
	s_or_b32 s25, s27, s25
	s_andn2_b32 s24, s24, exec_lo
	s_and_b32 s26, s26, exec_lo
	s_or_b32 s24, s24, s26
	s_andn2_b32 exec_lo, exec_lo, s25
	s_cbranch_execz .LBB75_263
.LBB75_259:                             ;   Parent Loop BB75_6 Depth=1
                                        ; =>  This Inner Loop Header: Depth=2
	s_mov_b32 s26, exec_lo
	v_cmpx_gt_u32_e64 s36, v7
	s_cbranch_execz .LBB75_256
; %bb.260:                              ;   in Loop: Header=BB75_259 Depth=2
	v_lshlrev_b64 v[3:4], 3, v[14:15]
	v_add_co_u32 v3, vcc_lo, s31, v3
	v_add_co_ci_u32_e64 v4, null, s33, v4, vcc_lo
	global_load_dwordx2 v[3:4], v[3:4], off
	s_waitcnt vmcnt(0)
	v_cmp_o_f64_e32 vcc_lo, v[3:4], v[3:4]
	v_ashrrev_i32_e32 v1, 31, v4
	v_or_b32_e32 v5, 0x80000000, v1
	v_xor_b32_e32 v1, v1, v3
	v_xor_b32_e32 v5, v5, v4
	v_cndmask_b32_e32 v5, -1, v5, vcc_lo
	v_cndmask_b32_e32 v1, -1, v1, vcc_lo
	v_and_b32_e32 v6, v5, v22
	v_and_b32_e32 v5, v1, v21
	v_cmp_eq_u64_e32 vcc_lo, v[5:6], v[16:17]
	s_and_b32 exec_lo, exec_lo, vcc_lo
	s_cbranch_execz .LBB75_256
; %bb.261:                              ;   in Loop: Header=BB75_259 Depth=2
	v_mov_b32_e32 v1, v15
	ds_write_b128 v15, v[1:4] offset:3072
	s_branch .LBB75_256
.LBB75_262:                             ;   in Loop: Header=BB75_259 Depth=2
	s_mov_b32 s27, -1
	s_mov_b32 s26, -1
                                        ; implicit-def: $vgpr7
	s_branch .LBB75_258
.LBB75_263:                             ;   in Loop: Header=BB75_6 Depth=1
	s_or_b32 exec_lo, exec_lo, s25
	s_andn2_b32 s23, s23, exec_lo
	s_and_b32 s24, s24, exec_lo
	s_or_b32 s23, s23, s24
.LBB75_264:                             ;   in Loop: Header=BB75_6 Depth=1
	s_or_b32 exec_lo, exec_lo, s16
	s_mov_b32 s16, 0
	s_mov_b32 s24, -1
.LBB75_265:                             ;   in Loop: Header=BB75_6 Depth=1
	s_orn2_b32 s23, s23, exec_lo
.LBB75_266:                             ;   in Loop: Header=BB75_6 Depth=1
	s_or_b32 exec_lo, exec_lo, s22
                                        ; implicit-def: $vgpr42
                                        ; implicit-def: $vgpr41
	s_and_saveexec_b32 s22, s23
	s_cbranch_execz .LBB75_402
; %bb.267:                              ;   in Loop: Header=BB75_6 Depth=1
	v_mov_b32_e32 v42, 1
	v_mov_b32_e32 v41, 1
	s_xor_b32 s23, s10, -1
	s_mov_b32 s26, 0
	s_and_saveexec_b32 s10, s23
	s_cbranch_execz .LBB75_276
; %bb.268:                              ;   in Loop: Header=BB75_6 Depth=1
	s_mov_b32 s23, exec_lo
	v_cmpx_ge_u32_e64 s20, v40
	s_xor_b32 s23, exec_lo, s23
	s_cbranch_execz .LBB75_273
; %bb.269:                              ;   in Loop: Header=BB75_6 Depth=1
	ds_read_b32 v1, v15 offset:4096
	v_or_b32_e32 v17, s13, v17
	v_or_b32_e32 v16, s12, v16
	;; [unrolled: 1-line block ×4, first 2 shown]
	s_waitcnt lgkmcnt(0)
	v_cmp_ne_u32_e32 vcc_lo, 0, v1
	s_cbranch_vccnz .LBB75_273
; %bb.270:                              ;   in Loop: Header=BB75_6 Depth=1
	s_and_saveexec_b32 s25, s3
; %bb.271:                              ;   in Loop: Header=BB75_6 Depth=1
	v_mov_b32_e32 v1, s20
	ds_write_b32 v15, v1 offset:4100
; %bb.272:                              ;   in Loop: Header=BB75_6 Depth=1
	s_or_b32 exec_lo, exec_lo, s25
	s_waitcnt lgkmcnt(0)
	s_barrier
	buffer_gl0_inv
.LBB75_273:                             ;   in Loop: Header=BB75_6 Depth=1
	s_or_saveexec_b32 s23, s23
	v_mov_b32_e32 v41, 5
	s_mov_b32 s25, 0
	s_xor_b32 exec_lo, exec_lo, s23
; %bb.274:                              ;   in Loop: Header=BB75_6 Depth=1
	v_subrev_nc_u32_e32 v40, s20, v40
	v_mov_b32_e32 v41, 0
	s_mov_b32 s25, exec_lo
; %bb.275:                              ;   in Loop: Header=BB75_6 Depth=1
	s_or_b32 exec_lo, exec_lo, s23
	v_mov_b32_e32 v42, v40
	s_and_b32 s26, s25, exec_lo
.LBB75_276:                             ;   in Loop: Header=BB75_6 Depth=1
	s_or_b32 exec_lo, exec_lo, s10
	s_mov_b32 s25, -1
                                        ; implicit-def: $sgpr20
                                        ; implicit-def: $sgpr23
	s_and_saveexec_b32 s10, s26
	s_xor_b32 s10, exec_lo, s10
	s_cbranch_execz .LBB75_399
; %bb.277:                              ;   in Loop: Header=BB75_6 Depth=1
	v_cmp_eq_u32_e32 vcc_lo, 1, v42
	s_cmp_eq_u32 s19, 1
	s_mov_b32 s27, -1
	s_cselect_b32 s20, -1, 0
                                        ; implicit-def: $sgpr23
	s_and_b32 s26, s20, vcc_lo
                                        ; implicit-def: $sgpr20
	s_and_saveexec_b32 s25, s26
	s_cbranch_execz .LBB75_305
; %bb.278:                              ;   in Loop: Header=BB75_6 Depth=1
	ds_read_b32 v1, v15 offset:4096
	s_waitcnt lgkmcnt(0)
	s_barrier
	buffer_gl0_inv
	v_readfirstlane_b32 s28, v1
	s_and_saveexec_b32 s20, s6
; %bb.279:                              ;   in Loop: Header=BB75_6 Depth=1
	v_mov_b32_e32 v14, v15
	ds_write_b64 v32, v[14:15]
; %bb.280:                              ;   in Loop: Header=BB75_6 Depth=1
	s_or_b32 exec_lo, exec_lo, s20
	v_and_b32_e32 v1, s15, v17
	v_and_b32_e32 v3, s14, v16
	s_lshl_b64 s[44:45], 2, s82
	v_or_b32_e32 v22, s13, v22
	v_or_b32_e32 v21, s12, v21
	;; [unrolled: 1-line block ×4, first 2 shown]
	s_mov_b32 s20, -1
	s_mov_b32 s23, 0
	s_cmp_eq_u32 s28, 0
	s_mov_b32 s27, 0
	s_mov_b32 s29, -1
	s_waitcnt lgkmcnt(0)
	s_barrier
	buffer_gl0_inv
                                        ; implicit-def: $vgpr5_vgpr6
	s_cbranch_scc1 .LBB75_292
; %bb.281:                              ;   in Loop: Header=BB75_6 Depth=1
	s_add_i32 s27, s28, s66
	s_mov_b32 s89, exec_lo
	s_mul_hi_u32 s29, s27, s72
                                        ; implicit-def: $vgpr5_vgpr6
	s_mul_i32 s29, s29, s43
	s_sub_i32 s29, s27, s29
	s_sub_i32 s44, s29, s43
	s_cmp_ge_u32 s29, s43
	s_cselect_b32 s29, s44, s29
	s_sub_i32 s44, s29, s43
	s_cmp_ge_u32 s29, s43
	s_cselect_b32 s29, s44, s29
	s_sub_i32 s90, s27, s29
	s_mov_b32 s29, 0
	s_mov_b32 s27, 0
	v_cmpx_gt_u32_e64 s90, v0
	s_cbranch_execz .LBB75_291
; %bb.282:                              ;   in Loop: Header=BB75_6 Depth=1
	v_mov_b32_e32 v7, v30
	v_mov_b32_e32 v8, v0
                                        ; implicit-def: $sgpr91
	s_inst_prefetch 0x1
	s_branch .LBB75_286
	.p2align	6
.LBB75_283:                             ;   in Loop: Header=BB75_286 Depth=2
	s_or_b32 exec_lo, exec_lo, s92
	s_waitcnt lgkmcnt(0)
	s_barrier
	buffer_gl0_inv
	ds_read_b128 v[3:6], v15 offset:3072
	s_waitcnt lgkmcnt(0)
	s_barrier
	buffer_gl0_inv
	v_cmp_neq_f64_e32 vcc_lo, 0, v[3:4]
	s_cbranch_vccnz .LBB75_289
; %bb.284:                              ;   in Loop: Header=BB75_286 Depth=2
	v_add_nc_u32_e32 v8, s43, v8
	v_add_nc_u32_e32 v7, s76, v7
	s_mov_b32 s44, 0
	v_cmp_le_u32_e32 vcc_lo, s90, v8
	s_orn2_b32 s45, vcc_lo, exec_lo
.LBB75_285:                             ;   in Loop: Header=BB75_286 Depth=2
	s_and_b32 s45, exec_lo, s45
	s_or_b32 s27, s45, s27
	s_andn2_b32 s45, s91, exec_lo
	s_and_b32 s44, s44, exec_lo
	s_or_b32 s91, s45, s44
	s_andn2_b32 exec_lo, exec_lo, s27
	s_cbranch_execz .LBB75_290
.LBB75_286:                             ;   Parent Loop BB75_6 Depth=1
                                        ; =>  This Inner Loop Header: Depth=2
	s_mov_b32 s92, exec_lo
	v_cmpx_gt_u32_e64 s28, v8
	s_cbranch_execz .LBB75_283
; %bb.287:                              ;   in Loop: Header=BB75_286 Depth=2
	ds_read_b64 v[3:4], v7
	s_waitcnt lgkmcnt(0)
	v_cmp_o_f64_e32 vcc_lo, v[3:4], v[3:4]
	v_ashrrev_i32_e32 v1, 31, v4
	v_or_b32_e32 v5, 0x80000000, v1
	v_xor_b32_e32 v1, v1, v3
	v_xor_b32_e32 v5, v5, v4
	v_cndmask_b32_e32 v5, -1, v5, vcc_lo
	v_cndmask_b32_e32 v1, -1, v1, vcc_lo
	v_and_b32_e32 v6, v5, v22
	v_and_b32_e32 v5, v1, v21
	v_cmp_eq_u64_e32 vcc_lo, v[5:6], v[16:17]
	s_and_b32 exec_lo, exec_lo, vcc_lo
	s_cbranch_execz .LBB75_283
; %bb.288:                              ;   in Loop: Header=BB75_286 Depth=2
	v_mov_b32_e32 v1, v15
	ds_write_b128 v15, v[1:4] offset:3072
	s_branch .LBB75_283
.LBB75_289:                             ;   in Loop: Header=BB75_286 Depth=2
	s_mov_b32 s45, -1
	s_mov_b32 s44, -1
                                        ; implicit-def: $vgpr8
                                        ; implicit-def: $vgpr7
	s_branch .LBB75_285
.LBB75_290:                             ;   in Loop: Header=BB75_6 Depth=1
	s_inst_prefetch 0x2
	s_or_b32 exec_lo, exec_lo, s27
	s_and_b32 s27, s91, exec_lo
.LBB75_291:                             ;   in Loop: Header=BB75_6 Depth=1
	s_or_b32 exec_lo, exec_lo, s89
.LBB75_292:                             ;   in Loop: Header=BB75_6 Depth=1
	s_and_b32 vcc_lo, exec_lo, s29
	s_cbranch_vccz .LBB75_304
; %bb.293:                              ;   in Loop: Header=BB75_6 Depth=1
                                        ; implicit-def: $vgpr5_vgpr6
	s_and_saveexec_b32 s20, s9
	s_cbranch_execz .LBB75_303
; %bb.294:                              ;   in Loop: Header=BB75_6 Depth=1
	v_mov_b32_e32 v14, v13
	v_mov_b32_e32 v7, v0
	s_mov_b32 s23, 0
                                        ; implicit-def: $sgpr28
	s_branch .LBB75_298
.LBB75_295:                             ;   in Loop: Header=BB75_298 Depth=2
	s_or_b32 exec_lo, exec_lo, s29
	s_waitcnt lgkmcnt(0)
	s_barrier
	buffer_gl0_inv
	ds_read_b128 v[3:6], v15 offset:3072
	s_waitcnt lgkmcnt(0)
	s_barrier
	buffer_gl0_inv
	v_cmp_eq_f64_e32 vcc_lo, 0, v[3:4]
	s_cbranch_vccz .LBB75_301
; %bb.296:                              ;   in Loop: Header=BB75_298 Depth=2
	v_add_nc_u32_e32 v7, s43, v7
	v_add_nc_u32_e32 v14, s47, v14
	s_mov_b32 s29, 0
	v_cmp_le_u32_e32 vcc_lo, s73, v7
	s_orn2_b32 s44, vcc_lo, exec_lo
.LBB75_297:                             ;   in Loop: Header=BB75_298 Depth=2
	s_and_b32 s44, exec_lo, s44
	s_or_b32 s23, s44, s23
	s_andn2_b32 s28, s28, exec_lo
	s_and_b32 s29, s29, exec_lo
	s_or_b32 s28, s28, s29
	s_andn2_b32 exec_lo, exec_lo, s23
	s_cbranch_execz .LBB75_302
.LBB75_298:                             ;   Parent Loop BB75_6 Depth=1
                                        ; =>  This Inner Loop Header: Depth=2
	s_mov_b32 s29, exec_lo
	v_cmpx_gt_u32_e64 s36, v7
	s_cbranch_execz .LBB75_295
; %bb.299:                              ;   in Loop: Header=BB75_298 Depth=2
	v_lshlrev_b64 v[3:4], 3, v[14:15]
	v_add_co_u32 v3, vcc_lo, s31, v3
	v_add_co_ci_u32_e64 v4, null, s33, v4, vcc_lo
	global_load_dwordx2 v[3:4], v[3:4], off
	s_waitcnt vmcnt(0)
	v_cmp_o_f64_e32 vcc_lo, v[3:4], v[3:4]
	v_ashrrev_i32_e32 v1, 31, v4
	v_or_b32_e32 v5, 0x80000000, v1
	v_xor_b32_e32 v1, v1, v3
	v_xor_b32_e32 v5, v5, v4
	v_cndmask_b32_e32 v5, -1, v5, vcc_lo
	v_cndmask_b32_e32 v1, -1, v1, vcc_lo
	v_and_b32_e32 v6, v5, v22
	v_and_b32_e32 v5, v1, v21
	v_cmp_eq_u64_e32 vcc_lo, v[5:6], v[16:17]
	s_and_b32 exec_lo, exec_lo, vcc_lo
	s_cbranch_execz .LBB75_295
; %bb.300:                              ;   in Loop: Header=BB75_298 Depth=2
	v_mov_b32_e32 v1, v15
	ds_write_b128 v15, v[1:4] offset:3072
	s_branch .LBB75_295
.LBB75_301:                             ;   in Loop: Header=BB75_298 Depth=2
	s_mov_b32 s44, -1
	s_mov_b32 s29, -1
                                        ; implicit-def: $vgpr7
	s_branch .LBB75_297
.LBB75_302:                             ;   in Loop: Header=BB75_6 Depth=1
	s_or_b32 exec_lo, exec_lo, s23
	s_andn2_b32 s23, s27, exec_lo
	s_and_b32 s27, s28, exec_lo
	s_or_b32 s27, s23, s27
.LBB75_303:                             ;   in Loop: Header=BB75_6 Depth=1
	s_or_b32 exec_lo, exec_lo, s20
	s_mov_b32 s20, 0
	s_mov_b32 s23, -1
.LBB75_304:                             ;   in Loop: Header=BB75_6 Depth=1
	s_orn2_b32 s27, s27, exec_lo
.LBB75_305:                             ;   in Loop: Header=BB75_6 Depth=1
	s_or_b32 exec_lo, exec_lo, s25
	s_mov_b32 s28, 0
	s_and_saveexec_b32 s25, s27
	s_cbranch_execz .LBB75_398
; %bb.306:                              ;   in Loop: Header=BB75_6 Depth=1
	v_mov_b32_e32 v7, 1
	v_mov_b32_e32 v41, 1
	s_xor_b32 s27, s26, -1
	s_mov_b32 s29, 0
	s_and_saveexec_b32 s26, s27
	s_cbranch_execz .LBB75_315
; %bb.307:                              ;   in Loop: Header=BB75_6 Depth=1
	s_mov_b32 s27, exec_lo
	v_cmpx_ge_u32_e64 s19, v42
	s_xor_b32 s27, exec_lo, s27
	s_cbranch_execz .LBB75_312
; %bb.308:                              ;   in Loop: Header=BB75_6 Depth=1
	ds_read_b32 v1, v15 offset:4096
	v_and_b32_e32 v3, s15, v17
	v_and_b32_e32 v4, s14, v16
	s_lshl_b64 s[28:29], 2, s82
	v_or_b32_e32 v22, s13, v22
	v_or_b32_e32 v21, s12, v21
	;; [unrolled: 1-line block ×4, first 2 shown]
	s_waitcnt lgkmcnt(0)
	v_cmp_ne_u32_e32 vcc_lo, 0, v1
	s_cbranch_vccnz .LBB75_312
; %bb.309:                              ;   in Loop: Header=BB75_6 Depth=1
	s_and_saveexec_b32 s28, s3
; %bb.310:                              ;   in Loop: Header=BB75_6 Depth=1
	v_mov_b32_e32 v1, s19
	ds_write_b32 v15, v1 offset:4100
; %bb.311:                              ;   in Loop: Header=BB75_6 Depth=1
	s_or_b32 exec_lo, exec_lo, s28
	s_waitcnt lgkmcnt(0)
	s_barrier
	buffer_gl0_inv
.LBB75_312:                             ;   in Loop: Header=BB75_6 Depth=1
	s_or_saveexec_b32 s27, s27
	v_mov_b32_e32 v41, 5
	s_mov_b32 s28, 0
	s_xor_b32 exec_lo, exec_lo, s27
; %bb.313:                              ;   in Loop: Header=BB75_6 Depth=1
	v_subrev_nc_u32_e32 v42, s19, v42
	v_mov_b32_e32 v41, 0
	s_mov_b32 s28, exec_lo
; %bb.314:                              ;   in Loop: Header=BB75_6 Depth=1
	s_or_b32 exec_lo, exec_lo, s27
	v_mov_b32_e32 v7, v42
	s_and_b32 s29, s28, exec_lo
.LBB75_315:                             ;   in Loop: Header=BB75_6 Depth=1
	s_or_b32 exec_lo, exec_lo, s26
	s_mov_b32 s28, -1
                                        ; implicit-def: $sgpr26
                                        ; implicit-def: $sgpr27
	s_and_saveexec_b32 s19, s29
	s_cbranch_execz .LBB75_397
; %bb.316:                              ;   in Loop: Header=BB75_6 Depth=1
	v_cmp_eq_u32_e32 vcc_lo, 1, v7
	s_cmp_eq_u32 s18, 1
	s_mov_b32 s89, -1
	s_cselect_b32 s26, -1, 0
                                        ; implicit-def: $sgpr27
	s_and_b32 s29, s26, vcc_lo
                                        ; implicit-def: $sgpr26
	s_and_saveexec_b32 s28, s29
	s_cbranch_execz .LBB75_344
; %bb.317:                              ;   in Loop: Header=BB75_6 Depth=1
	ds_read_b32 v1, v15 offset:4096
	s_waitcnt lgkmcnt(0)
	s_barrier
	buffer_gl0_inv
	v_readfirstlane_b32 s90, v1
	s_and_saveexec_b32 s26, s6
; %bb.318:                              ;   in Loop: Header=BB75_6 Depth=1
	v_mov_b32_e32 v14, v15
	ds_write_b64 v32, v[14:15]
; %bb.319:                              ;   in Loop: Header=BB75_6 Depth=1
	s_or_b32 exec_lo, exec_lo, s26
	v_and_b32_e32 v1, s15, v17
	v_and_b32_e32 v3, s14, v16
	s_lshl_b64 s[26:27], 1, s82
	v_or_b32_e32 v22, s13, v22
	v_or_b32_e32 v21, s12, v21
	;; [unrolled: 1-line block ×4, first 2 shown]
	s_mov_b32 s26, -1
	s_mov_b32 s27, 0
	s_cmp_eq_u32 s90, 0
	s_mov_b32 s89, 0
	s_mov_b32 s91, -1
	s_waitcnt lgkmcnt(0)
	s_barrier
	buffer_gl0_inv
                                        ; implicit-def: $vgpr5_vgpr6
	s_cbranch_scc1 .LBB75_331
; %bb.320:                              ;   in Loop: Header=BB75_6 Depth=1
	s_add_i32 s44, s90, s66
	s_mov_b32 s91, 0
	s_mul_hi_u32 s45, s44, s72
	s_mov_b32 s92, exec_lo
	s_mul_i32 s45, s45, s43
                                        ; implicit-def: $vgpr5_vgpr6
	s_sub_i32 s45, s44, s45
	s_sub_i32 s46, s45, s43
	s_cmp_ge_u32 s45, s43
	s_cselect_b32 s45, s46, s45
	s_sub_i32 s46, s45, s43
	s_cmp_ge_u32 s45, s43
	s_cselect_b32 s45, s46, s45
	s_sub_i32 s93, s44, s45
	v_cmpx_gt_u32_e64 s93, v0
	s_cbranch_execz .LBB75_330
; %bb.321:                              ;   in Loop: Header=BB75_6 Depth=1
	v_mov_b32_e32 v8, v30
	v_mov_b32_e32 v9, v0
                                        ; implicit-def: $sgpr94
	s_inst_prefetch 0x1
	s_branch .LBB75_325
	.p2align	6
.LBB75_322:                             ;   in Loop: Header=BB75_325 Depth=2
	s_or_b32 exec_lo, exec_lo, s95
	s_waitcnt lgkmcnt(0)
	s_barrier
	buffer_gl0_inv
	ds_read_b128 v[3:6], v15 offset:3072
	s_waitcnt lgkmcnt(0)
	s_barrier
	buffer_gl0_inv
	v_cmp_neq_f64_e32 vcc_lo, 0, v[3:4]
	s_cbranch_vccnz .LBB75_328
; %bb.323:                              ;   in Loop: Header=BB75_325 Depth=2
	v_add_nc_u32_e32 v9, s43, v9
	v_add_nc_u32_e32 v8, s76, v8
	s_mov_b32 s44, 0
	v_cmp_le_u32_e32 vcc_lo, s93, v9
	s_orn2_b32 s45, vcc_lo, exec_lo
.LBB75_324:                             ;   in Loop: Header=BB75_325 Depth=2
	s_and_b32 s45, exec_lo, s45
	s_or_b32 s89, s45, s89
	s_andn2_b32 s45, s94, exec_lo
	s_and_b32 s44, s44, exec_lo
	s_or_b32 s94, s45, s44
	s_andn2_b32 exec_lo, exec_lo, s89
	s_cbranch_execz .LBB75_329
.LBB75_325:                             ;   Parent Loop BB75_6 Depth=1
                                        ; =>  This Inner Loop Header: Depth=2
	s_mov_b32 s95, exec_lo
	v_cmpx_gt_u32_e64 s90, v9
	s_cbranch_execz .LBB75_322
; %bb.326:                              ;   in Loop: Header=BB75_325 Depth=2
	ds_read_b64 v[3:4], v8
	s_waitcnt lgkmcnt(0)
	v_cmp_o_f64_e32 vcc_lo, v[3:4], v[3:4]
	v_ashrrev_i32_e32 v1, 31, v4
	v_or_b32_e32 v5, 0x80000000, v1
	v_xor_b32_e32 v1, v1, v3
	v_xor_b32_e32 v5, v5, v4
	v_cndmask_b32_e32 v5, -1, v5, vcc_lo
	v_cndmask_b32_e32 v1, -1, v1, vcc_lo
	v_and_b32_e32 v6, v5, v22
	v_and_b32_e32 v5, v1, v21
	v_cmp_eq_u64_e32 vcc_lo, v[5:6], v[16:17]
	s_and_b32 exec_lo, exec_lo, vcc_lo
	s_cbranch_execz .LBB75_322
; %bb.327:                              ;   in Loop: Header=BB75_325 Depth=2
	v_mov_b32_e32 v1, v15
	ds_write_b128 v15, v[1:4] offset:3072
	s_branch .LBB75_322
.LBB75_328:                             ;   in Loop: Header=BB75_325 Depth=2
	s_mov_b32 s45, -1
	s_mov_b32 s44, -1
                                        ; implicit-def: $vgpr9
                                        ; implicit-def: $vgpr8
	s_branch .LBB75_324
.LBB75_329:                             ;   in Loop: Header=BB75_6 Depth=1
	s_inst_prefetch 0x2
	s_or_b32 exec_lo, exec_lo, s89
	s_and_b32 s89, s94, exec_lo
.LBB75_330:                             ;   in Loop: Header=BB75_6 Depth=1
	s_or_b32 exec_lo, exec_lo, s92
.LBB75_331:                             ;   in Loop: Header=BB75_6 Depth=1
	s_and_b32 vcc_lo, exec_lo, s91
	s_cbranch_vccz .LBB75_343
; %bb.332:                              ;   in Loop: Header=BB75_6 Depth=1
                                        ; implicit-def: $vgpr5_vgpr6
	s_and_saveexec_b32 s26, s9
	s_cbranch_execz .LBB75_342
; %bb.333:                              ;   in Loop: Header=BB75_6 Depth=1
	v_mov_b32_e32 v14, v13
	v_mov_b32_e32 v8, v0
	s_mov_b32 s27, 0
                                        ; implicit-def: $sgpr90
	s_branch .LBB75_337
.LBB75_334:                             ;   in Loop: Header=BB75_337 Depth=2
	s_or_b32 exec_lo, exec_lo, s91
	s_waitcnt lgkmcnt(0)
	s_barrier
	buffer_gl0_inv
	ds_read_b128 v[3:6], v15 offset:3072
	s_waitcnt lgkmcnt(0)
	s_barrier
	buffer_gl0_inv
	v_cmp_eq_f64_e32 vcc_lo, 0, v[3:4]
	s_cbranch_vccz .LBB75_340
; %bb.335:                              ;   in Loop: Header=BB75_337 Depth=2
	v_add_nc_u32_e32 v8, s43, v8
	v_add_nc_u32_e32 v14, s47, v14
	s_mov_b32 s44, 0
	v_cmp_le_u32_e32 vcc_lo, s73, v8
	s_orn2_b32 s45, vcc_lo, exec_lo
.LBB75_336:                             ;   in Loop: Header=BB75_337 Depth=2
	s_and_b32 s45, exec_lo, s45
	s_or_b32 s27, s45, s27
	s_andn2_b32 s45, s90, exec_lo
	s_and_b32 s44, s44, exec_lo
	s_or_b32 s90, s45, s44
	s_andn2_b32 exec_lo, exec_lo, s27
	s_cbranch_execz .LBB75_341
.LBB75_337:                             ;   Parent Loop BB75_6 Depth=1
                                        ; =>  This Inner Loop Header: Depth=2
	s_mov_b32 s91, exec_lo
	v_cmpx_gt_u32_e64 s36, v8
	s_cbranch_execz .LBB75_334
; %bb.338:                              ;   in Loop: Header=BB75_337 Depth=2
	v_lshlrev_b64 v[3:4], 3, v[14:15]
	v_add_co_u32 v3, vcc_lo, s31, v3
	v_add_co_ci_u32_e64 v4, null, s33, v4, vcc_lo
	global_load_dwordx2 v[3:4], v[3:4], off
	s_waitcnt vmcnt(0)
	v_cmp_o_f64_e32 vcc_lo, v[3:4], v[3:4]
	v_ashrrev_i32_e32 v1, 31, v4
	v_or_b32_e32 v5, 0x80000000, v1
	v_xor_b32_e32 v1, v1, v3
	v_xor_b32_e32 v5, v5, v4
	v_cndmask_b32_e32 v5, -1, v5, vcc_lo
	v_cndmask_b32_e32 v1, -1, v1, vcc_lo
	v_and_b32_e32 v6, v5, v22
	v_and_b32_e32 v5, v1, v21
	v_cmp_eq_u64_e32 vcc_lo, v[5:6], v[16:17]
	s_and_b32 exec_lo, exec_lo, vcc_lo
	s_cbranch_execz .LBB75_334
; %bb.339:                              ;   in Loop: Header=BB75_337 Depth=2
	v_mov_b32_e32 v1, v15
	ds_write_b128 v15, v[1:4] offset:3072
	s_branch .LBB75_334
.LBB75_340:                             ;   in Loop: Header=BB75_337 Depth=2
	s_mov_b32 s45, -1
	s_mov_b32 s44, -1
                                        ; implicit-def: $vgpr8
	s_branch .LBB75_336
.LBB75_341:                             ;   in Loop: Header=BB75_6 Depth=1
	s_or_b32 exec_lo, exec_lo, s27
	s_andn2_b32 s27, s89, exec_lo
	s_and_b32 s44, s90, exec_lo
	s_or_b32 s89, s27, s44
.LBB75_342:                             ;   in Loop: Header=BB75_6 Depth=1
	s_or_b32 exec_lo, exec_lo, s26
	s_mov_b32 s26, 0
	s_mov_b32 s27, -1
.LBB75_343:                             ;   in Loop: Header=BB75_6 Depth=1
	s_orn2_b32 s89, s89, exec_lo
.LBB75_344:                             ;   in Loop: Header=BB75_6 Depth=1
	s_or_b32 exec_lo, exec_lo, s28
	s_mov_b32 s44, 0
	s_and_saveexec_b32 s28, s89
	s_cbranch_execz .LBB75_396
; %bb.345:                              ;   in Loop: Header=BB75_6 Depth=1
	v_mov_b32_e32 v8, 1
	v_mov_b32_e32 v41, 1
	s_xor_b32 s45, s29, -1
	s_and_saveexec_b32 s29, s45
	s_cbranch_execz .LBB75_354
; %bb.346:                              ;   in Loop: Header=BB75_6 Depth=1
	s_mov_b32 s44, exec_lo
	v_cmpx_ge_u32_e64 s18, v7
	s_xor_b32 s89, exec_lo, s44
	s_cbranch_execz .LBB75_351
; %bb.347:                              ;   in Loop: Header=BB75_6 Depth=1
	ds_read_b32 v1, v15 offset:4096
	v_and_b32_e32 v3, s15, v17
	v_and_b32_e32 v4, s14, v16
	s_lshl_b64 s[44:45], 1, s82
	v_or_b32_e32 v22, s13, v22
	v_or_b32_e32 v21, s12, v21
	;; [unrolled: 1-line block ×4, first 2 shown]
	s_waitcnt lgkmcnt(0)
	v_cmp_ne_u32_e32 vcc_lo, 0, v1
	s_cbranch_vccnz .LBB75_351
; %bb.348:                              ;   in Loop: Header=BB75_6 Depth=1
	s_and_saveexec_b32 s44, s3
; %bb.349:                              ;   in Loop: Header=BB75_6 Depth=1
	v_mov_b32_e32 v1, s18
	ds_write_b32 v15, v1 offset:4100
; %bb.350:                              ;   in Loop: Header=BB75_6 Depth=1
	s_or_b32 exec_lo, exec_lo, s44
	s_waitcnt lgkmcnt(0)
	s_barrier
	buffer_gl0_inv
.LBB75_351:                             ;   in Loop: Header=BB75_6 Depth=1
	s_or_saveexec_b32 s44, s89
	v_mov_b32_e32 v41, 5
	s_mov_b32 s45, 0
	s_xor_b32 exec_lo, exec_lo, s44
; %bb.352:                              ;   in Loop: Header=BB75_6 Depth=1
	v_subrev_nc_u32_e32 v7, s18, v7
	v_mov_b32_e32 v41, 0
	s_mov_b32 s45, exec_lo
; %bb.353:                              ;   in Loop: Header=BB75_6 Depth=1
	s_or_b32 exec_lo, exec_lo, s44
	v_mov_b32_e32 v8, v7
	s_and_b32 s44, s45, exec_lo
.LBB75_354:                             ;   in Loop: Header=BB75_6 Depth=1
	s_or_b32 exec_lo, exec_lo, s29
	s_mov_b32 s29, -1
                                        ; implicit-def: $sgpr90
                                        ; implicit-def: $sgpr89
	s_and_saveexec_b32 s18, s44
	s_cbranch_execz .LBB75_395
; %bb.355:                              ;   in Loop: Header=BB75_6 Depth=1
	v_cmp_eq_u32_e32 vcc_lo, 1, v8
	s_cmp_eq_u32 s17, 1
	s_mov_b32 s92, -1
	s_cselect_b32 s29, -1, 0
                                        ; implicit-def: $sgpr90
                                        ; implicit-def: $sgpr89
	s_and_b32 s29, s29, vcc_lo
	s_and_saveexec_b32 s91, s29
	s_cbranch_execz .LBB75_383
; %bb.356:                              ;   in Loop: Header=BB75_6 Depth=1
	ds_read_b32 v1, v15 offset:4096
	s_waitcnt lgkmcnt(0)
	s_barrier
	buffer_gl0_inv
	v_readfirstlane_b32 s93, v1
	s_and_saveexec_b32 s44, s6
; %bb.357:                              ;   in Loop: Header=BB75_6 Depth=1
	v_mov_b32_e32 v14, v15
	ds_write_b64 v32, v[14:15]
; %bb.358:                              ;   in Loop: Header=BB75_6 Depth=1
	s_or_b32 exec_lo, exec_lo, s44
	v_and_b32_e32 v17, s15, v17
	v_and_b32_e32 v16, s14, v16
	v_or_b32_e32 v22, s13, v22
	v_or_b32_e32 v21, s12, v21
	s_mov_b32 s89, -1
	s_mov_b32 s90, 0
	s_cmp_eq_u32 s93, 0
	s_mov_b32 s92, 0
	s_mov_b32 s94, -1
	s_waitcnt lgkmcnt(0)
	s_barrier
	buffer_gl0_inv
                                        ; implicit-def: $vgpr5_vgpr6
	s_cbranch_scc1 .LBB75_370
; %bb.359:                              ;   in Loop: Header=BB75_6 Depth=1
	s_add_i32 s44, s93, s66
	s_mov_b32 s94, 0
	s_mul_hi_u32 s45, s44, s72
	s_mov_b32 s95, exec_lo
	s_mul_i32 s45, s45, s43
                                        ; implicit-def: $vgpr5_vgpr6
	s_sub_i32 s45, s44, s45
	s_sub_i32 s46, s45, s43
	s_cmp_ge_u32 s45, s43
	s_cselect_b32 s45, s46, s45
	s_sub_i32 s46, s45, s43
	s_cmp_ge_u32 s45, s43
	s_cselect_b32 s45, s46, s45
	s_sub_i32 s96, s44, s45
	v_cmpx_gt_u32_e64 s96, v0
	s_cbranch_execz .LBB75_369
; %bb.360:                              ;   in Loop: Header=BB75_6 Depth=1
	v_mov_b32_e32 v7, v30
	v_mov_b32_e32 v9, v0
                                        ; implicit-def: $sgpr97
	s_inst_prefetch 0x1
	s_branch .LBB75_364
	.p2align	6
.LBB75_361:                             ;   in Loop: Header=BB75_364 Depth=2
	s_or_b32 exec_lo, exec_lo, s98
	s_waitcnt lgkmcnt(0)
	s_barrier
	buffer_gl0_inv
	ds_read_b128 v[3:6], v15 offset:3072
	s_waitcnt lgkmcnt(0)
	s_barrier
	buffer_gl0_inv
	v_cmp_neq_f64_e32 vcc_lo, 0, v[3:4]
	s_cbranch_vccnz .LBB75_367
; %bb.362:                              ;   in Loop: Header=BB75_364 Depth=2
	v_add_nc_u32_e32 v9, s43, v9
	v_add_nc_u32_e32 v7, s76, v7
	s_mov_b32 s44, 0
	v_cmp_le_u32_e32 vcc_lo, s96, v9
	s_orn2_b32 s45, vcc_lo, exec_lo
.LBB75_363:                             ;   in Loop: Header=BB75_364 Depth=2
	s_and_b32 s45, exec_lo, s45
	s_or_b32 s92, s45, s92
	s_andn2_b32 s45, s97, exec_lo
	s_and_b32 s44, s44, exec_lo
	s_or_b32 s97, s45, s44
	s_andn2_b32 exec_lo, exec_lo, s92
	s_cbranch_execz .LBB75_368
.LBB75_364:                             ;   Parent Loop BB75_6 Depth=1
                                        ; =>  This Inner Loop Header: Depth=2
	s_mov_b32 s98, exec_lo
	v_cmpx_gt_u32_e64 s93, v9
	s_cbranch_execz .LBB75_361
; %bb.365:                              ;   in Loop: Header=BB75_364 Depth=2
	ds_read_b64 v[3:4], v7
	s_waitcnt lgkmcnt(0)
	v_cmp_o_f64_e32 vcc_lo, v[3:4], v[3:4]
	v_ashrrev_i32_e32 v1, 31, v4
	v_or_b32_e32 v5, 0x80000000, v1
	v_xor_b32_e32 v1, v1, v3
	v_xor_b32_e32 v5, v5, v4
	v_cndmask_b32_e32 v5, -1, v5, vcc_lo
	v_cndmask_b32_e32 v1, -1, v1, vcc_lo
	v_and_b32_e32 v6, v5, v22
	v_and_b32_e32 v5, v1, v21
	v_cmp_eq_u64_e32 vcc_lo, v[5:6], v[16:17]
	s_and_b32 exec_lo, exec_lo, vcc_lo
	s_cbranch_execz .LBB75_361
; %bb.366:                              ;   in Loop: Header=BB75_364 Depth=2
	v_mov_b32_e32 v1, v15
	ds_write_b128 v15, v[1:4] offset:3072
	s_branch .LBB75_361
.LBB75_367:                             ;   in Loop: Header=BB75_364 Depth=2
	s_mov_b32 s45, -1
	s_mov_b32 s44, -1
                                        ; implicit-def: $vgpr9
                                        ; implicit-def: $vgpr7
	s_branch .LBB75_363
.LBB75_368:                             ;   in Loop: Header=BB75_6 Depth=1
	s_inst_prefetch 0x2
	s_or_b32 exec_lo, exec_lo, s92
	s_and_b32 s92, s97, exec_lo
.LBB75_369:                             ;   in Loop: Header=BB75_6 Depth=1
	s_or_b32 exec_lo, exec_lo, s95
.LBB75_370:                             ;   in Loop: Header=BB75_6 Depth=1
	s_and_b32 vcc_lo, exec_lo, s94
	s_cbranch_vccz .LBB75_382
; %bb.371:                              ;   in Loop: Header=BB75_6 Depth=1
                                        ; implicit-def: $vgpr5_vgpr6
	s_and_saveexec_b32 s89, s9
	s_cbranch_execz .LBB75_381
; %bb.372:                              ;   in Loop: Header=BB75_6 Depth=1
	v_mov_b32_e32 v14, v13
	v_mov_b32_e32 v7, v0
	s_mov_b32 s90, 0
                                        ; implicit-def: $sgpr93
	s_branch .LBB75_376
.LBB75_373:                             ;   in Loop: Header=BB75_376 Depth=2
	s_or_b32 exec_lo, exec_lo, s94
	s_waitcnt lgkmcnt(0)
	s_barrier
	buffer_gl0_inv
	ds_read_b128 v[3:6], v15 offset:3072
	s_waitcnt lgkmcnt(0)
	s_barrier
	buffer_gl0_inv
	v_cmp_eq_f64_e32 vcc_lo, 0, v[3:4]
	s_cbranch_vccz .LBB75_379
; %bb.374:                              ;   in Loop: Header=BB75_376 Depth=2
	v_add_nc_u32_e32 v7, s43, v7
	v_add_nc_u32_e32 v14, s47, v14
	s_mov_b32 s44, 0
	v_cmp_le_u32_e32 vcc_lo, s73, v7
	s_orn2_b32 s45, vcc_lo, exec_lo
.LBB75_375:                             ;   in Loop: Header=BB75_376 Depth=2
	s_and_b32 s45, exec_lo, s45
	s_or_b32 s90, s45, s90
	s_andn2_b32 s45, s93, exec_lo
	s_and_b32 s44, s44, exec_lo
	s_or_b32 s93, s45, s44
	s_andn2_b32 exec_lo, exec_lo, s90
	s_cbranch_execz .LBB75_380
.LBB75_376:                             ;   Parent Loop BB75_6 Depth=1
                                        ; =>  This Inner Loop Header: Depth=2
	s_mov_b32 s94, exec_lo
	v_cmpx_gt_u32_e64 s36, v7
	s_cbranch_execz .LBB75_373
; %bb.377:                              ;   in Loop: Header=BB75_376 Depth=2
	v_lshlrev_b64 v[3:4], 3, v[14:15]
	v_add_co_u32 v3, vcc_lo, s31, v3
	v_add_co_ci_u32_e64 v4, null, s33, v4, vcc_lo
	global_load_dwordx2 v[3:4], v[3:4], off
	s_waitcnt vmcnt(0)
	v_cmp_o_f64_e32 vcc_lo, v[3:4], v[3:4]
	v_ashrrev_i32_e32 v1, 31, v4
	v_or_b32_e32 v5, 0x80000000, v1
	v_xor_b32_e32 v1, v1, v3
	v_xor_b32_e32 v5, v5, v4
	v_cndmask_b32_e32 v5, -1, v5, vcc_lo
	v_cndmask_b32_e32 v1, -1, v1, vcc_lo
	v_and_b32_e32 v6, v5, v22
	v_and_b32_e32 v5, v1, v21
	v_cmp_eq_u64_e32 vcc_lo, v[5:6], v[16:17]
	s_and_b32 exec_lo, exec_lo, vcc_lo
	s_cbranch_execz .LBB75_373
; %bb.378:                              ;   in Loop: Header=BB75_376 Depth=2
	v_mov_b32_e32 v1, v15
	ds_write_b128 v15, v[1:4] offset:3072
	s_branch .LBB75_373
.LBB75_379:                             ;   in Loop: Header=BB75_376 Depth=2
	s_mov_b32 s45, -1
	s_mov_b32 s44, -1
                                        ; implicit-def: $vgpr7
	s_branch .LBB75_375
.LBB75_380:                             ;   in Loop: Header=BB75_6 Depth=1
	s_or_b32 exec_lo, exec_lo, s90
	s_andn2_b32 s44, s92, exec_lo
	s_and_b32 s45, s93, exec_lo
	s_or_b32 s92, s44, s45
.LBB75_381:                             ;   in Loop: Header=BB75_6 Depth=1
	s_or_b32 exec_lo, exec_lo, s89
	s_mov_b32 s89, 0
	s_mov_b32 s90, -1
.LBB75_382:                             ;   in Loop: Header=BB75_6 Depth=1
	s_orn2_b32 s92, s92, exec_lo
.LBB75_383:                             ;   in Loop: Header=BB75_6 Depth=1
	s_or_b32 exec_lo, exec_lo, s91
	s_mov_b32 s44, 0
	s_and_saveexec_b32 s91, s92
	s_cbranch_execz .LBB75_394
; %bb.384:                              ;   in Loop: Header=BB75_6 Depth=1
	v_mov_b32_e32 v41, 1
	v_mov_b32_e32 v1, 1
	s_xor_b32 s44, s29, -1
	s_and_saveexec_b32 s29, s44
	s_cbranch_execz .LBB75_393
; %bb.385:                              ;   in Loop: Header=BB75_6 Depth=1
	s_mov_b32 s44, exec_lo
	v_cmpx_ge_u32_e64 s17, v8
	s_xor_b32 s92, exec_lo, s44
	s_cbranch_execz .LBB75_390
; %bb.386:                              ;   in Loop: Header=BB75_6 Depth=1
	ds_read_b32 v1, v15 offset:4096
	v_and_b32_e32 v17, s15, v17
	v_and_b32_e32 v16, s14, v16
	v_or_b32_e32 v22, s13, v22
	v_or_b32_e32 v21, s12, v21
	s_waitcnt lgkmcnt(0)
	v_cmp_ne_u32_e32 vcc_lo, 0, v1
	s_cbranch_vccnz .LBB75_390
; %bb.387:                              ;   in Loop: Header=BB75_6 Depth=1
	s_and_saveexec_b32 s12, s3
; %bb.388:                              ;   in Loop: Header=BB75_6 Depth=1
	v_mov_b32_e32 v1, s17
	ds_write_b32 v15, v1 offset:4100
; %bb.389:                              ;   in Loop: Header=BB75_6 Depth=1
	s_or_b32 exec_lo, exec_lo, s12
	s_waitcnt lgkmcnt(0)
	s_barrier
	buffer_gl0_inv
.LBB75_390:                             ;   in Loop: Header=BB75_6 Depth=1
	s_andn2_saveexec_b32 s12, s92
; %bb.391:                              ;   in Loop: Header=BB75_6 Depth=1
	v_subrev_nc_u32_e32 v8, s17, v8
; %bb.392:                              ;   in Loop: Header=BB75_6 Depth=1
	s_or_b32 exec_lo, exec_lo, s12
	v_mov_b32_e32 v41, 5
	v_mov_b32_e32 v1, v8
.LBB75_393:                             ;   in Loop: Header=BB75_6 Depth=1
	s_or_b32 exec_lo, exec_lo, s29
	v_mov_b32_e32 v8, v1
	s_mov_b32 s44, exec_lo
.LBB75_394:                             ;   in Loop: Header=BB75_6 Depth=1
	s_or_b32 exec_lo, exec_lo, s91
	s_orn2_b32 s29, s44, exec_lo
.LBB75_395:                             ;   in Loop: Header=BB75_6 Depth=1
	s_or_b32 exec_lo, exec_lo, s18
	s_andn2_b32 s12, s27, exec_lo
	s_and_b32 s13, s90, exec_lo
	s_andn2_b32 s14, s26, exec_lo
	s_and_b32 s15, s89, exec_lo
	v_mov_b32_e32 v7, v8
	s_or_b32 s27, s12, s13
	s_or_b32 s26, s14, s15
	s_and_b32 s44, s29, exec_lo
.LBB75_396:                             ;   in Loop: Header=BB75_6 Depth=1
	s_or_b32 exec_lo, exec_lo, s28
	s_orn2_b32 s28, s44, exec_lo
.LBB75_397:                             ;   in Loop: Header=BB75_6 Depth=1
	s_or_b32 exec_lo, exec_lo, s19
	s_andn2_b32 s12, s23, exec_lo
	s_and_b32 s13, s27, exec_lo
	s_andn2_b32 s14, s20, exec_lo
	s_and_b32 s15, s26, exec_lo
	v_mov_b32_e32 v42, v7
	s_or_b32 s23, s12, s13
	s_or_b32 s20, s14, s15
	s_and_b32 s28, s28, exec_lo
.LBB75_398:                             ;   in Loop: Header=BB75_6 Depth=1
	s_or_b32 exec_lo, exec_lo, s25
	s_orn2_b32 s25, s28, exec_lo
.LBB75_399:                             ;   in Loop: Header=BB75_6 Depth=1
	s_or_b32 exec_lo, exec_lo, s10
	s_mov_b32 s10, s21
	s_mov_b32 s12, s11
	s_and_saveexec_b32 s13, s25
; %bb.400:                              ;   in Loop: Header=BB75_6 Depth=1
	v_cmp_ne_u32_e32 vcc_lo, 5, v41
	v_cmp_eq_u32_e64 s10, 5, v41
	s_andn2_b32 s12, s11, exec_lo
	s_andn2_b32 s14, s21, exec_lo
	s_and_b32 s15, vcc_lo, exec_lo
	s_and_b32 s10, s10, exec_lo
	s_or_b32 s12, s12, s15
	s_or_b32 s10, s14, s10
; %bb.401:                              ;   in Loop: Header=BB75_6 Depth=1
	s_or_b32 exec_lo, exec_lo, s13
	s_andn2_b32 s13, s24, exec_lo
	s_and_b32 s14, s23, exec_lo
	s_andn2_b32 s15, s16, exec_lo
	s_and_b32 s16, s20, exec_lo
	s_or_b32 s24, s13, s14
	s_andn2_b32 s11, s11, exec_lo
	s_and_b32 s12, s12, exec_lo
	s_andn2_b32 s13, s21, exec_lo
	s_and_b32 s10, s10, exec_lo
	s_or_b32 s16, s15, s16
	s_or_b32 s11, s11, s12
	;; [unrolled: 1-line block ×3, first 2 shown]
.LBB75_402:                             ;   in Loop: Header=BB75_6 Depth=1
	s_or_b32 exec_lo, exec_lo, s22
	s_mov_b32 s22, 0
	s_mov_b32 s23, 0
	s_and_saveexec_b32 s10, s21
.LBB75_403:                             ;   in Loop: Header=BB75_6 Depth=1
	v_mov_b32_e32 v41, 0
	s_or_b32 s11, s11, exec_lo
.LBB75_404:                             ;   in Loop: Header=BB75_6 Depth=1
	s_or_b32 exec_lo, exec_lo, s10
	s_andn2_b32 s10, s86, exec_lo
	s_and_b32 s13, s24, exec_lo
	s_andn2_b32 s14, s84, exec_lo
	s_and_b32 s15, s16, exec_lo
	v_mov_b32_e32 v40, v42
	s_or_b32 s86, s10, s13
	s_or_b32 s84, s14, s15
	s_andn2_b32 s10, s88, exec_lo
	s_and_b32 s13, s23, exec_lo
	s_andn2_b32 s14, s87, exec_lo
	s_and_b32 s15, s22, exec_lo
	s_mov_b32 s12, -1
	s_andn2_b32 s85, s85, exec_lo
	s_or_b32 s88, s10, s13
	s_or_b32 s87, s14, s15
	s_and_saveexec_b32 s10, s11
	s_xor_b32 s10, exec_lo, s10
	s_cbranch_execz .LBB75_5
; %bb.405:                              ;   in Loop: Header=BB75_6 Depth=1
	s_mov_b32 s11, -1
	s_mov_b32 s13, exec_lo
	v_cmpx_eq_u32_e32 0, v41
	s_cbranch_execz .LBB75_4
; %bb.406:                              ;   in Loop: Header=BB75_6 Depth=1
	s_xor_b32 s78, s78, 1
	s_add_i32 s14, s82, -2
	s_cmp_eq_u32 s82, 0
	s_mov_b32 s82, s14
	s_cselect_b32 s11, -1, 0
	s_xor_b32 s12, exec_lo, -1
	s_orn2_b32 s11, s11, exec_lo
	s_branch .LBB75_4
.LBB75_407:
	s_or_b32 exec_lo, exec_lo, s55
	s_xor_b32 s7, s83, -1
	s_xor_b32 s12, s80, -1
	;; [unrolled: 1-line block ×5, first 2 shown]
	s_mov_b32 s9, 0
	s_and_saveexec_b32 s10, s8
	s_xor_b32 s8, exec_lo, s10
	s_cbranch_execnz .LBB75_412
; %bb.408:
	s_andn2_saveexec_b32 s0, s8
	s_cbranch_execnz .LBB75_431
.LBB75_409:
	s_or_b32 exec_lo, exec_lo, s0
	s_and_saveexec_b32 s0, s9
.LBB75_410:
	; divergent unreachable
.LBB75_411:
	s_endpgm
.LBB75_412:
	s_mov_b32 s10, 0
	s_and_saveexec_b32 s9, s11
	s_xor_b32 s9, exec_lo, s9
	s_cbranch_execz .LBB75_429
; %bb.413:
	s_mov_b32 s11, 0
	s_and_saveexec_b32 s10, s12
	s_xor_b32 s10, exec_lo, s10
	s_cbranch_execz .LBB75_427
; %bb.414:
	;; [unrolled: 5-line block ×3, first 2 shown]
	s_and_saveexec_b32 s7, s6
	s_xor_b32 s6, exec_lo, s7
; %bb.416:
	v_lshrrev_b32_e32 v1, 31, v17
	v_add_co_u32 v1, s7, v1, -1
	v_add_co_ci_u32_e64 v2, null, 0, -1, s7
	v_xor_b32_e32 v5, v1, v16
	v_or_b32_e32 v2, 0x80000000, v2
	v_xor_b32_e32 v6, v2, v17
; %bb.417:
	s_or_b32 exec_lo, exec_lo, s6
	s_and_saveexec_b32 s6, s3
; %bb.418:
	v_mov_b32_e32 v1, 0
	ds_write_b32 v1, v1 offset:4108
; %bb.419:
	s_or_b32 exec_lo, exec_lo, s6
	v_mov_b32_e32 v7, 0
	v_mov_b32_e32 v8, 0
	s_waitcnt lgkmcnt(0)
	s_barrier
	buffer_gl0_inv
	s_and_saveexec_b32 s3, s2
	s_cbranch_execz .LBB75_421
; %bb.420:
	global_load_dwordx2 v[7:8], v[11:12], off
.LBB75_421:
	s_or_b32 exec_lo, exec_lo, s3
	s_load_dwordx4 s[16:19], s[4:5], 0x15c
	s_mul_i32 s6, s60, s52
	s_add_i32 s12, s36, 31
	s_mul_i32 s3, s58, s53
	s_sub_i32 s6, s58, s6
	s_andn2_b32 s12, s12, 31
	s_sub_i32 s3, s56, s3
	s_add_i32 s7, s60, 1
	s_sub_i32 s13, s6, s52
	s_cmp_ge_u32 s6, s52
	v_cmp_o_f64_e32 vcc_lo, v[5:6], v[5:6]
	s_cselect_b32 s7, s7, s60
	s_cselect_b32 s6, s13, s6
	s_add_i32 s13, s7, 1
	s_cmp_ge_u32 s6, s52
	v_ashrrev_i32_e32 v1, 31, v6
	s_cselect_b32 s6, s13, s7
	s_add_i32 s13, s59, 1
	s_mul_i32 s7, s6, s52
	s_sub_i32 s7, s58, s7
	s_waitcnt lgkmcnt(0)
	s_mul_i32 s3, s3, s18
	s_mul_i32 s7, s7, s17
	;; [unrolled: 1-line block ×3, first 2 shown]
	s_add_i32 s3, s7, s3
	s_mul_i32 s7, s59, s50
	s_add_i32 s6, s3, s6
	s_mul_i32 s3, s57, s51
	s_sub_i32 s7, s57, s7
	s_sub_i32 s3, s56, s3
	;; [unrolled: 1-line block ×3, first 2 shown]
	s_cmp_ge_u32 s7, s50
	v_or_b32_e32 v2, 0x80000000, v1
	s_cselect_b32 s13, s13, s59
	s_cselect_b32 s7, s14, s7
	s_add_i32 s14, s13, 1
	s_cmp_ge_u32 s7, s50
	s_mul_i32 s3, s3, s42
	s_cselect_b32 s14, s14, s13
	s_clause 0x1
	s_load_dword s13, s[4:5], 0x1c8
	s_load_dword s5, s[4:5], 0x2a8
	s_mul_i32 s7, s14, s50
	v_xor_b32_e32 v2, v2, v6
	s_sub_i32 s4, s57, s7
	v_xor_b32_e32 v1, v1, v5
	s_mul_i32 s4, s4, s41
	s_mov_b32 s7, 0
	s_add_i32 s3, s4, s3
	s_mul_i32 s4, s14, s40
	s_lshl_b64 s[14:15], s[6:7], 3
	s_add_i32 s16, s3, s4
	s_mov_b32 s17, s7
	s_add_u32 s6, s48, s14
	v_cndmask_b32_e32 v3, -1, v2, vcc_lo
	v_cndmask_b32_e32 v2, -1, v1, vcc_lo
	s_addc_u32 s14, s49, s15
	s_lshl_b64 s[16:17], s[16:17], 3
	v_cmp_gt_u32_e32 vcc_lo, s12, v0
	s_add_u32 s15, s34, s16
	s_mov_b32 s18, -1
	s_addc_u32 s16, s35, s17
	s_mov_b32 s3, 0
	s_and_saveexec_b32 s17, vcc_lo
	s_cbranch_execnz .LBB75_432
; %bb.422:
	s_or_b32 exec_lo, exec_lo, s17
	s_and_saveexec_b32 s4, s18
	s_cbranch_execnz .LBB75_449
.LBB75_423:
	s_or_b32 exec_lo, exec_lo, s4
	s_and_saveexec_b32 s0, s3
	s_xor_b32 s0, exec_lo, s0
	s_cbranch_execnz .LBB75_474
.LBB75_424:
	s_or_b32 exec_lo, exec_lo, s0
	s_and_b32 s12, s7, exec_lo
.LBB75_425:
	s_andn2_saveexec_b32 s0, s11
	s_cbranch_execnz .LBB75_476
.LBB75_426:
	s_or_b32 exec_lo, exec_lo, s0
	s_and_b32 s11, s12, exec_lo
.LBB75_427:
	s_andn2_saveexec_b32 s0, s10
	s_cbranch_execnz .LBB75_475
.LBB75_428:
	s_or_b32 exec_lo, exec_lo, s0
	s_and_b32 s10, s11, exec_lo
.LBB75_429:
	s_andn2_saveexec_b32 s0, s9
	s_cbranch_execnz .LBB75_470
.LBB75_430:
	s_or_b32 exec_lo, exec_lo, s0
	s_and_b32 s9, s10, exec_lo
	s_andn2_saveexec_b32 s0, s8
	s_cbranch_execz .LBB75_409
.LBB75_431:
	s_or_b32 s9, s9, exec_lo
	s_trap 2
	s_or_b32 exec_lo, exec_lo, s0
	s_and_saveexec_b32 s0, s9
	s_cbranch_execnz .LBB75_410
	s_branch .LBB75_411
.LBB75_432:
	v_add_nc_u32_e32 v1, s43, v0
	v_mov_b32_e32 v5, 0
	v_mov_b32_e32 v13, v0
	s_mov_b32 s18, 0
                                        ; implicit-def: $sgpr19
                                        ; implicit-def: $vgpr6
	v_mul_lo_u32 v4, s30, v1
	s_branch .LBB75_434
.LBB75_433:                             ;   in Loop: Header=BB75_434 Depth=1
	s_or_b32 exec_lo, exec_lo, s21
	s_xor_b32 s3, s20, -1
	s_and_b32 s4, exec_lo, s4
	s_waitcnt vmcnt(0)
	v_mov_b32_e32 v7, v9
	v_mov_b32_e32 v8, v10
	s_or_b32 s18, s4, s18
	v_mov_b32_e32 v13, v1
	s_andn2_b32 s4, s19, exec_lo
	s_and_b32 s3, s3, exec_lo
	s_or_b32 s19, s4, s3
	s_andn2_b32 exec_lo, exec_lo, s18
	s_cbranch_execz .LBB75_448
.LBB75_434:                             ; =>This Inner Loop Header: Depth=1
	v_mov_b32_e32 v9, 0
	v_add_nc_u32_e32 v1, s43, v13
	v_mov_b32_e32 v10, 0
	s_mov_b32 s4, exec_lo
	v_cmpx_gt_u32_e64 s36, v1
	s_cbranch_execz .LBB75_436
; %bb.435:                              ;   in Loop: Header=BB75_434 Depth=1
	v_lshlrev_b64 v[9:10], 3, v[4:5]
	v_add_co_u32 v9, s3, s31, v9
	v_add_co_ci_u32_e64 v10, null, s33, v10, s3
	global_load_dwordx2 v[9:10], v[9:10], off
.LBB75_436:                             ;   in Loop: Header=BB75_434 Depth=1
	s_or_b32 exec_lo, exec_lo, s4
	s_mov_b32 s20, 0
	s_mov_b32 s4, exec_lo
	v_cmpx_gt_u32_e64 s36, v13
	s_cbranch_execz .LBB75_438
; %bb.437:                              ;   in Loop: Header=BB75_434 Depth=1
	s_waitcnt vmcnt(0)
	v_cmp_o_f64_e64 s3, v[7:8], v[7:8]
	v_ashrrev_i32_e32 v14, 31, v8
	v_or_b32_e32 v15, 0x80000000, v14
	v_xor_b32_e32 v14, v14, v7
	v_xor_b32_e32 v15, v15, v8
	v_cndmask_b32_e64 v15, -1, v15, s3
	v_cndmask_b32_e64 v14, -1, v14, s3
	v_cmp_gt_u64_e64 s3, v[14:15], v[2:3]
	v_cndmask_b32_e64 v16, 0, 1, s3
	v_cmp_lt_u64_e64 s3, v[14:15], v[2:3]
	v_cndmask_b32_e64 v14, 0, 1, s3
	v_cndmask_b32_e64 v14, v14, v16, s1
	v_and_b32_e32 v14, 1, v14
	v_cmp_eq_u32_e64 s3, 1, v14
	s_and_b32 s20, s3, exec_lo
.LBB75_438:                             ;   in Loop: Header=BB75_434 Depth=1
	s_or_b32 exec_lo, exec_lo, s4
	v_cndmask_b32_e64 v14, 0, 1, s20
	v_cmp_ne_u32_e64 s3, 0, v14
	s_cmp_lg_u32 s3, 0
	s_cselect_b32 s4, -1, 0
	s_and_b32 s4, s0, s4
	s_and_saveexec_b32 s21, s4
	s_cbranch_execz .LBB75_442
; %bb.439:                              ;   in Loop: Header=BB75_434 Depth=1
	s_mov_b32 s24, exec_lo
	s_bcnt1_i32_b32 s22, s3
	s_waitcnt lgkmcnt(0)
	v_mbcnt_lo_u32_b32 v6, s24, 0
	s_mov_b32 s23, exec_lo
                                        ; implicit-def: $vgpr14
	v_cmpx_eq_u32_e32 0, v6
; %bb.440:                              ;   in Loop: Header=BB75_434 Depth=1
	s_bcnt1_i32_b32 s4, s24
	s_mul_i32 s4, s22, s4
	v_mov_b32_e32 v14, s4
	ds_add_rtn_u32 v14, v5, v14 offset:4108
; %bb.441:                              ;   in Loop: Header=BB75_434 Depth=1
	s_or_b32 exec_lo, exec_lo, s23
	s_waitcnt lgkmcnt(0)
	v_readfirstlane_b32 s4, v14
	v_mad_u32_u24 v6, s22, v6, s4
.LBB75_442:                             ;   in Loop: Header=BB75_434 Depth=1
	s_or_b32 exec_lo, exec_lo, s21
	s_waitcnt lgkmcnt(0)
	ds_bpermute_b32 v6, v5, v6
	s_mov_b32 s4, -1
	s_mov_b32 s22, -1
	s_and_saveexec_b32 s21, s20
	s_cbranch_execz .LBB75_446
; %bb.443:                              ;   in Loop: Header=BB75_434 Depth=1
	v_and_b32_e32 v14, s3, v27
	s_mov_b32 s20, 0
	s_mov_b32 s22, exec_lo
	s_waitcnt lgkmcnt(0)
	v_bcnt_u32_b32 v14, v14, v6
	v_cmpx_gt_u32_e64 s37, v14
	s_cbranch_execz .LBB75_445
; %bb.444:                              ;   in Loop: Header=BB75_434 Depth=1
	v_mul_lo_u32 v15, v14, s13
	v_mul_lo_u32 v17, v14, s5
	v_mov_b32_e32 v16, v5
	v_mov_b32_e32 v18, v5
	;; [unrolled: 1-line block ×3, first 2 shown]
	s_mov_b32 s20, exec_lo
	v_lshlrev_b64 v[15:16], 3, v[15:16]
	v_lshlrev_b64 v[17:18], 3, v[17:18]
	v_add_co_u32 v15, s3, s6, v15
	v_add_co_ci_u32_e64 v16, null, s14, v16, s3
	v_add_co_u32 v17, s3, s15, v17
	v_add_co_ci_u32_e64 v18, null, s16, v18, s3
	s_waitcnt vmcnt(0)
	global_store_dwordx2 v[15:16], v[7:8], off
	global_store_dwordx2 v[17:18], v[13:14], off
.LBB75_445:                             ;   in Loop: Header=BB75_434 Depth=1
	s_or_b32 exec_lo, exec_lo, s22
	s_orn2_b32 s22, s20, exec_lo
.LBB75_446:                             ;   in Loop: Header=BB75_434 Depth=1
	s_or_b32 exec_lo, exec_lo, s21
	s_mov_b32 s20, -1
	s_and_saveexec_b32 s21, s22
	s_cbranch_execz .LBB75_433
; %bb.447:                              ;   in Loop: Header=BB75_434 Depth=1
	v_cmp_le_u32_e64 s3, s12, v1
	v_add_nc_u32_e32 v4, s47, v4
	s_xor_b32 s20, exec_lo, -1
	s_orn2_b32 s4, s3, exec_lo
	s_branch .LBB75_433
.LBB75_448:
	s_or_b32 exec_lo, exec_lo, s18
	s_mov_b32 s3, exec_lo
	s_orn2_b32 s18, s19, exec_lo
	s_or_b32 exec_lo, exec_lo, s17
	s_and_saveexec_b32 s4, s18
	s_cbranch_execz .LBB75_423
.LBB75_449:
	s_waitcnt vmcnt(0)
	v_mov_b32_e32 v8, 0
	v_mov_b32_e32 v9, 0
	s_waitcnt lgkmcnt(0)
	s_waitcnt_vscnt null, 0x0
	s_barrier
	buffer_gl0_inv
	s_and_saveexec_b32 s1, s2
	s_cbranch_execz .LBB75_451
; %bb.450:
	global_load_dwordx2 v[8:9], v[11:12], off
.LBB75_451:
	s_or_b32 exec_lo, exec_lo, s1
	s_mov_b32 s1, 0
	s_and_saveexec_b32 s2, vcc_lo
	s_cbranch_execz .LBB75_473
; %bb.452:
	v_add_nc_u32_e32 v1, s43, v0
	v_mov_b32_e32 v5, 0
	s_mov_b32 s7, 0
                                        ; implicit-def: $sgpr17
                                        ; implicit-def: $vgpr11
	v_mul_lo_u32 v4, s30, v1
	s_branch .LBB75_455
.LBB75_453:                             ;   in Loop: Header=BB75_455 Depth=1
	s_or_b32 exec_lo, exec_lo, s18
	s_orn2_b32 s20, s21, exec_lo
	s_orn2_b32 s19, s19, exec_lo
.LBB75_454:                             ;   in Loop: Header=BB75_455 Depth=1
	s_or_b32 exec_lo, exec_lo, s1
	s_xor_b32 s1, s20, -1
	s_and_b32 s18, exec_lo, s19
	s_waitcnt vmcnt(0)
	v_mov_b32_e32 v9, v7
	v_mov_b32_e32 v0, v10
	s_or_b32 s7, s18, s7
	v_mov_b32_e32 v8, v6
	s_andn2_b32 s17, s17, exec_lo
	s_and_b32 s1, s1, exec_lo
	s_or_b32 s17, s17, s1
	s_andn2_b32 exec_lo, exec_lo, s7
	s_cbranch_execz .LBB75_471
.LBB75_455:                             ; =>This Inner Loop Header: Depth=1
	v_mov_b32_e32 v6, 0
	v_add_nc_u32_e32 v10, s43, v0
	v_mov_b32_e32 v7, 0
	s_mov_b32 s1, exec_lo
	v_cmpx_gt_u32_e64 s36, v10
	s_cbranch_execz .LBB75_457
; %bb.456:                              ;   in Loop: Header=BB75_455 Depth=1
	v_lshlrev_b64 v[6:7], 3, v[4:5]
	v_add_co_u32 v6, vcc_lo, s31, v6
	v_add_co_ci_u32_e64 v7, null, s33, v7, vcc_lo
	global_load_dwordx2 v[6:7], v[6:7], off
.LBB75_457:                             ;   in Loop: Header=BB75_455 Depth=1
	s_or_b32 exec_lo, exec_lo, s1
	s_mov_b32 s18, 0
	s_mov_b32 s1, exec_lo
	v_cmpx_gt_u32_e64 s36, v0
	s_cbranch_execz .LBB75_459
; %bb.458:                              ;   in Loop: Header=BB75_455 Depth=1
	s_waitcnt vmcnt(0)
	v_cmp_o_f64_e32 vcc_lo, v[8:9], v[8:9]
	v_ashrrev_i32_e32 v1, 31, v9
	v_or_b32_e32 v12, 0x80000000, v1
	v_xor_b32_e32 v1, v1, v8
	v_xor_b32_e32 v12, v12, v9
	v_cndmask_b32_e32 v13, -1, v12, vcc_lo
	v_cndmask_b32_e32 v12, -1, v1, vcc_lo
	v_cmp_eq_u64_e32 vcc_lo, v[12:13], v[2:3]
	s_and_b32 s18, vcc_lo, exec_lo
.LBB75_459:                             ;   in Loop: Header=BB75_455 Depth=1
	s_or_b32 exec_lo, exec_lo, s1
	v_cndmask_b32_e64 v1, 0, 1, s18
	v_cmp_ne_u32_e32 vcc_lo, 0, v1
	s_cmp_lg_u32 vcc_lo, 0
	s_cselect_b32 s1, -1, 0
	s_and_b32 s1, s0, s1
	s_and_saveexec_b32 s19, s1
	s_cbranch_execz .LBB75_463
; %bb.460:                              ;   in Loop: Header=BB75_455 Depth=1
	s_mov_b32 s22, exec_lo
	s_bcnt1_i32_b32 s20, vcc_lo
	v_mbcnt_lo_u32_b32 v1, s22, 0
	s_mov_b32 s21, exec_lo
                                        ; implicit-def: $vgpr11
	v_cmpx_eq_u32_e32 0, v1
; %bb.461:                              ;   in Loop: Header=BB75_455 Depth=1
	s_bcnt1_i32_b32 s1, s22
	s_mul_i32 s1, s20, s1
	v_mov_b32_e32 v11, s1
	ds_add_rtn_u32 v11, v5, v11 offset:4108
; %bb.462:                              ;   in Loop: Header=BB75_455 Depth=1
	s_or_b32 exec_lo, exec_lo, s21
	s_waitcnt lgkmcnt(0)
	v_readfirstlane_b32 s1, v11
	v_mad_u32_u24 v11, s20, v1, s1
.LBB75_463:                             ;   in Loop: Header=BB75_455 Depth=1
	s_or_b32 exec_lo, exec_lo, s19
	ds_bpermute_b32 v11, v5, v11
	s_cmp_eq_u32 vcc_lo, 0
	s_mov_b32 s19, -1
	s_cselect_b32 s20, -1, 0
	s_waitcnt lgkmcnt(0)
	v_cmp_gt_u32_e64 s1, s37, v11
	s_or_b32 s21, s20, s1
	s_mov_b32 s20, -1
	s_and_saveexec_b32 s1, s21
	s_cbranch_execz .LBB75_454
; %bb.464:                              ;   in Loop: Header=BB75_455 Depth=1
	v_and_b32_e32 v1, vcc_lo, v27
	v_sub_nc_u32_e32 v12, s37, v11
	s_mov_b32 s21, -1
	v_bcnt_u32_b32 v1, v1, 0
	v_bcnt_u32_b32 v1, 0, v1
	v_cmp_gt_u32_e32 vcc_lo, v12, v1
	s_and_b32 s22, s18, vcc_lo
	s_and_saveexec_b32 s18, s22
	s_cbranch_execz .LBB75_468
; %bb.465:                              ;   in Loop: Header=BB75_455 Depth=1
	v_add_nc_u32_e32 v1, v11, v1
	s_mov_b32 s20, 0
	s_mov_b32 s21, exec_lo
	v_cmpx_gt_u32_e64 s37, v1
	s_cbranch_execz .LBB75_467
; %bb.466:                              ;   in Loop: Header=BB75_455 Depth=1
	v_mul_lo_u32 v12, v1, s13
	v_mul_lo_u32 v14, v1, s5
	v_mov_b32_e32 v13, v5
	v_mov_b32_e32 v15, v5
	;; [unrolled: 1-line block ×3, first 2 shown]
	s_mov_b32 s20, exec_lo
	v_lshlrev_b64 v[12:13], 3, v[12:13]
	v_lshlrev_b64 v[14:15], 3, v[14:15]
	v_add_co_u32 v12, vcc_lo, s6, v12
	v_add_co_ci_u32_e64 v13, null, s14, v13, vcc_lo
	v_add_co_u32 v14, vcc_lo, s15, v14
	v_add_co_ci_u32_e64 v15, null, s16, v15, vcc_lo
	s_waitcnt vmcnt(0)
	global_store_dwordx2 v[12:13], v[8:9], off
	global_store_dwordx2 v[14:15], v[0:1], off
.LBB75_467:                             ;   in Loop: Header=BB75_455 Depth=1
	s_or_b32 exec_lo, exec_lo, s21
	s_xor_b32 s21, exec_lo, -1
	s_orn2_b32 s20, s20, exec_lo
.LBB75_468:                             ;   in Loop: Header=BB75_455 Depth=1
	s_or_b32 exec_lo, exec_lo, s18
	s_and_saveexec_b32 s18, s20
	s_cbranch_execz .LBB75_453
; %bb.469:                              ;   in Loop: Header=BB75_455 Depth=1
	v_cmp_le_u32_e32 vcc_lo, s12, v10
	v_add_nc_u32_e32 v4, s47, v4
	s_or_b32 s21, s21, exec_lo
	s_orn2_b32 s19, vcc_lo, exec_lo
	s_branch .LBB75_453
.LBB75_470:
	s_or_b32 s10, s10, exec_lo
	s_trap 2
	s_branch .LBB75_430
.LBB75_471:
	s_or_b32 exec_lo, exec_lo, s7
	s_mov_b32 s0, 0
	s_and_saveexec_b32 s1, s17
	s_xor_b32 s1, exec_lo, s1
	s_cbranch_execnz .LBB75_477
.LBB75_472:
	s_or_b32 exec_lo, exec_lo, s1
	s_and_b32 s1, s0, exec_lo
.LBB75_473:
	s_or_b32 exec_lo, exec_lo, s2
	s_and_b32 s7, s1, exec_lo
	s_andn2_b32 s3, s3, exec_lo
	s_or_b32 exec_lo, exec_lo, s4
	s_and_saveexec_b32 s0, s3
	s_xor_b32 s0, exec_lo, s0
	s_cbranch_execz .LBB75_424
.LBB75_474:
	s_or_b32 s7, s7, exec_lo
	s_trap 2
	s_branch .LBB75_424
.LBB75_475:
	s_or_b32 s11, s11, exec_lo
	s_trap 2
	s_branch .LBB75_428
.LBB75_476:
	s_or_b32 s12, s12, exec_lo
	s_trap 2
	s_branch .LBB75_426
.LBB75_477:
	s_mov_b32 s0, exec_lo
	s_trap 2
	s_branch .LBB75_472
	.section	.rodata,"a",@progbits
	.p2align	6, 0x0
	.amdhsa_kernel _ZN2at6native6sbtopk10gatherTopKIdjLi3ELb0EEEvNS_4cuda6detail10TensorInfoIKT_T0_EES8_S8_bS8_S8_NS5_IS6_S8_EES8_NS5_IlS8_EES8_PS6_
		.amdhsa_group_segment_fixed_size 4112
		.amdhsa_private_segment_fixed_size 0
		.amdhsa_kernarg_size 952
		.amdhsa_user_sgpr_count 6
		.amdhsa_user_sgpr_private_segment_buffer 1
		.amdhsa_user_sgpr_dispatch_ptr 0
		.amdhsa_user_sgpr_queue_ptr 0
		.amdhsa_user_sgpr_kernarg_segment_ptr 1
		.amdhsa_user_sgpr_dispatch_id 0
		.amdhsa_user_sgpr_flat_scratch_init 0
		.amdhsa_user_sgpr_private_segment_size 0
		.amdhsa_wavefront_size32 1
		.amdhsa_uses_dynamic_stack 0
		.amdhsa_system_sgpr_private_segment_wavefront_offset 0
		.amdhsa_system_sgpr_workgroup_id_x 1
		.amdhsa_system_sgpr_workgroup_id_y 1
		.amdhsa_system_sgpr_workgroup_id_z 1
		.amdhsa_system_sgpr_workgroup_info 0
		.amdhsa_system_vgpr_workitem_id 0
		.amdhsa_next_free_vgpr 55
		.amdhsa_next_free_sgpr 105
		.amdhsa_reserve_vcc 1
		.amdhsa_reserve_flat_scratch 0
		.amdhsa_float_round_mode_32 0
		.amdhsa_float_round_mode_16_64 0
		.amdhsa_float_denorm_mode_32 3
		.amdhsa_float_denorm_mode_16_64 3
		.amdhsa_dx10_clamp 1
		.amdhsa_ieee_mode 1
		.amdhsa_fp16_overflow 0
		.amdhsa_workgroup_processor_mode 1
		.amdhsa_memory_ordered 1
		.amdhsa_forward_progress 1
		.amdhsa_shared_vgpr_count 0
		.amdhsa_exception_fp_ieee_invalid_op 0
		.amdhsa_exception_fp_denorm_src 0
		.amdhsa_exception_fp_ieee_div_zero 0
		.amdhsa_exception_fp_ieee_overflow 0
		.amdhsa_exception_fp_ieee_underflow 0
		.amdhsa_exception_fp_ieee_inexact 0
		.amdhsa_exception_int_div_zero 0
	.end_amdhsa_kernel
	.section	.text._ZN2at6native6sbtopk10gatherTopKIdjLi3ELb0EEEvNS_4cuda6detail10TensorInfoIKT_T0_EES8_S8_bS8_S8_NS5_IS6_S8_EES8_NS5_IlS8_EES8_PS6_,"axG",@progbits,_ZN2at6native6sbtopk10gatherTopKIdjLi3ELb0EEEvNS_4cuda6detail10TensorInfoIKT_T0_EES8_S8_bS8_S8_NS5_IS6_S8_EES8_NS5_IlS8_EES8_PS6_,comdat
.Lfunc_end75:
	.size	_ZN2at6native6sbtopk10gatherTopKIdjLi3ELb0EEEvNS_4cuda6detail10TensorInfoIKT_T0_EES8_S8_bS8_S8_NS5_IS6_S8_EES8_NS5_IlS8_EES8_PS6_, .Lfunc_end75-_ZN2at6native6sbtopk10gatherTopKIdjLi3ELb0EEEvNS_4cuda6detail10TensorInfoIKT_T0_EES8_S8_bS8_S8_NS5_IS6_S8_EES8_NS5_IlS8_EES8_PS6_
                                        ; -- End function
	.set _ZN2at6native6sbtopk10gatherTopKIdjLi3ELb0EEEvNS_4cuda6detail10TensorInfoIKT_T0_EES8_S8_bS8_S8_NS5_IS6_S8_EES8_NS5_IlS8_EES8_PS6_.num_vgpr, 55
	.set _ZN2at6native6sbtopk10gatherTopKIdjLi3ELb0EEEvNS_4cuda6detail10TensorInfoIKT_T0_EES8_S8_bS8_S8_NS5_IS6_S8_EES8_NS5_IlS8_EES8_PS6_.num_agpr, 0
	.set _ZN2at6native6sbtopk10gatherTopKIdjLi3ELb0EEEvNS_4cuda6detail10TensorInfoIKT_T0_EES8_S8_bS8_S8_NS5_IS6_S8_EES8_NS5_IlS8_EES8_PS6_.numbered_sgpr, 105
	.set _ZN2at6native6sbtopk10gatherTopKIdjLi3ELb0EEEvNS_4cuda6detail10TensorInfoIKT_T0_EES8_S8_bS8_S8_NS5_IS6_S8_EES8_NS5_IlS8_EES8_PS6_.num_named_barrier, 0
	.set _ZN2at6native6sbtopk10gatherTopKIdjLi3ELb0EEEvNS_4cuda6detail10TensorInfoIKT_T0_EES8_S8_bS8_S8_NS5_IS6_S8_EES8_NS5_IlS8_EES8_PS6_.private_seg_size, 0
	.set _ZN2at6native6sbtopk10gatherTopKIdjLi3ELb0EEEvNS_4cuda6detail10TensorInfoIKT_T0_EES8_S8_bS8_S8_NS5_IS6_S8_EES8_NS5_IlS8_EES8_PS6_.uses_vcc, 1
	.set _ZN2at6native6sbtopk10gatherTopKIdjLi3ELb0EEEvNS_4cuda6detail10TensorInfoIKT_T0_EES8_S8_bS8_S8_NS5_IS6_S8_EES8_NS5_IlS8_EES8_PS6_.uses_flat_scratch, 0
	.set _ZN2at6native6sbtopk10gatherTopKIdjLi3ELb0EEEvNS_4cuda6detail10TensorInfoIKT_T0_EES8_S8_bS8_S8_NS5_IS6_S8_EES8_NS5_IlS8_EES8_PS6_.has_dyn_sized_stack, 0
	.set _ZN2at6native6sbtopk10gatherTopKIdjLi3ELb0EEEvNS_4cuda6detail10TensorInfoIKT_T0_EES8_S8_bS8_S8_NS5_IS6_S8_EES8_NS5_IlS8_EES8_PS6_.has_recursion, 0
	.set _ZN2at6native6sbtopk10gatherTopKIdjLi3ELb0EEEvNS_4cuda6detail10TensorInfoIKT_T0_EES8_S8_bS8_S8_NS5_IS6_S8_EES8_NS5_IlS8_EES8_PS6_.has_indirect_call, 0
	.section	.AMDGPU.csdata,"",@progbits
; Kernel info:
; codeLenInByte = 15688
; TotalNumSgprs: 107
; NumVgprs: 55
; ScratchSize: 0
; MemoryBound: 0
; FloatMode: 240
; IeeeMode: 1
; LDSByteSize: 4112 bytes/workgroup (compile time only)
; SGPRBlocks: 0
; VGPRBlocks: 6
; NumSGPRsForWavesPerEU: 107
; NumVGPRsForWavesPerEU: 55
; Occupancy: 16
; WaveLimiterHint : 1
; COMPUTE_PGM_RSRC2:SCRATCH_EN: 0
; COMPUTE_PGM_RSRC2:USER_SGPR: 6
; COMPUTE_PGM_RSRC2:TRAP_HANDLER: 0
; COMPUTE_PGM_RSRC2:TGID_X_EN: 1
; COMPUTE_PGM_RSRC2:TGID_Y_EN: 1
; COMPUTE_PGM_RSRC2:TGID_Z_EN: 1
; COMPUTE_PGM_RSRC2:TIDIG_COMP_CNT: 0
	.section	.text._ZN2at6native6mbtopk23computeBlockDigitCountsIdjmLin1EEEvNS_4cuda6detail10TensorInfoIKT_T0_EEjPjjS8_iijT1_PSB_Ps,"axG",@progbits,_ZN2at6native6mbtopk23computeBlockDigitCountsIdjmLin1EEEvNS_4cuda6detail10TensorInfoIKT_T0_EEjPjjS8_iijT1_PSB_Ps,comdat
	.protected	_ZN2at6native6mbtopk23computeBlockDigitCountsIdjmLin1EEEvNS_4cuda6detail10TensorInfoIKT_T0_EEjPjjS8_iijT1_PSB_Ps ; -- Begin function _ZN2at6native6mbtopk23computeBlockDigitCountsIdjmLin1EEEvNS_4cuda6detail10TensorInfoIKT_T0_EEjPjjS8_iijT1_PSB_Ps
	.globl	_ZN2at6native6mbtopk23computeBlockDigitCountsIdjmLin1EEEvNS_4cuda6detail10TensorInfoIKT_T0_EEjPjjS8_iijT1_PSB_Ps
	.p2align	8
	.type	_ZN2at6native6mbtopk23computeBlockDigitCountsIdjmLin1EEEvNS_4cuda6detail10TensorInfoIKT_T0_EEjPjjS8_iijT1_PSB_Ps,@function
_ZN2at6native6mbtopk23computeBlockDigitCountsIdjmLin1EEEvNS_4cuda6detail10TensorInfoIKT_T0_EEjPjjS8_iijT1_PSB_Ps: ; @_ZN2at6native6mbtopk23computeBlockDigitCountsIdjmLin1EEEvNS_4cuda6detail10TensorInfoIKT_T0_EEjPjjS8_iijT1_PSB_Ps
; %bb.0:
	s_clause 0x2
	s_load_dword s17, s[4:5], 0xf8
	s_load_dwordx4 s[0:3], s[4:5], 0xe8
	s_load_dwordx2 s[10:11], s[4:5], 0x118
	s_mov_b32 s13, 0
	s_waitcnt lgkmcnt(0)
	v_cvt_f32_u32_e32 v1, s17
	s_mul_i32 s8, s11, s8
	s_sub_i32 s11, 0, s17
	s_add_i32 s7, s8, s7
	v_rcp_iflag_f32_e32 v1, v1
	s_mul_i32 s16, s7, s10
	s_add_i32 s16, s16, s6
	v_mul_f32_e32 v1, 0x4f7ffffe, v1
	v_cvt_u32_f32_e32 v1, v1
	v_readfirstlane_b32 s9, v1
	s_mul_i32 s11, s11, s9
	s_mul_hi_u32 s7, s9, s11
	s_add_i32 s9, s9, s7
	s_mul_hi_u32 s6, s16, s9
	s_mul_i32 s7, s6, s17
	s_add_i32 s8, s6, 1
	s_sub_i32 s7, s16, s7
	s_sub_i32 s9, s7, s17
	s_cmp_ge_u32 s7, s17
	s_cselect_b32 s6, s8, s6
	s_cselect_b32 s7, s9, s7
	s_add_i32 s8, s6, 1
	s_cmp_ge_u32 s7, s17
	s_cselect_b32 s12, s8, s6
	s_cmp_ge_u32 s12, s0
	s_cbranch_scc1 .LBB76_24
; %bb.1:
	s_clause 0x1
	s_load_dwordx4 s[8:11], s[4:5], 0x100
	s_load_dword s14, s[4:5], 0xd0
	s_lshl_b64 s[6:7], s[12:13], 3
	s_mov_b32 s0, s12
	s_waitcnt lgkmcnt(0)
	s_add_u32 s10, s10, s6
	s_addc_u32 s11, s11, s7
	s_load_dwordx2 s[6:7], s[4:5], 0x110
	s_load_dwordx2 s[10:11], s[10:11], 0x0
	s_cmp_lt_i32 s14, 2
	s_cbranch_scc1 .LBB76_4
; %bb.2:
	s_add_i32 s18, s14, -1
	s_mov_b32 s19, 0
	s_lshl_b64 s[20:21], s[18:19], 2
	s_add_i32 s18, s14, 1
	s_add_u32 s0, s4, s20
	s_addc_u32 s13, s5, s21
	s_add_u32 s14, s0, 8
	s_addc_u32 s15, s13, 0
	s_mov_b32 s0, s12
	s_mov_b32 s13, s19
	s_inst_prefetch 0x1
	.p2align	6
.LBB76_3:                               ; =>This Inner Loop Header: Depth=1
	s_clause 0x1
	s_load_dword s19, s[14:15], 0x0
	s_load_dword s20, s[14:15], 0x64
	s_mov_b32 s23, s0
	s_waitcnt lgkmcnt(0)
	v_cvt_f32_u32_e32 v1, s19
	s_sub_i32 s22, 0, s19
	v_rcp_iflag_f32_e32 v1, v1
	v_mul_f32_e32 v1, 0x4f7ffffe, v1
	v_cvt_u32_f32_e32 v1, v1
	v_readfirstlane_b32 s21, v1
	s_mul_i32 s22, s22, s21
	s_mul_hi_u32 s22, s21, s22
	s_add_i32 s21, s21, s22
	s_mul_hi_u32 s0, s0, s21
	s_mul_i32 s21, s0, s19
	s_add_i32 s22, s0, 1
	s_sub_i32 s21, s23, s21
	s_sub_i32 s24, s21, s19
	s_cmp_ge_u32 s21, s19
	s_cselect_b32 s0, s22, s0
	s_cselect_b32 s21, s24, s21
	s_add_i32 s22, s0, 1
	s_cmp_ge_u32 s21, s19
	s_cselect_b32 s0, s22, s0
	s_add_i32 s18, s18, -1
	s_mul_i32 s19, s0, s19
	s_sub_i32 s19, s23, s19
	s_mul_i32 s19, s20, s19
	s_add_i32 s13, s19, s13
	s_add_u32 s14, s14, -4
	s_addc_u32 s15, s15, -1
	s_cmp_gt_u32 s18, 2
	s_cbranch_scc1 .LBB76_3
.LBB76_4:
	s_inst_prefetch 0x2
	v_cmp_gt_u32_e32 vcc_lo, 0x100, v0
	v_lshlrev_b32_e32 v5, 2, v0
	s_and_saveexec_b32 s14, vcc_lo
; %bb.5:
	v_mov_b32_e32 v1, 0
	ds_write_b32 v5, v1
; %bb.6:
	s_or_b32 exec_lo, exec_lo, s14
	s_load_dword s18, s[4:5], 0xd8
	s_mul_i32 s12, s12, s17
	s_waitcnt lgkmcnt(0)
	s_sub_i32 s14, s16, s12
	s_barrier
	s_mul_i32 s12, s3, s14
	s_add_i32 s19, s14, 1
	s_lshl_b32 s12, s12, 8
	buffer_gl0_inv
	s_sub_i32 s15, s18, s12
	s_add_u32 s14, s15, 0xff
	s_addc_u32 s15, 0, 0
	s_lshr_b64 s[14:15], s[14:15], 8
	s_cmp_lt_u32 s19, s17
	s_mov_b32 s15, 0
	s_cselect_b32 s3, s3, s14
	s_cmp_lt_i32 s3, 1
	s_cbranch_scc1 .LBB76_22
; %bb.7:
	s_clause 0x1
	s_load_dword s14, s[4:5], 0x6c
	s_load_dwordx2 s[4:5], s[4:5], 0x0
	v_add_nc_u32_e32 v6, s12, v0
	s_waitcnt lgkmcnt(0)
	s_mul_i32 s0, s14, s0
	s_add_i32 s14, s0, s13
	s_lshl_b64 s[20:21], s[14:15], 3
	s_add_u32 s4, s4, s20
	s_addc_u32 s5, s5, s21
	s_and_b32 s2, s2, 0xff
	s_cmp_eq_u32 s3, 1
	s_cbranch_scc1 .LBB76_17
; %bb.8:
	v_add_nc_u32_e32 v1, 0x100, v6
	v_mul_lo_u32 v7, s1, v6
	v_mov_b32_e32 v2, 0
	v_mov_b32_e32 v9, 1
	v_mov_b32_e32 v10, 2
	v_mul_lo_u32 v8, s1, v1
	v_mov_b32_e32 v11, v6
	s_and_b32 s12, s3, 0x7ffffffe
	s_lshl_b32 s13, s1, 9
	s_mov_b32 s14, 0
	s_branch .LBB76_10
.LBB76_9:                               ;   in Loop: Header=BB76_10 Depth=1
	s_or_b32 exec_lo, exec_lo, s17
	v_add_nc_u32_e32 v11, 0x200, v11
	s_add_i32 s15, s15, 2
	s_add_i32 s14, s14, s13
	s_cmp_eq_u32 s12, s15
	s_cbranch_scc1 .LBB76_16
.LBB76_10:                              ; =>This Inner Loop Header: Depth=1
	s_mov_b32 s17, exec_lo
	v_cmpx_gt_u32_e64 s18, v11
	s_cbranch_execz .LBB76_13
; %bb.11:                               ;   in Loop: Header=BB76_10 Depth=1
	v_add_nc_u32_e32 v1, s14, v7
	v_lshlrev_b64 v[3:4], 3, v[1:2]
	v_add_co_u32 v3, s0, s4, v3
	v_add_co_ci_u32_e64 v4, null, s5, v4, s0
	global_load_dwordx2 v[3:4], v[3:4], off
	s_waitcnt vmcnt(0)
	v_cmp_o_f64_e64 s0, v[3:4], v[3:4]
	v_ashrrev_i32_e32 v1, 31, v4
	v_or_b32_e32 v12, 0x80000000, v1
	v_xor_b32_e32 v1, v1, v3
	v_xor_b32_e32 v12, v12, v4
	v_cndmask_b32_e64 v4, -1, v12, s0
	v_cndmask_b32_e64 v3, -1, v1, s0
	v_xor_b32_e32 v1, s11, v4
	v_xor_b32_e32 v12, s10, v3
	v_and_b32_e32 v13, s9, v1
	v_and_b32_e32 v12, s8, v12
	v_cmp_eq_u64_e64 s0, 0, v[12:13]
	s_and_b32 exec_lo, exec_lo, s0
; %bb.12:                               ;   in Loop: Header=BB76_10 Depth=1
	v_lshrrev_b64 v[3:4], s2, v[3:4]
	v_lshlrev_b32_sdwa v1, v10, v3 dst_sel:DWORD dst_unused:UNUSED_PAD src0_sel:DWORD src1_sel:BYTE_0
	ds_add_u32 v1, v9
.LBB76_13:                              ;   in Loop: Header=BB76_10 Depth=1
	s_or_b32 exec_lo, exec_lo, s17
	v_add_nc_u32_e32 v1, 0x100, v11
	s_mov_b32 s17, exec_lo
	v_cmpx_gt_u32_e64 s18, v1
	s_cbranch_execz .LBB76_9
; %bb.14:                               ;   in Loop: Header=BB76_10 Depth=1
	v_add_nc_u32_e32 v1, s14, v8
	v_lshlrev_b64 v[3:4], 3, v[1:2]
	v_add_co_u32 v3, s0, s4, v3
	v_add_co_ci_u32_e64 v4, null, s5, v4, s0
	global_load_dwordx2 v[3:4], v[3:4], off
	s_waitcnt vmcnt(0)
	v_cmp_o_f64_e64 s0, v[3:4], v[3:4]
	v_ashrrev_i32_e32 v1, 31, v4
	v_or_b32_e32 v12, 0x80000000, v1
	v_xor_b32_e32 v1, v1, v3
	v_xor_b32_e32 v12, v12, v4
	v_cndmask_b32_e64 v4, -1, v12, s0
	v_cndmask_b32_e64 v3, -1, v1, s0
	v_xor_b32_e32 v1, s11, v4
	v_xor_b32_e32 v12, s10, v3
	v_and_b32_e32 v13, s9, v1
	v_and_b32_e32 v12, s8, v12
	v_cmp_eq_u64_e64 s0, 0, v[12:13]
	s_and_b32 exec_lo, exec_lo, s0
	s_cbranch_execz .LBB76_9
; %bb.15:                               ;   in Loop: Header=BB76_10 Depth=1
	v_lshrrev_b64 v[3:4], s2, v[3:4]
	v_lshlrev_b32_sdwa v1, v10, v3 dst_sel:DWORD dst_unused:UNUSED_PAD src0_sel:DWORD src1_sel:BYTE_0
	ds_add_u32 v1, v9
	s_branch .LBB76_9
.LBB76_16:
	s_lshl_b32 s15, s12, 8
.LBB76_17:
	s_bitcmp0_b32 s3, 0
	s_cbranch_scc1 .LBB76_22
; %bb.18:
	v_add_nc_u32_e32 v1, s15, v6
	s_mov_b32 s3, exec_lo
	v_cmpx_gt_u32_e64 s18, v1
	s_cbranch_execz .LBB76_21
; %bb.19:
	v_mul_lo_u32 v1, v1, s1
	v_mov_b32_e32 v2, 0
	v_lshlrev_b64 v[1:2], 3, v[1:2]
	v_add_co_u32 v1, s0, s4, v1
	v_add_co_ci_u32_e64 v2, null, s5, v2, s0
	global_load_dwordx2 v[1:2], v[1:2], off
	s_waitcnt vmcnt(0)
	v_cmp_o_f64_e64 s0, v[1:2], v[1:2]
	v_ashrrev_i32_e32 v3, 31, v2
	v_or_b32_e32 v4, 0x80000000, v3
	v_xor_b32_e32 v1, v3, v1
	v_xor_b32_e32 v4, v4, v2
	v_cndmask_b32_e64 v2, -1, v4, s0
	v_cndmask_b32_e64 v1, -1, v1, s0
	v_xor_b32_e32 v3, s11, v2
	v_xor_b32_e32 v6, s10, v1
	v_and_b32_e32 v4, s9, v3
	v_and_b32_e32 v3, s8, v6
	v_cmp_eq_u64_e64 s0, 0, v[3:4]
	s_and_b32 exec_lo, exec_lo, s0
	s_cbranch_execz .LBB76_21
; %bb.20:
	v_lshrrev_b64 v[1:2], s2, v[1:2]
	v_mov_b32_e32 v2, 2
	v_lshlrev_b32_sdwa v1, v2, v1 dst_sel:DWORD dst_unused:UNUSED_PAD src0_sel:DWORD src1_sel:BYTE_0
	v_mov_b32_e32 v2, 1
	ds_add_u32 v1, v2
.LBB76_21:
	s_or_b32 exec_lo, exec_lo, s3
.LBB76_22:
	s_waitcnt lgkmcnt(0)
	s_barrier
	buffer_gl0_inv
	s_and_saveexec_b32 s0, vcc_lo
	s_cbranch_execz .LBB76_24
; %bb.23:
	ds_read_b32 v2, v5
	v_lshl_or_b32 v0, s16, 8, v0
	v_mov_b32_e32 v1, 0
	v_lshlrev_b64 v[0:1], 1, v[0:1]
	v_add_co_u32 v0, vcc_lo, s6, v0
	v_add_co_ci_u32_e64 v1, null, s7, v1, vcc_lo
	s_waitcnt lgkmcnt(0)
	global_store_short v[0:1], v2, off
.LBB76_24:
	s_endpgm
	.section	.rodata,"a",@progbits
	.p2align	6, 0x0
	.amdhsa_kernel _ZN2at6native6mbtopk23computeBlockDigitCountsIdjmLin1EEEvNS_4cuda6detail10TensorInfoIKT_T0_EEjPjjS8_iijT1_PSB_Ps
		.amdhsa_group_segment_fixed_size 1024
		.amdhsa_private_segment_fixed_size 0
		.amdhsa_kernarg_size 536
		.amdhsa_user_sgpr_count 6
		.amdhsa_user_sgpr_private_segment_buffer 1
		.amdhsa_user_sgpr_dispatch_ptr 0
		.amdhsa_user_sgpr_queue_ptr 0
		.amdhsa_user_sgpr_kernarg_segment_ptr 1
		.amdhsa_user_sgpr_dispatch_id 0
		.amdhsa_user_sgpr_flat_scratch_init 0
		.amdhsa_user_sgpr_private_segment_size 0
		.amdhsa_wavefront_size32 1
		.amdhsa_uses_dynamic_stack 0
		.amdhsa_system_sgpr_private_segment_wavefront_offset 0
		.amdhsa_system_sgpr_workgroup_id_x 1
		.amdhsa_system_sgpr_workgroup_id_y 1
		.amdhsa_system_sgpr_workgroup_id_z 1
		.amdhsa_system_sgpr_workgroup_info 0
		.amdhsa_system_vgpr_workitem_id 0
		.amdhsa_next_free_vgpr 14
		.amdhsa_next_free_sgpr 25
		.amdhsa_reserve_vcc 1
		.amdhsa_reserve_flat_scratch 0
		.amdhsa_float_round_mode_32 0
		.amdhsa_float_round_mode_16_64 0
		.amdhsa_float_denorm_mode_32 3
		.amdhsa_float_denorm_mode_16_64 3
		.amdhsa_dx10_clamp 1
		.amdhsa_ieee_mode 1
		.amdhsa_fp16_overflow 0
		.amdhsa_workgroup_processor_mode 1
		.amdhsa_memory_ordered 1
		.amdhsa_forward_progress 1
		.amdhsa_shared_vgpr_count 0
		.amdhsa_exception_fp_ieee_invalid_op 0
		.amdhsa_exception_fp_denorm_src 0
		.amdhsa_exception_fp_ieee_div_zero 0
		.amdhsa_exception_fp_ieee_overflow 0
		.amdhsa_exception_fp_ieee_underflow 0
		.amdhsa_exception_fp_ieee_inexact 0
		.amdhsa_exception_int_div_zero 0
	.end_amdhsa_kernel
	.section	.text._ZN2at6native6mbtopk23computeBlockDigitCountsIdjmLin1EEEvNS_4cuda6detail10TensorInfoIKT_T0_EEjPjjS8_iijT1_PSB_Ps,"axG",@progbits,_ZN2at6native6mbtopk23computeBlockDigitCountsIdjmLin1EEEvNS_4cuda6detail10TensorInfoIKT_T0_EEjPjjS8_iijT1_PSB_Ps,comdat
.Lfunc_end76:
	.size	_ZN2at6native6mbtopk23computeBlockDigitCountsIdjmLin1EEEvNS_4cuda6detail10TensorInfoIKT_T0_EEjPjjS8_iijT1_PSB_Ps, .Lfunc_end76-_ZN2at6native6mbtopk23computeBlockDigitCountsIdjmLin1EEEvNS_4cuda6detail10TensorInfoIKT_T0_EEjPjjS8_iijT1_PSB_Ps
                                        ; -- End function
	.set _ZN2at6native6mbtopk23computeBlockDigitCountsIdjmLin1EEEvNS_4cuda6detail10TensorInfoIKT_T0_EEjPjjS8_iijT1_PSB_Ps.num_vgpr, 14
	.set _ZN2at6native6mbtopk23computeBlockDigitCountsIdjmLin1EEEvNS_4cuda6detail10TensorInfoIKT_T0_EEjPjjS8_iijT1_PSB_Ps.num_agpr, 0
	.set _ZN2at6native6mbtopk23computeBlockDigitCountsIdjmLin1EEEvNS_4cuda6detail10TensorInfoIKT_T0_EEjPjjS8_iijT1_PSB_Ps.numbered_sgpr, 25
	.set _ZN2at6native6mbtopk23computeBlockDigitCountsIdjmLin1EEEvNS_4cuda6detail10TensorInfoIKT_T0_EEjPjjS8_iijT1_PSB_Ps.num_named_barrier, 0
	.set _ZN2at6native6mbtopk23computeBlockDigitCountsIdjmLin1EEEvNS_4cuda6detail10TensorInfoIKT_T0_EEjPjjS8_iijT1_PSB_Ps.private_seg_size, 0
	.set _ZN2at6native6mbtopk23computeBlockDigitCountsIdjmLin1EEEvNS_4cuda6detail10TensorInfoIKT_T0_EEjPjjS8_iijT1_PSB_Ps.uses_vcc, 1
	.set _ZN2at6native6mbtopk23computeBlockDigitCountsIdjmLin1EEEvNS_4cuda6detail10TensorInfoIKT_T0_EEjPjjS8_iijT1_PSB_Ps.uses_flat_scratch, 0
	.set _ZN2at6native6mbtopk23computeBlockDigitCountsIdjmLin1EEEvNS_4cuda6detail10TensorInfoIKT_T0_EEjPjjS8_iijT1_PSB_Ps.has_dyn_sized_stack, 0
	.set _ZN2at6native6mbtopk23computeBlockDigitCountsIdjmLin1EEEvNS_4cuda6detail10TensorInfoIKT_T0_EEjPjjS8_iijT1_PSB_Ps.has_recursion, 0
	.set _ZN2at6native6mbtopk23computeBlockDigitCountsIdjmLin1EEEvNS_4cuda6detail10TensorInfoIKT_T0_EEjPjjS8_iijT1_PSB_Ps.has_indirect_call, 0
	.section	.AMDGPU.csdata,"",@progbits
; Kernel info:
; codeLenInByte = 1276
; TotalNumSgprs: 27
; NumVgprs: 14
; ScratchSize: 0
; MemoryBound: 0
; FloatMode: 240
; IeeeMode: 1
; LDSByteSize: 1024 bytes/workgroup (compile time only)
; SGPRBlocks: 0
; VGPRBlocks: 1
; NumSGPRsForWavesPerEU: 27
; NumVGPRsForWavesPerEU: 14
; Occupancy: 16
; WaveLimiterHint : 1
; COMPUTE_PGM_RSRC2:SCRATCH_EN: 0
; COMPUTE_PGM_RSRC2:USER_SGPR: 6
; COMPUTE_PGM_RSRC2:TRAP_HANDLER: 0
; COMPUTE_PGM_RSRC2:TGID_X_EN: 1
; COMPUTE_PGM_RSRC2:TGID_Y_EN: 1
; COMPUTE_PGM_RSRC2:TGID_Z_EN: 1
; COMPUTE_PGM_RSRC2:TIDIG_COMP_CNT: 0
	.section	.text._ZN2at6native6mbtopk10gatherTopKIdjLin1EEEvNS_4cuda6detail10TensorInfoIKT_T0_EES8_S8_bjS8_NS5_IS6_S8_EES8_NS5_IlS8_EES8_jjPS6_PjSD_j,"axG",@progbits,_ZN2at6native6mbtopk10gatherTopKIdjLin1EEEvNS_4cuda6detail10TensorInfoIKT_T0_EES8_S8_bjS8_NS5_IS6_S8_EES8_NS5_IlS8_EES8_jjPS6_PjSD_j,comdat
	.protected	_ZN2at6native6mbtopk10gatherTopKIdjLin1EEEvNS_4cuda6detail10TensorInfoIKT_T0_EES8_S8_bjS8_NS5_IS6_S8_EES8_NS5_IlS8_EES8_jjPS6_PjSD_j ; -- Begin function _ZN2at6native6mbtopk10gatherTopKIdjLin1EEEvNS_4cuda6detail10TensorInfoIKT_T0_EES8_S8_bjS8_NS5_IS6_S8_EES8_NS5_IlS8_EES8_jjPS6_PjSD_j
	.globl	_ZN2at6native6mbtopk10gatherTopKIdjLin1EEEvNS_4cuda6detail10TensorInfoIKT_T0_EES8_S8_bjS8_NS5_IS6_S8_EES8_NS5_IlS8_EES8_jjPS6_PjSD_j
	.p2align	8
	.type	_ZN2at6native6mbtopk10gatherTopKIdjLin1EEEvNS_4cuda6detail10TensorInfoIKT_T0_EES8_S8_bjS8_NS5_IS6_S8_EES8_NS5_IlS8_EES8_jjPS6_PjSD_j,@function
_ZN2at6native6mbtopk10gatherTopKIdjLin1EEEvNS_4cuda6detail10TensorInfoIKT_T0_EES8_S8_bjS8_NS5_IS6_S8_EES8_NS5_IlS8_EES8_jjPS6_PjSD_j: ; @_ZN2at6native6mbtopk10gatherTopKIdjLin1EEEvNS_4cuda6detail10TensorInfoIKT_T0_EES8_S8_bjS8_NS5_IS6_S8_EES8_NS5_IlS8_EES8_jjPS6_PjSD_j
; %bb.0:
	s_clause 0x1
	s_load_dwordx2 s[0:1], s[4:5], 0x2d8
	s_load_dword s2, s[4:5], 0x2d0
	s_waitcnt lgkmcnt(0)
	s_mul_i32 s1, s1, s8
	s_add_i32 s1, s1, s7
	s_mul_i32 s13, s1, s0
	s_add_i32 s13, s13, s6
	s_cmp_ge_u32 s13, s2
	s_cbranch_scc1 .LBB77_49
; %bb.1:
	s_clause 0x1
	s_load_dwordx4 s[8:11], s[4:5], 0x2a8
	s_load_dword s0, s[4:5], 0xd0
	s_mov_b32 s7, 0
	s_waitcnt lgkmcnt(0)
	v_cvt_f32_u32_e32 v1, s10
	s_sub_i32 s2, 0, s10
	v_rcp_iflag_f32_e32 v1, v1
	v_mul_f32_e32 v1, 0x4f7ffffe, v1
	v_cvt_u32_f32_e32 v1, v1
	v_readfirstlane_b32 s1, v1
	s_mul_i32 s2, s2, s1
	s_mul_hi_u32 s2, s1, s2
	s_add_i32 s1, s1, s2
	s_mul_hi_u32 s1, s13, s1
	s_mul_i32 s2, s1, s10
	s_add_i32 s3, s1, 1
	s_sub_i32 s2, s13, s2
	s_sub_i32 s6, s2, s10
	s_cmp_ge_u32 s2, s10
	s_cselect_b32 s1, s3, s1
	s_cselect_b32 s2, s6, s2
	s_add_i32 s3, s1, 1
	s_cmp_ge_u32 s2, s10
	s_cselect_b32 s16, s3, s1
	s_cmp_lt_i32 s0, 2
	s_mov_b32 s6, s16
	s_cbranch_scc1 .LBB77_4
; %bb.2:
	s_add_i32 s6, s0, -1
	s_add_i32 s2, s0, 1
	s_lshl_b64 s[14:15], s[6:7], 2
	s_mov_b32 s6, s16
	s_add_u32 s0, s4, s14
	s_addc_u32 s1, s5, s15
	s_add_u32 s0, s0, 8
	s_addc_u32 s1, s1, 0
	s_inst_prefetch 0x1
	.p2align	6
.LBB77_3:                               ; =>This Inner Loop Header: Depth=1
	s_clause 0x1
	s_load_dword s3, s[0:1], 0x0
	s_load_dword s11, s[0:1], 0x64
	s_mov_b32 s15, s6
	s_waitcnt lgkmcnt(0)
	v_cvt_f32_u32_e32 v1, s3
	s_sub_i32 s14, 0, s3
	v_rcp_iflag_f32_e32 v1, v1
	v_mul_f32_e32 v1, 0x4f7ffffe, v1
	v_cvt_u32_f32_e32 v1, v1
	v_readfirstlane_b32 s12, v1
	s_mul_i32 s14, s14, s12
	s_mul_hi_u32 s14, s12, s14
	s_add_i32 s12, s12, s14
	s_mul_hi_u32 s6, s6, s12
	s_mul_i32 s12, s6, s3
	s_add_i32 s14, s6, 1
	s_sub_i32 s12, s15, s12
	s_sub_i32 s17, s12, s3
	s_cmp_ge_u32 s12, s3
	s_cselect_b32 s6, s14, s6
	s_cselect_b32 s12, s17, s12
	s_add_i32 s14, s6, 1
	s_cmp_ge_u32 s12, s3
	s_cselect_b32 s6, s14, s6
	s_add_i32 s2, s2, -1
	s_mul_i32 s3, s6, s3
	s_sub_i32 s3, s15, s3
	s_mul_i32 s3, s11, s3
	s_add_i32 s7, s3, s7
	s_add_u32 s0, s0, -4
	s_addc_u32 s1, s1, -1
	s_cmp_gt_u32 s2, 2
	s_cbranch_scc1 .LBB77_3
.LBB77_4:
	s_inst_prefetch 0x2
	s_load_dword s2, s[4:5], 0x1c0
	s_add_u32 s0, s4, 0xf0
	s_addc_u32 s1, s5, 0
	s_mov_b32 s19, 0
	s_mov_b32 s11, s16
	s_waitcnt lgkmcnt(0)
	s_cmp_lt_i32 s2, 2
	s_cbranch_scc1 .LBB77_7
; %bb.5:
	s_add_i32 s18, s2, -1
	s_add_i32 s12, s2, 1
	s_lshl_b64 s[14:15], s[18:19], 2
	s_mov_b32 s11, s16
	s_add_u32 s2, s0, s14
	s_addc_u32 s3, s1, s15
	s_add_u32 s2, s2, 8
	s_addc_u32 s3, s3, 0
	s_inst_prefetch 0x1
	.p2align	6
.LBB77_6:                               ; =>This Inner Loop Header: Depth=1
	s_clause 0x1
	s_load_dword s14, s[2:3], 0x0
	s_load_dword s15, s[2:3], 0x64
	s_mov_b32 s20, s11
	s_waitcnt lgkmcnt(0)
	v_cvt_f32_u32_e32 v1, s14
	s_sub_i32 s18, 0, s14
	v_rcp_iflag_f32_e32 v1, v1
	v_mul_f32_e32 v1, 0x4f7ffffe, v1
	v_cvt_u32_f32_e32 v1, v1
	v_readfirstlane_b32 s17, v1
	s_mul_i32 s18, s18, s17
	s_mul_hi_u32 s18, s17, s18
	s_add_i32 s17, s17, s18
	s_mul_hi_u32 s11, s11, s17
	s_mul_i32 s17, s11, s14
	s_add_i32 s18, s11, 1
	s_sub_i32 s17, s20, s17
	s_sub_i32 s21, s17, s14
	s_cmp_ge_u32 s17, s14
	s_cselect_b32 s11, s18, s11
	s_cselect_b32 s17, s21, s17
	s_add_i32 s18, s11, 1
	s_cmp_ge_u32 s17, s14
	s_cselect_b32 s11, s18, s11
	s_add_i32 s12, s12, -1
	s_mul_i32 s14, s11, s14
	s_sub_i32 s14, s20, s14
	s_mul_i32 s14, s15, s14
	s_add_i32 s19, s14, s19
	s_add_u32 s2, s2, -4
	s_addc_u32 s3, s3, -1
	s_cmp_gt_u32 s12, 2
	s_cbranch_scc1 .LBB77_6
.LBB77_7:
	s_inst_prefetch 0x2
	s_clause 0x1
	s_load_dword s18, s[4:5], 0x6c
	s_load_dword s2, s[4:5], 0x2a0
	s_add_u32 s3, s4, 0x1d0
	s_addc_u32 s14, s5, 0
	s_mov_b32 s21, 0
	s_mov_b32 s20, s16
	s_waitcnt lgkmcnt(0)
	s_cmp_lt_i32 s2, 2
	s_cbranch_scc1 .LBB77_10
; %bb.8:
	s_add_i32 s20, s2, -1
	s_add_i32 s12, s2, 1
	s_lshl_b64 s[22:23], s[20:21], 2
	s_mov_b32 s20, s16
	s_add_u32 s2, s3, s22
	s_addc_u32 s3, s14, s23
	s_add_u32 s2, s2, 8
	s_addc_u32 s3, s3, 0
	s_inst_prefetch 0x1
	.p2align	6
.LBB77_9:                               ; =>This Inner Loop Header: Depth=1
	s_clause 0x1
	s_load_dword s14, s[2:3], 0x0
	s_load_dword s15, s[2:3], 0x64
	s_mov_b32 s23, s20
	s_waitcnt lgkmcnt(0)
	v_cvt_f32_u32_e32 v1, s14
	s_sub_i32 s22, 0, s14
	v_rcp_iflag_f32_e32 v1, v1
	v_mul_f32_e32 v1, 0x4f7ffffe, v1
	v_cvt_u32_f32_e32 v1, v1
	v_readfirstlane_b32 s17, v1
	s_mul_i32 s22, s22, s17
	s_mul_hi_u32 s22, s17, s22
	s_add_i32 s17, s17, s22
	s_mul_hi_u32 s17, s20, s17
	s_mul_i32 s20, s17, s14
	s_add_i32 s22, s17, 1
	s_sub_i32 s20, s23, s20
	s_sub_i32 s24, s20, s14
	s_cmp_ge_u32 s20, s14
	s_cselect_b32 s17, s22, s17
	s_cselect_b32 s20, s24, s20
	s_add_i32 s22, s17, 1
	s_cmp_ge_u32 s20, s14
	s_cselect_b32 s20, s22, s17
	s_add_i32 s12, s12, -1
	s_mul_i32 s14, s20, s14
	s_sub_i32 s14, s23, s14
	s_mul_i32 s14, s15, s14
	s_add_i32 s21, s14, s21
	s_add_u32 s2, s2, -4
	s_addc_u32 s3, s3, -1
	s_cmp_gt_u32 s12, 2
	s_cbranch_scc1 .LBB77_9
.LBB77_10:
	s_inst_prefetch 0x2
	s_clause 0x1
	s_load_dword s33, s[0:1], 0x6c
	s_load_dwordx4 s[0:3], s[4:5], 0x2b8
	s_mov_b32 s17, 0
	s_mul_i32 s12, s16, s10
	s_lshl_b64 s[14:15], s[16:17], 3
	s_sub_i32 s16, s13, s12
	s_waitcnt lgkmcnt(0)
	s_add_u32 s0, s0, s14
	s_addc_u32 s1, s1, s15
	s_clause 0x2
	s_load_dwordx2 s[28:29], s[4:5], 0x0
	s_load_dwordx2 s[26:27], s[4:5], 0xf0
	;; [unrolled: 1-line block ×4, first 2 shown]
	v_cmp_ne_u32_e64 s0, 0, v0
	v_cmp_eq_u32_e64 s1, 0, v0
	s_and_saveexec_b32 s38, s1
	s_cbranch_execz .LBB77_26
; %bb.11:
	s_load_dwordx2 s[30:31], s[4:5], 0x2c8
	s_mov_b32 s13, s17
	s_mov_b32 s39, 0
	s_lshl_b64 s[34:35], s[12:13], 2
	s_mov_b32 s40, 0
	s_add_u32 s12, s2, s34
	s_addc_u32 s13, s3, s35
	s_waitcnt lgkmcnt(0)
	s_add_u32 s14, s30, s34
	s_addc_u32 s15, s31, s35
	s_cmp_lt_u32 s10, 4
	s_cbranch_scc1 .LBB77_23
; %bb.12:
	s_mov_b32 s41, 0
.LBB77_13:                              ; =>This Inner Loop Header: Depth=1
	s_add_u32 s12, s2, s34
	s_addc_u32 s13, s3, s35
	s_add_u32 s36, s30, s34
	s_load_dwordx4 s[12:15], s[12:13], 0x0
	s_addc_u32 s37, s31, s35
	s_cmp_ge_u32 s41, s16
	s_cbranch_scc0 .LBB77_20
; %bb.14:                               ;   in Loop: Header=BB77_13 Depth=1
	s_add_i32 s42, s41, 1
	s_cmp_ge_u32 s42, s16
	s_cbranch_scc0 .LBB77_21
.LBB77_15:                              ;   in Loop: Header=BB77_13 Depth=1
	s_add_i32 s42, s42, 1
	s_cmp_ge_u32 s42, s16
	s_cbranch_scc0 .LBB77_22
.LBB77_16:                              ;   in Loop: Header=BB77_13 Depth=1
	s_add_i32 s42, s42, 1
	s_cmp_ge_u32 s42, s16
	s_cbranch_scc1 .LBB77_18
.LBB77_17:                              ;   in Loop: Header=BB77_13 Depth=1
	s_load_dword s36, s[36:37], 0xc
	s_waitcnt lgkmcnt(0)
	s_add_i32 s17, s17, s15
	s_add_i32 s39, s36, s39
.LBB77_18:                              ;   in Loop: Header=BB77_13 Depth=1
	s_waitcnt lgkmcnt(0)
	s_add_i32 s12, s12, s40
	s_add_i32 s12, s12, s13
	;; [unrolled: 1-line block ×4, first 2 shown]
	s_add_u32 s2, s2, 16
	s_addc_u32 s3, s3, 0
	s_add_u32 s30, s30, 16
	s_addc_u32 s31, s31, 0
	s_add_i32 s37, s42, 4
	s_add_u32 s14, s30, s34
	s_addc_u32 s15, s31, s35
	s_add_u32 s12, s2, s34
	s_addc_u32 s13, s3, s35
	s_add_i32 s36, s42, 1
	s_cmp_ge_u32 s37, s10
	s_cbranch_scc1 .LBB77_24
; %bb.19:                               ;   in Loop: Header=BB77_13 Depth=1
	s_mov_b32 s41, s36
	s_branch .LBB77_13
.LBB77_20:                              ;   in Loop: Header=BB77_13 Depth=1
	s_load_dword s42, s[36:37], 0x0
	s_waitcnt lgkmcnt(0)
	s_add_i32 s17, s12, s17
	s_add_i32 s39, s42, s39
	;; [unrolled: 1-line block ×3, first 2 shown]
	s_cmp_ge_u32 s42, s16
	s_cbranch_scc1 .LBB77_15
.LBB77_21:                              ;   in Loop: Header=BB77_13 Depth=1
	s_load_dword s43, s[36:37], 0x4
	s_waitcnt lgkmcnt(0)
	s_add_i32 s17, s17, s13
	s_add_i32 s39, s43, s39
	;; [unrolled: 1-line block ×3, first 2 shown]
	s_cmp_ge_u32 s42, s16
	s_cbranch_scc1 .LBB77_16
.LBB77_22:                              ;   in Loop: Header=BB77_13 Depth=1
	s_load_dword s43, s[36:37], 0x8
	s_waitcnt lgkmcnt(0)
	s_add_i32 s17, s17, s14
	s_add_i32 s39, s43, s39
	;; [unrolled: 1-line block ×3, first 2 shown]
	s_cmp_ge_u32 s42, s16
	s_cbranch_scc0 .LBB77_17
	s_branch .LBB77_18
.LBB77_23:
	s_mov_b32 s2, 0
	s_cmp_ge_u32 s2, s10
	s_cbranch_scc0 .LBB77_47
	s_branch .LBB77_25
.LBB77_24:
	s_add_i32 s2, s41, 4
	s_cmp_ge_u32 s2, s10
	s_cbranch_scc0 .LBB77_47
.LBB77_25:
	v_mov_b32_e32 v1, s39
	v_mov_b32_e32 v2, s40
	;; [unrolled: 1-line block ×4, first 2 shown]
	ds_write_b96 v4, v[1:3] offset:1056
.LBB77_26:
	s_or_b32 exec_lo, exec_lo, s38
	s_clause 0x1
	s_load_dword s17, s[4:5], 0x23c
	s_load_dwordx4 s[12:15], s[4:5], 0xd8
	s_mul_i32 s2, s9, s16
	s_add_i32 s16, s16, 1
	s_lshl_b32 s30, s2, 8
	s_waitcnt lgkmcnt(0)
	s_barrier
	buffer_gl0_inv
	s_sub_i32 s2, s12, s30
	s_add_u32 s2, s2, 0xff
	s_addc_u32 s3, 0, 0
	s_lshr_b64 s[2:3], s[2:3], 8
	s_cmp_lt_u32 s16, s10
	s_mov_b32 s3, 0
	s_cselect_b32 s9, s9, s2
	s_cmp_eq_u32 s9, 0
	s_cbranch_scc1 .LBB77_49
; %bb.27:
	v_mov_b32_e32 v5, 0
	s_mul_i32 s2, s33, s11
	s_mul_i32 s10, s18, s6
	s_add_i32 s6, s2, s19
	v_cmp_o_f64_e64 s19, s[22:23], s[22:23]
	ds_read_b96 v[1:3], v5 offset:1056
	s_add_i32 s2, s10, s7
	s_mul_i32 s7, s17, s20
	s_load_dword s20, s[4:5], 0xe8
	s_lshl_b64 s[10:11], s[2:3], 3
	v_lshrrev_b32_e32 v4, 3, v0
	v_add_nc_u32_e32 v6, -1, v0
	s_add_i32 s2, s7, s21
	s_mov_b32 s7, s3
	s_add_u32 s10, s28, s10
	s_addc_u32 s11, s29, s11
	s_lshl_b64 s[6:7], s[6:7], 3
	s_load_dword s4, s[4:5], 0x1c8
	s_add_u32 s15, s26, s6
	v_and_b32_e32 v4, 28, v4
	v_lshrrev_b32_e32 v7, 3, v6
	s_addc_u32 s16, s27, s7
	s_lshl_b64 s[2:3], s[2:3], 3
	v_mbcnt_lo_u32_b32 v10, -1, 0
	s_add_u32 s17, s24, s2
	s_addc_u32 s18, s25, s3
	s_ashr_i32 s2, s23, 31
	s_waitcnt lgkmcnt(0)
	v_add_nc_u32_e32 v8, v1, v2
	v_lshl_add_u32 v9, v0, 2, v4
	v_and_b32_e32 v4, 0x1ffffffc, v7
	v_add_nc_u32_e32 v1, s30, v0
	s_or_b32 s3, s2, 0x80000000
	v_and_b32_e32 v2, 0xfc, v0
	s_xor_b64 s[2:3], s[2:3], s[22:23]
	v_lshlrev_b32_e32 v7, 5, v0
	s_and_b32 s6, s19, exec_lo
	s_cselect_b32 s6, s2, -1
	v_cmp_gt_u32_e64 s2, 32, v0
	v_lshl_add_u32 v0, v6, 2, v4
	v_mul_lo_u32 v4, s20, v1
	v_add_nc_u32_e32 v11, v2, v7
	v_and_b32_e32 v12, 15, v10
	v_bfe_i32 v13, v10, 4, 1
	v_add_nc_u32_e32 v14, -1, v10
	s_cselect_b32 s7, s3, -1
	s_bitcmp1_b32 s14, 0
                                        ; implicit-def: $vgpr6_vgpr7
	s_cselect_b32 s3, -1, 0
	s_lshl_b32 s5, s20, 8
	s_branch .LBB77_30
.LBB77_28:                              ;   in Loop: Header=BB77_30 Depth=1
	s_or_b32 exec_lo, exec_lo, s14
	v_add_nc_u32_e32 v8, v17, v8
.LBB77_29:                              ;   in Loop: Header=BB77_30 Depth=1
	v_add_nc_u32_e32 v3, v16, v3
	v_add_nc_u32_e32 v4, s5, v4
	;; [unrolled: 1-line block ×3, first 2 shown]
	s_add_i32 s9, s9, -1
	s_cmp_lg_u32 s9, 0
	s_cbranch_scc0 .LBB77_49
.LBB77_30:                              ; =>This Inner Loop Header: Depth=1
	v_mov_b32_e32 v2, 0
	v_mov_b32_e32 v15, 0
	s_mov_b32 s14, exec_lo
	v_cmpx_gt_u32_e64 s12, v1
	s_cbranch_execz .LBB77_32
; %bb.31:                               ;   in Loop: Header=BB77_30 Depth=1
	v_lshlrev_b64 v[6:7], 3, v[4:5]
	v_add_co_u32 v6, vcc_lo, s10, v6
	v_add_co_ci_u32_e64 v7, null, s11, v7, vcc_lo
	global_load_dwordx2 v[6:7], v[6:7], off
	s_waitcnt vmcnt(0)
	v_cmp_o_f64_e32 vcc_lo, v[6:7], v[6:7]
	v_ashrrev_i32_e32 v2, 31, v7
	v_or_b32_e32 v15, 0x80000000, v2
	v_xor_b32_e32 v2, v2, v6
	v_xor_b32_e32 v15, v15, v7
	v_cndmask_b32_e32 v16, -1, v15, vcc_lo
	v_cndmask_b32_e32 v15, -1, v2, vcc_lo
	v_cmp_lt_u64_e32 vcc_lo, s[6:7], v[15:16]
	v_cndmask_b32_e64 v2, 0, 1, vcc_lo
	v_cmp_gt_u64_e32 vcc_lo, s[6:7], v[15:16]
	v_cndmask_b32_e64 v17, 0, 1, vcc_lo
	v_cmp_eq_u64_e32 vcc_lo, s[6:7], v[15:16]
	v_cndmask_b32_e64 v2, v17, v2, s3
	v_cndmask_b32_e64 v15, 0, 1, vcc_lo
	v_and_b32_e32 v2, 1, v2
.LBB77_32:                              ;   in Loop: Header=BB77_30 Depth=1
	s_or_b32 exec_lo, exec_lo, s14
	ds_write_b32 v9, v2
	s_waitcnt lgkmcnt(0)
	s_barrier
	buffer_gl0_inv
	s_and_saveexec_b32 s14, s2
	s_cbranch_execz .LBB77_34
; %bb.33:                               ;   in Loop: Header=BB77_30 Depth=1
	ds_read2_b32 v[16:17], v11 offset1:1
	ds_read2_b32 v[18:19], v11 offset0:2 offset1:3
	ds_read2_b32 v[20:21], v11 offset0:4 offset1:5
	ds_read2_b32 v[22:23], v11 offset0:6 offset1:7
	v_cmp_ne_u32_e32 vcc_lo, 0, v12
	; wave barrier
	s_waitcnt lgkmcnt(3)
	v_add_nc_u32_e32 v17, v17, v16
	s_waitcnt lgkmcnt(2)
	v_add3_u32 v17, v17, v18, v19
	s_waitcnt lgkmcnt(1)
	v_add3_u32 v17, v17, v20, v21
	;; [unrolled: 2-line block ×3, first 2 shown]
	v_mov_b32_dpp v18, v17 row_shr:1 row_mask:0xf bank_mask:0xf
	v_cndmask_b32_e32 v18, 0, v18, vcc_lo
	v_cmp_lt_u32_e32 vcc_lo, 1, v12
	v_add_nc_u32_e32 v17, v18, v17
	v_mov_b32_dpp v18, v17 row_shr:2 row_mask:0xf bank_mask:0xf
	v_cndmask_b32_e32 v18, 0, v18, vcc_lo
	v_cmp_lt_u32_e32 vcc_lo, 3, v12
	v_add_nc_u32_e32 v17, v17, v18
	v_mov_b32_dpp v18, v17 row_shr:4 row_mask:0xf bank_mask:0xf
	v_cndmask_b32_e32 v18, 0, v18, vcc_lo
	v_cmp_lt_u32_e32 vcc_lo, 7, v12
	v_add_nc_u32_e32 v17, v17, v18
	v_mov_b32_dpp v18, v17 row_shr:8 row_mask:0xf bank_mask:0xf
	v_cndmask_b32_e32 v18, 0, v18, vcc_lo
	v_cmp_gt_i32_e32 vcc_lo, 0, v14
	v_add_nc_u32_e32 v17, v17, v18
	v_cndmask_b32_e32 v19, v14, v10, vcc_lo
	ds_swizzle_b32 v18, v17 offset:swizzle(BROADCAST,32,15)
	v_lshlrev_b32_e32 v19, 2, v19
	s_waitcnt lgkmcnt(0)
	v_and_b32_e32 v18, v13, v18
	v_add_nc_u32_e32 v17, v17, v18
	ds_bpermute_b32 v17, v19, v17
	s_waitcnt lgkmcnt(0)
	v_add_nc_u32_e32 v16, v17, v16
	v_cndmask_b32_e64 v22, v16, v2, s1
	ds_write_b32 v11, v22
	; wave barrier
	ds_read2_b32 v[16:17], v11 offset0:1 offset1:2
	ds_read2_b32 v[18:19], v11 offset0:3 offset1:4
	;; [unrolled: 1-line block ×3, first 2 shown]
	ds_read_b32 v23, v11 offset:28
	s_waitcnt lgkmcnt(3)
	v_add_nc_u32_e32 v16, v16, v22
	v_add_nc_u32_e32 v17, v17, v16
	s_waitcnt lgkmcnt(2)
	v_add_nc_u32_e32 v18, v18, v17
	v_add_nc_u32_e32 v19, v19, v18
	;; [unrolled: 3-line block ×3, first 2 shown]
	s_waitcnt lgkmcnt(0)
	v_add_nc_u32_e32 v22, v23, v21
	ds_write2_b32 v11, v16, v17 offset0:1 offset1:2
	ds_write2_b32 v11, v18, v19 offset0:3 offset1:4
	;; [unrolled: 1-line block ×3, first 2 shown]
	ds_write_b32 v11, v22 offset:28
.LBB77_34:                              ;   in Loop: Header=BB77_30 Depth=1
	s_or_b32 exec_lo, exec_lo, s14
	v_mov_b32_e32 v17, 0
	s_waitcnt lgkmcnt(0)
	s_barrier
	buffer_gl0_inv
	s_and_saveexec_b32 s14, s0
; %bb.35:                               ;   in Loop: Header=BB77_30 Depth=1
	ds_read_b32 v17, v0
; %bb.36:                               ;   in Loop: Header=BB77_30 Depth=1
	s_or_b32 exec_lo, exec_lo, s14
	ds_read_b32 v16, v5 offset:1048
	s_mov_b32 s14, exec_lo
	s_waitcnt lgkmcnt(0)
	s_barrier
	buffer_gl0_inv
	v_cmpx_ne_u32_e32 0, v2
	s_cbranch_execz .LBB77_38
; %bb.37:                               ;   in Loop: Header=BB77_30 Depth=1
	v_add_nc_u32_e32 v2, v17, v3
	v_mov_b32_e32 v18, v5
	v_mov_b32_e32 v20, v5
	v_mul_lo_u32 v17, v2, s4
	v_mul_lo_u32 v19, v2, s8
	v_mov_b32_e32 v2, v5
	v_lshlrev_b64 v[17:18], 3, v[17:18]
	v_lshlrev_b64 v[19:20], 3, v[19:20]
	v_add_co_u32 v17, vcc_lo, s15, v17
	v_add_co_ci_u32_e64 v18, null, s16, v18, vcc_lo
	v_add_co_u32 v19, vcc_lo, s17, v19
	v_add_co_ci_u32_e64 v20, null, s18, v20, vcc_lo
	global_store_dwordx2 v[17:18], v[6:7], off
	global_store_dwordx2 v[19:20], v[1:2], off
.LBB77_38:                              ;   in Loop: Header=BB77_30 Depth=1
	s_or_b32 exec_lo, exec_lo, s14
	v_cmp_le_u32_e32 vcc_lo, s13, v8
	s_cbranch_vccnz .LBB77_29
; %bb.39:                               ;   in Loop: Header=BB77_30 Depth=1
	ds_write_b32 v9, v15
	s_waitcnt lgkmcnt(0)
	s_waitcnt_vscnt null, 0x0
	s_barrier
	buffer_gl0_inv
	s_and_saveexec_b32 s14, s2
	s_cbranch_execz .LBB77_41
; %bb.40:                               ;   in Loop: Header=BB77_30 Depth=1
	ds_read2_b32 v[17:18], v11 offset1:1
	ds_read2_b32 v[19:20], v11 offset0:2 offset1:3
	ds_read2_b32 v[21:22], v11 offset0:4 offset1:5
	;; [unrolled: 1-line block ×3, first 2 shown]
	v_cmp_ne_u32_e32 vcc_lo, 0, v12
	; wave barrier
	s_waitcnt lgkmcnt(3)
	v_add_nc_u32_e32 v2, v18, v17
	s_waitcnt lgkmcnt(2)
	v_add3_u32 v2, v2, v19, v20
	s_waitcnt lgkmcnt(1)
	v_add3_u32 v2, v2, v21, v22
	;; [unrolled: 2-line block ×3, first 2 shown]
	v_mov_b32_dpp v18, v2 row_shr:1 row_mask:0xf bank_mask:0xf
	v_cndmask_b32_e32 v18, 0, v18, vcc_lo
	v_cmp_lt_u32_e32 vcc_lo, 1, v12
	v_add_nc_u32_e32 v2, v18, v2
	v_mov_b32_dpp v18, v2 row_shr:2 row_mask:0xf bank_mask:0xf
	v_cndmask_b32_e32 v18, 0, v18, vcc_lo
	v_cmp_lt_u32_e32 vcc_lo, 3, v12
	v_add_nc_u32_e32 v2, v2, v18
	;; [unrolled: 4-line block ×3, first 2 shown]
	v_mov_b32_dpp v18, v2 row_shr:8 row_mask:0xf bank_mask:0xf
	v_cndmask_b32_e32 v18, 0, v18, vcc_lo
	v_cmp_gt_i32_e32 vcc_lo, 0, v14
	v_add_nc_u32_e32 v2, v2, v18
	v_cndmask_b32_e32 v19, v14, v10, vcc_lo
	ds_swizzle_b32 v18, v2 offset:swizzle(BROADCAST,32,15)
	v_lshlrev_b32_e32 v19, 2, v19
	s_waitcnt lgkmcnt(0)
	v_and_b32_e32 v18, v13, v18
	v_add_nc_u32_e32 v2, v2, v18
	ds_bpermute_b32 v2, v19, v2
	s_waitcnt lgkmcnt(0)
	v_add_nc_u32_e32 v2, v2, v17
	v_cndmask_b32_e64 v2, v2, v15, s1
	ds_write_b32 v11, v2
	; wave barrier
	ds_read2_b32 v[17:18], v11 offset0:1 offset1:2
	ds_read2_b32 v[19:20], v11 offset0:3 offset1:4
	;; [unrolled: 1-line block ×3, first 2 shown]
	ds_read_b32 v23, v11 offset:28
	s_waitcnt lgkmcnt(3)
	v_add_nc_u32_e32 v2, v17, v2
	v_add_nc_u32_e32 v17, v18, v2
	s_waitcnt lgkmcnt(2)
	v_add_nc_u32_e32 v18, v19, v17
	v_add_nc_u32_e32 v19, v20, v18
	s_waitcnt lgkmcnt(1)
	v_add_nc_u32_e32 v20, v21, v19
	v_add_nc_u32_e32 v21, v22, v20
	s_waitcnt lgkmcnt(0)
	v_add_nc_u32_e32 v22, v23, v21
	ds_write2_b32 v11, v2, v17 offset0:1 offset1:2
	ds_write2_b32 v11, v18, v19 offset0:3 offset1:4
	;; [unrolled: 1-line block ×3, first 2 shown]
	ds_write_b32 v11, v22 offset:28
.LBB77_41:                              ;   in Loop: Header=BB77_30 Depth=1
	s_or_b32 exec_lo, exec_lo, s14
	v_mov_b32_e32 v2, 0
	s_waitcnt lgkmcnt(0)
	s_barrier
	buffer_gl0_inv
	s_and_saveexec_b32 s14, s0
; %bb.42:                               ;   in Loop: Header=BB77_30 Depth=1
	ds_read_b32 v2, v0
; %bb.43:                               ;   in Loop: Header=BB77_30 Depth=1
	s_or_b32 exec_lo, exec_lo, s14
	ds_read_b32 v17, v5 offset:1048
	s_mov_b32 s14, exec_lo
	s_waitcnt lgkmcnt(0)
	s_barrier
	buffer_gl0_inv
	v_cmpx_ne_u32_e32 0, v15
	s_cbranch_execz .LBB77_28
; %bb.44:                               ;   in Loop: Header=BB77_30 Depth=1
	v_add_nc_u32_e32 v2, v2, v8
	v_cmp_gt_u32_e32 vcc_lo, s13, v2
	s_and_b32 exec_lo, exec_lo, vcc_lo
	s_cbranch_execz .LBB77_28
; %bb.45:                               ;   in Loop: Header=BB77_30 Depth=1
	v_mul_lo_u32 v18, v2, s4
	v_mul_lo_u32 v20, v2, s8
	v_mov_b32_e32 v19, v5
	v_mov_b32_e32 v21, v5
	v_mov_b32_e32 v2, v5
	v_lshlrev_b64 v[18:19], 3, v[18:19]
	v_lshlrev_b64 v[20:21], 3, v[20:21]
	v_add_co_u32 v18, vcc_lo, s15, v18
	v_add_co_ci_u32_e64 v19, null, s16, v19, vcc_lo
	v_add_co_u32 v20, vcc_lo, s17, v20
	v_add_co_ci_u32_e64 v21, null, s18, v21, vcc_lo
	global_store_dwordx2 v[18:19], v[6:7], off
	global_store_dwordx2 v[20:21], v[1:2], off
	s_branch .LBB77_28
	.p2align	6
.LBB77_46:                              ;   in Loop: Header=BB77_47 Depth=1
	s_add_u32 s12, s12, 4
	s_addc_u32 s13, s13, 0
	s_waitcnt lgkmcnt(0)
	s_add_i32 s40, s3, s40
	s_add_u32 s14, s14, 4
	s_addc_u32 s15, s15, 0
	s_add_i32 s2, s2, 1
	s_cmp_lt_u32 s2, s10
	s_cbranch_scc0 .LBB77_25
.LBB77_47:                              ; =>This Inner Loop Header: Depth=1
	s_load_dword s3, s[12:13], 0x0
	s_cmp_ge_u32 s2, s16
	s_cbranch_scc1 .LBB77_46
; %bb.48:                               ;   in Loop: Header=BB77_47 Depth=1
	s_load_dword s30, s[14:15], 0x0
	s_waitcnt lgkmcnt(0)
	s_add_i32 s17, s3, s17
	s_add_i32 s39, s30, s39
	s_branch .LBB77_46
.LBB77_49:
	s_endpgm
	.section	.rodata,"a",@progbits
	.p2align	6, 0x0
	.amdhsa_kernel _ZN2at6native6mbtopk10gatherTopKIdjLin1EEEvNS_4cuda6detail10TensorInfoIKT_T0_EES8_S8_bjS8_NS5_IS6_S8_EES8_NS5_IlS8_EES8_jjPS6_PjSD_j
		.amdhsa_group_segment_fixed_size 1068
		.amdhsa_private_segment_fixed_size 0
		.amdhsa_kernarg_size 984
		.amdhsa_user_sgpr_count 6
		.amdhsa_user_sgpr_private_segment_buffer 1
		.amdhsa_user_sgpr_dispatch_ptr 0
		.amdhsa_user_sgpr_queue_ptr 0
		.amdhsa_user_sgpr_kernarg_segment_ptr 1
		.amdhsa_user_sgpr_dispatch_id 0
		.amdhsa_user_sgpr_flat_scratch_init 0
		.amdhsa_user_sgpr_private_segment_size 0
		.amdhsa_wavefront_size32 1
		.amdhsa_uses_dynamic_stack 0
		.amdhsa_system_sgpr_private_segment_wavefront_offset 0
		.amdhsa_system_sgpr_workgroup_id_x 1
		.amdhsa_system_sgpr_workgroup_id_y 1
		.amdhsa_system_sgpr_workgroup_id_z 1
		.amdhsa_system_sgpr_workgroup_info 0
		.amdhsa_system_vgpr_workitem_id 0
		.amdhsa_next_free_vgpr 25
		.amdhsa_next_free_sgpr 44
		.amdhsa_reserve_vcc 1
		.amdhsa_reserve_flat_scratch 0
		.amdhsa_float_round_mode_32 0
		.amdhsa_float_round_mode_16_64 0
		.amdhsa_float_denorm_mode_32 3
		.amdhsa_float_denorm_mode_16_64 3
		.amdhsa_dx10_clamp 1
		.amdhsa_ieee_mode 1
		.amdhsa_fp16_overflow 0
		.amdhsa_workgroup_processor_mode 1
		.amdhsa_memory_ordered 1
		.amdhsa_forward_progress 1
		.amdhsa_shared_vgpr_count 0
		.amdhsa_exception_fp_ieee_invalid_op 0
		.amdhsa_exception_fp_denorm_src 0
		.amdhsa_exception_fp_ieee_div_zero 0
		.amdhsa_exception_fp_ieee_overflow 0
		.amdhsa_exception_fp_ieee_underflow 0
		.amdhsa_exception_fp_ieee_inexact 0
		.amdhsa_exception_int_div_zero 0
	.end_amdhsa_kernel
	.section	.text._ZN2at6native6mbtopk10gatherTopKIdjLin1EEEvNS_4cuda6detail10TensorInfoIKT_T0_EES8_S8_bjS8_NS5_IS6_S8_EES8_NS5_IlS8_EES8_jjPS6_PjSD_j,"axG",@progbits,_ZN2at6native6mbtopk10gatherTopKIdjLin1EEEvNS_4cuda6detail10TensorInfoIKT_T0_EES8_S8_bjS8_NS5_IS6_S8_EES8_NS5_IlS8_EES8_jjPS6_PjSD_j,comdat
.Lfunc_end77:
	.size	_ZN2at6native6mbtopk10gatherTopKIdjLin1EEEvNS_4cuda6detail10TensorInfoIKT_T0_EES8_S8_bjS8_NS5_IS6_S8_EES8_NS5_IlS8_EES8_jjPS6_PjSD_j, .Lfunc_end77-_ZN2at6native6mbtopk10gatherTopKIdjLin1EEEvNS_4cuda6detail10TensorInfoIKT_T0_EES8_S8_bjS8_NS5_IS6_S8_EES8_NS5_IlS8_EES8_jjPS6_PjSD_j
                                        ; -- End function
	.set _ZN2at6native6mbtopk10gatherTopKIdjLin1EEEvNS_4cuda6detail10TensorInfoIKT_T0_EES8_S8_bjS8_NS5_IS6_S8_EES8_NS5_IlS8_EES8_jjPS6_PjSD_j.num_vgpr, 25
	.set _ZN2at6native6mbtopk10gatherTopKIdjLin1EEEvNS_4cuda6detail10TensorInfoIKT_T0_EES8_S8_bjS8_NS5_IS6_S8_EES8_NS5_IlS8_EES8_jjPS6_PjSD_j.num_agpr, 0
	.set _ZN2at6native6mbtopk10gatherTopKIdjLin1EEEvNS_4cuda6detail10TensorInfoIKT_T0_EES8_S8_bjS8_NS5_IS6_S8_EES8_NS5_IlS8_EES8_jjPS6_PjSD_j.numbered_sgpr, 44
	.set _ZN2at6native6mbtopk10gatherTopKIdjLin1EEEvNS_4cuda6detail10TensorInfoIKT_T0_EES8_S8_bjS8_NS5_IS6_S8_EES8_NS5_IlS8_EES8_jjPS6_PjSD_j.num_named_barrier, 0
	.set _ZN2at6native6mbtopk10gatherTopKIdjLin1EEEvNS_4cuda6detail10TensorInfoIKT_T0_EES8_S8_bjS8_NS5_IS6_S8_EES8_NS5_IlS8_EES8_jjPS6_PjSD_j.private_seg_size, 0
	.set _ZN2at6native6mbtopk10gatherTopKIdjLin1EEEvNS_4cuda6detail10TensorInfoIKT_T0_EES8_S8_bjS8_NS5_IS6_S8_EES8_NS5_IlS8_EES8_jjPS6_PjSD_j.uses_vcc, 1
	.set _ZN2at6native6mbtopk10gatherTopKIdjLin1EEEvNS_4cuda6detail10TensorInfoIKT_T0_EES8_S8_bjS8_NS5_IS6_S8_EES8_NS5_IlS8_EES8_jjPS6_PjSD_j.uses_flat_scratch, 0
	.set _ZN2at6native6mbtopk10gatherTopKIdjLin1EEEvNS_4cuda6detail10TensorInfoIKT_T0_EES8_S8_bjS8_NS5_IS6_S8_EES8_NS5_IlS8_EES8_jjPS6_PjSD_j.has_dyn_sized_stack, 0
	.set _ZN2at6native6mbtopk10gatherTopKIdjLin1EEEvNS_4cuda6detail10TensorInfoIKT_T0_EES8_S8_bjS8_NS5_IS6_S8_EES8_NS5_IlS8_EES8_jjPS6_PjSD_j.has_recursion, 0
	.set _ZN2at6native6mbtopk10gatherTopKIdjLin1EEEvNS_4cuda6detail10TensorInfoIKT_T0_EES8_S8_bjS8_NS5_IS6_S8_EES8_NS5_IlS8_EES8_jjPS6_PjSD_j.has_indirect_call, 0
	.section	.AMDGPU.csdata,"",@progbits
; Kernel info:
; codeLenInByte = 3152
; TotalNumSgprs: 46
; NumVgprs: 25
; ScratchSize: 0
; MemoryBound: 0
; FloatMode: 240
; IeeeMode: 1
; LDSByteSize: 1068 bytes/workgroup (compile time only)
; SGPRBlocks: 0
; VGPRBlocks: 3
; NumSGPRsForWavesPerEU: 46
; NumVGPRsForWavesPerEU: 25
; Occupancy: 16
; WaveLimiterHint : 1
; COMPUTE_PGM_RSRC2:SCRATCH_EN: 0
; COMPUTE_PGM_RSRC2:USER_SGPR: 6
; COMPUTE_PGM_RSRC2:TRAP_HANDLER: 0
; COMPUTE_PGM_RSRC2:TGID_X_EN: 1
; COMPUTE_PGM_RSRC2:TGID_Y_EN: 1
; COMPUTE_PGM_RSRC2:TGID_Z_EN: 1
; COMPUTE_PGM_RSRC2:TIDIG_COMP_CNT: 0
	.section	.text._ZN2at6native6sbtopk10gatherTopKIdjLin1ELb0EEEvNS_4cuda6detail10TensorInfoIKT_T0_EES8_S8_bS8_S8_NS5_IS6_S8_EES8_NS5_IlS8_EES8_PS6_,"axG",@progbits,_ZN2at6native6sbtopk10gatherTopKIdjLin1ELb0EEEvNS_4cuda6detail10TensorInfoIKT_T0_EES8_S8_bS8_S8_NS5_IS6_S8_EES8_NS5_IlS8_EES8_PS6_,comdat
	.protected	_ZN2at6native6sbtopk10gatherTopKIdjLin1ELb0EEEvNS_4cuda6detail10TensorInfoIKT_T0_EES8_S8_bS8_S8_NS5_IS6_S8_EES8_NS5_IlS8_EES8_PS6_ ; -- Begin function _ZN2at6native6sbtopk10gatherTopKIdjLin1ELb0EEEvNS_4cuda6detail10TensorInfoIKT_T0_EES8_S8_bS8_S8_NS5_IS6_S8_EES8_NS5_IlS8_EES8_PS6_
	.globl	_ZN2at6native6sbtopk10gatherTopKIdjLin1ELb0EEEvNS_4cuda6detail10TensorInfoIKT_T0_EES8_S8_bS8_S8_NS5_IS6_S8_EES8_NS5_IlS8_EES8_PS6_
	.p2align	8
	.type	_ZN2at6native6sbtopk10gatherTopKIdjLin1ELb0EEEvNS_4cuda6detail10TensorInfoIKT_T0_EES8_S8_bS8_S8_NS5_IS6_S8_EES8_NS5_IlS8_EES8_PS6_,@function
_ZN2at6native6sbtopk10gatherTopKIdjLin1ELb0EEEvNS_4cuda6detail10TensorInfoIKT_T0_EES8_S8_bS8_S8_NS5_IS6_S8_EES8_NS5_IlS8_EES8_PS6_: ; @_ZN2at6native6sbtopk10gatherTopKIdjLin1ELb0EEEvNS_4cuda6detail10TensorInfoIKT_T0_EES8_S8_bS8_S8_NS5_IS6_S8_EES8_NS5_IlS8_EES8_PS6_
; %bb.0:
	s_clause 0x1
	s_load_dwordx2 s[2:3], s[4:5], 0x2b8
	s_load_dwordx4 s[36:39], s[4:5], 0xd8
	s_add_u32 s10, s4, 0x2b8
	s_addc_u32 s11, s5, 0
	s_waitcnt lgkmcnt(0)
	s_mul_i32 s0, s3, s8
	s_add_i32 s0, s0, s7
	s_mul_i32 s0, s0, s2
	s_add_i32 s48, s0, s6
	s_cmp_ge_u32 s48, s39
	s_cbranch_scc1 .LBB78_420
; %bb.1:
	s_clause 0x1
	s_load_dword s3, s[4:5], 0xd0
	s_load_dword s30, s[4:5], 0xe8
	s_mov_b32 s1, 0
	s_mov_b32 s0, s48
	s_waitcnt lgkmcnt(0)
	s_cmp_lt_i32 s3, 2
	s_cbranch_scc1 .LBB78_4
; %bb.2:
	s_add_i32 s0, s3, -1
	s_add_i32 s3, s3, 1
	s_lshl_b64 s[8:9], s[0:1], 2
	s_add_u32 s0, s4, s8
	s_addc_u32 s7, s5, s9
	s_add_u32 s8, s0, 8
	s_addc_u32 s9, s7, 0
	s_mov_b32 s0, s48
	s_inst_prefetch 0x1
	.p2align	6
.LBB78_3:                               ; =>This Inner Loop Header: Depth=1
	s_clause 0x1
	s_load_dword s7, s[8:9], 0x0
	s_load_dword s12, s[8:9], 0x64
	s_mov_b32 s15, s0
	s_waitcnt lgkmcnt(0)
	v_cvt_f32_u32_e32 v1, s7
	s_sub_i32 s14, 0, s7
	v_rcp_iflag_f32_e32 v1, v1
	v_mul_f32_e32 v1, 0x4f7ffffe, v1
	v_cvt_u32_f32_e32 v1, v1
	v_readfirstlane_b32 s13, v1
	s_mul_i32 s14, s14, s13
	s_mul_hi_u32 s14, s13, s14
	s_add_i32 s13, s13, s14
	s_mul_hi_u32 s0, s0, s13
	s_mul_i32 s13, s0, s7
	s_add_i32 s14, s0, 1
	s_sub_i32 s13, s15, s13
	s_sub_i32 s16, s13, s7
	s_cmp_ge_u32 s13, s7
	s_cselect_b32 s0, s14, s0
	s_cselect_b32 s13, s16, s13
	s_add_i32 s14, s0, 1
	s_cmp_ge_u32 s13, s7
	s_cselect_b32 s0, s14, s0
	s_add_i32 s3, s3, -1
	s_mul_i32 s7, s0, s7
	s_sub_i32 s7, s15, s7
	s_mul_i32 s7, s12, s7
	s_add_i32 s1, s7, s1
	s_add_u32 s8, s8, -4
	s_addc_u32 s9, s9, -1
	s_cmp_gt_u32 s3, 2
	s_cbranch_scc1 .LBB78_3
.LBB78_4:
	s_inst_prefetch 0x2
	s_load_dword s3, s[4:5], 0x1c0
	s_add_u32 s8, s4, 0xf0
	s_addc_u32 s9, s5, 0
	s_mov_b32 s35, 0
	s_mov_b32 s49, s48
	s_waitcnt lgkmcnt(0)
	s_cmp_lt_i32 s3, 2
	s_cbranch_scc1 .LBB78_7
; %bb.5:
	s_add_i32 s34, s3, -1
	s_add_i32 s3, s3, 1
	s_lshl_b64 s[12:13], s[34:35], 2
	s_mov_b32 s49, s48
	s_add_u32 s7, s8, s12
	s_addc_u32 s13, s9, s13
	s_add_u32 s12, s7, 8
	s_addc_u32 s13, s13, 0
	s_inst_prefetch 0x1
	.p2align	6
.LBB78_6:                               ; =>This Inner Loop Header: Depth=1
	s_clause 0x1
	s_load_dword s7, s[12:13], 0x0
	s_load_dword s14, s[12:13], 0x64
	s_mov_b32 s17, s49
	s_waitcnt lgkmcnt(0)
	v_cvt_f32_u32_e32 v1, s7
	s_sub_i32 s16, 0, s7
	v_rcp_iflag_f32_e32 v1, v1
	v_mul_f32_e32 v1, 0x4f7ffffe, v1
	v_cvt_u32_f32_e32 v1, v1
	v_readfirstlane_b32 s15, v1
	s_mul_i32 s16, s16, s15
	s_mul_hi_u32 s16, s15, s16
	s_add_i32 s15, s15, s16
	s_mul_hi_u32 s15, s49, s15
	s_mul_i32 s16, s15, s7
	s_add_i32 s18, s15, 1
	s_sub_i32 s16, s49, s16
	s_sub_i32 s19, s16, s7
	s_cmp_ge_u32 s16, s7
	s_cselect_b32 s15, s18, s15
	s_cselect_b32 s16, s19, s16
	s_add_i32 s18, s15, 1
	s_cmp_ge_u32 s16, s7
	s_cselect_b32 s49, s18, s15
	s_add_i32 s3, s3, -1
	s_mul_i32 s7, s49, s7
	s_sub_i32 s7, s17, s7
	s_mul_i32 s7, s14, s7
	s_add_i32 s35, s7, s35
	s_add_u32 s12, s12, -4
	s_addc_u32 s13, s13, -1
	s_cmp_gt_u32 s3, 2
	s_cbranch_scc1 .LBB78_6
.LBB78_7:
	s_inst_prefetch 0x2
	s_clause 0x1
	s_load_dword s7, s[4:5], 0x6c
	s_load_dword s3, s[4:5], 0x2a0
	s_add_u32 s12, s4, 0x1d0
	s_addc_u32 s13, s5, 0
	s_mov_b32 s41, 0
	s_waitcnt lgkmcnt(0)
	s_cmp_lt_i32 s3, 2
	s_cbranch_scc1 .LBB78_10
; %bb.8:
	s_add_i32 s40, s3, -1
	s_add_i32 s3, s3, 1
	s_lshl_b64 s[14:15], s[40:41], 2
	s_add_u32 s12, s12, s14
	s_addc_u32 s13, s13, s15
	s_add_u32 s12, s12, 8
	s_addc_u32 s13, s13, 0
	s_inst_prefetch 0x1
	.p2align	6
.LBB78_9:                               ; =>This Inner Loop Header: Depth=1
	s_clause 0x1
	s_load_dword s14, s[12:13], 0x0
	s_load_dword s15, s[12:13], 0x64
	s_mov_b32 s18, s48
	s_waitcnt lgkmcnt(0)
	v_cvt_f32_u32_e32 v1, s14
	s_sub_i32 s17, 0, s14
	v_rcp_iflag_f32_e32 v1, v1
	v_mul_f32_e32 v1, 0x4f7ffffe, v1
	v_cvt_u32_f32_e32 v1, v1
	v_readfirstlane_b32 s16, v1
	s_mul_i32 s17, s17, s16
	s_mul_hi_u32 s17, s16, s17
	s_add_i32 s16, s16, s17
	s_mul_hi_u32 s16, s48, s16
	s_mul_i32 s17, s16, s14
	s_add_i32 s19, s16, 1
	s_sub_i32 s17, s48, s17
	s_sub_i32 s20, s17, s14
	s_cmp_ge_u32 s17, s14
	s_cselect_b32 s16, s19, s16
	s_cselect_b32 s17, s20, s17
	s_add_i32 s19, s16, 1
	s_cmp_ge_u32 s17, s14
	s_cselect_b32 s48, s19, s16
	s_add_i32 s3, s3, -1
	s_mul_i32 s14, s48, s14
	s_sub_i32 s14, s18, s14
	s_mul_i32 s14, s15, s14
	s_add_i32 s41, s14, s41
	s_add_u32 s12, s12, -4
	s_addc_u32 s13, s13, -1
	s_cmp_gt_u32 s3, 2
	s_cbranch_scc1 .LBB78_9
.LBB78_10:
	s_inst_prefetch 0x2
	s_clause 0x3
	s_load_dword s50, s[8:9], 0x6c
	s_load_dwordx2 s[8:9], s[4:5], 0x0
	s_load_dwordx2 s[44:45], s[4:5], 0xf0
	;; [unrolled: 1-line block ×3, first 2 shown]
	v_cmp_eq_u32_e64 s3, 0, v0
	s_mov_b32 s47, 0
	s_and_saveexec_b32 s12, s3
	s_cbranch_execz .LBB78_12
; %bb.11:
	v_mov_b32_e32 v1, 0
	v_mov_b32_e32 v2, s36
	;; [unrolled: 1-line block ×3, first 2 shown]
	ds_write_b96 v1, v[1:3] offset:4096
.LBB78_12:
	s_or_b32 exec_lo, exec_lo, s12
	s_waitcnt lgkmcnt(0)
	s_barrier
	buffer_gl0_inv
	s_load_dword s14, s[10:11], 0xc
	s_mul_i32 s0, s7, s0
	v_mbcnt_lo_u32_b32 v28, -1, 0
	s_add_i32 s46, s0, s1
	v_cmp_gt_u32_e32 vcc_lo, 32, v0
	s_lshl_b64 s[12:13], s[46:47], 3
	v_mov_b32_e32 v15, 0
	s_add_u32 s31, s8, s12
	s_addc_u32 s33, s9, s13
	s_bitcmp1_b32 s38, 0
	v_cmp_gt_i32_e64 s0, 4, v28
	s_cselect_b32 s1, -1, 0
	v_mul_lo_u32 v13, s30, v0
	s_xor_b32 s52, s1, -1
	v_mov_b32_e32 v14, v15
	s_and_b32 s51, vcc_lo, s0
	s_load_dword s46, s[4:5], 0x23c
	v_lshlrev_b32_e32 v29, 2, v0
	v_lshlrev_b32_e32 v30, 3, v0
	v_mov_b32_e32 v16, 0
	s_waitcnt lgkmcnt(0)
	s_and_b32 s34, s14, 0xffff
	s_bfe_u32 s0, s14, 0xb0005
	s_lshl_b32 s53, s34, 2
	s_bfe_u32 s7, s34, 0x80008
	v_cvt_f32_u32_e32 v1, s53
	s_lshl_b32 s54, s7, 3
	s_cmpk_gt_u32 s36, 0x180
	v_cvt_f32_u32_e32 v2, s34
	s_cselect_b32 s55, -1, 0
	v_rcp_iflag_f32_e32 v1, v1
	s_cmp_gt_u32 s34, 31
	v_mad_u64_u32 v[20:21], null, s30, v29, s[30:31]
	s_cselect_b32 s56, -1, 0
	s_add_i32 s57, s34, -1
	v_mov_b32_e32 v5, 0
	s_add_i32 s9, s57, s36
	s_cmp_lt_u32 s6, s2
	v_mov_b32_e32 v21, 0
	v_mul_f32_e32 v1, 0x4f7ffffe, v1
	s_cselect_b32 s6, 12, 18
	v_cmp_gt_u32_e64 s2, s36, v0
	s_add_u32 s38, s10, s6
	s_addc_u32 s39, s11, 0
	s_add_i32 s0, s0, -1
	v_cvt_u32_f32_e32 v1, v1
	s_and_b32 s0, s0, 0xffff
	s_bfe_u32 s58, s34, 0x30005
	s_cmp_gt_u32 s0, 6
	v_add_nc_u32_e32 v32, 0xc00, v30
	v_readfirstlane_b32 s0, v1
	s_cselect_b32 s59, -1, 0
	s_cmp_lg_u32 s58, 0
	v_rcp_iflag_f32_e32 v1, v2
	s_cselect_b32 s60, -1, 0
	s_sub_i32 s6, 0, s53
	v_lshlrev_b32_e32 v36, 2, v13
	s_mul_i32 s7, s6, s0
	v_cmp_gt_u32_e64 s6, 2, v0
	s_mul_hi_u32 s7, s0, s7
	v_lshlrev_b32_e32 v38, 5, v0
	s_add_i32 s61, s0, s7
	v_cmp_eq_u32_e64 s0, 0, v28
	s_mul_hi_u32 s7, s36, s61
	v_mul_f32_e32 v3, 0x4f7ffffe, v1
	s_mul_i32 s7, s7, s53
	v_lshlrev_b64 v[1:2], 3, v[13:14]
	s_sub_i32 s7, s36, s7
	v_lshl_or_b32 v39, v28, 2, 0xc00
	s_sub_i32 s8, s7, s53
	s_cmp_ge_u32 s7, s53
	v_cvt_u32_f32_e32 v3, v3
	s_cselect_b32 s7, s8, s7
	v_add_co_u32 v11, vcc_lo, s31, v1
	s_sub_i32 s8, s7, s53
	s_cmp_ge_u32 s7, s53
	v_add_co_ci_u32_e64 v12, null, s33, v2, vcc_lo
	s_cselect_b32 s11, s8, s7
	v_lshlrev_b64 v[1:2], v28, -1
	s_sub_i32 s62, s36, s11
	v_readfirstlane_b32 s10, v3
	v_add_nc_u32_e32 v31, s62, v0
	s_sub_i32 s7, 0, s34
	s_movk_i32 s8, 0x1f0
	v_not_b32_e32 v27, v1
	s_mul_i32 s7, s7, s10
	v_mul_lo_u32 v14, v31, s30
	v_lshrrev_b32_e32 v1, 1, v0
	s_mul_hi_u32 s7, s10, s7
	v_or_b32_e32 v3, 3, v29
	s_add_i32 s63, s10, s7
	v_mov_b32_e32 v17, 0
	v_and_or_b32 v33, v1, s8, 0xc00
	s_mul_hi_u32 s7, s9, s63
	v_lshlrev_b64 v[1:2], 3, v[14:15]
	s_mul_i32 s7, s7, s34
	v_mul_lo_u32 v35, s30, v3
	s_sub_i32 s7, s9, s7
	v_mov_b32_e32 v6, 0
	s_sub_i32 s10, s7, s34
	v_add_co_u32 v18, vcc_lo, s31, v1
	v_add3_u32 v1, s34, s36, v0
	s_cmp_ge_u32 s7, s34
	v_add_co_ci_u32_e64 v19, null, s33, v2, vcc_lo
	s_cselect_b32 s8, s10, s7
	v_or_b32_e32 v2, 2, v29
	v_subrev_nc_u32_e32 v1, s11, v1
	s_sub_i32 s10, s8, s34
	s_cmp_ge_u32 s8, s34
	v_cmp_gt_u32_e64 s7, s62, v29
	s_cselect_b32 s10, s10, s8
	v_mul_lo_u32 v34, s30, v2
	v_mul_lo_u32 v37, s30, v1
	s_sub_i32 s64, s9, s10
	v_cmp_gt_u32_e64 s8, s36, v31
	v_cmp_gt_u32_e64 s9, s64, v0
	v_mov_b32_e32 v40, s37
	v_mov_b32_e32 v22, 0
	v_mov_b32_e32 v2, 0x3ff00000
	s_mul_i32 s40, s30, s34
	s_lshl_b32 s66, s34, 5
	s_lshl_b32 s65, s40, 2
	;; [unrolled: 1-line block ×3, first 2 shown]
	s_mov_b32 s73, 62
	s_mov_b32 s69, 0
                                        ; implicit-def: $sgpr68
                                        ; implicit-def: $sgpr72
                                        ; implicit-def: $sgpr71
                                        ; implicit-def: $sgpr74
                                        ; implicit-def: $sgpr70
                                        ; implicit-def: $sgpr78
                                        ; implicit-def: $sgpr79
                                        ; implicit-def: $sgpr75
                                        ; implicit-def: $sgpr77
                                        ; implicit-def: $sgpr76
	s_branch .LBB78_15
.LBB78_13:                              ;   in Loop: Header=BB78_15 Depth=1
	s_or_b32 exec_lo, exec_lo, s13
	v_mov_b32_e32 v40, v42
	s_andn2_b32 s13, s76, exec_lo
	s_and_b32 s12, s12, exec_lo
	s_andn2_b32 s77, s77, exec_lo
	s_or_b32 s76, s13, s12
	s_andn2_b32 s75, s75, exec_lo
	s_andn2_b32 s79, s79, exec_lo
	;; [unrolled: 1-line block ×3, first 2 shown]
	s_orn2_b32 s12, s11, exec_lo
.LBB78_14:                              ;   in Loop: Header=BB78_15 Depth=1
	s_or_b32 exec_lo, exec_lo, s10
	s_and_b32 s10, exec_lo, s12
	s_or_b32 s47, s10, s47
	s_andn2_b32 s10, s70, exec_lo
	s_and_b32 s11, s76, exec_lo
	s_andn2_b32 s12, s74, exec_lo
	s_or_b32 s70, s10, s11
	s_and_b32 s10, s77, exec_lo
	s_andn2_b32 s11, s71, exec_lo
	s_and_b32 s13, s75, exec_lo
	s_or_b32 s74, s12, s10
	s_or_b32 s71, s11, s13
	s_andn2_b32 s10, s72, exec_lo
	s_and_b32 s11, s79, exec_lo
	s_andn2_b32 s12, s68, exec_lo
	s_and_b32 s13, s78, exec_lo
	s_or_b32 s72, s10, s11
	s_or_b32 s68, s12, s13
	s_andn2_b32 exec_lo, exec_lo, s47
	s_cbranch_execz .LBB78_416
.LBB78_15:                              ; =>This Loop Header: Depth=1
                                        ;     Child Loop BB78_21 Depth 2
                                        ;     Child Loop BB78_34 Depth 2
	;; [unrolled: 1-line block ×24, first 2 shown]
	ds_read_b64 v[3:4], v15 offset:4096
	s_waitcnt lgkmcnt(0)
	v_readfirstlane_b32 s80, v3
	s_cmp_lg_u32 s80, 0
	s_cbranch_scc1 .LBB78_42
; %bb.16:                               ;   in Loop: Header=BB78_15 Depth=1
	s_and_b32 vcc_lo, exec_lo, s55
	s_cbranch_vccz .LBB78_29
; %bb.17:                               ;   in Loop: Header=BB78_15 Depth=1
	v_cmp_gt_u32_e32 vcc_lo, 0x181, v4
	s_mov_b32 s12, 0
	s_mov_b32 s10, 0
	s_cbranch_vccz .LBB78_30
; %bb.18:                               ;   in Loop: Header=BB78_15 Depth=1
	s_and_saveexec_b32 s13, s2
	s_cbranch_execz .LBB78_90
; %bb.19:                               ;   in Loop: Header=BB78_15 Depth=1
	global_load_ushort v1, v15, s[38:39]
	global_load_dwordx2 v[3:4], v[11:12], off
	v_mov_b32_e32 v10, v0
	s_mov_b32 s14, 0
	s_waitcnt vmcnt(1)
	v_add_nc_u32_e32 v7, v0, v1
	v_mul_lo_u32 v9, s30, v1
	v_mul_lo_u32 v14, s30, v7
	s_branch .LBB78_21
.LBB78_20:                              ;   in Loop: Header=BB78_21 Depth=2
	s_or_b32 exec_lo, exec_lo, s11
	v_mov_b32_e32 v3, v7
	v_add_nc_u32_e32 v14, v14, v9
	v_mov_b32_e32 v4, v8
	s_andn2_b32 exec_lo, exec_lo, s14
	s_cbranch_execz .LBB78_90
.LBB78_21:                              ;   Parent Loop BB78_15 Depth=1
                                        ; =>  This Inner Loop Header: Depth=2
	v_mov_b32_e32 v7, 0
	v_add_nc_u32_e32 v10, v10, v1
	v_mov_b32_e32 v8, 0
	s_mov_b32 s11, exec_lo
	v_cmp_le_u32_e32 vcc_lo, s36, v10
	v_cmpx_gt_u32_e64 s36, v10
	s_cbranch_execz .LBB78_23
; %bb.22:                               ;   in Loop: Header=BB78_21 Depth=2
	v_lshlrev_b64 v[7:8], 3, v[14:15]
	v_add_co_u32 v7, s10, s31, v7
	v_add_co_ci_u32_e64 v8, null, s33, v8, s10
	global_load_dwordx2 v[7:8], v[7:8], off
.LBB78_23:                              ;   in Loop: Header=BB78_21 Depth=2
	s_or_b32 exec_lo, exec_lo, s11
	s_waitcnt vmcnt(0)
	v_cmp_o_f64_e64 s10, v[3:4], v[3:4]
	s_waitcnt lgkmcnt(0)
	v_ashrrev_i32_e32 v23, 31, v4
	v_or_b32_e32 v24, 0x80000000, v23
	v_xor_b32_e32 v23, v23, v3
	v_xor_b32_e32 v24, v24, v4
	v_cndmask_b32_e64 v24, -1, v24, s10
	v_cndmask_b32_e64 v23, -1, v23, s10
	v_and_b32_e32 v24, v24, v22
	v_and_b32_e32 v23, v23, v21
	v_cmp_eq_u64_e64 s10, v[23:24], v[16:17]
	v_mov_b32_e32 v23, 0
	s_cmp_lg_u32 s10, 0
	s_cselect_b32 s11, -1, 0
	s_and_b32 s11, s0, s11
	s_and_saveexec_b32 s15, s11
	s_cbranch_execz .LBB78_27
; %bb.24:                               ;   in Loop: Header=BB78_21 Depth=2
	s_mov_b32 s18, exec_lo
	s_bcnt1_i32_b32 s16, s10
	v_mbcnt_lo_u32_b32 v23, s18, 0
	s_mov_b32 s17, exec_lo
                                        ; implicit-def: $vgpr24
	v_cmpx_eq_u32_e32 0, v23
; %bb.25:                               ;   in Loop: Header=BB78_21 Depth=2
	s_bcnt1_i32_b32 s11, s18
	s_mul_i32 s11, s16, s11
	v_mov_b32_e32 v24, s11
	ds_add_rtn_u32 v24, v15, v24 offset:4104
; %bb.26:                               ;   in Loop: Header=BB78_21 Depth=2
	s_or_b32 exec_lo, exec_lo, s17
	s_waitcnt lgkmcnt(0)
	v_readfirstlane_b32 s11, v24
	v_mad_u32_u24 v23, s16, v23, s11
.LBB78_27:                              ;   in Loop: Header=BB78_21 Depth=2
	s_or_b32 exec_lo, exec_lo, s15
	ds_bpermute_b32 v23, v15, v23
	s_and_b32 s11, exec_lo, vcc_lo
	s_or_b32 s14, s11, s14
	s_and_saveexec_b32 s11, s10
	s_cbranch_execz .LBB78_20
; %bb.28:                               ;   in Loop: Header=BB78_21 Depth=2
	v_and_b32_e32 v24, s10, v27
	v_bcnt_u32_b32 v24, v24, 0
	v_lshlrev_b32_e32 v24, 3, v24
	s_waitcnt lgkmcnt(0)
	v_lshl_add_u32 v23, v23, 3, v24
	ds_write_b64 v23, v[3:4]
	s_branch .LBB78_20
.LBB78_29:                              ;   in Loop: Header=BB78_15 Depth=1
	s_mov_b32 s12, -1
	s_mov_b32 s10, 0
.LBB78_30:                              ;   in Loop: Header=BB78_15 Depth=1
	s_and_b32 vcc_lo, exec_lo, s12
	s_cbranch_vccz .LBB78_40
.LBB78_31:                              ;   in Loop: Header=BB78_15 Depth=1
	s_and_saveexec_b32 s10, s2
	s_cbranch_execz .LBB78_37
; %bb.32:                               ;   in Loop: Header=BB78_15 Depth=1
	global_load_ushort v1, v15, s[38:39]
	global_load_dwordx2 v[3:4], v[11:12], off
	v_mov_b32_e32 v9, v0
	s_mov_b32 s11, exec_lo
	s_waitcnt vmcnt(1)
	v_add_nc_u32_e32 v7, v0, v1
	v_cmpx_gt_u32_e64 s36, v7
	s_cbranch_execz .LBB78_36
; %bb.33:                               ;   in Loop: Header=BB78_15 Depth=1
	v_mul_lo_u32 v14, s30, v7
	v_mul_lo_u32 v10, s30, v1
	v_lshlrev_b32_e32 v23, 3, v1
	v_mov_b32_e32 v24, v30
	v_mov_b32_e32 v9, v0
	s_mov_b32 s12, 0
	.p2align	6
.LBB78_34:                              ;   Parent Loop BB78_15 Depth=1
                                        ; =>  This Inner Loop Header: Depth=2
	v_lshlrev_b64 v[7:8], 3, v[14:15]
	v_add_nc_u32_e32 v9, v9, v1
	s_waitcnt vmcnt(0)
	ds_write_b64 v24, v[3:4]
	v_add_nc_u32_e32 v24, v24, v23
	v_add_nc_u32_e32 v14, v14, v10
	;; [unrolled: 1-line block ×3, first 2 shown]
	v_add_co_u32 v7, vcc_lo, s31, v7
	v_add_co_ci_u32_e64 v8, null, s33, v8, vcc_lo
	v_cmp_le_u32_e32 vcc_lo, s36, v25
	global_load_dwordx2 v[7:8], v[7:8], off
	s_or_b32 s12, vcc_lo, s12
	s_waitcnt vmcnt(0)
	v_mov_b32_e32 v3, v7
	v_mov_b32_e32 v4, v8
	s_andn2_b32 exec_lo, exec_lo, s12
	s_cbranch_execnz .LBB78_34
; %bb.35:                               ;   in Loop: Header=BB78_15 Depth=1
	s_or_b32 exec_lo, exec_lo, s12
	v_mov_b32_e32 v3, v7
	v_mov_b32_e32 v4, v8
.LBB78_36:                              ;   in Loop: Header=BB78_15 Depth=1
	s_or_b32 exec_lo, exec_lo, s11
	v_lshlrev_b32_e32 v1, 3, v9
	s_waitcnt vmcnt(0)
	ds_write_b64 v1, v[3:4]
.LBB78_37:                              ;   in Loop: Header=BB78_15 Depth=1
	s_or_b32 exec_lo, exec_lo, s10
	s_waitcnt lgkmcnt(0)
	s_barrier
	buffer_gl0_inv
	s_and_saveexec_b32 s10, s3
; %bb.38:                               ;   in Loop: Header=BB78_15 Depth=1
	v_mov_b32_e32 v1, s36
	ds_write_b32 v15, v1 offset:4096
; %bb.39:                               ;   in Loop: Header=BB78_15 Depth=1
	s_or_b32 exec_lo, exec_lo, s10
	s_mov_b32 s10, -1
	s_waitcnt lgkmcnt(0)
	s_barrier
.LBB78_40:                              ;   in Loop: Header=BB78_15 Depth=1
	s_and_b32 vcc_lo, exec_lo, s10
	s_mov_b32 s80, 0
	s_cbranch_vccz .LBB78_42
; %bb.41:                               ;   in Loop: Header=BB78_15 Depth=1
	buffer_gl0_inv
	ds_read_b32 v1, v15 offset:4096
	s_waitcnt lgkmcnt(0)
	v_readfirstlane_b32 s80, v1
.LBB78_42:                              ;   in Loop: Header=BB78_15 Depth=1
	s_cmp_lt_i32 s80, 1
	s_mov_b32 s10, -1
                                        ; implicit-def: $vgpr7
	s_cbranch_scc1 .LBB78_52
; %bb.43:                               ;   in Loop: Header=BB78_15 Depth=1
	s_and_b32 vcc_lo, exec_lo, s10
	s_cbranch_vccnz .LBB78_63
.LBB78_44:                              ;   in Loop: Header=BB78_15 Depth=1
	s_lshl_b32 s10, s69, 7
	s_and_saveexec_b32 s11, s0
.LBB78_45:                              ;   in Loop: Header=BB78_15 Depth=1
	v_lshl_add_u32 v1, s10, 2, v33
	ds_write_b128 v1, v[7:10]
.LBB78_46:                              ;   in Loop: Header=BB78_15 Depth=1
	s_or_b32 exec_lo, exec_lo, s11
	s_waitcnt lgkmcnt(0)
	s_barrier
	buffer_gl0_inv
	s_and_saveexec_b32 s11, s51
	s_cbranch_execz .LBB78_76
; %bb.47:                               ;   in Loop: Header=BB78_15 Depth=1
	v_mov_b32_e32 v1, 0
	s_andn2_b32 vcc_lo, exec_lo, s56
	s_cbranch_vccnz .LBB78_75
; %bb.48:                               ;   in Loop: Header=BB78_15 Depth=1
	s_andn2_b32 vcc_lo, exec_lo, s59
	s_cbranch_vccnz .LBB78_72
; %bb.49:                               ;   in Loop: Header=BB78_15 Depth=1
	v_lshl_add_u32 v3, s69, 9, v39
	v_mov_b32_e32 v1, 0
	s_mov_b32 s12, 0
	.p2align	6
.LBB78_50:                              ;   Parent Loop BB78_15 Depth=1
                                        ; =>  This Inner Loop Header: Depth=2
	ds_read2_b32 v[7:8], v3 offset1:4
	ds_read2_b32 v[9:10], v3 offset0:8 offset1:12
	ds_read2_b32 v[23:24], v3 offset0:16 offset1:20
	;; [unrolled: 1-line block ×3, first 2 shown]
	v_add_nc_u32_e32 v3, 0x80, v3
	s_add_i32 s12, s12, 8
	s_cmp_eq_u32 s54, s12
	s_waitcnt lgkmcnt(3)
	v_add3_u32 v1, v7, v1, v8
	s_waitcnt lgkmcnt(2)
	v_add3_u32 v1, v9, v1, v10
	;; [unrolled: 2-line block ×4, first 2 shown]
	s_cbranch_scc0 .LBB78_50
; %bb.51:                               ;   in Loop: Header=BB78_15 Depth=1
	s_mov_b32 s12, s54
	s_andn2_b32 vcc_lo, exec_lo, s60
	s_cbranch_vccz .LBB78_73
	s_branch .LBB78_75
.LBB78_52:                              ;   in Loop: Header=BB78_15 Depth=1
	v_mov_b32_e32 v7, 0
	v_mov_b32_e32 v8, 0
	v_mov_b32_e32 v9, 0
	v_mov_b32_e32 v10, 0
	s_and_saveexec_b32 s24, s7
	s_cbranch_execz .LBB78_56
; %bb.53:                               ;   in Loop: Header=BB78_15 Depth=1
	v_mov_b32_e32 v1, v29
	s_mov_b32 s25, 0
	s_mov_b32 s26, 0
	s_mov_b32 s27, 0
	s_mov_b32 s28, 0
	s_mov_b32 s29, 0
	s_mov_b32 s81, 0
.LBB78_54:                              ;   Parent Loop BB78_15 Depth=1
                                        ; =>  This Inner Loop Header: Depth=2
	v_add_nc_u32_e32 v14, s26, v36
	v_mov_b32_e32 v25, v15
	v_mov_b32_e32 v42, v15
	;; [unrolled: 1-line block ×3, first 2 shown]
	v_add_nc_u32_e32 v1, s53, v1
	v_lshlrev_b64 v[3:4], 3, v[14:15]
	v_add_nc_u32_e32 v14, s26, v20
	v_lshlrev_b64 v[7:8], 3, v[14:15]
	v_add_nc_u32_e32 v14, s26, v34
	v_add_co_u32 v3, vcc_lo, s31, v3
	v_add_co_ci_u32_e64 v4, null, s33, v4, vcc_lo
	v_lshlrev_b64 v[9:10], 3, v[14:15]
	v_add_nc_u32_e32 v14, s26, v35
	v_add_co_u32 v7, vcc_lo, s31, v7
	global_load_dwordx2 v[3:4], v[3:4], off
	v_add_co_ci_u32_e64 v8, null, s33, v8, vcc_lo
	v_lshlrev_b64 v[23:24], 3, v[14:15]
	v_add_co_u32 v9, vcc_lo, s31, v9
	v_add_co_ci_u32_e64 v10, null, s33, v10, vcc_lo
	s_clause 0x1
	global_load_dwordx2 v[7:8], v[7:8], off
	global_load_dwordx2 v[9:10], v[9:10], off
	v_add_co_u32 v23, vcc_lo, s31, v23
	v_add_co_ci_u32_e64 v24, null, s33, v24, vcc_lo
	v_cmp_le_u32_e32 vcc_lo, s62, v1
	s_add_i32 s26, s26, s65
	global_load_dwordx2 v[23:24], v[23:24], off
	s_waitcnt vmcnt(3)
	v_cmp_o_f64_e64 s10, v[3:4], v[3:4]
	v_ashrrev_i32_e32 v14, 31, v4
	v_or_b32_e32 v41, 0x80000000, v14
	v_xor_b32_e32 v14, v14, v3
	s_waitcnt vmcnt(2)
	v_cmp_o_f64_e64 s11, v[7:8], v[7:8]
	s_waitcnt vmcnt(1)
	v_cmp_o_f64_e64 s12, v[9:10], v[9:10]
	v_xor_b32_e32 v41, v41, v4
	v_ashrrev_i32_e32 v44, 31, v10
	v_ashrrev_i32_e32 v43, 31, v8
	v_or_b32_e32 v3, 0x80000000, v44
	s_waitcnt vmcnt(0)
	v_cmp_o_f64_e64 s13, v[23:24], v[23:24]
	v_or_b32_e32 v45, 0x80000000, v43
	v_xor_b32_e32 v43, v43, v7
	v_xor_b32_e32 v47, v44, v9
	v_cndmask_b32_e64 v4, -1, v41, s10
	v_ashrrev_i32_e32 v41, 31, v24
	v_xor_b32_e32 v3, v3, v10
	v_xor_b32_e32 v45, v45, v8
	v_and_b32_e32 v10, v4, v22
	v_or_b32_e32 v7, 0x80000000, v41
	v_xor_b32_e32 v41, v41, v23
	v_cndmask_b32_e64 v8, -1, v45, s11
	v_cndmask_b32_e64 v23, -1, v47, s12
	v_xor_b32_e32 v7, v7, v24
	v_cndmask_b32_e64 v24, -1, v3, s12
	v_cndmask_b32_e64 v3, -1, v14, s10
	v_and_b32_e32 v44, v8, v22
	v_and_b32_e32 v47, v23, v21
	;; [unrolled: 1-line block ×4, first 2 shown]
	v_lshrrev_b64 v[3:4], s73, v[3:4]
	v_cndmask_b32_e64 v46, -1, v7, s13
	v_cndmask_b32_e64 v7, -1, v43, s11
	;; [unrolled: 1-line block ×3, first 2 shown]
	v_cmp_eq_u64_e64 s10, v[9:10], v[16:17]
	v_cmp_eq_u64_e64 s16, v[47:48], v[16:17]
	v_and_b32_e32 v14, 3, v3
	v_and_b32_e32 v43, v7, v21
	v_lshrrev_b64 v[7:8], s73, v[7:8]
	v_lshrrev_b64 v[3:4], s73, v[23:24]
	v_and_b32_e32 v49, v46, v22
	v_cmp_eq_u64_e64 s12, 0, v[14:15]
	v_cmp_eq_u64_e64 s13, 1, v[14:15]
	;; [unrolled: 1-line block ×3, first 2 shown]
	v_and_b32_e32 v24, 3, v7
	v_cmp_eq_u64_e64 s15, 3, v[14:15]
	v_cmp_eq_u64_e64 s11, v[43:44], v[16:17]
	s_and_b32 s12, s10, s12
	v_and_b32_e32 v41, 3, v3
	v_cmp_eq_u64_e64 s17, 0, v[24:25]
	v_cmp_eq_u64_e64 s18, 1, v[24:25]
	v_cmp_eq_u64_e64 s19, 2, v[24:25]
	v_lshrrev_b64 v[7:8], s73, v[45:46]
	v_cndmask_b32_e64 v3, 0, 1, s12
	s_and_b32 s12, s10, s13
	v_cmp_eq_u64_e64 s20, 3, v[24:25]
	v_cndmask_b32_e64 v4, 0, 1, s12
	s_and_b32 s12, s10, s14
	s_and_b32 s10, s10, s15
	v_cndmask_b32_e64 v8, 0, 1, s12
	v_cmp_eq_u64_e64 s12, 0, v[41:42]
	v_cmp_eq_u64_e64 s13, 1, v[41:42]
	v_cndmask_b32_e64 v9, 0, 1, s10
	s_and_b32 s17, s11, s17
	s_and_b32 s18, s11, s18
	;; [unrolled: 1-line block ×3, first 2 shown]
	v_and_b32_e32 v48, v45, v21
	v_and_b32_e32 v25, 3, v7
	v_cmp_eq_u64_e64 s14, 2, v[41:42]
	v_cmp_eq_u64_e64 s15, 3, v[41:42]
	v_cmp_ne_u32_e64 s21, 0, v3
	v_cndmask_b32_e64 v3, 0, 1, s17
	v_cmp_ne_u32_e64 s17, 0, v4
	v_cndmask_b32_e64 v4, 0, 1, s18
	v_cndmask_b32_e64 v7, 0, 1, s19
	s_and_b32 s11, s11, s20
	v_cmp_ne_u32_e64 s18, 0, v8
	v_cndmask_b32_e64 v8, 0, 1, s11
	v_cmp_ne_u32_e64 s19, 0, v9
	s_and_b32 s12, s16, s12
	s_and_b32 s13, s16, s13
	v_cmp_eq_u64_e64 s10, v[48:49], v[16:17]
	v_cmp_eq_u64_e64 s11, 0, v[25:26]
	;; [unrolled: 1-line block ×5, first 2 shown]
	s_bcnt1_i32_b32 s82, s21
	v_cmp_ne_u32_e64 s21, 0, v3
	v_cndmask_b32_e64 v3, 0, 1, s12
	v_cmp_ne_u32_e64 s12, 0, v4
	v_cndmask_b32_e64 v4, 0, 1, s13
	v_cmp_ne_u32_e64 s13, 0, v7
	s_and_b32 s14, s16, s14
	s_and_b32 s15, s16, s15
	v_cndmask_b32_e64 v7, 0, 1, s14
	v_cmp_ne_u32_e64 s14, 0, v8
	v_cndmask_b32_e64 v8, 0, 1, s15
	s_bcnt1_i32_b32 s19, s19
	s_and_b32 s11, s10, s11
	s_add_i32 s19, s19, s27
	s_bcnt1_i32_b32 s27, s12
	s_and_b32 s12, s10, s20
	s_bcnt1_i32_b32 s20, s13
	s_and_b32 s13, s10, s22
	s_and_b32 s10, s10, s23
	v_cmp_ne_u32_e64 s15, 0, v3
	v_cndmask_b32_e64 v3, 0, 1, s11
	v_cmp_ne_u32_e64 s11, 0, v4
	v_cndmask_b32_e64 v4, 0, 1, s12
	;; [unrolled: 2-line block ×4, first 2 shown]
	s_bcnt1_i32_b32 s18, s18
	s_add_i32 s16, s82, s81
	s_add_i32 s18, s18, s28
	s_bcnt1_i32_b32 s21, s21
	s_bcnt1_i32_b32 s14, s14
	;; [unrolled: 1-line block ×3, first 2 shown]
	s_add_i32 s16, s16, s21
	s_add_i32 s18, s18, s20
	;; [unrolled: 1-line block ×3, first 2 shown]
	v_cmp_ne_u32_e64 s10, 0, v3
	s_bcnt1_i32_b32 s19, s11
	v_cmp_ne_u32_e64 s11, 0, v4
	s_bcnt1_i32_b32 s20, s12
	;; [unrolled: 2-line block ×3, first 2 shown]
	v_cmp_ne_u32_e64 s13, 0, v8
	s_add_i32 s17, s17, s29
	s_bcnt1_i32_b32 s15, s15
	s_add_i32 s17, s17, s27
	s_add_i32 s15, s16, s15
	;; [unrolled: 1-line block ×5, first 2 shown]
	s_bcnt1_i32_b32 s10, s10
	s_bcnt1_i32_b32 s11, s11
	;; [unrolled: 1-line block ×4, first 2 shown]
	s_add_i32 s81, s15, s10
	s_add_i32 s29, s16, s11
	;; [unrolled: 1-line block ×4, first 2 shown]
	v_mov_b32_e32 v7, s81
	v_mov_b32_e32 v8, s29
	;; [unrolled: 1-line block ×4, first 2 shown]
	s_or_b32 s25, vcc_lo, s25
	s_andn2_b32 exec_lo, exec_lo, s25
	s_cbranch_execnz .LBB78_54
; %bb.55:                               ;   in Loop: Header=BB78_15 Depth=1
	s_or_b32 exec_lo, exec_lo, s25
.LBB78_56:                              ;   in Loop: Header=BB78_15 Depth=1
	s_or_b32 exec_lo, exec_lo, s24
	s_and_saveexec_b32 s14, s8
	s_cbranch_execz .LBB78_62
; %bb.57:                               ;   in Loop: Header=BB78_15 Depth=1
	global_load_dwordx2 v[25:26], v[18:19], off
	v_mov_b32_e32 v3, v37
	v_mov_b32_e32 v1, v31
	s_mov_b32 s15, 0
	s_branch .LBB78_59
.LBB78_58:                              ;   in Loop: Header=BB78_59 Depth=2
	s_or_b32 exec_lo, exec_lo, s11
	s_waitcnt vmcnt(0)
	v_cmp_o_f64_e64 s10, v[25:26], v[25:26]
	v_ashrrev_i32_e32 v4, 31, v26
	s_and_b32 s12, exec_lo, vcc_lo
	v_add_nc_u32_e32 v3, s40, v3
	s_or_b32 s15, s12, s15
	v_or_b32_e32 v14, 0x80000000, v4
	v_xor_b32_e32 v4, v4, v25
	v_xor_b32_e32 v14, v14, v26
	v_cndmask_b32_e64 v26, -1, v14, s10
	v_cndmask_b32_e64 v25, -1, v4, s10
	v_lshrrev_b64 v[41:42], s73, v[25:26]
	v_and_b32_e32 v26, v26, v22
	v_and_b32_e32 v25, v25, v21
	v_and_b32_e32 v14, 3, v41
	v_cmp_eq_u64_e64 s10, v[25:26], v[16:17]
	v_cmp_eq_u64_e64 s11, 0, v[14:15]
	v_cmp_eq_u64_e32 vcc_lo, 1, v[14:15]
	v_cmp_eq_u64_e64 s12, 2, v[14:15]
	v_cmp_eq_u64_e64 s13, 3, v[14:15]
	s_and_b32 s11, s10, s11
	v_cndmask_b32_e64 v4, 0, 1, s11
	s_and_b32 s11, s10, vcc_lo
	v_cndmask_b32_e64 v14, 0, 1, s11
	s_and_b32 s11, s10, s12
	s_and_b32 s10, s10, s13
	v_cndmask_b32_e64 v25, 0, 1, s11
	v_cndmask_b32_e64 v26, 0, 1, s10
	v_cmp_ne_u32_e32 vcc_lo, 0, v4
	v_cmp_ne_u32_e64 s10, 0, v14
	v_cmp_ne_u32_e64 s11, 0, v25
	;; [unrolled: 1-line block ×3, first 2 shown]
	s_bcnt1_i32_b32 s13, vcc_lo
	s_bcnt1_i32_b32 s10, s10
	v_mov_b32_e32 v26, v24
	s_bcnt1_i32_b32 s11, s11
	s_bcnt1_i32_b32 s12, s12
	v_add_nc_u32_e32 v7, s13, v7
	v_add_nc_u32_e32 v8, s10, v8
	;; [unrolled: 1-line block ×4, first 2 shown]
	v_mov_b32_e32 v25, v23
	s_andn2_b32 exec_lo, exec_lo, s15
	s_cbranch_execz .LBB78_61
.LBB78_59:                              ;   Parent Loop BB78_15 Depth=1
                                        ; =>  This Inner Loop Header: Depth=2
	v_mov_b32_e32 v23, 0
	v_add_nc_u32_e32 v1, s34, v1
	v_mov_b32_e32 v24, 0
	s_mov_b32 s11, exec_lo
	v_cmp_le_u32_e32 vcc_lo, s36, v1
	v_cmpx_gt_u32_e64 s36, v1
	s_cbranch_execz .LBB78_58
; %bb.60:                               ;   in Loop: Header=BB78_59 Depth=2
	v_mov_b32_e32 v4, v15
	v_lshlrev_b64 v[23:24], 3, v[3:4]
	v_add_co_u32 v23, s10, s31, v23
	v_add_co_ci_u32_e64 v24, null, s33, v24, s10
	global_load_dwordx2 v[23:24], v[23:24], off
	s_branch .LBB78_58
.LBB78_61:                              ;   in Loop: Header=BB78_15 Depth=1
	s_or_b32 exec_lo, exec_lo, s15
.LBB78_62:                              ;   in Loop: Header=BB78_15 Depth=1
	s_or_b32 exec_lo, exec_lo, s14
	s_branch .LBB78_44
.LBB78_63:                              ;   in Loop: Header=BB78_15 Depth=1
	s_mul_hi_u32 s10, s80, s61
	v_mov_b32_e32 v7, 0
	s_mul_i32 s10, s10, s53
	v_mov_b32_e32 v8, 0
	s_sub_i32 s10, s80, s10
	v_mov_b32_e32 v9, 0
	s_sub_i32 s11, s10, s53
	s_cmp_ge_u32 s10, s53
	v_mov_b32_e32 v10, 0
	s_cselect_b32 s10, s11, s10
	s_mov_b32 s82, exec_lo
	s_sub_i32 s11, s10, s53
	s_cmp_ge_u32 s10, s53
	s_cselect_b32 s10, s11, s10
	s_sub_i32 s81, s80, s10
	v_cmpx_gt_u32_e64 s81, v29
	s_cbranch_execz .LBB78_67
; %bb.64:                               ;   in Loop: Header=BB78_15 Depth=1
	v_mov_b32_e32 v1, v38
	v_mov_b32_e32 v3, v29
	s_mov_b32 s83, 0
	s_mov_b32 s84, 0
	;; [unrolled: 1-line block ×5, first 2 shown]
.LBB78_65:                              ;   Parent Loop BB78_15 Depth=1
                                        ; =>  This Inner Loop Header: Depth=2
	ds_read_b128 v[7:10], v1
	ds_read_b128 v[23:26], v1 offset:16
	v_mov_b32_e32 v42, v15
	v_mov_b32_e32 v44, v15
	;; [unrolled: 1-line block ×3, first 2 shown]
	v_add_nc_u32_e32 v3, s53, v3
	v_add_nc_u32_e32 v1, s66, v1
	v_cmp_le_u32_e32 vcc_lo, s81, v3
	s_waitcnt lgkmcnt(1)
	v_cmp_o_f64_e64 s10, v[7:8], v[7:8]
	v_cmp_o_f64_e64 s11, v[9:10], v[9:10]
	s_waitcnt lgkmcnt(0)
	v_cmp_o_f64_e64 s12, v[23:24], v[23:24]
	v_cmp_o_f64_e64 s13, v[25:26], v[25:26]
	v_ashrrev_i32_e32 v4, 31, v8
	v_ashrrev_i32_e32 v14, 31, v10
	;; [unrolled: 1-line block ×4, first 2 shown]
	v_or_b32_e32 v45, 0x80000000, v4
	v_or_b32_e32 v47, 0x80000000, v14
	;; [unrolled: 1-line block ×4, first 2 shown]
	v_xor_b32_e32 v4, v4, v7
	v_xor_b32_e32 v45, v45, v8
	;; [unrolled: 1-line block ×8, first 2 shown]
	v_cndmask_b32_e64 v8, -1, v45, s10
	v_cndmask_b32_e64 v10, -1, v7, s11
	;; [unrolled: 1-line block ×7, first 2 shown]
	v_and_b32_e32 v48, v8, v22
	v_and_b32_e32 v47, v7, v21
	v_lshrrev_b64 v[7:8], s73, v[7:8]
	v_cndmask_b32_e64 v25, -1, v43, s13
	v_and_b32_e32 v49, v9, v21
	v_lshrrev_b64 v[8:9], s73, v[9:10]
	v_and_b32_e32 v50, v10, v22
	v_lshrrev_b64 v[9:10], s73, v[23:24]
	v_and_b32_e32 v52, v24, v22
	v_and_b32_e32 v51, v23, v21
	v_lshrrev_b64 v[23:24], s73, v[25:26]
	v_and_b32_e32 v14, 3, v7
	v_and_b32_e32 v41, 3, v8
	;; [unrolled: 1-line block ×3, first 2 shown]
	v_cmp_eq_u64_e64 s10, v[47:48], v[16:17]
	v_and_b32_e32 v54, v26, v22
	v_cmp_eq_u64_e64 s14, 0, v[14:15]
	v_and_b32_e32 v53, v25, v21
	v_and_b32_e32 v45, 3, v23
	v_cmp_eq_u64_e64 s11, v[49:50], v[16:17]
	v_cmp_eq_u64_e64 s15, 0, v[41:42]
	;; [unrolled: 1-line block ×6, first 2 shown]
	s_and_b32 s14, s10, s14
	v_cmp_eq_u64_e64 s18, 1, v[14:15]
	v_cndmask_b32_e64 v4, 0, 1, s14
	s_and_b32 s14, s11, s15
	v_cmp_eq_u64_e64 s19, 1, v[41:42]
	v_cndmask_b32_e64 v7, 0, 1, s14
	;; [unrolled: 3-line block ×4, first 2 shown]
	s_and_b32 s14, s10, s18
	v_cmp_eq_u64_e64 s22, 2, v[14:15]
	v_cmp_eq_u64_e64 s26, 3, v[14:15]
	v_cndmask_b32_e64 v10, 0, 1, s14
	s_and_b32 s14, s11, s19
	v_cmp_eq_u64_e64 s23, 2, v[41:42]
	v_cmp_eq_u64_e64 s27, 3, v[41:42]
	v_cndmask_b32_e64 v14, 0, 1, s14
	;; [unrolled: 4-line block ×4, first 2 shown]
	s_and_b32 s14, s10, s22
	s_and_b32 s10, s10, s26
	v_cndmask_b32_e64 v25, 0, 1, s14
	s_and_b32 s14, s11, s23
	v_cndmask_b32_e64 v43, 0, 1, s10
	;; [unrolled: 2-line block ×7, first 2 shown]
	v_cndmask_b32_e64 v46, 0, 1, s10
	v_cmp_ne_u32_e64 s10, 0, v4
	v_cmp_ne_u32_e64 s14, 0, v10
	;; [unrolled: 1-line block ×12, first 2 shown]
	s_bcnt1_i32_b32 s10, s10
	s_bcnt1_i32_b32 s14, s14
	;; [unrolled: 1-line block ×4, first 2 shown]
	v_cmp_ne_u32_e64 s13, 0, v9
	v_cmp_ne_u32_e64 s17, 0, v24
	;; [unrolled: 1-line block ×4, first 2 shown]
	s_bcnt1_i32_b32 s11, s11
	s_bcnt1_i32_b32 s15, s15
	s_bcnt1_i32_b32 s19, s19
	s_bcnt1_i32_b32 s23, s23
	s_add_i32 s10, s10, s87
	s_add_i32 s14, s14, s86
	s_add_i32 s18, s18, s85
	s_add_i32 s22, s22, s84
	s_bcnt1_i32_b32 s12, s12
	s_bcnt1_i32_b32 s16, s16
	s_bcnt1_i32_b32 s20, s20
	s_bcnt1_i32_b32 s24, s24
	s_add_i32 s10, s10, s11
	s_add_i32 s11, s14, s15
	s_add_i32 s14, s18, s19
	s_add_i32 s15, s22, s23
	;; [unrolled: 8-line block ×3, first 2 shown]
	s_add_i32 s87, s10, s13
	s_add_i32 s86, s11, s17
	;; [unrolled: 1-line block ×4, first 2 shown]
	v_mov_b32_e32 v7, s87
	v_mov_b32_e32 v8, s86
	;; [unrolled: 1-line block ×4, first 2 shown]
	s_or_b32 s83, vcc_lo, s83
	s_andn2_b32 exec_lo, exec_lo, s83
	s_cbranch_execnz .LBB78_65
; %bb.66:                               ;   in Loop: Header=BB78_15 Depth=1
	s_or_b32 exec_lo, exec_lo, s83
.LBB78_67:                              ;   in Loop: Header=BB78_15 Depth=1
	s_or_b32 exec_lo, exec_lo, s82
	v_add_nc_u32_e32 v1, s81, v0
	s_mov_b32 s15, exec_lo
	v_cmpx_gt_u32_e64 s80, v1
	s_cbranch_execz .LBB78_71
; %bb.68:                               ;   in Loop: Header=BB78_15 Depth=1
	v_lshlrev_b32_e32 v3, 3, v1
	s_mov_b32 s16, 0
.LBB78_69:                              ;   Parent Loop BB78_15 Depth=1
                                        ; =>  This Inner Loop Header: Depth=2
	ds_read_b64 v[23:24], v3
	v_add_nc_u32_e32 v1, s34, v1
	v_add_nc_u32_e32 v3, s67, v3
	v_cmp_le_u32_e64 s10, s80, v1
	s_waitcnt lgkmcnt(0)
	v_cmp_o_f64_e32 vcc_lo, v[23:24], v[23:24]
	v_ashrrev_i32_e32 v4, 31, v24
	v_or_b32_e32 v14, 0x80000000, v4
	v_xor_b32_e32 v4, v4, v23
	v_xor_b32_e32 v14, v14, v24
	v_cndmask_b32_e32 v24, -1, v14, vcc_lo
	v_cndmask_b32_e32 v23, -1, v4, vcc_lo
	v_and_b32_e32 v26, v24, v22
	v_and_b32_e32 v25, v23, v21
	v_lshrrev_b64 v[23:24], s73, v[23:24]
	v_cmp_eq_u64_e32 vcc_lo, v[25:26], v[16:17]
	v_and_b32_e32 v14, 3, v23
	v_cmp_eq_u64_e64 s11, 0, v[14:15]
	v_cmp_eq_u64_e64 s12, 1, v[14:15]
	;; [unrolled: 1-line block ×4, first 2 shown]
	s_and_b32 s11, vcc_lo, s11
	v_cndmask_b32_e64 v4, 0, 1, s11
	s_and_b32 s11, vcc_lo, s12
	v_cndmask_b32_e64 v14, 0, 1, s11
	;; [unrolled: 2-line block ×3, first 2 shown]
	s_and_b32 s11, vcc_lo, s14
	v_cmp_ne_u32_e32 vcc_lo, 0, v4
	v_cndmask_b32_e64 v24, 0, 1, s11
	v_cmp_ne_u32_e64 s11, 0, v14
	v_cmp_ne_u32_e64 s12, 0, v23
	s_bcnt1_i32_b32 s14, vcc_lo
	v_cmp_ne_u32_e64 s13, 0, v24
	s_bcnt1_i32_b32 s11, s11
	s_bcnt1_i32_b32 s12, s12
	v_add_nc_u32_e32 v7, s14, v7
	v_add_nc_u32_e32 v8, s11, v8
	s_bcnt1_i32_b32 s13, s13
	v_add_nc_u32_e32 v9, s12, v9
	v_add_nc_u32_e32 v10, s13, v10
	s_or_b32 s16, s10, s16
	s_andn2_b32 exec_lo, exec_lo, s16
	s_cbranch_execnz .LBB78_69
; %bb.70:                               ;   in Loop: Header=BB78_15 Depth=1
	s_or_b32 exec_lo, exec_lo, s16
.LBB78_71:                              ;   in Loop: Header=BB78_15 Depth=1
	s_or_b32 exec_lo, exec_lo, s15
	s_lshl_b32 s10, s69, 7
	s_and_saveexec_b32 s11, s0
	s_cbranch_execnz .LBB78_45
	s_branch .LBB78_46
.LBB78_72:                              ;   in Loop: Header=BB78_15 Depth=1
	v_mov_b32_e32 v1, 0
	s_mov_b32 s12, 0
	s_andn2_b32 vcc_lo, exec_lo, s60
	s_cbranch_vccnz .LBB78_75
.LBB78_73:                              ;   in Loop: Header=BB78_15 Depth=1
	s_lshl_b32 s13, s69, 9
	s_lshl_b32 s12, s12, 4
	v_add3_u32 v3, s13, s12, v39
	s_mov_b32 s12, s58
.LBB78_74:                              ;   Parent Loop BB78_15 Depth=1
                                        ; =>  This Inner Loop Header: Depth=2
	ds_read_b32 v4, v3
	v_add_nc_u32_e32 v3, 16, v3
	s_add_i32 s12, s12, -1
	s_cmp_lg_u32 s12, 0
	s_waitcnt lgkmcnt(0)
	v_add_nc_u32_e32 v1, v4, v1
	s_cbranch_scc1 .LBB78_74
.LBB78_75:                              ;   in Loop: Header=BB78_15 Depth=1
	v_add_lshl_u32 v3, s10, v28, 2
	ds_write_b32 v3, v1 offset:3072
.LBB78_76:                              ;   in Loop: Header=BB78_15 Depth=1
	s_or_b32 exec_lo, exec_lo, s11
	s_lshl_b32 s10, s10, 2
	s_waitcnt lgkmcnt(0)
	v_mov_b32_e32 v1, s10
	s_barrier
	buffer_gl0_inv
	v_cmp_eq_u32_e64 s10, 1, v40
	s_lshl_b64 s[12:13], 3, s73
	ds_read_b128 v[7:10], v1 offset:3072
	s_mov_b32 s24, -1
	s_not_b64 s[14:15], s[12:13]
	s_mov_b32 s16, 0
	s_andn2_b32 vcc_lo, exec_lo, s52
	s_mov_b32 s21, 0
	s_mov_b32 s11, 0
                                        ; implicit-def: $sgpr22
                                        ; implicit-def: $sgpr23
                                        ; implicit-def: $vgpr42
                                        ; implicit-def: $vgpr41
                                        ; implicit-def: $vgpr25_vgpr26
                                        ; implicit-def: $vgpr23_vgpr24
	s_waitcnt lgkmcnt(0)
	v_readfirstlane_b32 s17, v7
	v_readfirstlane_b32 s18, v8
	;; [unrolled: 1-line block ×4, first 2 shown]
                                        ; implicit-def: $vgpr9_vgpr10
	s_cbranch_vccnz .LBB78_245
; %bb.77:                               ;   in Loop: Header=BB78_15 Depth=1
	s_cmp_eq_u32 s17, 1
	v_mov_b32_e32 v26, v17
	v_mov_b32_e32 v24, v22
	;; [unrolled: 1-line block ×6, first 2 shown]
	s_cselect_b32 s11, -1, 0
	s_mov_b32 s27, -1
	s_and_b32 s26, s11, s10
                                        ; implicit-def: $sgpr23
                                        ; implicit-def: $sgpr22
	s_and_saveexec_b32 s11, s26
	s_cbranch_execz .LBB78_108
; %bb.78:                               ;   in Loop: Header=BB78_15 Depth=1
	ds_read_b32 v1, v15 offset:4096
	s_waitcnt lgkmcnt(0)
	s_barrier
	buffer_gl0_inv
	v_readfirstlane_b32 s24, v1
	s_and_saveexec_b32 s21, s6
; %bb.79:                               ;   in Loop: Header=BB78_15 Depth=1
	v_mov_b32_e32 v14, v15
	ds_write_b64 v32, v[14:15]
; %bb.80:                               ;   in Loop: Header=BB78_15 Depth=1
	s_or_b32 exec_lo, exec_lo, s21
	v_and_b32_e32 v26, s15, v17
	v_and_b32_e32 v25, s14, v16
	v_or_b32_e32 v24, s13, v22
	v_or_b32_e32 v23, s12, v21
	s_mov_b32 s22, -1
	s_mov_b32 s23, 0
	s_cmp_eq_u32 s24, 0
	s_mov_b32 s21, 0
	s_mov_b32 s25, -1
	s_waitcnt lgkmcnt(0)
	s_barrier
	buffer_gl0_inv
                                        ; implicit-def: $vgpr9_vgpr10
	s_cbranch_scc1 .LBB78_95
; %bb.81:                               ;   in Loop: Header=BB78_15 Depth=1
	s_add_i32 s21, s24, s57
                                        ; implicit-def: $vgpr9_vgpr10
	s_mul_hi_u32 s25, s21, s63
	s_mul_i32 s25, s25, s34
	s_sub_i32 s25, s21, s25
	s_sub_i32 s27, s25, s34
	s_cmp_ge_u32 s25, s34
	s_cselect_b32 s25, s27, s25
	s_sub_i32 s27, s25, s34
	s_cmp_ge_u32 s25, s34
	s_cselect_b32 s25, s27, s25
	s_mov_b32 s27, exec_lo
	s_sub_i32 s28, s21, s25
	s_mov_b32 s25, 0
	s_mov_b32 s21, 0
	v_cmpx_gt_u32_e64 s28, v0
	s_cbranch_execz .LBB78_94
; %bb.82:                               ;   in Loop: Header=BB78_15 Depth=1
	v_mov_b32_e32 v14, v30
	v_mov_b32_e32 v41, v0
                                        ; implicit-def: $sgpr29
	s_inst_prefetch 0x1
	s_branch .LBB78_86
	.p2align	6
.LBB78_83:                              ;   in Loop: Header=BB78_86 Depth=2
	s_or_b32 exec_lo, exec_lo, s80
	s_waitcnt lgkmcnt(0)
	s_barrier
	buffer_gl0_inv
	ds_read_b128 v[7:10], v15 offset:3072
	s_waitcnt lgkmcnt(0)
	s_barrier
	buffer_gl0_inv
	v_cmp_neq_f64_e32 vcc_lo, 0, v[7:8]
	s_cbranch_vccnz .LBB78_89
; %bb.84:                               ;   in Loop: Header=BB78_86 Depth=2
	v_add_nc_u32_e32 v41, s34, v41
	v_add_nc_u32_e32 v14, s67, v14
	s_mov_b32 s80, 0
	v_cmp_le_u32_e32 vcc_lo, s28, v41
	s_orn2_b32 s81, vcc_lo, exec_lo
.LBB78_85:                              ;   in Loop: Header=BB78_86 Depth=2
	s_and_b32 s81, exec_lo, s81
	s_or_b32 s21, s81, s21
	s_andn2_b32 s29, s29, exec_lo
	s_and_b32 s80, s80, exec_lo
	s_or_b32 s29, s29, s80
	s_andn2_b32 exec_lo, exec_lo, s21
	s_cbranch_execz .LBB78_93
.LBB78_86:                              ;   Parent Loop BB78_15 Depth=1
                                        ; =>  This Inner Loop Header: Depth=2
	s_mov_b32 s80, exec_lo
	v_cmpx_gt_u32_e64 s24, v41
	s_cbranch_execz .LBB78_83
; %bb.87:                               ;   in Loop: Header=BB78_86 Depth=2
	ds_read_b64 v[3:4], v14
	s_waitcnt lgkmcnt(0)
	v_cmp_o_f64_e32 vcc_lo, v[3:4], v[3:4]
	v_ashrrev_i32_e32 v1, 31, v4
	v_or_b32_e32 v7, 0x80000000, v1
	v_xor_b32_e32 v1, v1, v3
	v_xor_b32_e32 v7, v7, v4
	v_cndmask_b32_e32 v7, -1, v7, vcc_lo
	v_cndmask_b32_e32 v1, -1, v1, vcc_lo
	v_and_b32_e32 v8, v7, v24
	v_and_b32_e32 v7, v1, v23
	v_cmp_eq_u64_e32 vcc_lo, v[7:8], v[25:26]
	s_and_b32 exec_lo, exec_lo, vcc_lo
	s_cbranch_execz .LBB78_83
; %bb.88:                               ;   in Loop: Header=BB78_86 Depth=2
	v_mov_b32_e32 v1, v15
	ds_write_b128 v15, v[1:4] offset:3072
	s_branch .LBB78_83
.LBB78_89:                              ;   in Loop: Header=BB78_86 Depth=2
	s_mov_b32 s81, -1
	s_mov_b32 s80, -1
                                        ; implicit-def: $vgpr41
                                        ; implicit-def: $vgpr14
	s_branch .LBB78_85
.LBB78_90:                              ;   in Loop: Header=BB78_15 Depth=1
	s_or_b32 exec_lo, exec_lo, s13
	s_waitcnt lgkmcnt(0)
	s_barrier
	buffer_gl0_inv
	s_and_saveexec_b32 s10, s3
	s_cbranch_execz .LBB78_92
; %bb.91:                               ;   in Loop: Header=BB78_15 Depth=1
	ds_read_b32 v1, v15 offset:4104
	s_waitcnt lgkmcnt(0)
	ds_write_b32 v15, v1 offset:4096
.LBB78_92:                              ;   in Loop: Header=BB78_15 Depth=1
	s_or_b32 exec_lo, exec_lo, s10
	s_waitcnt lgkmcnt(0)
	s_mov_b32 s10, -1
	s_barrier
	s_and_b32 vcc_lo, exec_lo, s12
	s_cbranch_vccnz .LBB78_31
	s_branch .LBB78_40
.LBB78_93:                              ;   in Loop: Header=BB78_15 Depth=1
	s_inst_prefetch 0x2
	s_or_b32 exec_lo, exec_lo, s21
	s_and_b32 s21, s29, exec_lo
.LBB78_94:                              ;   in Loop: Header=BB78_15 Depth=1
	s_or_b32 exec_lo, exec_lo, s27
.LBB78_95:                              ;   in Loop: Header=BB78_15 Depth=1
	s_and_b32 vcc_lo, exec_lo, s25
	s_cbranch_vccz .LBB78_107
; %bb.96:                               ;   in Loop: Header=BB78_15 Depth=1
                                        ; implicit-def: $vgpr9_vgpr10
	s_and_saveexec_b32 s22, s9
	s_cbranch_execz .LBB78_106
; %bb.97:                               ;   in Loop: Header=BB78_15 Depth=1
	v_mov_b32_e32 v14, v13
	v_mov_b32_e32 v41, v0
	s_mov_b32 s24, 0
                                        ; implicit-def: $sgpr23
	s_branch .LBB78_101
.LBB78_98:                              ;   in Loop: Header=BB78_101 Depth=2
	s_or_b32 exec_lo, exec_lo, s25
	s_waitcnt lgkmcnt(0)
	s_barrier
	buffer_gl0_inv
	ds_read_b128 v[7:10], v15 offset:3072
	s_waitcnt lgkmcnt(0)
	s_barrier
	buffer_gl0_inv
	v_cmp_neq_f64_e32 vcc_lo, 0, v[7:8]
	s_cbranch_vccnz .LBB78_104
; %bb.99:                               ;   in Loop: Header=BB78_101 Depth=2
	v_add_nc_u32_e32 v41, s34, v41
	v_add_nc_u32_e32 v14, s40, v14
	s_mov_b32 s25, 0
	v_cmp_le_u32_e32 vcc_lo, s64, v41
	s_orn2_b32 s27, vcc_lo, exec_lo
.LBB78_100:                             ;   in Loop: Header=BB78_101 Depth=2
	s_and_b32 s27, exec_lo, s27
	s_or_b32 s24, s27, s24
	s_andn2_b32 s23, s23, exec_lo
	s_and_b32 s25, s25, exec_lo
	s_or_b32 s23, s23, s25
	s_andn2_b32 exec_lo, exec_lo, s24
	s_cbranch_execz .LBB78_105
.LBB78_101:                             ;   Parent Loop BB78_15 Depth=1
                                        ; =>  This Inner Loop Header: Depth=2
	s_mov_b32 s25, exec_lo
	v_cmpx_gt_u32_e64 s36, v41
	s_cbranch_execz .LBB78_98
; %bb.102:                              ;   in Loop: Header=BB78_101 Depth=2
	v_lshlrev_b64 v[3:4], 3, v[14:15]
	v_add_co_u32 v3, vcc_lo, s31, v3
	v_add_co_ci_u32_e64 v4, null, s33, v4, vcc_lo
	global_load_dwordx2 v[3:4], v[3:4], off
	s_waitcnt vmcnt(0)
	v_cmp_o_f64_e32 vcc_lo, v[3:4], v[3:4]
	v_ashrrev_i32_e32 v1, 31, v4
	v_or_b32_e32 v7, 0x80000000, v1
	v_xor_b32_e32 v1, v1, v3
	v_xor_b32_e32 v7, v7, v4
	v_cndmask_b32_e32 v7, -1, v7, vcc_lo
	v_cndmask_b32_e32 v1, -1, v1, vcc_lo
	v_and_b32_e32 v8, v7, v24
	v_and_b32_e32 v7, v1, v23
	v_cmp_eq_u64_e32 vcc_lo, v[7:8], v[25:26]
	s_and_b32 exec_lo, exec_lo, vcc_lo
	s_cbranch_execz .LBB78_98
; %bb.103:                              ;   in Loop: Header=BB78_101 Depth=2
	v_mov_b32_e32 v1, v15
	ds_write_b128 v15, v[1:4] offset:3072
	s_branch .LBB78_98
.LBB78_104:                             ;   in Loop: Header=BB78_101 Depth=2
	s_mov_b32 s27, -1
	s_mov_b32 s25, -1
                                        ; implicit-def: $vgpr41
	s_branch .LBB78_100
.LBB78_105:                             ;   in Loop: Header=BB78_15 Depth=1
	s_or_b32 exec_lo, exec_lo, s24
	s_andn2_b32 s21, s21, exec_lo
	s_and_b32 s23, s23, exec_lo
	s_or_b32 s21, s21, s23
.LBB78_106:                             ;   in Loop: Header=BB78_15 Depth=1
	s_or_b32 exec_lo, exec_lo, s22
	s_mov_b32 s22, 0
	s_mov_b32 s23, -1
.LBB78_107:                             ;   in Loop: Header=BB78_15 Depth=1
	s_orn2_b32 s27, s21, exec_lo
.LBB78_108:                             ;   in Loop: Header=BB78_15 Depth=1
	s_or_b32 exec_lo, exec_lo, s11
	s_mov_b32 s24, 0
	s_mov_b32 s21, 0
	;; [unrolled: 1-line block ×3, first 2 shown]
                                        ; implicit-def: $vgpr42
                                        ; implicit-def: $vgpr41
	s_and_saveexec_b32 s25, s27
	s_cbranch_execz .LBB78_244
; %bb.109:                              ;   in Loop: Header=BB78_15 Depth=1
	v_mov_b32_e32 v42, 1
	v_mov_b32_e32 v41, 1
	s_xor_b32 s21, s26, -1
	s_mov_b32 s28, 0
	s_and_saveexec_b32 s11, s21
	s_cbranch_execz .LBB78_118
; %bb.110:                              ;   in Loop: Header=BB78_15 Depth=1
	s_mov_b32 s21, exec_lo
	v_cmpx_ge_u32_e64 s17, v40
	s_xor_b32 s21, exec_lo, s21
	s_cbranch_execz .LBB78_115
; %bb.111:                              ;   in Loop: Header=BB78_15 Depth=1
	ds_read_b32 v1, v15 offset:4096
	v_and_b32_e32 v26, s15, v26
	v_and_b32_e32 v25, s14, v25
	v_or_b32_e32 v24, s13, v24
	v_or_b32_e32 v23, s12, v23
	s_waitcnt lgkmcnt(0)
	v_cmp_ne_u32_e32 vcc_lo, 0, v1
	s_cbranch_vccnz .LBB78_115
; %bb.112:                              ;   in Loop: Header=BB78_15 Depth=1
	s_and_saveexec_b32 s26, s3
; %bb.113:                              ;   in Loop: Header=BB78_15 Depth=1
	v_mov_b32_e32 v1, s17
	ds_write_b32 v15, v1 offset:4100
; %bb.114:                              ;   in Loop: Header=BB78_15 Depth=1
	s_or_b32 exec_lo, exec_lo, s26
	s_waitcnt lgkmcnt(0)
	s_barrier
	buffer_gl0_inv
.LBB78_115:                             ;   in Loop: Header=BB78_15 Depth=1
	s_or_saveexec_b32 s21, s21
	v_mov_b32_e32 v41, 8
	v_mov_b32_e32 v42, v40
	s_mov_b32 s26, 0
	s_xor_b32 exec_lo, exec_lo, s21
; %bb.116:                              ;   in Loop: Header=BB78_15 Depth=1
	v_subrev_nc_u32_e32 v42, s17, v40
	v_mov_b32_e32 v41, 0
	s_mov_b32 s26, exec_lo
; %bb.117:                              ;   in Loop: Header=BB78_15 Depth=1
	s_or_b32 exec_lo, exec_lo, s21
	s_and_b32 s28, s26, exec_lo
.LBB78_118:                             ;   in Loop: Header=BB78_15 Depth=1
	s_or_b32 exec_lo, exec_lo, s11
	s_mov_b32 s27, -1
                                        ; implicit-def: $sgpr21
                                        ; implicit-def: $sgpr26
	s_and_saveexec_b32 s11, s28
	s_xor_b32 s11, exec_lo, s11
	s_cbranch_execz .LBB78_241
; %bb.119:                              ;   in Loop: Header=BB78_15 Depth=1
	v_cmp_eq_u32_e32 vcc_lo, 1, v42
	s_cmp_eq_u32 s18, 1
	s_mov_b32 s29, -1
	s_cselect_b32 s21, -1, 0
                                        ; implicit-def: $sgpr26
	s_and_b32 s28, s21, vcc_lo
                                        ; implicit-def: $sgpr21
	s_and_saveexec_b32 s27, s28
	s_cbranch_execz .LBB78_147
; %bb.120:                              ;   in Loop: Header=BB78_15 Depth=1
	ds_read_b32 v1, v15 offset:4096
	s_waitcnt lgkmcnt(0)
	s_barrier
	buffer_gl0_inv
	v_readfirstlane_b32 s80, v1
	s_and_saveexec_b32 s21, s6
; %bb.121:                              ;   in Loop: Header=BB78_15 Depth=1
	v_mov_b32_e32 v14, v15
	ds_write_b64 v32, v[14:15]
; %bb.122:                              ;   in Loop: Header=BB78_15 Depth=1
	s_or_b32 exec_lo, exec_lo, s21
	v_and_b32_e32 v1, s15, v26
	v_and_b32_e32 v3, s14, v25
	s_lshl_b64 s[82:83], 1, s73
	v_or_b32_e32 v24, s13, v24
	v_or_b32_e32 v23, s12, v23
	;; [unrolled: 1-line block ×4, first 2 shown]
	s_mov_b32 s21, -1
	s_mov_b32 s26, 0
	s_cmp_eq_u32 s80, 0
	s_mov_b32 s29, 0
	s_mov_b32 s81, -1
	s_waitcnt lgkmcnt(0)
	s_barrier
	buffer_gl0_inv
                                        ; implicit-def: $vgpr9_vgpr10
	s_cbranch_scc1 .LBB78_134
; %bb.123:                              ;   in Loop: Header=BB78_15 Depth=1
	s_add_i32 s29, s80, s57
                                        ; implicit-def: $vgpr9_vgpr10
	s_mul_hi_u32 s81, s29, s63
	s_mul_i32 s81, s81, s34
	s_sub_i32 s81, s29, s81
	s_sub_i32 s82, s81, s34
	s_cmp_ge_u32 s81, s34
	s_cselect_b32 s81, s82, s81
	s_sub_i32 s82, s81, s34
	s_cmp_ge_u32 s81, s34
	s_cselect_b32 s81, s82, s81
	s_mov_b32 s82, exec_lo
	s_sub_i32 s83, s29, s81
	s_mov_b32 s81, 0
	s_mov_b32 s29, 0
	v_cmpx_gt_u32_e64 s83, v0
	s_cbranch_execz .LBB78_133
; %bb.124:                              ;   in Loop: Header=BB78_15 Depth=1
	v_mov_b32_e32 v14, v30
	v_mov_b32_e32 v43, v0
                                        ; implicit-def: $sgpr84
	s_inst_prefetch 0x1
	s_branch .LBB78_128
	.p2align	6
.LBB78_125:                             ;   in Loop: Header=BB78_128 Depth=2
	s_or_b32 exec_lo, exec_lo, s85
	s_waitcnt lgkmcnt(0)
	s_barrier
	buffer_gl0_inv
	ds_read_b128 v[7:10], v15 offset:3072
	s_waitcnt lgkmcnt(0)
	s_barrier
	buffer_gl0_inv
	v_cmp_neq_f64_e32 vcc_lo, 0, v[7:8]
	s_cbranch_vccnz .LBB78_131
; %bb.126:                              ;   in Loop: Header=BB78_128 Depth=2
	v_add_nc_u32_e32 v43, s34, v43
	v_add_nc_u32_e32 v14, s67, v14
	s_mov_b32 s85, 0
	v_cmp_le_u32_e32 vcc_lo, s83, v43
	s_orn2_b32 s86, vcc_lo, exec_lo
.LBB78_127:                             ;   in Loop: Header=BB78_128 Depth=2
	s_and_b32 s86, exec_lo, s86
	s_or_b32 s29, s86, s29
	s_andn2_b32 s84, s84, exec_lo
	s_and_b32 s85, s85, exec_lo
	s_or_b32 s84, s84, s85
	s_andn2_b32 exec_lo, exec_lo, s29
	s_cbranch_execz .LBB78_132
.LBB78_128:                             ;   Parent Loop BB78_15 Depth=1
                                        ; =>  This Inner Loop Header: Depth=2
	s_mov_b32 s85, exec_lo
	v_cmpx_gt_u32_e64 s80, v43
	s_cbranch_execz .LBB78_125
; %bb.129:                              ;   in Loop: Header=BB78_128 Depth=2
	ds_read_b64 v[3:4], v14
	s_waitcnt lgkmcnt(0)
	v_cmp_o_f64_e32 vcc_lo, v[3:4], v[3:4]
	v_ashrrev_i32_e32 v1, 31, v4
	v_or_b32_e32 v7, 0x80000000, v1
	v_xor_b32_e32 v1, v1, v3
	v_xor_b32_e32 v7, v7, v4
	v_cndmask_b32_e32 v7, -1, v7, vcc_lo
	v_cndmask_b32_e32 v1, -1, v1, vcc_lo
	v_and_b32_e32 v8, v7, v24
	v_and_b32_e32 v7, v1, v23
	v_cmp_eq_u64_e32 vcc_lo, v[7:8], v[25:26]
	s_and_b32 exec_lo, exec_lo, vcc_lo
	s_cbranch_execz .LBB78_125
; %bb.130:                              ;   in Loop: Header=BB78_128 Depth=2
	v_mov_b32_e32 v1, v15
	ds_write_b128 v15, v[1:4] offset:3072
	s_branch .LBB78_125
.LBB78_131:                             ;   in Loop: Header=BB78_128 Depth=2
	s_mov_b32 s86, -1
	s_mov_b32 s85, -1
                                        ; implicit-def: $vgpr43
                                        ; implicit-def: $vgpr14
	s_branch .LBB78_127
.LBB78_132:                             ;   in Loop: Header=BB78_15 Depth=1
	s_inst_prefetch 0x2
	s_or_b32 exec_lo, exec_lo, s29
	s_and_b32 s29, s84, exec_lo
.LBB78_133:                             ;   in Loop: Header=BB78_15 Depth=1
	s_or_b32 exec_lo, exec_lo, s82
.LBB78_134:                             ;   in Loop: Header=BB78_15 Depth=1
	s_and_b32 vcc_lo, exec_lo, s81
	s_cbranch_vccz .LBB78_146
; %bb.135:                              ;   in Loop: Header=BB78_15 Depth=1
                                        ; implicit-def: $vgpr9_vgpr10
	s_and_saveexec_b32 s21, s9
	s_cbranch_execz .LBB78_145
; %bb.136:                              ;   in Loop: Header=BB78_15 Depth=1
	v_mov_b32_e32 v14, v13
	v_mov_b32_e32 v43, v0
	s_mov_b32 s26, 0
                                        ; implicit-def: $sgpr80
	s_branch .LBB78_140
.LBB78_137:                             ;   in Loop: Header=BB78_140 Depth=2
	s_or_b32 exec_lo, exec_lo, s81
	s_waitcnt lgkmcnt(0)
	s_barrier
	buffer_gl0_inv
	ds_read_b128 v[7:10], v15 offset:3072
	s_waitcnt lgkmcnt(0)
	s_barrier
	buffer_gl0_inv
	v_cmp_eq_f64_e32 vcc_lo, 0, v[7:8]
	s_cbranch_vccz .LBB78_143
; %bb.138:                              ;   in Loop: Header=BB78_140 Depth=2
	v_add_nc_u32_e32 v43, s34, v43
	v_add_nc_u32_e32 v14, s40, v14
	s_mov_b32 s81, 0
	v_cmp_le_u32_e32 vcc_lo, s64, v43
	s_orn2_b32 s82, vcc_lo, exec_lo
.LBB78_139:                             ;   in Loop: Header=BB78_140 Depth=2
	s_and_b32 s82, exec_lo, s82
	s_or_b32 s26, s82, s26
	s_andn2_b32 s80, s80, exec_lo
	s_and_b32 s81, s81, exec_lo
	s_or_b32 s80, s80, s81
	s_andn2_b32 exec_lo, exec_lo, s26
	s_cbranch_execz .LBB78_144
.LBB78_140:                             ;   Parent Loop BB78_15 Depth=1
                                        ; =>  This Inner Loop Header: Depth=2
	s_mov_b32 s81, exec_lo
	v_cmpx_gt_u32_e64 s36, v43
	s_cbranch_execz .LBB78_137
; %bb.141:                              ;   in Loop: Header=BB78_140 Depth=2
	v_lshlrev_b64 v[3:4], 3, v[14:15]
	v_add_co_u32 v3, vcc_lo, s31, v3
	v_add_co_ci_u32_e64 v4, null, s33, v4, vcc_lo
	global_load_dwordx2 v[3:4], v[3:4], off
	s_waitcnt vmcnt(0)
	v_cmp_o_f64_e32 vcc_lo, v[3:4], v[3:4]
	v_ashrrev_i32_e32 v1, 31, v4
	v_or_b32_e32 v7, 0x80000000, v1
	v_xor_b32_e32 v1, v1, v3
	v_xor_b32_e32 v7, v7, v4
	v_cndmask_b32_e32 v7, -1, v7, vcc_lo
	v_cndmask_b32_e32 v1, -1, v1, vcc_lo
	v_and_b32_e32 v8, v7, v24
	v_and_b32_e32 v7, v1, v23
	v_cmp_eq_u64_e32 vcc_lo, v[7:8], v[25:26]
	s_and_b32 exec_lo, exec_lo, vcc_lo
	s_cbranch_execz .LBB78_137
; %bb.142:                              ;   in Loop: Header=BB78_140 Depth=2
	v_mov_b32_e32 v1, v15
	ds_write_b128 v15, v[1:4] offset:3072
	s_branch .LBB78_137
.LBB78_143:                             ;   in Loop: Header=BB78_140 Depth=2
	s_mov_b32 s82, -1
	s_mov_b32 s81, -1
                                        ; implicit-def: $vgpr43
	s_branch .LBB78_139
.LBB78_144:                             ;   in Loop: Header=BB78_15 Depth=1
	s_or_b32 exec_lo, exec_lo, s26
	s_andn2_b32 s26, s29, exec_lo
	s_and_b32 s29, s80, exec_lo
	s_or_b32 s29, s26, s29
.LBB78_145:                             ;   in Loop: Header=BB78_15 Depth=1
	s_or_b32 exec_lo, exec_lo, s21
	s_mov_b32 s21, 0
	s_mov_b32 s26, -1
.LBB78_146:                             ;   in Loop: Header=BB78_15 Depth=1
	s_orn2_b32 s29, s29, exec_lo
.LBB78_147:                             ;   in Loop: Header=BB78_15 Depth=1
	s_or_b32 exec_lo, exec_lo, s27
	s_mov_b32 s80, 0
	s_and_saveexec_b32 s27, s29
	s_cbranch_execz .LBB78_240
; %bb.148:                              ;   in Loop: Header=BB78_15 Depth=1
	v_mov_b32_e32 v43, 1
	v_mov_b32_e32 v41, 1
	s_xor_b32 s29, s28, -1
	s_mov_b32 s82, 0
	s_and_saveexec_b32 s28, s29
	s_cbranch_execz .LBB78_157
; %bb.149:                              ;   in Loop: Header=BB78_15 Depth=1
	s_mov_b32 s29, exec_lo
	v_cmpx_ge_u32_e64 s18, v42
	s_xor_b32 s29, exec_lo, s29
	s_cbranch_execz .LBB78_154
; %bb.150:                              ;   in Loop: Header=BB78_15 Depth=1
	ds_read_b32 v1, v15 offset:4096
	v_and_b32_e32 v3, s15, v26
	v_and_b32_e32 v4, s14, v25
	s_lshl_b64 s[80:81], 1, s73
	v_or_b32_e32 v24, s13, v24
	v_or_b32_e32 v23, s12, v23
	;; [unrolled: 1-line block ×4, first 2 shown]
	s_waitcnt lgkmcnt(0)
	v_cmp_ne_u32_e32 vcc_lo, 0, v1
	s_cbranch_vccnz .LBB78_154
; %bb.151:                              ;   in Loop: Header=BB78_15 Depth=1
	s_and_saveexec_b32 s80, s3
; %bb.152:                              ;   in Loop: Header=BB78_15 Depth=1
	v_mov_b32_e32 v1, s18
	ds_write_b32 v15, v1 offset:4100
; %bb.153:                              ;   in Loop: Header=BB78_15 Depth=1
	s_or_b32 exec_lo, exec_lo, s80
	s_waitcnt lgkmcnt(0)
	s_barrier
	buffer_gl0_inv
.LBB78_154:                             ;   in Loop: Header=BB78_15 Depth=1
	s_or_saveexec_b32 s29, s29
	v_mov_b32_e32 v41, 8
	s_mov_b32 s80, 0
	s_xor_b32 exec_lo, exec_lo, s29
; %bb.155:                              ;   in Loop: Header=BB78_15 Depth=1
	v_subrev_nc_u32_e32 v42, s18, v42
	v_mov_b32_e32 v41, 0
	s_mov_b32 s80, exec_lo
; %bb.156:                              ;   in Loop: Header=BB78_15 Depth=1
	s_or_b32 exec_lo, exec_lo, s29
	v_mov_b32_e32 v43, v42
	s_and_b32 s82, s80, exec_lo
.LBB78_157:                             ;   in Loop: Header=BB78_15 Depth=1
	s_or_b32 exec_lo, exec_lo, s28
	s_mov_b32 s81, -1
                                        ; implicit-def: $sgpr29
                                        ; implicit-def: $sgpr80
	s_and_saveexec_b32 s28, s82
	s_cbranch_execz .LBB78_239
; %bb.158:                              ;   in Loop: Header=BB78_15 Depth=1
	v_cmp_eq_u32_e32 vcc_lo, 1, v43
	s_cmp_eq_u32 s19, 1
	s_mov_b32 s83, -1
	s_cselect_b32 s29, -1, 0
                                        ; implicit-def: $sgpr80
	s_and_b32 s82, s29, vcc_lo
                                        ; implicit-def: $sgpr29
	s_and_saveexec_b32 s81, s82
	s_cbranch_execz .LBB78_186
; %bb.159:                              ;   in Loop: Header=BB78_15 Depth=1
	ds_read_b32 v1, v15 offset:4096
	s_waitcnt lgkmcnt(0)
	s_barrier
	buffer_gl0_inv
	v_readfirstlane_b32 s84, v1
	s_and_saveexec_b32 s29, s6
; %bb.160:                              ;   in Loop: Header=BB78_15 Depth=1
	v_mov_b32_e32 v14, v15
	ds_write_b64 v32, v[14:15]
; %bb.161:                              ;   in Loop: Header=BB78_15 Depth=1
	s_or_b32 exec_lo, exec_lo, s29
	v_and_b32_e32 v1, s15, v26
	v_and_b32_e32 v3, s14, v25
	s_lshl_b64 s[86:87], 2, s73
	v_or_b32_e32 v24, s13, v24
	v_or_b32_e32 v23, s12, v23
	;; [unrolled: 1-line block ×4, first 2 shown]
	s_mov_b32 s29, -1
	s_mov_b32 s80, 0
	s_cmp_eq_u32 s84, 0
	s_mov_b32 s83, 0
	s_mov_b32 s85, -1
	s_waitcnt lgkmcnt(0)
	s_barrier
	buffer_gl0_inv
                                        ; implicit-def: $vgpr9_vgpr10
	s_cbranch_scc1 .LBB78_173
; %bb.162:                              ;   in Loop: Header=BB78_15 Depth=1
	s_add_i32 s83, s84, s57
                                        ; implicit-def: $vgpr9_vgpr10
	s_mul_hi_u32 s85, s83, s63
	s_mul_i32 s85, s85, s34
	s_sub_i32 s85, s83, s85
	s_sub_i32 s86, s85, s34
	s_cmp_ge_u32 s85, s34
	s_cselect_b32 s85, s86, s85
	s_sub_i32 s86, s85, s34
	s_cmp_ge_u32 s85, s34
	s_cselect_b32 s85, s86, s85
	s_mov_b32 s86, exec_lo
	s_sub_i32 s87, s83, s85
	s_mov_b32 s85, 0
	s_mov_b32 s83, 0
	v_cmpx_gt_u32_e64 s87, v0
	s_cbranch_execz .LBB78_172
; %bb.163:                              ;   in Loop: Header=BB78_15 Depth=1
	v_mov_b32_e32 v14, v30
	v_mov_b32_e32 v42, v0
                                        ; implicit-def: $sgpr88
	s_inst_prefetch 0x1
	s_branch .LBB78_167
	.p2align	6
.LBB78_164:                             ;   in Loop: Header=BB78_167 Depth=2
	s_or_b32 exec_lo, exec_lo, s89
	s_waitcnt lgkmcnt(0)
	s_barrier
	buffer_gl0_inv
	ds_read_b128 v[7:10], v15 offset:3072
	s_waitcnt lgkmcnt(0)
	s_barrier
	buffer_gl0_inv
	v_cmp_neq_f64_e32 vcc_lo, 0, v[7:8]
	s_cbranch_vccnz .LBB78_170
; %bb.165:                              ;   in Loop: Header=BB78_167 Depth=2
	v_add_nc_u32_e32 v42, s34, v42
	v_add_nc_u32_e32 v14, s67, v14
	s_mov_b32 s89, 0
	v_cmp_le_u32_e32 vcc_lo, s87, v42
	s_orn2_b32 s90, vcc_lo, exec_lo
.LBB78_166:                             ;   in Loop: Header=BB78_167 Depth=2
	s_and_b32 s90, exec_lo, s90
	s_or_b32 s83, s90, s83
	s_andn2_b32 s88, s88, exec_lo
	s_and_b32 s89, s89, exec_lo
	s_or_b32 s88, s88, s89
	s_andn2_b32 exec_lo, exec_lo, s83
	s_cbranch_execz .LBB78_171
.LBB78_167:                             ;   Parent Loop BB78_15 Depth=1
                                        ; =>  This Inner Loop Header: Depth=2
	s_mov_b32 s89, exec_lo
	v_cmpx_gt_u32_e64 s84, v42
	s_cbranch_execz .LBB78_164
; %bb.168:                              ;   in Loop: Header=BB78_167 Depth=2
	ds_read_b64 v[3:4], v14
	s_waitcnt lgkmcnt(0)
	v_cmp_o_f64_e32 vcc_lo, v[3:4], v[3:4]
	v_ashrrev_i32_e32 v1, 31, v4
	v_or_b32_e32 v7, 0x80000000, v1
	v_xor_b32_e32 v1, v1, v3
	v_xor_b32_e32 v7, v7, v4
	v_cndmask_b32_e32 v7, -1, v7, vcc_lo
	v_cndmask_b32_e32 v1, -1, v1, vcc_lo
	v_and_b32_e32 v8, v7, v24
	v_and_b32_e32 v7, v1, v23
	v_cmp_eq_u64_e32 vcc_lo, v[7:8], v[25:26]
	s_and_b32 exec_lo, exec_lo, vcc_lo
	s_cbranch_execz .LBB78_164
; %bb.169:                              ;   in Loop: Header=BB78_167 Depth=2
	v_mov_b32_e32 v1, v15
	ds_write_b128 v15, v[1:4] offset:3072
	s_branch .LBB78_164
.LBB78_170:                             ;   in Loop: Header=BB78_167 Depth=2
	s_mov_b32 s90, -1
	s_mov_b32 s89, -1
                                        ; implicit-def: $vgpr42
                                        ; implicit-def: $vgpr14
	s_branch .LBB78_166
.LBB78_171:                             ;   in Loop: Header=BB78_15 Depth=1
	s_inst_prefetch 0x2
	s_or_b32 exec_lo, exec_lo, s83
	s_and_b32 s83, s88, exec_lo
.LBB78_172:                             ;   in Loop: Header=BB78_15 Depth=1
	s_or_b32 exec_lo, exec_lo, s86
.LBB78_173:                             ;   in Loop: Header=BB78_15 Depth=1
	s_and_b32 vcc_lo, exec_lo, s85
	s_cbranch_vccz .LBB78_185
; %bb.174:                              ;   in Loop: Header=BB78_15 Depth=1
                                        ; implicit-def: $vgpr9_vgpr10
	s_and_saveexec_b32 s29, s9
	s_cbranch_execz .LBB78_184
; %bb.175:                              ;   in Loop: Header=BB78_15 Depth=1
	v_mov_b32_e32 v14, v13
	v_mov_b32_e32 v42, v0
	s_mov_b32 s80, 0
                                        ; implicit-def: $sgpr84
	s_branch .LBB78_179
.LBB78_176:                             ;   in Loop: Header=BB78_179 Depth=2
	s_or_b32 exec_lo, exec_lo, s85
	s_waitcnt lgkmcnt(0)
	s_barrier
	buffer_gl0_inv
	ds_read_b128 v[7:10], v15 offset:3072
	s_waitcnt lgkmcnt(0)
	s_barrier
	buffer_gl0_inv
	v_cmp_eq_f64_e32 vcc_lo, 0, v[7:8]
	s_cbranch_vccz .LBB78_182
; %bb.177:                              ;   in Loop: Header=BB78_179 Depth=2
	v_add_nc_u32_e32 v42, s34, v42
	v_add_nc_u32_e32 v14, s40, v14
	s_mov_b32 s85, 0
	v_cmp_le_u32_e32 vcc_lo, s64, v42
	s_orn2_b32 s86, vcc_lo, exec_lo
.LBB78_178:                             ;   in Loop: Header=BB78_179 Depth=2
	s_and_b32 s86, exec_lo, s86
	s_or_b32 s80, s86, s80
	s_andn2_b32 s84, s84, exec_lo
	s_and_b32 s85, s85, exec_lo
	s_or_b32 s84, s84, s85
	s_andn2_b32 exec_lo, exec_lo, s80
	s_cbranch_execz .LBB78_183
.LBB78_179:                             ;   Parent Loop BB78_15 Depth=1
                                        ; =>  This Inner Loop Header: Depth=2
	s_mov_b32 s85, exec_lo
	v_cmpx_gt_u32_e64 s36, v42
	s_cbranch_execz .LBB78_176
; %bb.180:                              ;   in Loop: Header=BB78_179 Depth=2
	v_lshlrev_b64 v[3:4], 3, v[14:15]
	v_add_co_u32 v3, vcc_lo, s31, v3
	v_add_co_ci_u32_e64 v4, null, s33, v4, vcc_lo
	global_load_dwordx2 v[3:4], v[3:4], off
	s_waitcnt vmcnt(0)
	v_cmp_o_f64_e32 vcc_lo, v[3:4], v[3:4]
	v_ashrrev_i32_e32 v1, 31, v4
	v_or_b32_e32 v7, 0x80000000, v1
	v_xor_b32_e32 v1, v1, v3
	v_xor_b32_e32 v7, v7, v4
	v_cndmask_b32_e32 v7, -1, v7, vcc_lo
	v_cndmask_b32_e32 v1, -1, v1, vcc_lo
	v_and_b32_e32 v8, v7, v24
	v_and_b32_e32 v7, v1, v23
	v_cmp_eq_u64_e32 vcc_lo, v[7:8], v[25:26]
	s_and_b32 exec_lo, exec_lo, vcc_lo
	s_cbranch_execz .LBB78_176
; %bb.181:                              ;   in Loop: Header=BB78_179 Depth=2
	v_mov_b32_e32 v1, v15
	ds_write_b128 v15, v[1:4] offset:3072
	s_branch .LBB78_176
.LBB78_182:                             ;   in Loop: Header=BB78_179 Depth=2
	s_mov_b32 s86, -1
	s_mov_b32 s85, -1
                                        ; implicit-def: $vgpr42
	s_branch .LBB78_178
.LBB78_183:                             ;   in Loop: Header=BB78_15 Depth=1
	s_or_b32 exec_lo, exec_lo, s80
	s_andn2_b32 s80, s83, exec_lo
	s_and_b32 s83, s84, exec_lo
	s_or_b32 s83, s80, s83
.LBB78_184:                             ;   in Loop: Header=BB78_15 Depth=1
	s_or_b32 exec_lo, exec_lo, s29
	s_mov_b32 s29, 0
	s_mov_b32 s80, -1
.LBB78_185:                             ;   in Loop: Header=BB78_15 Depth=1
	s_orn2_b32 s83, s83, exec_lo
.LBB78_186:                             ;   in Loop: Header=BB78_15 Depth=1
	s_or_b32 exec_lo, exec_lo, s81
	s_mov_b32 s84, 0
	s_and_saveexec_b32 s81, s83
	s_cbranch_execz .LBB78_238
; %bb.187:                              ;   in Loop: Header=BB78_15 Depth=1
	v_mov_b32_e32 v42, 1
	v_mov_b32_e32 v41, 1
	s_xor_b32 s83, s82, -1
	s_mov_b32 s86, 0
	s_and_saveexec_b32 s82, s83
	s_cbranch_execz .LBB78_196
; %bb.188:                              ;   in Loop: Header=BB78_15 Depth=1
	s_mov_b32 s83, exec_lo
	v_cmpx_ge_u32_e64 s19, v43
	s_xor_b32 s83, exec_lo, s83
	s_cbranch_execz .LBB78_193
; %bb.189:                              ;   in Loop: Header=BB78_15 Depth=1
	ds_read_b32 v1, v15 offset:4096
	v_and_b32_e32 v3, s15, v26
	v_and_b32_e32 v4, s14, v25
	s_lshl_b64 s[84:85], 2, s73
	v_or_b32_e32 v24, s13, v24
	v_or_b32_e32 v23, s12, v23
	v_or_b32_e32 v26, s85, v3
	v_or_b32_e32 v25, s84, v4
	s_waitcnt lgkmcnt(0)
	v_cmp_ne_u32_e32 vcc_lo, 0, v1
	s_cbranch_vccnz .LBB78_193
; %bb.190:                              ;   in Loop: Header=BB78_15 Depth=1
	s_and_saveexec_b32 s84, s3
; %bb.191:                              ;   in Loop: Header=BB78_15 Depth=1
	v_mov_b32_e32 v1, s19
	ds_write_b32 v15, v1 offset:4100
; %bb.192:                              ;   in Loop: Header=BB78_15 Depth=1
	s_or_b32 exec_lo, exec_lo, s84
	s_waitcnt lgkmcnt(0)
	s_barrier
	buffer_gl0_inv
.LBB78_193:                             ;   in Loop: Header=BB78_15 Depth=1
	s_or_saveexec_b32 s83, s83
	v_mov_b32_e32 v41, 8
	s_mov_b32 s84, 0
	s_xor_b32 exec_lo, exec_lo, s83
; %bb.194:                              ;   in Loop: Header=BB78_15 Depth=1
	v_subrev_nc_u32_e32 v43, s19, v43
	v_mov_b32_e32 v41, 0
	s_mov_b32 s84, exec_lo
; %bb.195:                              ;   in Loop: Header=BB78_15 Depth=1
	s_or_b32 exec_lo, exec_lo, s83
	v_mov_b32_e32 v42, v43
	s_and_b32 s86, s84, exec_lo
.LBB78_196:                             ;   in Loop: Header=BB78_15 Depth=1
	s_or_b32 exec_lo, exec_lo, s82
	s_mov_b32 s83, -1
                                        ; implicit-def: $sgpr85
                                        ; implicit-def: $sgpr84
	s_and_saveexec_b32 s82, s86
	s_cbranch_execz .LBB78_237
; %bb.197:                              ;   in Loop: Header=BB78_15 Depth=1
	v_cmp_eq_u32_e32 vcc_lo, 1, v42
	s_cmp_eq_u32 s20, 1
	s_mov_b32 s87, -1
	s_cselect_b32 s83, -1, 0
                                        ; implicit-def: $sgpr85
                                        ; implicit-def: $sgpr84
	s_and_b32 s83, s83, vcc_lo
	s_and_saveexec_b32 s86, s83
	s_cbranch_execz .LBB78_225
; %bb.198:                              ;   in Loop: Header=BB78_15 Depth=1
	ds_read_b32 v1, v15 offset:4096
	s_waitcnt lgkmcnt(0)
	s_barrier
	buffer_gl0_inv
	v_readfirstlane_b32 s88, v1
	s_and_saveexec_b32 s84, s6
; %bb.199:                              ;   in Loop: Header=BB78_15 Depth=1
	v_mov_b32_e32 v14, v15
	ds_write_b64 v32, v[14:15]
; %bb.200:                              ;   in Loop: Header=BB78_15 Depth=1
	s_or_b32 exec_lo, exec_lo, s84
	v_or_b32_e32 v26, s13, v26
	v_or_b32_e32 v25, s12, v25
	;; [unrolled: 1-line block ×4, first 2 shown]
	s_mov_b32 s84, -1
	s_mov_b32 s85, 0
	s_cmp_eq_u32 s88, 0
	s_mov_b32 s87, 0
	s_mov_b32 s89, -1
	s_waitcnt lgkmcnt(0)
	s_barrier
	buffer_gl0_inv
                                        ; implicit-def: $vgpr9_vgpr10
	s_cbranch_scc1 .LBB78_212
; %bb.201:                              ;   in Loop: Header=BB78_15 Depth=1
	s_add_i32 s87, s88, s57
                                        ; implicit-def: $vgpr9_vgpr10
	s_mul_hi_u32 s89, s87, s63
	s_mul_i32 s89, s89, s34
	s_sub_i32 s89, s87, s89
	s_sub_i32 s90, s89, s34
	s_cmp_ge_u32 s89, s34
	s_cselect_b32 s89, s90, s89
	s_sub_i32 s90, s89, s34
	s_cmp_ge_u32 s89, s34
	s_cselect_b32 s89, s90, s89
	s_mov_b32 s90, exec_lo
	s_sub_i32 s91, s87, s89
	s_mov_b32 s89, 0
	s_mov_b32 s87, 0
	v_cmpx_gt_u32_e64 s91, v0
	s_cbranch_execz .LBB78_211
; %bb.202:                              ;   in Loop: Header=BB78_15 Depth=1
	v_mov_b32_e32 v14, v30
	v_mov_b32_e32 v43, v0
                                        ; implicit-def: $sgpr92
	s_inst_prefetch 0x1
	s_branch .LBB78_206
	.p2align	6
.LBB78_203:                             ;   in Loop: Header=BB78_206 Depth=2
	s_or_b32 exec_lo, exec_lo, s93
	s_waitcnt lgkmcnt(0)
	s_barrier
	buffer_gl0_inv
	ds_read_b128 v[7:10], v15 offset:3072
	s_waitcnt lgkmcnt(0)
	s_barrier
	buffer_gl0_inv
	v_cmp_neq_f64_e32 vcc_lo, 0, v[7:8]
	s_cbranch_vccnz .LBB78_209
; %bb.204:                              ;   in Loop: Header=BB78_206 Depth=2
	v_add_nc_u32_e32 v43, s34, v43
	v_add_nc_u32_e32 v14, s67, v14
	s_mov_b32 s93, 0
	v_cmp_le_u32_e32 vcc_lo, s91, v43
	s_orn2_b32 s94, vcc_lo, exec_lo
.LBB78_205:                             ;   in Loop: Header=BB78_206 Depth=2
	s_and_b32 s94, exec_lo, s94
	s_or_b32 s87, s94, s87
	s_andn2_b32 s92, s92, exec_lo
	s_and_b32 s93, s93, exec_lo
	s_or_b32 s92, s92, s93
	s_andn2_b32 exec_lo, exec_lo, s87
	s_cbranch_execz .LBB78_210
.LBB78_206:                             ;   Parent Loop BB78_15 Depth=1
                                        ; =>  This Inner Loop Header: Depth=2
	s_mov_b32 s93, exec_lo
	v_cmpx_gt_u32_e64 s88, v43
	s_cbranch_execz .LBB78_203
; %bb.207:                              ;   in Loop: Header=BB78_206 Depth=2
	ds_read_b64 v[3:4], v14
	s_waitcnt lgkmcnt(0)
	v_cmp_o_f64_e32 vcc_lo, v[3:4], v[3:4]
	v_ashrrev_i32_e32 v1, 31, v4
	v_or_b32_e32 v7, 0x80000000, v1
	v_xor_b32_e32 v1, v1, v3
	v_xor_b32_e32 v7, v7, v4
	v_cndmask_b32_e32 v7, -1, v7, vcc_lo
	v_cndmask_b32_e32 v1, -1, v1, vcc_lo
	v_and_b32_e32 v8, v7, v24
	v_and_b32_e32 v7, v1, v23
	v_cmp_eq_u64_e32 vcc_lo, v[7:8], v[25:26]
	s_and_b32 exec_lo, exec_lo, vcc_lo
	s_cbranch_execz .LBB78_203
; %bb.208:                              ;   in Loop: Header=BB78_206 Depth=2
	v_mov_b32_e32 v1, v15
	ds_write_b128 v15, v[1:4] offset:3072
	s_branch .LBB78_203
.LBB78_209:                             ;   in Loop: Header=BB78_206 Depth=2
	s_mov_b32 s94, -1
	s_mov_b32 s93, -1
                                        ; implicit-def: $vgpr43
                                        ; implicit-def: $vgpr14
	s_branch .LBB78_205
.LBB78_210:                             ;   in Loop: Header=BB78_15 Depth=1
	s_inst_prefetch 0x2
	s_or_b32 exec_lo, exec_lo, s87
	s_and_b32 s87, s92, exec_lo
.LBB78_211:                             ;   in Loop: Header=BB78_15 Depth=1
	s_or_b32 exec_lo, exec_lo, s90
.LBB78_212:                             ;   in Loop: Header=BB78_15 Depth=1
	s_and_b32 vcc_lo, exec_lo, s89
	s_cbranch_vccz .LBB78_224
; %bb.213:                              ;   in Loop: Header=BB78_15 Depth=1
                                        ; implicit-def: $vgpr9_vgpr10
	s_and_saveexec_b32 s84, s9
	s_cbranch_execz .LBB78_223
; %bb.214:                              ;   in Loop: Header=BB78_15 Depth=1
	v_mov_b32_e32 v14, v13
	v_mov_b32_e32 v43, v0
	s_mov_b32 s85, 0
                                        ; implicit-def: $sgpr88
	s_branch .LBB78_218
.LBB78_215:                             ;   in Loop: Header=BB78_218 Depth=2
	s_or_b32 exec_lo, exec_lo, s89
	s_waitcnt lgkmcnt(0)
	s_barrier
	buffer_gl0_inv
	ds_read_b128 v[7:10], v15 offset:3072
	s_waitcnt lgkmcnt(0)
	s_barrier
	buffer_gl0_inv
	v_cmp_eq_f64_e32 vcc_lo, 0, v[7:8]
	s_cbranch_vccz .LBB78_221
; %bb.216:                              ;   in Loop: Header=BB78_218 Depth=2
	v_add_nc_u32_e32 v43, s34, v43
	v_add_nc_u32_e32 v14, s40, v14
	s_mov_b32 s89, 0
	v_cmp_le_u32_e32 vcc_lo, s64, v43
	s_orn2_b32 s90, vcc_lo, exec_lo
.LBB78_217:                             ;   in Loop: Header=BB78_218 Depth=2
	s_and_b32 s90, exec_lo, s90
	s_or_b32 s85, s90, s85
	s_andn2_b32 s88, s88, exec_lo
	s_and_b32 s89, s89, exec_lo
	s_or_b32 s88, s88, s89
	s_andn2_b32 exec_lo, exec_lo, s85
	s_cbranch_execz .LBB78_222
.LBB78_218:                             ;   Parent Loop BB78_15 Depth=1
                                        ; =>  This Inner Loop Header: Depth=2
	s_mov_b32 s89, exec_lo
	v_cmpx_gt_u32_e64 s36, v43
	s_cbranch_execz .LBB78_215
; %bb.219:                              ;   in Loop: Header=BB78_218 Depth=2
	v_lshlrev_b64 v[3:4], 3, v[14:15]
	v_add_co_u32 v3, vcc_lo, s31, v3
	v_add_co_ci_u32_e64 v4, null, s33, v4, vcc_lo
	global_load_dwordx2 v[3:4], v[3:4], off
	s_waitcnt vmcnt(0)
	v_cmp_o_f64_e32 vcc_lo, v[3:4], v[3:4]
	v_ashrrev_i32_e32 v1, 31, v4
	v_or_b32_e32 v7, 0x80000000, v1
	v_xor_b32_e32 v1, v1, v3
	v_xor_b32_e32 v7, v7, v4
	v_cndmask_b32_e32 v7, -1, v7, vcc_lo
	v_cndmask_b32_e32 v1, -1, v1, vcc_lo
	v_and_b32_e32 v8, v7, v24
	v_and_b32_e32 v7, v1, v23
	v_cmp_eq_u64_e32 vcc_lo, v[7:8], v[25:26]
	s_and_b32 exec_lo, exec_lo, vcc_lo
	s_cbranch_execz .LBB78_215
; %bb.220:                              ;   in Loop: Header=BB78_218 Depth=2
	v_mov_b32_e32 v1, v15
	ds_write_b128 v15, v[1:4] offset:3072
	s_branch .LBB78_215
.LBB78_221:                             ;   in Loop: Header=BB78_218 Depth=2
	s_mov_b32 s90, -1
	s_mov_b32 s89, -1
                                        ; implicit-def: $vgpr43
	s_branch .LBB78_217
.LBB78_222:                             ;   in Loop: Header=BB78_15 Depth=1
	s_or_b32 exec_lo, exec_lo, s85
	s_andn2_b32 s85, s87, exec_lo
	s_and_b32 s87, s88, exec_lo
	s_or_b32 s87, s85, s87
.LBB78_223:                             ;   in Loop: Header=BB78_15 Depth=1
	s_or_b32 exec_lo, exec_lo, s84
	s_mov_b32 s84, 0
	s_mov_b32 s85, -1
.LBB78_224:                             ;   in Loop: Header=BB78_15 Depth=1
	s_orn2_b32 s87, s87, exec_lo
.LBB78_225:                             ;   in Loop: Header=BB78_15 Depth=1
	s_or_b32 exec_lo, exec_lo, s86
	s_mov_b32 s88, 0
	s_and_saveexec_b32 s86, s87
	s_cbranch_execz .LBB78_236
; %bb.226:                              ;   in Loop: Header=BB78_15 Depth=1
	v_mov_b32_e32 v41, 1
	v_mov_b32_e32 v1, 1
	s_xor_b32 s87, s83, -1
	s_and_saveexec_b32 s83, s87
	s_cbranch_execz .LBB78_235
; %bb.227:                              ;   in Loop: Header=BB78_15 Depth=1
	s_mov_b32 s87, exec_lo
	v_cmpx_ge_u32_e64 s20, v42
	s_xor_b32 s87, exec_lo, s87
	s_cbranch_execz .LBB78_232
; %bb.228:                              ;   in Loop: Header=BB78_15 Depth=1
	ds_read_b32 v1, v15 offset:4096
	v_or_b32_e32 v26, s13, v26
	v_or_b32_e32 v25, s12, v25
	;; [unrolled: 1-line block ×4, first 2 shown]
	s_waitcnt lgkmcnt(0)
	v_cmp_ne_u32_e32 vcc_lo, 0, v1
	s_cbranch_vccnz .LBB78_232
; %bb.229:                              ;   in Loop: Header=BB78_15 Depth=1
	s_and_saveexec_b32 s88, s3
; %bb.230:                              ;   in Loop: Header=BB78_15 Depth=1
	v_mov_b32_e32 v1, s20
	ds_write_b32 v15, v1 offset:4100
; %bb.231:                              ;   in Loop: Header=BB78_15 Depth=1
	s_or_b32 exec_lo, exec_lo, s88
	s_waitcnt lgkmcnt(0)
	s_barrier
	buffer_gl0_inv
.LBB78_232:                             ;   in Loop: Header=BB78_15 Depth=1
	s_andn2_saveexec_b32 s87, s87
; %bb.233:                              ;   in Loop: Header=BB78_15 Depth=1
	v_subrev_nc_u32_e32 v42, s20, v42
; %bb.234:                              ;   in Loop: Header=BB78_15 Depth=1
	s_or_b32 exec_lo, exec_lo, s87
	v_mov_b32_e32 v41, 8
	v_mov_b32_e32 v1, v42
.LBB78_235:                             ;   in Loop: Header=BB78_15 Depth=1
	s_or_b32 exec_lo, exec_lo, s83
	v_mov_b32_e32 v42, v1
	s_mov_b32 s88, exec_lo
.LBB78_236:                             ;   in Loop: Header=BB78_15 Depth=1
	s_or_b32 exec_lo, exec_lo, s86
	s_orn2_b32 s83, s88, exec_lo
.LBB78_237:                             ;   in Loop: Header=BB78_15 Depth=1
	s_or_b32 exec_lo, exec_lo, s82
	v_mov_b32_e32 v43, v42
	s_andn2_b32 s80, s80, exec_lo
	s_and_b32 s82, s85, exec_lo
	s_andn2_b32 s29, s29, exec_lo
	s_and_b32 s84, s84, exec_lo
	s_or_b32 s80, s80, s82
	s_or_b32 s29, s29, s84
	s_and_b32 s84, s83, exec_lo
.LBB78_238:                             ;   in Loop: Header=BB78_15 Depth=1
	s_or_b32 exec_lo, exec_lo, s81
	s_orn2_b32 s81, s84, exec_lo
.LBB78_239:                             ;   in Loop: Header=BB78_15 Depth=1
	s_or_b32 exec_lo, exec_lo, s28
	v_mov_b32_e32 v42, v43
	s_andn2_b32 s26, s26, exec_lo
	s_and_b32 s28, s80, exec_lo
	s_andn2_b32 s21, s21, exec_lo
	s_and_b32 s29, s29, exec_lo
	s_or_b32 s26, s26, s28
	s_or_b32 s21, s21, s29
	s_and_b32 s80, s81, exec_lo
.LBB78_240:                             ;   in Loop: Header=BB78_15 Depth=1
	s_or_b32 exec_lo, exec_lo, s27
	s_orn2_b32 s27, s80, exec_lo
.LBB78_241:                             ;   in Loop: Header=BB78_15 Depth=1
	s_or_b32 exec_lo, exec_lo, s11
	s_mov_b32 s28, 0
	s_mov_b32 s29, 0
	s_and_saveexec_b32 s11, s27
	s_xor_b32 s27, exec_lo, s11
; %bb.242:                              ;   in Loop: Header=BB78_15 Depth=1
	v_cmp_ne_u32_e32 vcc_lo, 8, v41
	v_cmp_eq_u32_e64 s11, 8, v41
	s_and_b32 s29, vcc_lo, exec_lo
	s_and_b32 s28, s11, exec_lo
; %bb.243:                              ;   in Loop: Header=BB78_15 Depth=1
	s_or_b32 exec_lo, exec_lo, s27
	s_andn2_b32 s11, s23, exec_lo
	s_and_b32 s23, s26, exec_lo
	s_andn2_b32 s22, s22, exec_lo
	s_and_b32 s21, s21, exec_lo
	s_or_b32 s23, s11, s23
	s_or_b32 s22, s22, s21
	s_and_b32 s11, s29, exec_lo
	s_and_b32 s21, s28, exec_lo
.LBB78_244:                             ;   in Loop: Header=BB78_15 Depth=1
	s_or_b32 exec_lo, exec_lo, s25
.LBB78_245:                             ;   in Loop: Header=BB78_15 Depth=1
	s_and_b32 vcc_lo, exec_lo, s24
	s_cbranch_vccz .LBB78_259
; %bb.246:                              ;   in Loop: Header=BB78_15 Depth=1
	s_cmp_eq_u32 s20, 1
	s_mov_b32 s23, -1
	s_cselect_b32 s16, -1, 0
                                        ; implicit-def: $sgpr24
	s_and_b32 s10, s16, s10
                                        ; implicit-def: $sgpr16
	s_and_saveexec_b32 s22, s10
	s_cbranch_execz .LBB78_275
; %bb.247:                              ;   in Loop: Header=BB78_15 Depth=1
	ds_read_b32 v1, v15 offset:4096
	s_waitcnt lgkmcnt(0)
	s_barrier
	buffer_gl0_inv
	v_readfirstlane_b32 s25, v1
	s_and_saveexec_b32 s16, s6
; %bb.248:                              ;   in Loop: Header=BB78_15 Depth=1
	v_mov_b32_e32 v14, v15
	ds_write_b64 v32, v[14:15]
; %bb.249:                              ;   in Loop: Header=BB78_15 Depth=1
	s_or_b32 exec_lo, exec_lo, s16
	v_or_b32_e32 v17, s13, v17
	v_or_b32_e32 v16, s12, v16
	;; [unrolled: 1-line block ×4, first 2 shown]
	s_mov_b32 s16, -1
	s_mov_b32 s24, 0
	s_cmp_eq_u32 s25, 0
	s_mov_b32 s23, 0
	s_mov_b32 s26, -1
	s_waitcnt lgkmcnt(0)
	s_barrier
	buffer_gl0_inv
                                        ; implicit-def: $vgpr5_vgpr6
	s_cbranch_scc1 .LBB78_262
; %bb.250:                              ;   in Loop: Header=BB78_15 Depth=1
	s_add_i32 s23, s25, s57
                                        ; implicit-def: $vgpr5_vgpr6
	s_mul_hi_u32 s26, s23, s63
	s_mul_i32 s26, s26, s34
	s_sub_i32 s26, s23, s26
	s_sub_i32 s27, s26, s34
	s_cmp_ge_u32 s26, s34
	s_cselect_b32 s26, s27, s26
	s_sub_i32 s27, s26, s34
	s_cmp_ge_u32 s26, s34
	s_cselect_b32 s26, s27, s26
	s_mov_b32 s27, exec_lo
	s_sub_i32 s28, s23, s26
	s_mov_b32 s26, 0
	s_mov_b32 s23, 0
	v_cmpx_gt_u32_e64 s28, v0
	s_cbranch_execz .LBB78_261
; %bb.251:                              ;   in Loop: Header=BB78_15 Depth=1
	v_mov_b32_e32 v7, v30
	v_mov_b32_e32 v8, v0
                                        ; implicit-def: $sgpr29
	s_inst_prefetch 0x1
	s_branch .LBB78_255
	.p2align	6
.LBB78_252:                             ;   in Loop: Header=BB78_255 Depth=2
	s_or_b32 exec_lo, exec_lo, s80
	s_waitcnt lgkmcnt(0)
	s_barrier
	buffer_gl0_inv
	ds_read_b128 v[3:6], v15 offset:3072
	s_waitcnt lgkmcnt(0)
	s_barrier
	buffer_gl0_inv
	v_cmp_neq_f64_e32 vcc_lo, 0, v[3:4]
	s_cbranch_vccnz .LBB78_258
; %bb.253:                              ;   in Loop: Header=BB78_255 Depth=2
	v_add_nc_u32_e32 v8, s34, v8
	v_add_nc_u32_e32 v7, s67, v7
	s_mov_b32 s80, 0
	v_cmp_le_u32_e32 vcc_lo, s28, v8
	s_orn2_b32 s81, vcc_lo, exec_lo
.LBB78_254:                             ;   in Loop: Header=BB78_255 Depth=2
	s_and_b32 s81, exec_lo, s81
	s_or_b32 s23, s81, s23
	s_andn2_b32 s29, s29, exec_lo
	s_and_b32 s80, s80, exec_lo
	s_or_b32 s29, s29, s80
	s_andn2_b32 exec_lo, exec_lo, s23
	s_cbranch_execz .LBB78_260
.LBB78_255:                             ;   Parent Loop BB78_15 Depth=1
                                        ; =>  This Inner Loop Header: Depth=2
	s_mov_b32 s80, exec_lo
	v_cmpx_gt_u32_e64 s25, v8
	s_cbranch_execz .LBB78_252
; %bb.256:                              ;   in Loop: Header=BB78_255 Depth=2
	ds_read_b64 v[3:4], v7
	s_waitcnt lgkmcnt(0)
	v_cmp_o_f64_e32 vcc_lo, v[3:4], v[3:4]
	v_ashrrev_i32_e32 v1, 31, v4
	v_or_b32_e32 v5, 0x80000000, v1
	v_xor_b32_e32 v1, v1, v3
	v_xor_b32_e32 v5, v5, v4
	v_cndmask_b32_e32 v5, -1, v5, vcc_lo
	v_cndmask_b32_e32 v1, -1, v1, vcc_lo
	v_and_b32_e32 v6, v5, v22
	v_and_b32_e32 v5, v1, v21
	v_cmp_eq_u64_e32 vcc_lo, v[5:6], v[16:17]
	s_and_b32 exec_lo, exec_lo, vcc_lo
	s_cbranch_execz .LBB78_252
; %bb.257:                              ;   in Loop: Header=BB78_255 Depth=2
	v_mov_b32_e32 v1, v15
	ds_write_b128 v15, v[1:4] offset:3072
	s_branch .LBB78_252
.LBB78_258:                             ;   in Loop: Header=BB78_255 Depth=2
	s_mov_b32 s81, -1
	s_mov_b32 s80, -1
                                        ; implicit-def: $vgpr8
                                        ; implicit-def: $vgpr7
	s_branch .LBB78_254
.LBB78_259:                             ;   in Loop: Header=BB78_15 Depth=1
	v_mov_b32_e32 v16, v25
	v_mov_b32_e32 v21, v23
	;; [unrolled: 1-line block ×6, first 2 shown]
	s_mov_b32 s24, 0
	s_and_saveexec_b32 s10, s21
	s_cbranch_execnz .LBB78_412
	s_branch .LBB78_413
.LBB78_260:                             ;   in Loop: Header=BB78_15 Depth=1
	s_inst_prefetch 0x2
	s_or_b32 exec_lo, exec_lo, s23
	s_and_b32 s23, s29, exec_lo
.LBB78_261:                             ;   in Loop: Header=BB78_15 Depth=1
	s_or_b32 exec_lo, exec_lo, s27
.LBB78_262:                             ;   in Loop: Header=BB78_15 Depth=1
	s_and_b32 vcc_lo, exec_lo, s26
	s_cbranch_vccz .LBB78_274
; %bb.263:                              ;   in Loop: Header=BB78_15 Depth=1
                                        ; implicit-def: $vgpr5_vgpr6
	s_and_saveexec_b32 s16, s9
	s_cbranch_execz .LBB78_273
; %bb.264:                              ;   in Loop: Header=BB78_15 Depth=1
	v_mov_b32_e32 v14, v13
	v_mov_b32_e32 v7, v0
	s_mov_b32 s25, 0
                                        ; implicit-def: $sgpr24
	s_branch .LBB78_268
.LBB78_265:                             ;   in Loop: Header=BB78_268 Depth=2
	s_or_b32 exec_lo, exec_lo, s26
	s_waitcnt lgkmcnt(0)
	s_barrier
	buffer_gl0_inv
	ds_read_b128 v[3:6], v15 offset:3072
	s_waitcnt lgkmcnt(0)
	s_barrier
	buffer_gl0_inv
	v_cmp_neq_f64_e32 vcc_lo, 0, v[3:4]
	s_cbranch_vccnz .LBB78_271
; %bb.266:                              ;   in Loop: Header=BB78_268 Depth=2
	v_add_nc_u32_e32 v7, s34, v7
	v_add_nc_u32_e32 v14, s40, v14
	s_mov_b32 s26, 0
	v_cmp_le_u32_e32 vcc_lo, s64, v7
	s_orn2_b32 s27, vcc_lo, exec_lo
.LBB78_267:                             ;   in Loop: Header=BB78_268 Depth=2
	s_and_b32 s27, exec_lo, s27
	s_or_b32 s25, s27, s25
	s_andn2_b32 s24, s24, exec_lo
	s_and_b32 s26, s26, exec_lo
	s_or_b32 s24, s24, s26
	s_andn2_b32 exec_lo, exec_lo, s25
	s_cbranch_execz .LBB78_272
.LBB78_268:                             ;   Parent Loop BB78_15 Depth=1
                                        ; =>  This Inner Loop Header: Depth=2
	s_mov_b32 s26, exec_lo
	v_cmpx_gt_u32_e64 s36, v7
	s_cbranch_execz .LBB78_265
; %bb.269:                              ;   in Loop: Header=BB78_268 Depth=2
	v_lshlrev_b64 v[3:4], 3, v[14:15]
	v_add_co_u32 v3, vcc_lo, s31, v3
	v_add_co_ci_u32_e64 v4, null, s33, v4, vcc_lo
	global_load_dwordx2 v[3:4], v[3:4], off
	s_waitcnt vmcnt(0)
	v_cmp_o_f64_e32 vcc_lo, v[3:4], v[3:4]
	v_ashrrev_i32_e32 v1, 31, v4
	v_or_b32_e32 v5, 0x80000000, v1
	v_xor_b32_e32 v1, v1, v3
	v_xor_b32_e32 v5, v5, v4
	v_cndmask_b32_e32 v5, -1, v5, vcc_lo
	v_cndmask_b32_e32 v1, -1, v1, vcc_lo
	v_and_b32_e32 v6, v5, v22
	v_and_b32_e32 v5, v1, v21
	v_cmp_eq_u64_e32 vcc_lo, v[5:6], v[16:17]
	s_and_b32 exec_lo, exec_lo, vcc_lo
	s_cbranch_execz .LBB78_265
; %bb.270:                              ;   in Loop: Header=BB78_268 Depth=2
	v_mov_b32_e32 v1, v15
	ds_write_b128 v15, v[1:4] offset:3072
	s_branch .LBB78_265
.LBB78_271:                             ;   in Loop: Header=BB78_268 Depth=2
	s_mov_b32 s27, -1
	s_mov_b32 s26, -1
                                        ; implicit-def: $vgpr7
	s_branch .LBB78_267
.LBB78_272:                             ;   in Loop: Header=BB78_15 Depth=1
	s_or_b32 exec_lo, exec_lo, s25
	s_andn2_b32 s23, s23, exec_lo
	s_and_b32 s24, s24, exec_lo
	s_or_b32 s23, s23, s24
.LBB78_273:                             ;   in Loop: Header=BB78_15 Depth=1
	s_or_b32 exec_lo, exec_lo, s16
	s_mov_b32 s16, 0
	s_mov_b32 s24, -1
.LBB78_274:                             ;   in Loop: Header=BB78_15 Depth=1
	s_orn2_b32 s23, s23, exec_lo
.LBB78_275:                             ;   in Loop: Header=BB78_15 Depth=1
	s_or_b32 exec_lo, exec_lo, s22
                                        ; implicit-def: $vgpr42
                                        ; implicit-def: $vgpr41
	s_and_saveexec_b32 s22, s23
	s_cbranch_execz .LBB78_411
; %bb.276:                              ;   in Loop: Header=BB78_15 Depth=1
	v_mov_b32_e32 v42, 1
	v_mov_b32_e32 v41, 1
	s_xor_b32 s23, s10, -1
	s_mov_b32 s26, 0
	s_and_saveexec_b32 s10, s23
	s_cbranch_execz .LBB78_285
; %bb.277:                              ;   in Loop: Header=BB78_15 Depth=1
	s_mov_b32 s23, exec_lo
	v_cmpx_ge_u32_e64 s20, v40
	s_xor_b32 s23, exec_lo, s23
	s_cbranch_execz .LBB78_282
; %bb.278:                              ;   in Loop: Header=BB78_15 Depth=1
	ds_read_b32 v1, v15 offset:4096
	v_or_b32_e32 v17, s13, v17
	v_or_b32_e32 v16, s12, v16
	;; [unrolled: 1-line block ×4, first 2 shown]
	s_waitcnt lgkmcnt(0)
	v_cmp_ne_u32_e32 vcc_lo, 0, v1
	s_cbranch_vccnz .LBB78_282
; %bb.279:                              ;   in Loop: Header=BB78_15 Depth=1
	s_and_saveexec_b32 s25, s3
; %bb.280:                              ;   in Loop: Header=BB78_15 Depth=1
	v_mov_b32_e32 v1, s20
	ds_write_b32 v15, v1 offset:4100
; %bb.281:                              ;   in Loop: Header=BB78_15 Depth=1
	s_or_b32 exec_lo, exec_lo, s25
	s_waitcnt lgkmcnt(0)
	s_barrier
	buffer_gl0_inv
.LBB78_282:                             ;   in Loop: Header=BB78_15 Depth=1
	s_or_saveexec_b32 s23, s23
	v_mov_b32_e32 v41, 5
	s_mov_b32 s25, 0
	s_xor_b32 exec_lo, exec_lo, s23
; %bb.283:                              ;   in Loop: Header=BB78_15 Depth=1
	v_subrev_nc_u32_e32 v40, s20, v40
	v_mov_b32_e32 v41, 0
	s_mov_b32 s25, exec_lo
; %bb.284:                              ;   in Loop: Header=BB78_15 Depth=1
	s_or_b32 exec_lo, exec_lo, s23
	v_mov_b32_e32 v42, v40
	s_and_b32 s26, s25, exec_lo
.LBB78_285:                             ;   in Loop: Header=BB78_15 Depth=1
	s_or_b32 exec_lo, exec_lo, s10
	s_mov_b32 s25, -1
                                        ; implicit-def: $sgpr20
                                        ; implicit-def: $sgpr23
	s_and_saveexec_b32 s10, s26
	s_xor_b32 s10, exec_lo, s10
	s_cbranch_execz .LBB78_408
; %bb.286:                              ;   in Loop: Header=BB78_15 Depth=1
	v_cmp_eq_u32_e32 vcc_lo, 1, v42
	s_cmp_eq_u32 s19, 1
	s_mov_b32 s27, -1
	s_cselect_b32 s20, -1, 0
                                        ; implicit-def: $sgpr23
	s_and_b32 s26, s20, vcc_lo
                                        ; implicit-def: $sgpr20
	s_and_saveexec_b32 s25, s26
	s_cbranch_execz .LBB78_314
; %bb.287:                              ;   in Loop: Header=BB78_15 Depth=1
	ds_read_b32 v1, v15 offset:4096
	s_waitcnt lgkmcnt(0)
	s_barrier
	buffer_gl0_inv
	v_readfirstlane_b32 s28, v1
	s_and_saveexec_b32 s20, s6
; %bb.288:                              ;   in Loop: Header=BB78_15 Depth=1
	v_mov_b32_e32 v14, v15
	ds_write_b64 v32, v[14:15]
; %bb.289:                              ;   in Loop: Header=BB78_15 Depth=1
	s_or_b32 exec_lo, exec_lo, s20
	v_and_b32_e32 v1, s15, v17
	v_and_b32_e32 v3, s14, v16
	s_lshl_b64 s[80:81], 2, s73
	v_or_b32_e32 v22, s13, v22
	v_or_b32_e32 v21, s12, v21
	;; [unrolled: 1-line block ×4, first 2 shown]
	s_mov_b32 s20, -1
	s_mov_b32 s23, 0
	s_cmp_eq_u32 s28, 0
	s_mov_b32 s27, 0
	s_mov_b32 s29, -1
	s_waitcnt lgkmcnt(0)
	s_barrier
	buffer_gl0_inv
                                        ; implicit-def: $vgpr5_vgpr6
	s_cbranch_scc1 .LBB78_301
; %bb.290:                              ;   in Loop: Header=BB78_15 Depth=1
	s_add_i32 s27, s28, s57
                                        ; implicit-def: $vgpr5_vgpr6
	s_mul_hi_u32 s29, s27, s63
	s_mul_i32 s29, s29, s34
	s_sub_i32 s29, s27, s29
	s_sub_i32 s80, s29, s34
	s_cmp_ge_u32 s29, s34
	s_cselect_b32 s29, s80, s29
	s_sub_i32 s80, s29, s34
	s_cmp_ge_u32 s29, s34
	s_cselect_b32 s29, s80, s29
	s_mov_b32 s80, exec_lo
	s_sub_i32 s81, s27, s29
	s_mov_b32 s29, 0
	s_mov_b32 s27, 0
	v_cmpx_gt_u32_e64 s81, v0
	s_cbranch_execz .LBB78_300
; %bb.291:                              ;   in Loop: Header=BB78_15 Depth=1
	v_mov_b32_e32 v7, v30
	v_mov_b32_e32 v8, v0
                                        ; implicit-def: $sgpr82
	s_inst_prefetch 0x1
	s_branch .LBB78_295
	.p2align	6
.LBB78_292:                             ;   in Loop: Header=BB78_295 Depth=2
	s_or_b32 exec_lo, exec_lo, s83
	s_waitcnt lgkmcnt(0)
	s_barrier
	buffer_gl0_inv
	ds_read_b128 v[3:6], v15 offset:3072
	s_waitcnt lgkmcnt(0)
	s_barrier
	buffer_gl0_inv
	v_cmp_neq_f64_e32 vcc_lo, 0, v[3:4]
	s_cbranch_vccnz .LBB78_298
; %bb.293:                              ;   in Loop: Header=BB78_295 Depth=2
	v_add_nc_u32_e32 v8, s34, v8
	v_add_nc_u32_e32 v7, s67, v7
	s_mov_b32 s83, 0
	v_cmp_le_u32_e32 vcc_lo, s81, v8
	s_orn2_b32 s84, vcc_lo, exec_lo
.LBB78_294:                             ;   in Loop: Header=BB78_295 Depth=2
	s_and_b32 s84, exec_lo, s84
	s_or_b32 s27, s84, s27
	s_andn2_b32 s82, s82, exec_lo
	s_and_b32 s83, s83, exec_lo
	s_or_b32 s82, s82, s83
	s_andn2_b32 exec_lo, exec_lo, s27
	s_cbranch_execz .LBB78_299
.LBB78_295:                             ;   Parent Loop BB78_15 Depth=1
                                        ; =>  This Inner Loop Header: Depth=2
	s_mov_b32 s83, exec_lo
	v_cmpx_gt_u32_e64 s28, v8
	s_cbranch_execz .LBB78_292
; %bb.296:                              ;   in Loop: Header=BB78_295 Depth=2
	ds_read_b64 v[3:4], v7
	s_waitcnt lgkmcnt(0)
	v_cmp_o_f64_e32 vcc_lo, v[3:4], v[3:4]
	v_ashrrev_i32_e32 v1, 31, v4
	v_or_b32_e32 v5, 0x80000000, v1
	v_xor_b32_e32 v1, v1, v3
	v_xor_b32_e32 v5, v5, v4
	v_cndmask_b32_e32 v5, -1, v5, vcc_lo
	v_cndmask_b32_e32 v1, -1, v1, vcc_lo
	v_and_b32_e32 v6, v5, v22
	v_and_b32_e32 v5, v1, v21
	v_cmp_eq_u64_e32 vcc_lo, v[5:6], v[16:17]
	s_and_b32 exec_lo, exec_lo, vcc_lo
	s_cbranch_execz .LBB78_292
; %bb.297:                              ;   in Loop: Header=BB78_295 Depth=2
	v_mov_b32_e32 v1, v15
	ds_write_b128 v15, v[1:4] offset:3072
	s_branch .LBB78_292
.LBB78_298:                             ;   in Loop: Header=BB78_295 Depth=2
	s_mov_b32 s84, -1
	s_mov_b32 s83, -1
                                        ; implicit-def: $vgpr8
                                        ; implicit-def: $vgpr7
	s_branch .LBB78_294
.LBB78_299:                             ;   in Loop: Header=BB78_15 Depth=1
	s_inst_prefetch 0x2
	s_or_b32 exec_lo, exec_lo, s27
	s_and_b32 s27, s82, exec_lo
.LBB78_300:                             ;   in Loop: Header=BB78_15 Depth=1
	s_or_b32 exec_lo, exec_lo, s80
.LBB78_301:                             ;   in Loop: Header=BB78_15 Depth=1
	s_and_b32 vcc_lo, exec_lo, s29
	s_cbranch_vccz .LBB78_313
; %bb.302:                              ;   in Loop: Header=BB78_15 Depth=1
                                        ; implicit-def: $vgpr5_vgpr6
	s_and_saveexec_b32 s20, s9
	s_cbranch_execz .LBB78_312
; %bb.303:                              ;   in Loop: Header=BB78_15 Depth=1
	v_mov_b32_e32 v14, v13
	v_mov_b32_e32 v7, v0
	s_mov_b32 s23, 0
                                        ; implicit-def: $sgpr28
	s_branch .LBB78_307
.LBB78_304:                             ;   in Loop: Header=BB78_307 Depth=2
	s_or_b32 exec_lo, exec_lo, s29
	s_waitcnt lgkmcnt(0)
	s_barrier
	buffer_gl0_inv
	ds_read_b128 v[3:6], v15 offset:3072
	s_waitcnt lgkmcnt(0)
	s_barrier
	buffer_gl0_inv
	v_cmp_eq_f64_e32 vcc_lo, 0, v[3:4]
	s_cbranch_vccz .LBB78_310
; %bb.305:                              ;   in Loop: Header=BB78_307 Depth=2
	v_add_nc_u32_e32 v7, s34, v7
	v_add_nc_u32_e32 v14, s40, v14
	s_mov_b32 s29, 0
	v_cmp_le_u32_e32 vcc_lo, s64, v7
	s_orn2_b32 s80, vcc_lo, exec_lo
.LBB78_306:                             ;   in Loop: Header=BB78_307 Depth=2
	s_and_b32 s80, exec_lo, s80
	s_or_b32 s23, s80, s23
	s_andn2_b32 s28, s28, exec_lo
	s_and_b32 s29, s29, exec_lo
	s_or_b32 s28, s28, s29
	s_andn2_b32 exec_lo, exec_lo, s23
	s_cbranch_execz .LBB78_311
.LBB78_307:                             ;   Parent Loop BB78_15 Depth=1
                                        ; =>  This Inner Loop Header: Depth=2
	s_mov_b32 s29, exec_lo
	v_cmpx_gt_u32_e64 s36, v7
	s_cbranch_execz .LBB78_304
; %bb.308:                              ;   in Loop: Header=BB78_307 Depth=2
	v_lshlrev_b64 v[3:4], 3, v[14:15]
	v_add_co_u32 v3, vcc_lo, s31, v3
	v_add_co_ci_u32_e64 v4, null, s33, v4, vcc_lo
	global_load_dwordx2 v[3:4], v[3:4], off
	s_waitcnt vmcnt(0)
	v_cmp_o_f64_e32 vcc_lo, v[3:4], v[3:4]
	v_ashrrev_i32_e32 v1, 31, v4
	v_or_b32_e32 v5, 0x80000000, v1
	v_xor_b32_e32 v1, v1, v3
	v_xor_b32_e32 v5, v5, v4
	v_cndmask_b32_e32 v5, -1, v5, vcc_lo
	v_cndmask_b32_e32 v1, -1, v1, vcc_lo
	v_and_b32_e32 v6, v5, v22
	v_and_b32_e32 v5, v1, v21
	v_cmp_eq_u64_e32 vcc_lo, v[5:6], v[16:17]
	s_and_b32 exec_lo, exec_lo, vcc_lo
	s_cbranch_execz .LBB78_304
; %bb.309:                              ;   in Loop: Header=BB78_307 Depth=2
	v_mov_b32_e32 v1, v15
	ds_write_b128 v15, v[1:4] offset:3072
	s_branch .LBB78_304
.LBB78_310:                             ;   in Loop: Header=BB78_307 Depth=2
	s_mov_b32 s80, -1
	s_mov_b32 s29, -1
                                        ; implicit-def: $vgpr7
	s_branch .LBB78_306
.LBB78_311:                             ;   in Loop: Header=BB78_15 Depth=1
	s_or_b32 exec_lo, exec_lo, s23
	s_andn2_b32 s23, s27, exec_lo
	s_and_b32 s27, s28, exec_lo
	s_or_b32 s27, s23, s27
.LBB78_312:                             ;   in Loop: Header=BB78_15 Depth=1
	s_or_b32 exec_lo, exec_lo, s20
	s_mov_b32 s20, 0
	s_mov_b32 s23, -1
.LBB78_313:                             ;   in Loop: Header=BB78_15 Depth=1
	s_orn2_b32 s27, s27, exec_lo
.LBB78_314:                             ;   in Loop: Header=BB78_15 Depth=1
	s_or_b32 exec_lo, exec_lo, s25
	s_mov_b32 s28, 0
	s_and_saveexec_b32 s25, s27
	s_cbranch_execz .LBB78_407
; %bb.315:                              ;   in Loop: Header=BB78_15 Depth=1
	v_mov_b32_e32 v7, 1
	v_mov_b32_e32 v41, 1
	s_xor_b32 s27, s26, -1
	s_mov_b32 s29, 0
	s_and_saveexec_b32 s26, s27
	s_cbranch_execz .LBB78_324
; %bb.316:                              ;   in Loop: Header=BB78_15 Depth=1
	s_mov_b32 s27, exec_lo
	v_cmpx_ge_u32_e64 s19, v42
	s_xor_b32 s27, exec_lo, s27
	s_cbranch_execz .LBB78_321
; %bb.317:                              ;   in Loop: Header=BB78_15 Depth=1
	ds_read_b32 v1, v15 offset:4096
	v_and_b32_e32 v3, s15, v17
	v_and_b32_e32 v4, s14, v16
	s_lshl_b64 s[28:29], 2, s73
	v_or_b32_e32 v22, s13, v22
	v_or_b32_e32 v21, s12, v21
	;; [unrolled: 1-line block ×4, first 2 shown]
	s_waitcnt lgkmcnt(0)
	v_cmp_ne_u32_e32 vcc_lo, 0, v1
	s_cbranch_vccnz .LBB78_321
; %bb.318:                              ;   in Loop: Header=BB78_15 Depth=1
	s_and_saveexec_b32 s28, s3
; %bb.319:                              ;   in Loop: Header=BB78_15 Depth=1
	v_mov_b32_e32 v1, s19
	ds_write_b32 v15, v1 offset:4100
; %bb.320:                              ;   in Loop: Header=BB78_15 Depth=1
	s_or_b32 exec_lo, exec_lo, s28
	s_waitcnt lgkmcnt(0)
	s_barrier
	buffer_gl0_inv
.LBB78_321:                             ;   in Loop: Header=BB78_15 Depth=1
	s_or_saveexec_b32 s27, s27
	v_mov_b32_e32 v41, 5
	s_mov_b32 s28, 0
	s_xor_b32 exec_lo, exec_lo, s27
; %bb.322:                              ;   in Loop: Header=BB78_15 Depth=1
	v_subrev_nc_u32_e32 v42, s19, v42
	v_mov_b32_e32 v41, 0
	s_mov_b32 s28, exec_lo
; %bb.323:                              ;   in Loop: Header=BB78_15 Depth=1
	s_or_b32 exec_lo, exec_lo, s27
	v_mov_b32_e32 v7, v42
	s_and_b32 s29, s28, exec_lo
.LBB78_324:                             ;   in Loop: Header=BB78_15 Depth=1
	s_or_b32 exec_lo, exec_lo, s26
	s_mov_b32 s28, -1
                                        ; implicit-def: $sgpr26
                                        ; implicit-def: $sgpr27
	s_and_saveexec_b32 s19, s29
	s_cbranch_execz .LBB78_406
; %bb.325:                              ;   in Loop: Header=BB78_15 Depth=1
	v_cmp_eq_u32_e32 vcc_lo, 1, v7
	s_cmp_eq_u32 s18, 1
	s_mov_b32 s80, -1
	s_cselect_b32 s26, -1, 0
                                        ; implicit-def: $sgpr27
	s_and_b32 s29, s26, vcc_lo
                                        ; implicit-def: $sgpr26
	s_and_saveexec_b32 s28, s29
	s_cbranch_execz .LBB78_353
; %bb.326:                              ;   in Loop: Header=BB78_15 Depth=1
	ds_read_b32 v1, v15 offset:4096
	s_waitcnt lgkmcnt(0)
	s_barrier
	buffer_gl0_inv
	v_readfirstlane_b32 s81, v1
	s_and_saveexec_b32 s26, s6
; %bb.327:                              ;   in Loop: Header=BB78_15 Depth=1
	v_mov_b32_e32 v14, v15
	ds_write_b64 v32, v[14:15]
; %bb.328:                              ;   in Loop: Header=BB78_15 Depth=1
	s_or_b32 exec_lo, exec_lo, s26
	v_and_b32_e32 v1, s15, v17
	v_and_b32_e32 v3, s14, v16
	s_lshl_b64 s[26:27], 1, s73
	v_or_b32_e32 v22, s13, v22
	v_or_b32_e32 v21, s12, v21
	;; [unrolled: 1-line block ×4, first 2 shown]
	s_mov_b32 s26, -1
	s_mov_b32 s27, 0
	s_cmp_eq_u32 s81, 0
	s_mov_b32 s80, 0
	s_mov_b32 s82, -1
	s_waitcnt lgkmcnt(0)
	s_barrier
	buffer_gl0_inv
                                        ; implicit-def: $vgpr5_vgpr6
	s_cbranch_scc1 .LBB78_340
; %bb.329:                              ;   in Loop: Header=BB78_15 Depth=1
	s_add_i32 s80, s81, s57
                                        ; implicit-def: $vgpr5_vgpr6
	s_mul_hi_u32 s82, s80, s63
	s_mul_i32 s82, s82, s34
	s_sub_i32 s82, s80, s82
	s_sub_i32 s83, s82, s34
	s_cmp_ge_u32 s82, s34
	s_cselect_b32 s82, s83, s82
	s_sub_i32 s83, s82, s34
	s_cmp_ge_u32 s82, s34
	s_cselect_b32 s82, s83, s82
	s_mov_b32 s83, exec_lo
	s_sub_i32 s84, s80, s82
	s_mov_b32 s82, 0
	s_mov_b32 s80, 0
	v_cmpx_gt_u32_e64 s84, v0
	s_cbranch_execz .LBB78_339
; %bb.330:                              ;   in Loop: Header=BB78_15 Depth=1
	v_mov_b32_e32 v8, v30
	v_mov_b32_e32 v9, v0
                                        ; implicit-def: $sgpr85
	s_inst_prefetch 0x1
	s_branch .LBB78_334
	.p2align	6
.LBB78_331:                             ;   in Loop: Header=BB78_334 Depth=2
	s_or_b32 exec_lo, exec_lo, s86
	s_waitcnt lgkmcnt(0)
	s_barrier
	buffer_gl0_inv
	ds_read_b128 v[3:6], v15 offset:3072
	s_waitcnt lgkmcnt(0)
	s_barrier
	buffer_gl0_inv
	v_cmp_neq_f64_e32 vcc_lo, 0, v[3:4]
	s_cbranch_vccnz .LBB78_337
; %bb.332:                              ;   in Loop: Header=BB78_334 Depth=2
	v_add_nc_u32_e32 v9, s34, v9
	v_add_nc_u32_e32 v8, s67, v8
	s_mov_b32 s86, 0
	v_cmp_le_u32_e32 vcc_lo, s84, v9
	s_orn2_b32 s87, vcc_lo, exec_lo
.LBB78_333:                             ;   in Loop: Header=BB78_334 Depth=2
	s_and_b32 s87, exec_lo, s87
	s_or_b32 s80, s87, s80
	s_andn2_b32 s85, s85, exec_lo
	s_and_b32 s86, s86, exec_lo
	s_or_b32 s85, s85, s86
	s_andn2_b32 exec_lo, exec_lo, s80
	s_cbranch_execz .LBB78_338
.LBB78_334:                             ;   Parent Loop BB78_15 Depth=1
                                        ; =>  This Inner Loop Header: Depth=2
	s_mov_b32 s86, exec_lo
	v_cmpx_gt_u32_e64 s81, v9
	s_cbranch_execz .LBB78_331
; %bb.335:                              ;   in Loop: Header=BB78_334 Depth=2
	ds_read_b64 v[3:4], v8
	s_waitcnt lgkmcnt(0)
	v_cmp_o_f64_e32 vcc_lo, v[3:4], v[3:4]
	v_ashrrev_i32_e32 v1, 31, v4
	v_or_b32_e32 v5, 0x80000000, v1
	v_xor_b32_e32 v1, v1, v3
	v_xor_b32_e32 v5, v5, v4
	v_cndmask_b32_e32 v5, -1, v5, vcc_lo
	v_cndmask_b32_e32 v1, -1, v1, vcc_lo
	v_and_b32_e32 v6, v5, v22
	v_and_b32_e32 v5, v1, v21
	v_cmp_eq_u64_e32 vcc_lo, v[5:6], v[16:17]
	s_and_b32 exec_lo, exec_lo, vcc_lo
	s_cbranch_execz .LBB78_331
; %bb.336:                              ;   in Loop: Header=BB78_334 Depth=2
	v_mov_b32_e32 v1, v15
	ds_write_b128 v15, v[1:4] offset:3072
	s_branch .LBB78_331
.LBB78_337:                             ;   in Loop: Header=BB78_334 Depth=2
	s_mov_b32 s87, -1
	s_mov_b32 s86, -1
                                        ; implicit-def: $vgpr9
                                        ; implicit-def: $vgpr8
	s_branch .LBB78_333
.LBB78_338:                             ;   in Loop: Header=BB78_15 Depth=1
	s_inst_prefetch 0x2
	s_or_b32 exec_lo, exec_lo, s80
	s_and_b32 s80, s85, exec_lo
.LBB78_339:                             ;   in Loop: Header=BB78_15 Depth=1
	s_or_b32 exec_lo, exec_lo, s83
.LBB78_340:                             ;   in Loop: Header=BB78_15 Depth=1
	s_and_b32 vcc_lo, exec_lo, s82
	s_cbranch_vccz .LBB78_352
; %bb.341:                              ;   in Loop: Header=BB78_15 Depth=1
                                        ; implicit-def: $vgpr5_vgpr6
	s_and_saveexec_b32 s26, s9
	s_cbranch_execz .LBB78_351
; %bb.342:                              ;   in Loop: Header=BB78_15 Depth=1
	v_mov_b32_e32 v14, v13
	v_mov_b32_e32 v8, v0
	s_mov_b32 s27, 0
                                        ; implicit-def: $sgpr81
	s_branch .LBB78_346
.LBB78_343:                             ;   in Loop: Header=BB78_346 Depth=2
	s_or_b32 exec_lo, exec_lo, s82
	s_waitcnt lgkmcnt(0)
	s_barrier
	buffer_gl0_inv
	ds_read_b128 v[3:6], v15 offset:3072
	s_waitcnt lgkmcnt(0)
	s_barrier
	buffer_gl0_inv
	v_cmp_eq_f64_e32 vcc_lo, 0, v[3:4]
	s_cbranch_vccz .LBB78_349
; %bb.344:                              ;   in Loop: Header=BB78_346 Depth=2
	v_add_nc_u32_e32 v8, s34, v8
	v_add_nc_u32_e32 v14, s40, v14
	s_mov_b32 s82, 0
	v_cmp_le_u32_e32 vcc_lo, s64, v8
	s_orn2_b32 s83, vcc_lo, exec_lo
.LBB78_345:                             ;   in Loop: Header=BB78_346 Depth=2
	s_and_b32 s83, exec_lo, s83
	s_or_b32 s27, s83, s27
	s_andn2_b32 s81, s81, exec_lo
	s_and_b32 s82, s82, exec_lo
	s_or_b32 s81, s81, s82
	s_andn2_b32 exec_lo, exec_lo, s27
	s_cbranch_execz .LBB78_350
.LBB78_346:                             ;   Parent Loop BB78_15 Depth=1
                                        ; =>  This Inner Loop Header: Depth=2
	s_mov_b32 s82, exec_lo
	v_cmpx_gt_u32_e64 s36, v8
	s_cbranch_execz .LBB78_343
; %bb.347:                              ;   in Loop: Header=BB78_346 Depth=2
	v_lshlrev_b64 v[3:4], 3, v[14:15]
	v_add_co_u32 v3, vcc_lo, s31, v3
	v_add_co_ci_u32_e64 v4, null, s33, v4, vcc_lo
	global_load_dwordx2 v[3:4], v[3:4], off
	s_waitcnt vmcnt(0)
	v_cmp_o_f64_e32 vcc_lo, v[3:4], v[3:4]
	v_ashrrev_i32_e32 v1, 31, v4
	v_or_b32_e32 v5, 0x80000000, v1
	v_xor_b32_e32 v1, v1, v3
	v_xor_b32_e32 v5, v5, v4
	v_cndmask_b32_e32 v5, -1, v5, vcc_lo
	v_cndmask_b32_e32 v1, -1, v1, vcc_lo
	v_and_b32_e32 v6, v5, v22
	v_and_b32_e32 v5, v1, v21
	v_cmp_eq_u64_e32 vcc_lo, v[5:6], v[16:17]
	s_and_b32 exec_lo, exec_lo, vcc_lo
	s_cbranch_execz .LBB78_343
; %bb.348:                              ;   in Loop: Header=BB78_346 Depth=2
	v_mov_b32_e32 v1, v15
	ds_write_b128 v15, v[1:4] offset:3072
	s_branch .LBB78_343
.LBB78_349:                             ;   in Loop: Header=BB78_346 Depth=2
	s_mov_b32 s83, -1
	s_mov_b32 s82, -1
                                        ; implicit-def: $vgpr8
	s_branch .LBB78_345
.LBB78_350:                             ;   in Loop: Header=BB78_15 Depth=1
	s_or_b32 exec_lo, exec_lo, s27
	s_andn2_b32 s27, s80, exec_lo
	s_and_b32 s80, s81, exec_lo
	s_or_b32 s80, s27, s80
.LBB78_351:                             ;   in Loop: Header=BB78_15 Depth=1
	s_or_b32 exec_lo, exec_lo, s26
	s_mov_b32 s26, 0
	s_mov_b32 s27, -1
.LBB78_352:                             ;   in Loop: Header=BB78_15 Depth=1
	s_orn2_b32 s80, s80, exec_lo
.LBB78_353:                             ;   in Loop: Header=BB78_15 Depth=1
	s_or_b32 exec_lo, exec_lo, s28
	s_mov_b32 s81, 0
	s_and_saveexec_b32 s28, s80
	s_cbranch_execz .LBB78_405
; %bb.354:                              ;   in Loop: Header=BB78_15 Depth=1
	v_mov_b32_e32 v8, 1
	v_mov_b32_e32 v41, 1
	s_xor_b32 s80, s29, -1
	s_mov_b32 s82, 0
	s_and_saveexec_b32 s29, s80
	s_cbranch_execz .LBB78_363
; %bb.355:                              ;   in Loop: Header=BB78_15 Depth=1
	s_mov_b32 s80, exec_lo
	v_cmpx_ge_u32_e64 s18, v7
	s_xor_b32 s80, exec_lo, s80
	s_cbranch_execz .LBB78_360
; %bb.356:                              ;   in Loop: Header=BB78_15 Depth=1
	ds_read_b32 v1, v15 offset:4096
	v_and_b32_e32 v3, s15, v17
	v_and_b32_e32 v4, s14, v16
	s_lshl_b64 s[82:83], 1, s73
	v_or_b32_e32 v22, s13, v22
	v_or_b32_e32 v21, s12, v21
	;; [unrolled: 1-line block ×4, first 2 shown]
	s_waitcnt lgkmcnt(0)
	v_cmp_ne_u32_e32 vcc_lo, 0, v1
	s_cbranch_vccnz .LBB78_360
; %bb.357:                              ;   in Loop: Header=BB78_15 Depth=1
	s_and_saveexec_b32 s81, s3
; %bb.358:                              ;   in Loop: Header=BB78_15 Depth=1
	v_mov_b32_e32 v1, s18
	ds_write_b32 v15, v1 offset:4100
; %bb.359:                              ;   in Loop: Header=BB78_15 Depth=1
	s_or_b32 exec_lo, exec_lo, s81
	s_waitcnt lgkmcnt(0)
	s_barrier
	buffer_gl0_inv
.LBB78_360:                             ;   in Loop: Header=BB78_15 Depth=1
	s_or_saveexec_b32 s80, s80
	v_mov_b32_e32 v41, 5
	s_mov_b32 s81, 0
	s_xor_b32 exec_lo, exec_lo, s80
; %bb.361:                              ;   in Loop: Header=BB78_15 Depth=1
	v_subrev_nc_u32_e32 v7, s18, v7
	v_mov_b32_e32 v41, 0
	s_mov_b32 s81, exec_lo
; %bb.362:                              ;   in Loop: Header=BB78_15 Depth=1
	s_or_b32 exec_lo, exec_lo, s80
	v_mov_b32_e32 v8, v7
	s_and_b32 s82, s81, exec_lo
.LBB78_363:                             ;   in Loop: Header=BB78_15 Depth=1
	s_or_b32 exec_lo, exec_lo, s29
	s_mov_b32 s29, -1
                                        ; implicit-def: $sgpr81
                                        ; implicit-def: $sgpr80
	s_and_saveexec_b32 s18, s82
	s_cbranch_execz .LBB78_404
; %bb.364:                              ;   in Loop: Header=BB78_15 Depth=1
	v_cmp_eq_u32_e32 vcc_lo, 1, v8
	s_cmp_eq_u32 s17, 1
	s_mov_b32 s83, -1
	s_cselect_b32 s29, -1, 0
                                        ; implicit-def: $sgpr81
                                        ; implicit-def: $sgpr80
	s_and_b32 s29, s29, vcc_lo
	s_and_saveexec_b32 s82, s29
	s_cbranch_execz .LBB78_392
; %bb.365:                              ;   in Loop: Header=BB78_15 Depth=1
	ds_read_b32 v1, v15 offset:4096
	s_waitcnt lgkmcnt(0)
	s_barrier
	buffer_gl0_inv
	v_readfirstlane_b32 s84, v1
	s_and_saveexec_b32 s80, s6
; %bb.366:                              ;   in Loop: Header=BB78_15 Depth=1
	v_mov_b32_e32 v14, v15
	ds_write_b64 v32, v[14:15]
; %bb.367:                              ;   in Loop: Header=BB78_15 Depth=1
	s_or_b32 exec_lo, exec_lo, s80
	v_and_b32_e32 v17, s15, v17
	v_and_b32_e32 v16, s14, v16
	v_or_b32_e32 v22, s13, v22
	v_or_b32_e32 v21, s12, v21
	s_mov_b32 s80, -1
	s_mov_b32 s81, 0
	s_cmp_eq_u32 s84, 0
	s_mov_b32 s83, 0
	s_mov_b32 s85, -1
	s_waitcnt lgkmcnt(0)
	s_barrier
	buffer_gl0_inv
                                        ; implicit-def: $vgpr5_vgpr6
	s_cbranch_scc1 .LBB78_379
; %bb.368:                              ;   in Loop: Header=BB78_15 Depth=1
	s_add_i32 s83, s84, s57
                                        ; implicit-def: $vgpr5_vgpr6
	s_mul_hi_u32 s85, s83, s63
	s_mul_i32 s85, s85, s34
	s_sub_i32 s85, s83, s85
	s_sub_i32 s86, s85, s34
	s_cmp_ge_u32 s85, s34
	s_cselect_b32 s85, s86, s85
	s_sub_i32 s86, s85, s34
	s_cmp_ge_u32 s85, s34
	s_cselect_b32 s85, s86, s85
	s_mov_b32 s86, exec_lo
	s_sub_i32 s87, s83, s85
	s_mov_b32 s85, 0
	s_mov_b32 s83, 0
	v_cmpx_gt_u32_e64 s87, v0
	s_cbranch_execz .LBB78_378
; %bb.369:                              ;   in Loop: Header=BB78_15 Depth=1
	v_mov_b32_e32 v7, v30
	v_mov_b32_e32 v9, v0
                                        ; implicit-def: $sgpr88
	s_inst_prefetch 0x1
	s_branch .LBB78_373
	.p2align	6
.LBB78_370:                             ;   in Loop: Header=BB78_373 Depth=2
	s_or_b32 exec_lo, exec_lo, s89
	s_waitcnt lgkmcnt(0)
	s_barrier
	buffer_gl0_inv
	ds_read_b128 v[3:6], v15 offset:3072
	s_waitcnt lgkmcnt(0)
	s_barrier
	buffer_gl0_inv
	v_cmp_neq_f64_e32 vcc_lo, 0, v[3:4]
	s_cbranch_vccnz .LBB78_376
; %bb.371:                              ;   in Loop: Header=BB78_373 Depth=2
	v_add_nc_u32_e32 v9, s34, v9
	v_add_nc_u32_e32 v7, s67, v7
	s_mov_b32 s89, 0
	v_cmp_le_u32_e32 vcc_lo, s87, v9
	s_orn2_b32 s90, vcc_lo, exec_lo
.LBB78_372:                             ;   in Loop: Header=BB78_373 Depth=2
	s_and_b32 s90, exec_lo, s90
	s_or_b32 s83, s90, s83
	s_andn2_b32 s88, s88, exec_lo
	s_and_b32 s89, s89, exec_lo
	s_or_b32 s88, s88, s89
	s_andn2_b32 exec_lo, exec_lo, s83
	s_cbranch_execz .LBB78_377
.LBB78_373:                             ;   Parent Loop BB78_15 Depth=1
                                        ; =>  This Inner Loop Header: Depth=2
	s_mov_b32 s89, exec_lo
	v_cmpx_gt_u32_e64 s84, v9
	s_cbranch_execz .LBB78_370
; %bb.374:                              ;   in Loop: Header=BB78_373 Depth=2
	ds_read_b64 v[3:4], v7
	s_waitcnt lgkmcnt(0)
	v_cmp_o_f64_e32 vcc_lo, v[3:4], v[3:4]
	v_ashrrev_i32_e32 v1, 31, v4
	v_or_b32_e32 v5, 0x80000000, v1
	v_xor_b32_e32 v1, v1, v3
	v_xor_b32_e32 v5, v5, v4
	v_cndmask_b32_e32 v5, -1, v5, vcc_lo
	v_cndmask_b32_e32 v1, -1, v1, vcc_lo
	v_and_b32_e32 v6, v5, v22
	v_and_b32_e32 v5, v1, v21
	v_cmp_eq_u64_e32 vcc_lo, v[5:6], v[16:17]
	s_and_b32 exec_lo, exec_lo, vcc_lo
	s_cbranch_execz .LBB78_370
; %bb.375:                              ;   in Loop: Header=BB78_373 Depth=2
	v_mov_b32_e32 v1, v15
	ds_write_b128 v15, v[1:4] offset:3072
	s_branch .LBB78_370
.LBB78_376:                             ;   in Loop: Header=BB78_373 Depth=2
	s_mov_b32 s90, -1
	s_mov_b32 s89, -1
                                        ; implicit-def: $vgpr9
                                        ; implicit-def: $vgpr7
	s_branch .LBB78_372
.LBB78_377:                             ;   in Loop: Header=BB78_15 Depth=1
	s_inst_prefetch 0x2
	s_or_b32 exec_lo, exec_lo, s83
	s_and_b32 s83, s88, exec_lo
.LBB78_378:                             ;   in Loop: Header=BB78_15 Depth=1
	s_or_b32 exec_lo, exec_lo, s86
.LBB78_379:                             ;   in Loop: Header=BB78_15 Depth=1
	s_and_b32 vcc_lo, exec_lo, s85
	s_cbranch_vccz .LBB78_391
; %bb.380:                              ;   in Loop: Header=BB78_15 Depth=1
                                        ; implicit-def: $vgpr5_vgpr6
	s_and_saveexec_b32 s80, s9
	s_cbranch_execz .LBB78_390
; %bb.381:                              ;   in Loop: Header=BB78_15 Depth=1
	v_mov_b32_e32 v14, v13
	v_mov_b32_e32 v7, v0
	s_mov_b32 s81, 0
                                        ; implicit-def: $sgpr84
	s_branch .LBB78_385
.LBB78_382:                             ;   in Loop: Header=BB78_385 Depth=2
	s_or_b32 exec_lo, exec_lo, s85
	s_waitcnt lgkmcnt(0)
	s_barrier
	buffer_gl0_inv
	ds_read_b128 v[3:6], v15 offset:3072
	s_waitcnt lgkmcnt(0)
	s_barrier
	buffer_gl0_inv
	v_cmp_eq_f64_e32 vcc_lo, 0, v[3:4]
	s_cbranch_vccz .LBB78_388
; %bb.383:                              ;   in Loop: Header=BB78_385 Depth=2
	v_add_nc_u32_e32 v7, s34, v7
	v_add_nc_u32_e32 v14, s40, v14
	s_mov_b32 s85, 0
	v_cmp_le_u32_e32 vcc_lo, s64, v7
	s_orn2_b32 s86, vcc_lo, exec_lo
.LBB78_384:                             ;   in Loop: Header=BB78_385 Depth=2
	s_and_b32 s86, exec_lo, s86
	s_or_b32 s81, s86, s81
	s_andn2_b32 s84, s84, exec_lo
	s_and_b32 s85, s85, exec_lo
	s_or_b32 s84, s84, s85
	s_andn2_b32 exec_lo, exec_lo, s81
	s_cbranch_execz .LBB78_389
.LBB78_385:                             ;   Parent Loop BB78_15 Depth=1
                                        ; =>  This Inner Loop Header: Depth=2
	s_mov_b32 s85, exec_lo
	v_cmpx_gt_u32_e64 s36, v7
	s_cbranch_execz .LBB78_382
; %bb.386:                              ;   in Loop: Header=BB78_385 Depth=2
	v_lshlrev_b64 v[3:4], 3, v[14:15]
	v_add_co_u32 v3, vcc_lo, s31, v3
	v_add_co_ci_u32_e64 v4, null, s33, v4, vcc_lo
	global_load_dwordx2 v[3:4], v[3:4], off
	s_waitcnt vmcnt(0)
	v_cmp_o_f64_e32 vcc_lo, v[3:4], v[3:4]
	v_ashrrev_i32_e32 v1, 31, v4
	v_or_b32_e32 v5, 0x80000000, v1
	v_xor_b32_e32 v1, v1, v3
	v_xor_b32_e32 v5, v5, v4
	v_cndmask_b32_e32 v5, -1, v5, vcc_lo
	v_cndmask_b32_e32 v1, -1, v1, vcc_lo
	v_and_b32_e32 v6, v5, v22
	v_and_b32_e32 v5, v1, v21
	v_cmp_eq_u64_e32 vcc_lo, v[5:6], v[16:17]
	s_and_b32 exec_lo, exec_lo, vcc_lo
	s_cbranch_execz .LBB78_382
; %bb.387:                              ;   in Loop: Header=BB78_385 Depth=2
	v_mov_b32_e32 v1, v15
	ds_write_b128 v15, v[1:4] offset:3072
	s_branch .LBB78_382
.LBB78_388:                             ;   in Loop: Header=BB78_385 Depth=2
	s_mov_b32 s86, -1
	s_mov_b32 s85, -1
                                        ; implicit-def: $vgpr7
	s_branch .LBB78_384
.LBB78_389:                             ;   in Loop: Header=BB78_15 Depth=1
	s_or_b32 exec_lo, exec_lo, s81
	s_andn2_b32 s81, s83, exec_lo
	s_and_b32 s83, s84, exec_lo
	s_or_b32 s83, s81, s83
.LBB78_390:                             ;   in Loop: Header=BB78_15 Depth=1
	s_or_b32 exec_lo, exec_lo, s80
	s_mov_b32 s80, 0
	s_mov_b32 s81, -1
.LBB78_391:                             ;   in Loop: Header=BB78_15 Depth=1
	s_orn2_b32 s83, s83, exec_lo
.LBB78_392:                             ;   in Loop: Header=BB78_15 Depth=1
	s_or_b32 exec_lo, exec_lo, s82
	s_mov_b32 s84, 0
	s_and_saveexec_b32 s82, s83
	s_cbranch_execz .LBB78_403
; %bb.393:                              ;   in Loop: Header=BB78_15 Depth=1
	v_mov_b32_e32 v41, 1
	v_mov_b32_e32 v1, 1
	s_xor_b32 s83, s29, -1
	s_and_saveexec_b32 s29, s83
	s_cbranch_execz .LBB78_402
; %bb.394:                              ;   in Loop: Header=BB78_15 Depth=1
	s_mov_b32 s83, exec_lo
	v_cmpx_ge_u32_e64 s17, v8
	s_xor_b32 s83, exec_lo, s83
	s_cbranch_execz .LBB78_399
; %bb.395:                              ;   in Loop: Header=BB78_15 Depth=1
	ds_read_b32 v1, v15 offset:4096
	v_and_b32_e32 v17, s15, v17
	v_and_b32_e32 v16, s14, v16
	v_or_b32_e32 v22, s13, v22
	v_or_b32_e32 v21, s12, v21
	s_waitcnt lgkmcnt(0)
	v_cmp_ne_u32_e32 vcc_lo, 0, v1
	s_cbranch_vccnz .LBB78_399
; %bb.396:                              ;   in Loop: Header=BB78_15 Depth=1
	s_and_saveexec_b32 s12, s3
; %bb.397:                              ;   in Loop: Header=BB78_15 Depth=1
	v_mov_b32_e32 v1, s17
	ds_write_b32 v15, v1 offset:4100
; %bb.398:                              ;   in Loop: Header=BB78_15 Depth=1
	s_or_b32 exec_lo, exec_lo, s12
	s_waitcnt lgkmcnt(0)
	s_barrier
	buffer_gl0_inv
.LBB78_399:                             ;   in Loop: Header=BB78_15 Depth=1
	s_andn2_saveexec_b32 s12, s83
; %bb.400:                              ;   in Loop: Header=BB78_15 Depth=1
	v_subrev_nc_u32_e32 v8, s17, v8
; %bb.401:                              ;   in Loop: Header=BB78_15 Depth=1
	s_or_b32 exec_lo, exec_lo, s12
	v_mov_b32_e32 v41, 5
	v_mov_b32_e32 v1, v8
.LBB78_402:                             ;   in Loop: Header=BB78_15 Depth=1
	s_or_b32 exec_lo, exec_lo, s29
	v_mov_b32_e32 v8, v1
	s_mov_b32 s84, exec_lo
.LBB78_403:                             ;   in Loop: Header=BB78_15 Depth=1
	s_or_b32 exec_lo, exec_lo, s82
	s_orn2_b32 s29, s84, exec_lo
.LBB78_404:                             ;   in Loop: Header=BB78_15 Depth=1
	s_or_b32 exec_lo, exec_lo, s18
	s_andn2_b32 s12, s27, exec_lo
	s_and_b32 s13, s81, exec_lo
	s_andn2_b32 s14, s26, exec_lo
	s_and_b32 s15, s80, exec_lo
	v_mov_b32_e32 v7, v8
	s_or_b32 s27, s12, s13
	s_or_b32 s26, s14, s15
	s_and_b32 s81, s29, exec_lo
.LBB78_405:                             ;   in Loop: Header=BB78_15 Depth=1
	s_or_b32 exec_lo, exec_lo, s28
	s_orn2_b32 s28, s81, exec_lo
.LBB78_406:                             ;   in Loop: Header=BB78_15 Depth=1
	s_or_b32 exec_lo, exec_lo, s19
	s_andn2_b32 s12, s23, exec_lo
	s_and_b32 s13, s27, exec_lo
	s_andn2_b32 s14, s20, exec_lo
	s_and_b32 s15, s26, exec_lo
	v_mov_b32_e32 v42, v7
	s_or_b32 s23, s12, s13
	s_or_b32 s20, s14, s15
	s_and_b32 s28, s28, exec_lo
.LBB78_407:                             ;   in Loop: Header=BB78_15 Depth=1
	s_or_b32 exec_lo, exec_lo, s25
	s_orn2_b32 s25, s28, exec_lo
.LBB78_408:                             ;   in Loop: Header=BB78_15 Depth=1
	s_or_b32 exec_lo, exec_lo, s10
	s_mov_b32 s10, s21
	s_mov_b32 s12, s11
	s_and_saveexec_b32 s13, s25
; %bb.409:                              ;   in Loop: Header=BB78_15 Depth=1
	v_cmp_ne_u32_e32 vcc_lo, 5, v41
	v_cmp_eq_u32_e64 s10, 5, v41
	s_andn2_b32 s12, s11, exec_lo
	s_andn2_b32 s14, s21, exec_lo
	s_and_b32 s15, vcc_lo, exec_lo
	s_and_b32 s10, s10, exec_lo
	s_or_b32 s12, s12, s15
	s_or_b32 s10, s14, s10
; %bb.410:                              ;   in Loop: Header=BB78_15 Depth=1
	s_or_b32 exec_lo, exec_lo, s13
	s_andn2_b32 s13, s24, exec_lo
	s_and_b32 s14, s23, exec_lo
	s_andn2_b32 s15, s16, exec_lo
	s_and_b32 s16, s20, exec_lo
	s_or_b32 s24, s13, s14
	s_andn2_b32 s11, s11, exec_lo
	s_and_b32 s12, s12, exec_lo
	s_andn2_b32 s13, s21, exec_lo
	s_and_b32 s10, s10, exec_lo
	s_or_b32 s16, s15, s16
	s_or_b32 s11, s11, s12
	s_or_b32 s21, s13, s10
.LBB78_411:                             ;   in Loop: Header=BB78_15 Depth=1
	s_or_b32 exec_lo, exec_lo, s22
	s_mov_b32 s22, 0
	s_mov_b32 s23, 0
	s_and_saveexec_b32 s10, s21
.LBB78_412:                             ;   in Loop: Header=BB78_15 Depth=1
	v_mov_b32_e32 v41, 0
	s_or_b32 s11, s11, exec_lo
.LBB78_413:                             ;   in Loop: Header=BB78_15 Depth=1
	s_or_b32 exec_lo, exec_lo, s10
	s_andn2_b32 s10, s77, exec_lo
	s_and_b32 s13, s24, exec_lo
	s_andn2_b32 s14, s75, exec_lo
	s_and_b32 s15, s16, exec_lo
	v_mov_b32_e32 v40, v42
	s_or_b32 s77, s10, s13
	s_or_b32 s75, s14, s15
	s_andn2_b32 s10, s79, exec_lo
	s_and_b32 s13, s23, exec_lo
	s_andn2_b32 s14, s78, exec_lo
	s_and_b32 s15, s22, exec_lo
	s_mov_b32 s12, -1
	s_andn2_b32 s76, s76, exec_lo
	s_or_b32 s79, s10, s13
	s_or_b32 s78, s14, s15
	s_and_saveexec_b32 s10, s11
	s_xor_b32 s10, exec_lo, s10
	s_cbranch_execz .LBB78_14
; %bb.414:                              ;   in Loop: Header=BB78_15 Depth=1
	s_mov_b32 s11, -1
	s_mov_b32 s13, exec_lo
	v_cmpx_eq_u32_e32 0, v41
	s_cbranch_execz .LBB78_13
; %bb.415:                              ;   in Loop: Header=BB78_15 Depth=1
	s_xor_b32 s69, s69, 1
	s_add_i32 s14, s73, -2
	s_cmp_eq_u32 s73, 0
	s_mov_b32 s73, s14
	s_cselect_b32 s11, -1, 0
	s_xor_b32 s12, exec_lo, -1
	s_orn2_b32 s11, s11, exec_lo
	s_branch .LBB78_13
.LBB78_416:
	s_or_b32 exec_lo, exec_lo, s47
	s_xor_b32 s9, s74, -1
	s_xor_b32 s12, s71, -1
	;; [unrolled: 1-line block ×5, first 2 shown]
	s_mov_b32 s7, 0
	s_and_saveexec_b32 s8, s6
	s_xor_b32 s6, exec_lo, s8
	s_cbranch_execnz .LBB78_421
; %bb.417:
	s_andn2_saveexec_b32 s0, s6
	s_cbranch_execnz .LBB78_440
.LBB78_418:
	s_or_b32 exec_lo, exec_lo, s0
	s_and_saveexec_b32 s0, s7
.LBB78_419:
	; divergent unreachable
.LBB78_420:
	s_endpgm
.LBB78_421:
	s_mov_b32 s8, 0
	s_and_saveexec_b32 s7, s11
	s_xor_b32 s7, exec_lo, s7
	s_cbranch_execz .LBB78_438
; %bb.422:
	s_mov_b32 s11, 0
	s_and_saveexec_b32 s8, s12
	s_xor_b32 s8, exec_lo, s8
	s_cbranch_execz .LBB78_436
; %bb.423:
	s_and_saveexec_b32 s12, s9
	s_xor_b32 s9, exec_lo, s12
	s_cbranch_execz .LBB78_434
; %bb.424:
	s_and_saveexec_b32 s11, s10
	s_xor_b32 s10, exec_lo, s11
; %bb.425:
	v_lshrrev_b32_e32 v1, 31, v17
	v_add_co_u32 v1, s11, v1, -1
	v_add_co_ci_u32_e64 v2, null, 0, -1, s11
	v_xor_b32_e32 v5, v1, v16
	v_or_b32_e32 v2, 0x80000000, v2
	v_xor_b32_e32 v6, v2, v17
; %bb.426:
	s_or_b32 exec_lo, exec_lo, s10
	s_and_saveexec_b32 s10, s3
; %bb.427:
	v_mov_b32_e32 v1, 0
	ds_write_b32 v1, v1 offset:4108
; %bb.428:
	s_or_b32 exec_lo, exec_lo, s10
	v_mov_b32_e32 v7, 0
	v_mov_b32_e32 v8, 0
	s_waitcnt lgkmcnt(0)
	s_barrier
	buffer_gl0_inv
	s_and_saveexec_b32 s3, s2
	s_cbranch_execz .LBB78_430
; %bb.429:
	global_load_dwordx2 v[7:8], v[11:12], off
.LBB78_430:
	s_or_b32 exec_lo, exec_lo, s3
	v_cmp_o_f64_e32 vcc_lo, v[5:6], v[5:6]
	v_ashrrev_i32_e32 v1, 31, v6
	s_clause 0x1
	s_load_dword s10, s[4:5], 0x1c8
	s_load_dword s11, s[4:5], 0x2a8
	s_mul_i32 s3, s50, s49
	s_mov_b32 s5, 0
	s_add_i32 s4, s3, s35
	v_or_b32_e32 v2, 0x80000000, v1
	v_xor_b32_e32 v1, v1, v5
	s_add_i32 s12, s36, 31
	s_mul_i32 s13, s46, s48
	s_lshl_b64 s[14:15], s[4:5], 3
	v_xor_b32_e32 v2, v2, v6
	s_andn2_b32 s12, s12, 31
	s_add_i32 s16, s13, s41
	s_mov_b32 s17, s5
	s_add_u32 s13, s44, s14
	s_addc_u32 s14, s45, s15
	s_lshl_b64 s[16:17], s[16:17], 3
	s_mov_b32 s18, -1
	s_add_u32 s15, s42, s16
	s_addc_u32 s16, s43, s17
	s_mov_b32 s3, 0
	v_cndmask_b32_e32 v3, -1, v2, vcc_lo
	v_cndmask_b32_e32 v2, -1, v1, vcc_lo
	v_cmp_gt_u32_e32 vcc_lo, s12, v0
	s_and_saveexec_b32 s17, vcc_lo
	s_cbranch_execnz .LBB78_441
; %bb.431:
	s_or_b32 exec_lo, exec_lo, s17
	s_and_saveexec_b32 s4, s18
	s_cbranch_execnz .LBB78_458
.LBB78_432:
	s_or_b32 exec_lo, exec_lo, s4
	s_and_saveexec_b32 s0, s3
	s_xor_b32 s0, exec_lo, s0
	s_cbranch_execnz .LBB78_483
.LBB78_433:
	s_or_b32 exec_lo, exec_lo, s0
	s_waitcnt lgkmcnt(0)
	s_and_b32 s11, s5, exec_lo
.LBB78_434:
	s_andn2_saveexec_b32 s0, s9
	s_cbranch_execnz .LBB78_485
.LBB78_435:
	s_or_b32 exec_lo, exec_lo, s0
	s_and_b32 s11, s11, exec_lo
.LBB78_436:
	s_andn2_saveexec_b32 s0, s8
	s_cbranch_execnz .LBB78_484
.LBB78_437:
	s_or_b32 exec_lo, exec_lo, s0
	s_and_b32 s8, s11, exec_lo
.LBB78_438:
	s_andn2_saveexec_b32 s0, s7
	s_cbranch_execnz .LBB78_479
.LBB78_439:
	s_or_b32 exec_lo, exec_lo, s0
	s_and_b32 s7, s8, exec_lo
	s_andn2_saveexec_b32 s0, s6
	s_cbranch_execz .LBB78_418
.LBB78_440:
	s_or_b32 s7, s7, exec_lo
	s_trap 2
	s_or_b32 exec_lo, exec_lo, s0
	s_and_saveexec_b32 s0, s7
	s_cbranch_execnz .LBB78_419
	s_branch .LBB78_420
.LBB78_441:
	v_add_nc_u32_e32 v1, s34, v0
	v_mov_b32_e32 v5, 0
	v_mov_b32_e32 v13, v0
	s_mov_b32 s18, 0
                                        ; implicit-def: $sgpr19
                                        ; implicit-def: $vgpr6
	v_mul_lo_u32 v4, s30, v1
	s_branch .LBB78_443
.LBB78_442:                             ;   in Loop: Header=BB78_443 Depth=1
	s_or_b32 exec_lo, exec_lo, s21
	s_xor_b32 s3, s20, -1
	s_and_b32 s4, exec_lo, s4
	s_waitcnt vmcnt(0)
	v_mov_b32_e32 v7, v9
	v_mov_b32_e32 v8, v10
	s_or_b32 s18, s4, s18
	v_mov_b32_e32 v13, v1
	s_andn2_b32 s4, s19, exec_lo
	s_and_b32 s3, s3, exec_lo
	s_or_b32 s19, s4, s3
	s_andn2_b32 exec_lo, exec_lo, s18
	s_cbranch_execz .LBB78_457
.LBB78_443:                             ; =>This Inner Loop Header: Depth=1
	v_mov_b32_e32 v9, 0
	v_add_nc_u32_e32 v1, s34, v13
	v_mov_b32_e32 v10, 0
	s_mov_b32 s4, exec_lo
	v_cmpx_gt_u32_e64 s36, v1
	s_cbranch_execz .LBB78_445
; %bb.444:                              ;   in Loop: Header=BB78_443 Depth=1
	v_lshlrev_b64 v[9:10], 3, v[4:5]
	v_add_co_u32 v9, s3, s31, v9
	v_add_co_ci_u32_e64 v10, null, s33, v10, s3
	global_load_dwordx2 v[9:10], v[9:10], off
.LBB78_445:                             ;   in Loop: Header=BB78_443 Depth=1
	s_or_b32 exec_lo, exec_lo, s4
	s_mov_b32 s20, 0
	s_mov_b32 s4, exec_lo
	v_cmpx_gt_u32_e64 s36, v13
	s_cbranch_execz .LBB78_447
; %bb.446:                              ;   in Loop: Header=BB78_443 Depth=1
	s_waitcnt vmcnt(0)
	v_cmp_o_f64_e64 s3, v[7:8], v[7:8]
	v_ashrrev_i32_e32 v14, 31, v8
	v_or_b32_e32 v15, 0x80000000, v14
	v_xor_b32_e32 v14, v14, v7
	v_xor_b32_e32 v15, v15, v8
	v_cndmask_b32_e64 v15, -1, v15, s3
	v_cndmask_b32_e64 v14, -1, v14, s3
	v_cmp_gt_u64_e64 s3, v[14:15], v[2:3]
	v_cndmask_b32_e64 v16, 0, 1, s3
	v_cmp_lt_u64_e64 s3, v[14:15], v[2:3]
	v_cndmask_b32_e64 v14, 0, 1, s3
	v_cndmask_b32_e64 v14, v14, v16, s1
	v_and_b32_e32 v14, 1, v14
	v_cmp_eq_u32_e64 s3, 1, v14
	s_and_b32 s20, s3, exec_lo
.LBB78_447:                             ;   in Loop: Header=BB78_443 Depth=1
	s_or_b32 exec_lo, exec_lo, s4
	v_cndmask_b32_e64 v14, 0, 1, s20
	v_cmp_ne_u32_e64 s3, 0, v14
	s_cmp_lg_u32 s3, 0
	s_cselect_b32 s4, -1, 0
	s_and_b32 s4, s0, s4
	s_and_saveexec_b32 s21, s4
	s_cbranch_execz .LBB78_451
; %bb.448:                              ;   in Loop: Header=BB78_443 Depth=1
	s_mov_b32 s24, exec_lo
	s_bcnt1_i32_b32 s22, s3
	s_waitcnt lgkmcnt(0)
	v_mbcnt_lo_u32_b32 v6, s24, 0
	s_mov_b32 s23, exec_lo
                                        ; implicit-def: $vgpr14
	v_cmpx_eq_u32_e32 0, v6
; %bb.449:                              ;   in Loop: Header=BB78_443 Depth=1
	s_bcnt1_i32_b32 s4, s24
	s_mul_i32 s4, s22, s4
	v_mov_b32_e32 v14, s4
	ds_add_rtn_u32 v14, v5, v14 offset:4108
; %bb.450:                              ;   in Loop: Header=BB78_443 Depth=1
	s_or_b32 exec_lo, exec_lo, s23
	s_waitcnt lgkmcnt(0)
	v_readfirstlane_b32 s4, v14
	v_mad_u32_u24 v6, s22, v6, s4
.LBB78_451:                             ;   in Loop: Header=BB78_443 Depth=1
	s_or_b32 exec_lo, exec_lo, s21
	s_waitcnt lgkmcnt(0)
	ds_bpermute_b32 v6, v5, v6
	s_mov_b32 s4, -1
	s_mov_b32 s22, -1
	s_and_saveexec_b32 s21, s20
	s_cbranch_execz .LBB78_455
; %bb.452:                              ;   in Loop: Header=BB78_443 Depth=1
	v_and_b32_e32 v14, s3, v27
	s_mov_b32 s20, 0
	s_mov_b32 s22, exec_lo
	s_waitcnt lgkmcnt(0)
	v_bcnt_u32_b32 v14, v14, v6
	v_cmpx_gt_u32_e64 s37, v14
	s_cbranch_execz .LBB78_454
; %bb.453:                              ;   in Loop: Header=BB78_443 Depth=1
	v_mul_lo_u32 v15, v14, s10
	v_mul_lo_u32 v17, v14, s11
	v_mov_b32_e32 v16, v5
	v_mov_b32_e32 v18, v5
	;; [unrolled: 1-line block ×3, first 2 shown]
	s_mov_b32 s20, exec_lo
	v_lshlrev_b64 v[15:16], 3, v[15:16]
	v_lshlrev_b64 v[17:18], 3, v[17:18]
	v_add_co_u32 v15, s3, s13, v15
	v_add_co_ci_u32_e64 v16, null, s14, v16, s3
	v_add_co_u32 v17, s3, s15, v17
	v_add_co_ci_u32_e64 v18, null, s16, v18, s3
	s_waitcnt vmcnt(0)
	global_store_dwordx2 v[15:16], v[7:8], off
	global_store_dwordx2 v[17:18], v[13:14], off
.LBB78_454:                             ;   in Loop: Header=BB78_443 Depth=1
	s_or_b32 exec_lo, exec_lo, s22
	s_orn2_b32 s22, s20, exec_lo
.LBB78_455:                             ;   in Loop: Header=BB78_443 Depth=1
	s_or_b32 exec_lo, exec_lo, s21
	s_mov_b32 s20, -1
	s_and_saveexec_b32 s21, s22
	s_cbranch_execz .LBB78_442
; %bb.456:                              ;   in Loop: Header=BB78_443 Depth=1
	v_cmp_le_u32_e64 s3, s12, v1
	v_add_nc_u32_e32 v4, s40, v4
	s_xor_b32 s20, exec_lo, -1
	s_orn2_b32 s4, s3, exec_lo
	s_branch .LBB78_442
.LBB78_457:
	s_or_b32 exec_lo, exec_lo, s18
	s_mov_b32 s3, exec_lo
	s_orn2_b32 s18, s19, exec_lo
	s_or_b32 exec_lo, exec_lo, s17
	s_and_saveexec_b32 s4, s18
	s_cbranch_execz .LBB78_432
.LBB78_458:
	s_waitcnt vmcnt(0)
	v_mov_b32_e32 v8, 0
	v_mov_b32_e32 v9, 0
	s_waitcnt lgkmcnt(0)
	s_waitcnt_vscnt null, 0x0
	s_barrier
	buffer_gl0_inv
	s_and_saveexec_b32 s1, s2
	s_cbranch_execz .LBB78_460
; %bb.459:
	global_load_dwordx2 v[8:9], v[11:12], off
.LBB78_460:
	s_or_b32 exec_lo, exec_lo, s1
	s_mov_b32 s1, 0
	s_and_saveexec_b32 s2, vcc_lo
	s_cbranch_execz .LBB78_482
; %bb.461:
	v_add_nc_u32_e32 v1, s34, v0
	v_mov_b32_e32 v5, 0
	s_mov_b32 s5, 0
                                        ; implicit-def: $sgpr17
                                        ; implicit-def: $vgpr11
	v_mul_lo_u32 v4, s30, v1
	s_branch .LBB78_464
.LBB78_462:                             ;   in Loop: Header=BB78_464 Depth=1
	s_or_b32 exec_lo, exec_lo, s18
	s_orn2_b32 s20, s21, exec_lo
	s_orn2_b32 s19, s19, exec_lo
.LBB78_463:                             ;   in Loop: Header=BB78_464 Depth=1
	s_or_b32 exec_lo, exec_lo, s1
	s_xor_b32 s1, s20, -1
	s_and_b32 s18, exec_lo, s19
	s_waitcnt vmcnt(0)
	v_mov_b32_e32 v9, v7
	v_mov_b32_e32 v0, v10
	s_or_b32 s5, s18, s5
	v_mov_b32_e32 v8, v6
	s_andn2_b32 s17, s17, exec_lo
	s_and_b32 s1, s1, exec_lo
	s_or_b32 s17, s17, s1
	s_andn2_b32 exec_lo, exec_lo, s5
	s_cbranch_execz .LBB78_480
.LBB78_464:                             ; =>This Inner Loop Header: Depth=1
	v_mov_b32_e32 v6, 0
	v_add_nc_u32_e32 v10, s34, v0
	v_mov_b32_e32 v7, 0
	s_mov_b32 s1, exec_lo
	v_cmpx_gt_u32_e64 s36, v10
	s_cbranch_execz .LBB78_466
; %bb.465:                              ;   in Loop: Header=BB78_464 Depth=1
	v_lshlrev_b64 v[6:7], 3, v[4:5]
	v_add_co_u32 v6, vcc_lo, s31, v6
	v_add_co_ci_u32_e64 v7, null, s33, v7, vcc_lo
	global_load_dwordx2 v[6:7], v[6:7], off
.LBB78_466:                             ;   in Loop: Header=BB78_464 Depth=1
	s_or_b32 exec_lo, exec_lo, s1
	s_mov_b32 s18, 0
	s_mov_b32 s1, exec_lo
	v_cmpx_gt_u32_e64 s36, v0
	s_cbranch_execz .LBB78_468
; %bb.467:                              ;   in Loop: Header=BB78_464 Depth=1
	s_waitcnt vmcnt(0)
	v_cmp_o_f64_e32 vcc_lo, v[8:9], v[8:9]
	v_ashrrev_i32_e32 v1, 31, v9
	v_or_b32_e32 v12, 0x80000000, v1
	v_xor_b32_e32 v1, v1, v8
	v_xor_b32_e32 v12, v12, v9
	v_cndmask_b32_e32 v13, -1, v12, vcc_lo
	v_cndmask_b32_e32 v12, -1, v1, vcc_lo
	v_cmp_eq_u64_e32 vcc_lo, v[12:13], v[2:3]
	s_and_b32 s18, vcc_lo, exec_lo
.LBB78_468:                             ;   in Loop: Header=BB78_464 Depth=1
	s_or_b32 exec_lo, exec_lo, s1
	v_cndmask_b32_e64 v1, 0, 1, s18
	v_cmp_ne_u32_e32 vcc_lo, 0, v1
	s_cmp_lg_u32 vcc_lo, 0
	s_cselect_b32 s1, -1, 0
	s_and_b32 s1, s0, s1
	s_and_saveexec_b32 s19, s1
	s_cbranch_execz .LBB78_472
; %bb.469:                              ;   in Loop: Header=BB78_464 Depth=1
	s_mov_b32 s22, exec_lo
	s_bcnt1_i32_b32 s20, vcc_lo
	v_mbcnt_lo_u32_b32 v1, s22, 0
	s_mov_b32 s21, exec_lo
                                        ; implicit-def: $vgpr11
	v_cmpx_eq_u32_e32 0, v1
; %bb.470:                              ;   in Loop: Header=BB78_464 Depth=1
	s_bcnt1_i32_b32 s1, s22
	s_mul_i32 s1, s20, s1
	v_mov_b32_e32 v11, s1
	ds_add_rtn_u32 v11, v5, v11 offset:4108
; %bb.471:                              ;   in Loop: Header=BB78_464 Depth=1
	s_or_b32 exec_lo, exec_lo, s21
	s_waitcnt lgkmcnt(0)
	v_readfirstlane_b32 s1, v11
	v_mad_u32_u24 v11, s20, v1, s1
.LBB78_472:                             ;   in Loop: Header=BB78_464 Depth=1
	s_or_b32 exec_lo, exec_lo, s19
	ds_bpermute_b32 v11, v5, v11
	s_cmp_eq_u32 vcc_lo, 0
	s_mov_b32 s19, -1
	s_cselect_b32 s20, -1, 0
	s_waitcnt lgkmcnt(0)
	v_cmp_gt_u32_e64 s1, s37, v11
	s_or_b32 s21, s20, s1
	s_mov_b32 s20, -1
	s_and_saveexec_b32 s1, s21
	s_cbranch_execz .LBB78_463
; %bb.473:                              ;   in Loop: Header=BB78_464 Depth=1
	v_and_b32_e32 v1, vcc_lo, v27
	v_sub_nc_u32_e32 v12, s37, v11
	s_mov_b32 s21, -1
	v_bcnt_u32_b32 v1, v1, 0
	v_bcnt_u32_b32 v1, 0, v1
	v_cmp_gt_u32_e32 vcc_lo, v12, v1
	s_and_b32 s22, s18, vcc_lo
	s_and_saveexec_b32 s18, s22
	s_cbranch_execz .LBB78_477
; %bb.474:                              ;   in Loop: Header=BB78_464 Depth=1
	v_add_nc_u32_e32 v1, v11, v1
	s_mov_b32 s20, 0
	s_mov_b32 s21, exec_lo
	v_cmpx_gt_u32_e64 s37, v1
	s_cbranch_execz .LBB78_476
; %bb.475:                              ;   in Loop: Header=BB78_464 Depth=1
	v_mul_lo_u32 v12, v1, s10
	v_mul_lo_u32 v14, v1, s11
	v_mov_b32_e32 v13, v5
	v_mov_b32_e32 v15, v5
	;; [unrolled: 1-line block ×3, first 2 shown]
	s_mov_b32 s20, exec_lo
	v_lshlrev_b64 v[12:13], 3, v[12:13]
	v_lshlrev_b64 v[14:15], 3, v[14:15]
	v_add_co_u32 v12, vcc_lo, s13, v12
	v_add_co_ci_u32_e64 v13, null, s14, v13, vcc_lo
	v_add_co_u32 v14, vcc_lo, s15, v14
	v_add_co_ci_u32_e64 v15, null, s16, v15, vcc_lo
	s_waitcnt vmcnt(0)
	global_store_dwordx2 v[12:13], v[8:9], off
	global_store_dwordx2 v[14:15], v[0:1], off
.LBB78_476:                             ;   in Loop: Header=BB78_464 Depth=1
	s_or_b32 exec_lo, exec_lo, s21
	s_xor_b32 s21, exec_lo, -1
	s_orn2_b32 s20, s20, exec_lo
.LBB78_477:                             ;   in Loop: Header=BB78_464 Depth=1
	s_or_b32 exec_lo, exec_lo, s18
	s_and_saveexec_b32 s18, s20
	s_cbranch_execz .LBB78_462
; %bb.478:                              ;   in Loop: Header=BB78_464 Depth=1
	v_cmp_le_u32_e32 vcc_lo, s12, v10
	v_add_nc_u32_e32 v4, s40, v4
	s_or_b32 s21, s21, exec_lo
	s_orn2_b32 s19, vcc_lo, exec_lo
	s_branch .LBB78_462
.LBB78_479:
	s_or_b32 s8, s8, exec_lo
	s_trap 2
	s_branch .LBB78_439
.LBB78_480:
	s_or_b32 exec_lo, exec_lo, s5
	s_mov_b32 s0, 0
	s_and_saveexec_b32 s1, s17
	s_xor_b32 s1, exec_lo, s1
	s_cbranch_execnz .LBB78_486
.LBB78_481:
	s_or_b32 exec_lo, exec_lo, s1
	s_and_b32 s1, s0, exec_lo
.LBB78_482:
	s_or_b32 exec_lo, exec_lo, s2
	s_and_b32 s5, s1, exec_lo
	s_andn2_b32 s3, s3, exec_lo
	s_or_b32 exec_lo, exec_lo, s4
	s_and_saveexec_b32 s0, s3
	s_xor_b32 s0, exec_lo, s0
	s_cbranch_execz .LBB78_433
.LBB78_483:
	s_or_b32 s5, s5, exec_lo
	s_trap 2
	s_branch .LBB78_433
.LBB78_484:
	s_or_b32 s11, s11, exec_lo
	s_trap 2
	s_branch .LBB78_437
.LBB78_485:
	s_or_b32 s11, s11, exec_lo
	s_trap 2
	s_branch .LBB78_435
.LBB78_486:
	s_mov_b32 s0, exec_lo
	s_trap 2
	s_branch .LBB78_481
	.section	.rodata,"a",@progbits
	.p2align	6, 0x0
	.amdhsa_kernel _ZN2at6native6sbtopk10gatherTopKIdjLin1ELb0EEEvNS_4cuda6detail10TensorInfoIKT_T0_EES8_S8_bS8_S8_NS5_IS6_S8_EES8_NS5_IlS8_EES8_PS6_
		.amdhsa_group_segment_fixed_size 4112
		.amdhsa_private_segment_fixed_size 0
		.amdhsa_kernarg_size 952
		.amdhsa_user_sgpr_count 6
		.amdhsa_user_sgpr_private_segment_buffer 1
		.amdhsa_user_sgpr_dispatch_ptr 0
		.amdhsa_user_sgpr_queue_ptr 0
		.amdhsa_user_sgpr_kernarg_segment_ptr 1
		.amdhsa_user_sgpr_dispatch_id 0
		.amdhsa_user_sgpr_flat_scratch_init 0
		.amdhsa_user_sgpr_private_segment_size 0
		.amdhsa_wavefront_size32 1
		.amdhsa_uses_dynamic_stack 0
		.amdhsa_system_sgpr_private_segment_wavefront_offset 0
		.amdhsa_system_sgpr_workgroup_id_x 1
		.amdhsa_system_sgpr_workgroup_id_y 1
		.amdhsa_system_sgpr_workgroup_id_z 1
		.amdhsa_system_sgpr_workgroup_info 0
		.amdhsa_system_vgpr_workitem_id 0
		.amdhsa_next_free_vgpr 55
		.amdhsa_next_free_sgpr 95
		.amdhsa_reserve_vcc 1
		.amdhsa_reserve_flat_scratch 0
		.amdhsa_float_round_mode_32 0
		.amdhsa_float_round_mode_16_64 0
		.amdhsa_float_denorm_mode_32 3
		.amdhsa_float_denorm_mode_16_64 3
		.amdhsa_dx10_clamp 1
		.amdhsa_ieee_mode 1
		.amdhsa_fp16_overflow 0
		.amdhsa_workgroup_processor_mode 1
		.amdhsa_memory_ordered 1
		.amdhsa_forward_progress 1
		.amdhsa_shared_vgpr_count 0
		.amdhsa_exception_fp_ieee_invalid_op 0
		.amdhsa_exception_fp_denorm_src 0
		.amdhsa_exception_fp_ieee_div_zero 0
		.amdhsa_exception_fp_ieee_overflow 0
		.amdhsa_exception_fp_ieee_underflow 0
		.amdhsa_exception_fp_ieee_inexact 0
		.amdhsa_exception_int_div_zero 0
	.end_amdhsa_kernel
	.section	.text._ZN2at6native6sbtopk10gatherTopKIdjLin1ELb0EEEvNS_4cuda6detail10TensorInfoIKT_T0_EES8_S8_bS8_S8_NS5_IS6_S8_EES8_NS5_IlS8_EES8_PS6_,"axG",@progbits,_ZN2at6native6sbtopk10gatherTopKIdjLin1ELb0EEEvNS_4cuda6detail10TensorInfoIKT_T0_EES8_S8_bS8_S8_NS5_IS6_S8_EES8_NS5_IlS8_EES8_PS6_,comdat
.Lfunc_end78:
	.size	_ZN2at6native6sbtopk10gatherTopKIdjLin1ELb0EEEvNS_4cuda6detail10TensorInfoIKT_T0_EES8_S8_bS8_S8_NS5_IS6_S8_EES8_NS5_IlS8_EES8_PS6_, .Lfunc_end78-_ZN2at6native6sbtopk10gatherTopKIdjLin1ELb0EEEvNS_4cuda6detail10TensorInfoIKT_T0_EES8_S8_bS8_S8_NS5_IS6_S8_EES8_NS5_IlS8_EES8_PS6_
                                        ; -- End function
	.set _ZN2at6native6sbtopk10gatherTopKIdjLin1ELb0EEEvNS_4cuda6detail10TensorInfoIKT_T0_EES8_S8_bS8_S8_NS5_IS6_S8_EES8_NS5_IlS8_EES8_PS6_.num_vgpr, 55
	.set _ZN2at6native6sbtopk10gatherTopKIdjLin1ELb0EEEvNS_4cuda6detail10TensorInfoIKT_T0_EES8_S8_bS8_S8_NS5_IS6_S8_EES8_NS5_IlS8_EES8_PS6_.num_agpr, 0
	.set _ZN2at6native6sbtopk10gatherTopKIdjLin1ELb0EEEvNS_4cuda6detail10TensorInfoIKT_T0_EES8_S8_bS8_S8_NS5_IS6_S8_EES8_NS5_IlS8_EES8_PS6_.numbered_sgpr, 95
	.set _ZN2at6native6sbtopk10gatherTopKIdjLin1ELb0EEEvNS_4cuda6detail10TensorInfoIKT_T0_EES8_S8_bS8_S8_NS5_IS6_S8_EES8_NS5_IlS8_EES8_PS6_.num_named_barrier, 0
	.set _ZN2at6native6sbtopk10gatherTopKIdjLin1ELb0EEEvNS_4cuda6detail10TensorInfoIKT_T0_EES8_S8_bS8_S8_NS5_IS6_S8_EES8_NS5_IlS8_EES8_PS6_.private_seg_size, 0
	.set _ZN2at6native6sbtopk10gatherTopKIdjLin1ELb0EEEvNS_4cuda6detail10TensorInfoIKT_T0_EES8_S8_bS8_S8_NS5_IS6_S8_EES8_NS5_IlS8_EES8_PS6_.uses_vcc, 1
	.set _ZN2at6native6sbtopk10gatherTopKIdjLin1ELb0EEEvNS_4cuda6detail10TensorInfoIKT_T0_EES8_S8_bS8_S8_NS5_IS6_S8_EES8_NS5_IlS8_EES8_PS6_.uses_flat_scratch, 0
	.set _ZN2at6native6sbtopk10gatherTopKIdjLin1ELb0EEEvNS_4cuda6detail10TensorInfoIKT_T0_EES8_S8_bS8_S8_NS5_IS6_S8_EES8_NS5_IlS8_EES8_PS6_.has_dyn_sized_stack, 0
	.set _ZN2at6native6sbtopk10gatherTopKIdjLin1ELb0EEEvNS_4cuda6detail10TensorInfoIKT_T0_EES8_S8_bS8_S8_NS5_IS6_S8_EES8_NS5_IlS8_EES8_PS6_.has_recursion, 0
	.set _ZN2at6native6sbtopk10gatherTopKIdjLin1ELb0EEEvNS_4cuda6detail10TensorInfoIKT_T0_EES8_S8_bS8_S8_NS5_IS6_S8_EES8_NS5_IlS8_EES8_PS6_.has_indirect_call, 0
	.section	.AMDGPU.csdata,"",@progbits
; Kernel info:
; codeLenInByte = 15860
; TotalNumSgprs: 97
; NumVgprs: 55
; ScratchSize: 0
; MemoryBound: 0
; FloatMode: 240
; IeeeMode: 1
; LDSByteSize: 4112 bytes/workgroup (compile time only)
; SGPRBlocks: 0
; VGPRBlocks: 6
; NumSGPRsForWavesPerEU: 97
; NumVGPRsForWavesPerEU: 55
; Occupancy: 16
; WaveLimiterHint : 1
; COMPUTE_PGM_RSRC2:SCRATCH_EN: 0
; COMPUTE_PGM_RSRC2:USER_SGPR: 6
; COMPUTE_PGM_RSRC2:TRAP_HANDLER: 0
; COMPUTE_PGM_RSRC2:TGID_X_EN: 1
; COMPUTE_PGM_RSRC2:TGID_Y_EN: 1
; COMPUTE_PGM_RSRC2:TGID_Z_EN: 1
; COMPUTE_PGM_RSRC2:TIDIG_COMP_CNT: 0
	.section	.text._ZN2at6native6mbtopk23computeBlockDigitCountsIfjjLi1EEEvNS_4cuda6detail10TensorInfoIKT_T0_EEjPjjS8_iijT1_PSB_Ps,"axG",@progbits,_ZN2at6native6mbtopk23computeBlockDigitCountsIfjjLi1EEEvNS_4cuda6detail10TensorInfoIKT_T0_EEjPjjS8_iijT1_PSB_Ps,comdat
	.protected	_ZN2at6native6mbtopk23computeBlockDigitCountsIfjjLi1EEEvNS_4cuda6detail10TensorInfoIKT_T0_EEjPjjS8_iijT1_PSB_Ps ; -- Begin function _ZN2at6native6mbtopk23computeBlockDigitCountsIfjjLi1EEEvNS_4cuda6detail10TensorInfoIKT_T0_EEjPjjS8_iijT1_PSB_Ps
	.globl	_ZN2at6native6mbtopk23computeBlockDigitCountsIfjjLi1EEEvNS_4cuda6detail10TensorInfoIKT_T0_EEjPjjS8_iijT1_PSB_Ps
	.p2align	8
	.type	_ZN2at6native6mbtopk23computeBlockDigitCountsIfjjLi1EEEvNS_4cuda6detail10TensorInfoIKT_T0_EEjPjjS8_iijT1_PSB_Ps,@function
_ZN2at6native6mbtopk23computeBlockDigitCountsIfjjLi1EEEvNS_4cuda6detail10TensorInfoIKT_T0_EEjPjjS8_iijT1_PSB_Ps: ; @_ZN2at6native6mbtopk23computeBlockDigitCountsIfjjLi1EEEvNS_4cuda6detail10TensorInfoIKT_T0_EEjPjjS8_iijT1_PSB_Ps
; %bb.0:
	s_clause 0x2
	s_load_dwordx2 s[10:11], s[4:5], 0xf8
	s_load_dwordx4 s[12:15], s[4:5], 0xe8
	s_load_dwordx2 s[0:1], s[4:5], 0x110
	s_waitcnt lgkmcnt(0)
	v_cvt_f32_u32_e32 v1, s10
	s_sub_i32 s3, 0, s10
	s_mul_i32 s1, s1, s8
	s_add_i32 s1, s1, s7
	v_rcp_iflag_f32_e32 v1, v1
	s_mul_i32 s16, s1, s0
	s_mov_b32 s7, 0
	s_add_i32 s16, s16, s6
	v_mul_f32_e32 v1, 0x4f7ffffe, v1
	v_cvt_u32_f32_e32 v1, v1
	v_readfirstlane_b32 s2, v1
	s_mul_i32 s3, s3, s2
	s_mul_hi_u32 s0, s2, s3
	s_add_i32 s2, s2, s0
	s_mul_hi_u32 s0, s16, s2
	s_mul_i32 s1, s0, s10
	s_add_i32 s2, s0, 1
	s_sub_i32 s1, s16, s1
	s_sub_i32 s3, s1, s10
	s_cmp_ge_u32 s1, s10
	s_cselect_b32 s0, s2, s0
	s_cselect_b32 s1, s3, s1
	s_add_i32 s2, s0, 1
	s_cmp_ge_u32 s1, s10
	s_cselect_b32 s6, s2, s0
	s_cmp_ge_u32 s6, s12
	s_cbranch_scc1 .LBB79_27
; %bb.1:
	s_load_dwordx4 s[0:3], s[4:5], 0x100
	s_lshl_b64 s[8:9], s[6:7], 2
	v_cmp_gt_u32_e32 vcc_lo, 0x100, v0
	v_lshlrev_b32_e32 v3, 2, v0
	s_waitcnt lgkmcnt(0)
	s_add_u32 s8, s0, s8
	s_addc_u32 s9, s1, s9
	s_and_saveexec_b32 s0, vcc_lo
; %bb.2:
	v_mov_b32_e32 v1, 0
	ds_write_b32 v3, v1
; %bb.3:
	s_or_b32 exec_lo, exec_lo, s0
	s_load_dword s7, s[4:5], 0xd8
	s_mul_i32 s0, s6, s10
	s_waitcnt lgkmcnt(0)
	s_sub_i32 s0, s16, s0
	s_barrier
	s_mul_i32 s1, s15, s0
	s_add_i32 s17, s0, 1
	s_lshl_b32 s12, s1, 8
	buffer_gl0_inv
	s_sub_i32 s1, s7, s12
	s_add_u32 s0, s1, 0xff
	s_addc_u32 s1, 0, 0
	s_lshr_b64 s[0:1], s[0:1], 8
	s_cmp_lt_u32 s17, s10
	s_mov_b32 s1, 0
	s_cselect_b32 s10, s15, s0
	s_cmp_lt_i32 s10, 1
	s_cbranch_scc1 .LBB79_25
; %bb.4:
	s_clause 0x1
	s_load_dword s0, s[4:5], 0x6c
	s_load_dwordx2 s[18:19], s[4:5], 0x0
	s_load_dword s4, s[8:9], 0x0
	s_waitcnt lgkmcnt(0)
	s_mul_i32 s0, s0, s6
	s_lshl_b64 s[8:9], s[0:1], 2
	s_add_u32 s5, s18, s8
	s_addc_u32 s6, s19, s9
	s_and_b32 s8, s14, 0xff
	s_cmp_lt_u32 s10, 4
	s_cbranch_scc1 .LBB79_19
; %bb.5:
	v_add_nc_u32_e32 v1, s12, v0
	v_mov_b32_e32 v9, 1
	s_and_b32 s1, s10, 0x7ffffffc
	s_lshl_b32 s9, s13, 10
	s_mov_b32 s14, 0
	v_add_nc_u32_e32 v4, 0x300, v1
	v_add_nc_u32_e32 v2, 0x200, v1
	;; [unrolled: 1-line block ×3, first 2 shown]
	v_mul_lo_u32 v8, s13, v1
	s_mov_b32 s15, 0
	v_mul_lo_u32 v5, s13, v4
	v_mul_lo_u32 v6, s13, v2
	;; [unrolled: 1-line block ×3, first 2 shown]
	v_mov_b32_e32 v2, 0
	s_branch .LBB79_7
.LBB79_6:                               ;   in Loop: Header=BB79_7 Depth=1
	s_or_b32 exec_lo, exec_lo, s17
	v_add_nc_u32_e32 v4, 0x400, v4
	s_add_i32 s15, s15, 4
	s_add_i32 s14, s14, s9
	s_cmp_eq_u32 s1, s15
	s_cbranch_scc1 .LBB79_19
.LBB79_7:                               ; =>This Inner Loop Header: Depth=1
	v_add_nc_u32_e32 v1, 0xfffffd00, v4
	s_mov_b32 s17, exec_lo
	v_cmpx_gt_u32_e64 s7, v1
	s_cbranch_execz .LBB79_10
; %bb.8:                                ;   in Loop: Header=BB79_7 Depth=1
	v_add_nc_u32_e32 v1, s14, v8
	v_lshlrev_b64 v[10:11], 2, v[1:2]
	v_add_co_u32 v10, s0, s5, v10
	v_add_co_ci_u32_e64 v11, null, s6, v11, s0
	global_load_dword v1, v[10:11], off
	s_waitcnt vmcnt(0)
	v_cmp_lt_i32_e64 s0, -1, v1
	v_cndmask_b32_e64 v10, -1, 0x80000000, s0
	v_cmp_o_f32_e64 s0, v1, v1
	v_xor_b32_e32 v10, v10, v1
	v_cndmask_b32_e64 v1, -1, v10, s0
	v_xor_b32_e32 v10, s4, v1
	v_and_b32_e32 v10, s11, v10
	v_cmp_eq_u32_e64 s0, 0, v10
	s_and_b32 exec_lo, exec_lo, s0
; %bb.9:                                ;   in Loop: Header=BB79_7 Depth=1
	v_bfe_u32 v1, v1, s8, 8
	v_lshlrev_b32_e32 v1, 2, v1
	ds_add_u32 v1, v9
.LBB79_10:                              ;   in Loop: Header=BB79_7 Depth=1
	s_or_b32 exec_lo, exec_lo, s17
	v_add_nc_u32_e32 v1, 0xfffffe00, v4
	s_mov_b32 s17, exec_lo
	v_cmpx_gt_u32_e64 s7, v1
	s_cbranch_execz .LBB79_13
; %bb.11:                               ;   in Loop: Header=BB79_7 Depth=1
	v_add_nc_u32_e32 v1, s14, v7
	v_lshlrev_b64 v[10:11], 2, v[1:2]
	v_add_co_u32 v10, s0, s5, v10
	v_add_co_ci_u32_e64 v11, null, s6, v11, s0
	global_load_dword v1, v[10:11], off
	s_waitcnt vmcnt(0)
	v_cmp_lt_i32_e64 s0, -1, v1
	v_cndmask_b32_e64 v10, -1, 0x80000000, s0
	v_cmp_o_f32_e64 s0, v1, v1
	v_xor_b32_e32 v10, v10, v1
	v_cndmask_b32_e64 v1, -1, v10, s0
	v_xor_b32_e32 v10, s4, v1
	v_and_b32_e32 v10, s11, v10
	v_cmp_eq_u32_e64 s0, 0, v10
	s_and_b32 exec_lo, exec_lo, s0
; %bb.12:                               ;   in Loop: Header=BB79_7 Depth=1
	v_bfe_u32 v1, v1, s8, 8
	v_lshlrev_b32_e32 v1, 2, v1
	ds_add_u32 v1, v9
.LBB79_13:                              ;   in Loop: Header=BB79_7 Depth=1
	s_or_b32 exec_lo, exec_lo, s17
	v_add_nc_u32_e32 v1, 0xffffff00, v4
	s_mov_b32 s17, exec_lo
	v_cmpx_gt_u32_e64 s7, v1
	s_cbranch_execz .LBB79_16
; %bb.14:                               ;   in Loop: Header=BB79_7 Depth=1
	v_add_nc_u32_e32 v1, s14, v6
	v_lshlrev_b64 v[10:11], 2, v[1:2]
	v_add_co_u32 v10, s0, s5, v10
	v_add_co_ci_u32_e64 v11, null, s6, v11, s0
	global_load_dword v1, v[10:11], off
	s_waitcnt vmcnt(0)
	v_cmp_lt_i32_e64 s0, -1, v1
	v_cndmask_b32_e64 v10, -1, 0x80000000, s0
	v_cmp_o_f32_e64 s0, v1, v1
	v_xor_b32_e32 v10, v10, v1
	v_cndmask_b32_e64 v1, -1, v10, s0
	v_xor_b32_e32 v10, s4, v1
	v_and_b32_e32 v10, s11, v10
	v_cmp_eq_u32_e64 s0, 0, v10
	s_and_b32 exec_lo, exec_lo, s0
; %bb.15:                               ;   in Loop: Header=BB79_7 Depth=1
	v_bfe_u32 v1, v1, s8, 8
	v_lshlrev_b32_e32 v1, 2, v1
	ds_add_u32 v1, v9
.LBB79_16:                              ;   in Loop: Header=BB79_7 Depth=1
	s_or_b32 exec_lo, exec_lo, s17
	s_mov_b32 s17, exec_lo
	v_cmpx_gt_u32_e64 s7, v4
	s_cbranch_execz .LBB79_6
; %bb.17:                               ;   in Loop: Header=BB79_7 Depth=1
	v_add_nc_u32_e32 v1, s14, v5
	v_lshlrev_b64 v[10:11], 2, v[1:2]
	v_add_co_u32 v10, s0, s5, v10
	v_add_co_ci_u32_e64 v11, null, s6, v11, s0
	global_load_dword v1, v[10:11], off
	s_waitcnt vmcnt(0)
	v_cmp_lt_i32_e64 s0, -1, v1
	v_cndmask_b32_e64 v10, -1, 0x80000000, s0
	v_cmp_o_f32_e64 s0, v1, v1
	v_xor_b32_e32 v10, v10, v1
	v_cndmask_b32_e64 v1, -1, v10, s0
	v_xor_b32_e32 v10, s4, v1
	v_and_b32_e32 v10, s11, v10
	v_cmp_eq_u32_e64 s0, 0, v10
	s_and_b32 exec_lo, exec_lo, s0
	s_cbranch_execz .LBB79_6
; %bb.18:                               ;   in Loop: Header=BB79_7 Depth=1
	v_bfe_u32 v1, v1, s8, 8
	v_lshlrev_b32_e32 v1, 2, v1
	ds_add_u32 v1, v9
	s_branch .LBB79_6
.LBB79_19:
	s_and_b32 s9, s10, 3
	s_cmp_eq_u32 s9, 0
	s_cbranch_scc1 .LBB79_25
; %bb.20:
	s_lshl_b32 s0, s1, 8
	v_mov_b32_e32 v2, 0
	v_add3_u32 v4, s0, s12, v0
	v_mov_b32_e32 v5, 1
	s_lshl_b32 s1, s13, 8
	v_mul_lo_u32 v1, s13, v4
	s_inst_prefetch 0x1
	s_branch .LBB79_22
	.p2align	6
.LBB79_21:                              ;   in Loop: Header=BB79_22 Depth=1
	s_or_b32 exec_lo, exec_lo, s10
	v_add_nc_u32_e32 v1, s1, v1
	v_add_nc_u32_e32 v4, 0x100, v4
	s_add_i32 s9, s9, -1
	s_cmp_lg_u32 s9, 0
	s_cbranch_scc0 .LBB79_25
.LBB79_22:                              ; =>This Inner Loop Header: Depth=1
	s_mov_b32 s10, exec_lo
	v_cmpx_gt_u32_e64 s7, v4
	s_cbranch_execz .LBB79_21
; %bb.23:                               ;   in Loop: Header=BB79_22 Depth=1
	v_lshlrev_b64 v[6:7], 2, v[1:2]
	v_add_co_u32 v6, s0, s5, v6
	v_add_co_ci_u32_e64 v7, null, s6, v7, s0
	global_load_dword v6, v[6:7], off
	s_waitcnt vmcnt(0)
	v_cmp_lt_i32_e64 s0, -1, v6
	v_cndmask_b32_e64 v7, -1, 0x80000000, s0
	v_cmp_o_f32_e64 s0, v6, v6
	v_xor_b32_e32 v7, v7, v6
	v_cndmask_b32_e64 v6, -1, v7, s0
	v_xor_b32_e32 v7, s4, v6
	v_and_b32_e32 v7, s11, v7
	v_cmp_eq_u32_e64 s0, 0, v7
	s_and_b32 exec_lo, exec_lo, s0
	s_cbranch_execz .LBB79_21
; %bb.24:                               ;   in Loop: Header=BB79_22 Depth=1
	v_bfe_u32 v6, v6, s8, 8
	v_lshlrev_b32_e32 v6, 2, v6
	ds_add_u32 v6, v5
	s_branch .LBB79_21
.LBB79_25:
	s_inst_prefetch 0x2
	s_waitcnt lgkmcnt(0)
	s_barrier
	buffer_gl0_inv
	s_and_saveexec_b32 s0, vcc_lo
	s_cbranch_execz .LBB79_27
; %bb.26:
	ds_read_b32 v2, v3
	v_lshl_or_b32 v0, s16, 8, v0
	v_mov_b32_e32 v1, 0
	v_lshlrev_b64 v[0:1], 1, v[0:1]
	v_add_co_u32 v0, vcc_lo, s2, v0
	v_add_co_ci_u32_e64 v1, null, s3, v1, vcc_lo
	s_waitcnt lgkmcnt(0)
	global_store_short v[0:1], v2, off
.LBB79_27:
	s_endpgm
	.section	.rodata,"a",@progbits
	.p2align	6, 0x0
	.amdhsa_kernel _ZN2at6native6mbtopk23computeBlockDigitCountsIfjjLi1EEEvNS_4cuda6detail10TensorInfoIKT_T0_EEjPjjS8_iijT1_PSB_Ps
		.amdhsa_group_segment_fixed_size 1024
		.amdhsa_private_segment_fixed_size 0
		.amdhsa_kernarg_size 528
		.amdhsa_user_sgpr_count 6
		.amdhsa_user_sgpr_private_segment_buffer 1
		.amdhsa_user_sgpr_dispatch_ptr 0
		.amdhsa_user_sgpr_queue_ptr 0
		.amdhsa_user_sgpr_kernarg_segment_ptr 1
		.amdhsa_user_sgpr_dispatch_id 0
		.amdhsa_user_sgpr_flat_scratch_init 0
		.amdhsa_user_sgpr_private_segment_size 0
		.amdhsa_wavefront_size32 1
		.amdhsa_uses_dynamic_stack 0
		.amdhsa_system_sgpr_private_segment_wavefront_offset 0
		.amdhsa_system_sgpr_workgroup_id_x 1
		.amdhsa_system_sgpr_workgroup_id_y 1
		.amdhsa_system_sgpr_workgroup_id_z 1
		.amdhsa_system_sgpr_workgroup_info 0
		.amdhsa_system_vgpr_workitem_id 0
		.amdhsa_next_free_vgpr 12
		.amdhsa_next_free_sgpr 20
		.amdhsa_reserve_vcc 1
		.amdhsa_reserve_flat_scratch 0
		.amdhsa_float_round_mode_32 0
		.amdhsa_float_round_mode_16_64 0
		.amdhsa_float_denorm_mode_32 3
		.amdhsa_float_denorm_mode_16_64 3
		.amdhsa_dx10_clamp 1
		.amdhsa_ieee_mode 1
		.amdhsa_fp16_overflow 0
		.amdhsa_workgroup_processor_mode 1
		.amdhsa_memory_ordered 1
		.amdhsa_forward_progress 1
		.amdhsa_shared_vgpr_count 0
		.amdhsa_exception_fp_ieee_invalid_op 0
		.amdhsa_exception_fp_denorm_src 0
		.amdhsa_exception_fp_ieee_div_zero 0
		.amdhsa_exception_fp_ieee_overflow 0
		.amdhsa_exception_fp_ieee_underflow 0
		.amdhsa_exception_fp_ieee_inexact 0
		.amdhsa_exception_int_div_zero 0
	.end_amdhsa_kernel
	.section	.text._ZN2at6native6mbtopk23computeBlockDigitCountsIfjjLi1EEEvNS_4cuda6detail10TensorInfoIKT_T0_EEjPjjS8_iijT1_PSB_Ps,"axG",@progbits,_ZN2at6native6mbtopk23computeBlockDigitCountsIfjjLi1EEEvNS_4cuda6detail10TensorInfoIKT_T0_EEjPjjS8_iijT1_PSB_Ps,comdat
.Lfunc_end79:
	.size	_ZN2at6native6mbtopk23computeBlockDigitCountsIfjjLi1EEEvNS_4cuda6detail10TensorInfoIKT_T0_EEjPjjS8_iijT1_PSB_Ps, .Lfunc_end79-_ZN2at6native6mbtopk23computeBlockDigitCountsIfjjLi1EEEvNS_4cuda6detail10TensorInfoIKT_T0_EEjPjjS8_iijT1_PSB_Ps
                                        ; -- End function
	.set _ZN2at6native6mbtopk23computeBlockDigitCountsIfjjLi1EEEvNS_4cuda6detail10TensorInfoIKT_T0_EEjPjjS8_iijT1_PSB_Ps.num_vgpr, 12
	.set _ZN2at6native6mbtopk23computeBlockDigitCountsIfjjLi1EEEvNS_4cuda6detail10TensorInfoIKT_T0_EEjPjjS8_iijT1_PSB_Ps.num_agpr, 0
	.set _ZN2at6native6mbtopk23computeBlockDigitCountsIfjjLi1EEEvNS_4cuda6detail10TensorInfoIKT_T0_EEjPjjS8_iijT1_PSB_Ps.numbered_sgpr, 20
	.set _ZN2at6native6mbtopk23computeBlockDigitCountsIfjjLi1EEEvNS_4cuda6detail10TensorInfoIKT_T0_EEjPjjS8_iijT1_PSB_Ps.num_named_barrier, 0
	.set _ZN2at6native6mbtopk23computeBlockDigitCountsIfjjLi1EEEvNS_4cuda6detail10TensorInfoIKT_T0_EEjPjjS8_iijT1_PSB_Ps.private_seg_size, 0
	.set _ZN2at6native6mbtopk23computeBlockDigitCountsIfjjLi1EEEvNS_4cuda6detail10TensorInfoIKT_T0_EEjPjjS8_iijT1_PSB_Ps.uses_vcc, 1
	.set _ZN2at6native6mbtopk23computeBlockDigitCountsIfjjLi1EEEvNS_4cuda6detail10TensorInfoIKT_T0_EEjPjjS8_iijT1_PSB_Ps.uses_flat_scratch, 0
	.set _ZN2at6native6mbtopk23computeBlockDigitCountsIfjjLi1EEEvNS_4cuda6detail10TensorInfoIKT_T0_EEjPjjS8_iijT1_PSB_Ps.has_dyn_sized_stack, 0
	.set _ZN2at6native6mbtopk23computeBlockDigitCountsIfjjLi1EEEvNS_4cuda6detail10TensorInfoIKT_T0_EEjPjjS8_iijT1_PSB_Ps.has_recursion, 0
	.set _ZN2at6native6mbtopk23computeBlockDigitCountsIfjjLi1EEEvNS_4cuda6detail10TensorInfoIKT_T0_EEjPjjS8_iijT1_PSB_Ps.has_indirect_call, 0
	.section	.AMDGPU.csdata,"",@progbits
; Kernel info:
; codeLenInByte = 1408
; TotalNumSgprs: 22
; NumVgprs: 12
; ScratchSize: 0
; MemoryBound: 0
; FloatMode: 240
; IeeeMode: 1
; LDSByteSize: 1024 bytes/workgroup (compile time only)
; SGPRBlocks: 0
; VGPRBlocks: 1
; NumSGPRsForWavesPerEU: 22
; NumVGPRsForWavesPerEU: 12
; Occupancy: 16
; WaveLimiterHint : 1
; COMPUTE_PGM_RSRC2:SCRATCH_EN: 0
; COMPUTE_PGM_RSRC2:USER_SGPR: 6
; COMPUTE_PGM_RSRC2:TRAP_HANDLER: 0
; COMPUTE_PGM_RSRC2:TGID_X_EN: 1
; COMPUTE_PGM_RSRC2:TGID_Y_EN: 1
; COMPUTE_PGM_RSRC2:TGID_Z_EN: 1
; COMPUTE_PGM_RSRC2:TIDIG_COMP_CNT: 0
	.section	.text._ZN2at6native6mbtopk29computeBlockwiseWithinKCountsIjfEEvPT_PsPjjibS6_PT0_S6_S4_S6_j,"axG",@progbits,_ZN2at6native6mbtopk29computeBlockwiseWithinKCountsIjfEEvPT_PsPjjibS6_PT0_S6_S4_S6_j,comdat
	.protected	_ZN2at6native6mbtopk29computeBlockwiseWithinKCountsIjfEEvPT_PsPjjibS6_PT0_S6_S4_S6_j ; -- Begin function _ZN2at6native6mbtopk29computeBlockwiseWithinKCountsIjfEEvPT_PsPjjibS6_PT0_S6_S4_S6_j
	.globl	_ZN2at6native6mbtopk29computeBlockwiseWithinKCountsIjfEEvPT_PsPjjibS6_PT0_S6_S4_S6_j
	.p2align	8
	.type	_ZN2at6native6mbtopk29computeBlockwiseWithinKCountsIjfEEvPT_PsPjjibS6_PT0_S6_S4_S6_j,@function
_ZN2at6native6mbtopk29computeBlockwiseWithinKCountsIjfEEvPT_PsPjjibS6_PT0_S6_S4_S6_j: ; @_ZN2at6native6mbtopk29computeBlockwiseWithinKCountsIjfEEvPT_PsPjjibS6_PT0_S6_S4_S6_j
; %bb.0:
	s_clause 0x2
	s_load_dwordx4 s[16:19], s[4:5], 0x18
	s_load_dwordx2 s[0:1], s[4:5], 0x58
	s_load_dword s3, s[4:5], 0x50
	s_waitcnt lgkmcnt(0)
	v_cvt_f32_u32_e32 v1, s16
	s_mul_i32 s1, s1, s8
	s_add_i32 s1, s1, s7
	v_rcp_iflag_f32_e32 v1, v1
	s_mul_i32 s0, s1, s0
	s_add_i32 s2, s0, s6
	s_cmp_ge_u32 s2, s3
	v_mul_f32_e32 v1, 0x4f7ffffe, v1
	v_cvt_u32_f32_e32 v1, v1
	v_readfirstlane_b32 s0, v1
	s_cbranch_scc1 .LBB80_40
; %bb.1:
	s_sub_i32 s1, 0, s16
	v_cmp_gt_u32_e32 vcc_lo, 0x100, v0
	s_mul_i32 s1, s1, s0
	s_load_dwordx4 s[20:23], s[4:5], 0x0
	s_mul_hi_u32 s1, s0, s1
	s_add_i32 s3, s0, s1
	s_load_dwordx2 s[0:1], s[4:5], 0x10
	s_mul_hi_u32 s6, s2, s3
	s_mul_i32 s3, s6, s16
	s_add_i32 s8, s6, 1
	s_sub_i32 s7, s2, s3
	s_mov_b32 s3, 0
	s_sub_i32 s9, s7, s16
	s_cmp_ge_u32 s7, s16
	s_mov_b32 s25, s3
	s_cselect_b32 s6, s8, s6
	s_cselect_b32 s7, s9, s7
	s_add_i32 s8, s6, 1
	s_cmp_ge_u32 s7, s16
	s_cselect_b32 s24, s8, s6
	s_lshl_b64 s[6:7], s[24:25], 2
	s_waitcnt lgkmcnt(0)
	s_add_u32 s8, s0, s6
	s_addc_u32 s9, s1, s7
	s_and_saveexec_b32 s1, vcc_lo
	s_cbranch_execz .LBB80_8
; %bb.2:
	s_mul_i32 s0, s24, s16
	s_mov_b32 s11, s3
	s_lshl_b32 s10, s0, 8
	v_lshlrev_b32_e32 v1, 1, v0
	s_lshl_b64 s[10:11], s[10:11], 1
	v_mov_b32_e32 v3, 0
	s_add_u32 s0, s22, s10
	s_addc_u32 s10, s23, s11
	v_add_co_u32 v1, s0, s0, v1
	v_add_co_ci_u32_e64 v2, null, s10, 0, s0
	s_cmp_lt_u32 s16, 4
	s_cbranch_scc1 .LBB80_41
; %bb.3:
	v_mov_b32_e32 v3, 0
	s_mov_b32 s10, 0
	.p2align	6
.LBB80_4:                               ; =>This Inner Loop Header: Depth=1
	s_clause 0x3
	global_load_sshort v4, v[1:2], off
	global_load_sshort v5, v[1:2], off offset:512
	global_load_sshort v6, v[1:2], off offset:1024
	;; [unrolled: 1-line block ×3, first 2 shown]
	v_add_co_u32 v1, s0, 0x800, v1
	v_add_co_ci_u32_e64 v2, null, 0, v2, s0
	s_add_i32 s0, s10, 7
	s_add_i32 s10, s10, 4
	s_cmp_ge_u32 s0, s16
	s_waitcnt vmcnt(2)
	v_add3_u32 v3, v3, v4, v5
	s_waitcnt vmcnt(0)
	v_add3_u32 v3, v3, v6, v7
	s_cbranch_scc0 .LBB80_4
; %bb.5:
	s_cmp_ge_u32 s10, s16
	s_cbranch_scc1 .LBB80_7
.LBB80_6:                               ; =>This Inner Loop Header: Depth=1
	global_load_sshort v4, v[1:2], off
	v_add_co_u32 v1, s0, 0x200, v1
	v_add_co_ci_u32_e64 v2, null, 0, v2, s0
	s_add_i32 s10, s10, 1
	s_cmp_lt_u32 s10, s16
	s_waitcnt vmcnt(0)
	v_add_nc_u32_e32 v3, v3, v4
	s_cbranch_scc1 .LBB80_6
.LBB80_7:
	v_lshlrev_b32_e32 v1, 2, v0
	ds_write_b32 v1, v3 offset:1056
.LBB80_8:
	s_or_b32 exec_lo, exec_lo, s1
	s_load_dword s19, s[8:9], 0x0
	v_mov_b32_e32 v5, 0
	v_lshlrev_b32_e32 v1, 2, v0
	s_waitcnt lgkmcnt(0)
	s_barrier
	buffer_gl0_inv
	s_and_saveexec_b32 s0, vcc_lo
; %bb.9:
	ds_read_b32 v5, v1 offset:1056
; %bb.10:
	s_or_b32 exec_lo, exec_lo, s0
	v_lshrrev_b32_e32 v3, 5, v0
	v_cmp_gt_u32_e64 s0, 32, v0
	v_mbcnt_lo_u32_b32 v2, -1, 0
	v_lshl_add_u32 v4, v3, 2, v1
	s_waitcnt lgkmcnt(0)
	ds_write_b32 v4, v5
	s_waitcnt lgkmcnt(0)
	s_barrier
	buffer_gl0_inv
	s_and_saveexec_b32 s8, s0
	s_cbranch_execz .LBB80_12
; %bb.11:
	v_and_b32_e32 v6, 0xfc, v0
	v_lshl_add_u32 v14, v0, 5, v6
	ds_read2_b32 v[6:7], v14 offset1:1
	ds_read2_b32 v[8:9], v14 offset0:2 offset1:3
	ds_read2_b32 v[10:11], v14 offset0:4 offset1:5
	;; [unrolled: 1-line block ×3, first 2 shown]
	; wave barrier
	s_waitcnt lgkmcnt(3)
	v_add_nc_u32_e32 v7, v7, v6
	s_waitcnt lgkmcnt(2)
	v_add3_u32 v7, v7, v8, v9
	v_and_b32_e32 v8, 15, v2
	s_waitcnt lgkmcnt(1)
	v_add3_u32 v7, v7, v10, v11
	v_cmp_ne_u32_e64 s1, 0, v8
	v_bfe_i32 v10, v2, 4, 1
	s_waitcnt lgkmcnt(0)
	v_add3_u32 v7, v7, v12, v13
	v_mov_b32_dpp v9, v7 row_shr:1 row_mask:0xf bank_mask:0xf
	v_cndmask_b32_e64 v9, 0, v9, s1
	v_cmp_lt_u32_e64 s1, 1, v8
	v_add_nc_u32_e32 v7, v9, v7
	v_mov_b32_dpp v9, v7 row_shr:2 row_mask:0xf bank_mask:0xf
	v_cndmask_b32_e64 v9, 0, v9, s1
	v_cmp_lt_u32_e64 s1, 3, v8
	v_add_nc_u32_e32 v7, v7, v9
	;; [unrolled: 4-line block ×3, first 2 shown]
	v_mov_b32_dpp v9, v7 row_shr:8 row_mask:0xf bank_mask:0xf
	v_cndmask_b32_e64 v8, 0, v9, s1
	v_add_nc_u32_e32 v9, -1, v2
	v_add_nc_u32_e32 v7, v7, v8
	v_cmp_gt_i32_e64 s1, 0, v9
	ds_swizzle_b32 v8, v7 offset:swizzle(BROADCAST,32,15)
	v_cndmask_b32_e64 v9, v9, v2, s1
	v_cmp_eq_u32_e64 s1, 0, v0
	v_lshlrev_b32_e32 v9, 2, v9
	s_waitcnt lgkmcnt(0)
	v_and_b32_e32 v8, v10, v8
	v_add_nc_u32_e32 v7, v7, v8
	ds_bpermute_b32 v7, v9, v7
	s_waitcnt lgkmcnt(0)
	v_add_nc_u32_e32 v6, v7, v6
	v_cndmask_b32_e64 v11, v6, v5, s1
	ds_write_b32 v14, v11
	; wave barrier
	ds_read2_b32 v[5:6], v14 offset0:1 offset1:2
	ds_read2_b32 v[7:8], v14 offset0:3 offset1:4
	;; [unrolled: 1-line block ×3, first 2 shown]
	ds_read_b32 v12, v14 offset:28
	s_waitcnt lgkmcnt(3)
	v_add_nc_u32_e32 v5, v5, v11
	v_add_nc_u32_e32 v6, v6, v5
	s_waitcnt lgkmcnt(2)
	v_add_nc_u32_e32 v7, v7, v6
	v_add_nc_u32_e32 v8, v8, v7
	;; [unrolled: 3-line block ×3, first 2 shown]
	s_waitcnt lgkmcnt(0)
	v_add_nc_u32_e32 v11, v12, v10
	ds_write2_b32 v14, v5, v6 offset0:1 offset1:2
	ds_write2_b32 v14, v7, v8 offset0:3 offset1:4
	;; [unrolled: 1-line block ×3, first 2 shown]
	ds_write_b32 v14, v11 offset:28
.LBB80_12:
	s_or_b32 exec_lo, exec_lo, s8
	s_waitcnt lgkmcnt(0)
	s_barrier
	buffer_gl0_inv
	ds_read_b32 v5, v4
	s_waitcnt lgkmcnt(0)
	s_barrier
	buffer_gl0_inv
	s_and_saveexec_b32 s1, vcc_lo
; %bb.13:
	ds_write_b32 v1, v5 offset:1056
; %bb.14:
	s_or_b32 exec_lo, exec_lo, s1
	s_clause 0x1
	s_load_dwordx8 s[8:15], s[4:5], 0x28
	s_load_dwordx2 s[4:5], s[4:5], 0x48
	s_waitcnt lgkmcnt(0)
	s_barrier
	buffer_gl0_inv
	s_and_saveexec_b32 s25, vcc_lo
	s_cbranch_execz .LBB80_23
; %bb.15:
	v_mov_b32_e32 v4, 0
	s_mov_b32 s1, exec_lo
	v_cmpx_ne_u32_e32 0, v0
; %bb.16:
	ds_read_b32 v4, v1 offset:1052
; %bb.17:
	s_or_b32 exec_lo, exec_lo, s1
	s_waitcnt lgkmcnt(0)
	v_cmp_gt_u32_e32 vcc_lo, s19, v4
	v_cmp_le_u32_e64 s1, s19, v5
	s_and_b32 s1, vcc_lo, s1
	s_and_b32 exec_lo, exec_lo, s1
	s_cbranch_execz .LBB80_23
; %bb.18:
	v_mov_b32_e32 v6, 0
	s_add_u32 s20, s20, s6
	s_addc_u32 s21, s21, s7
	s_lshl_b32 s1, 0xff, s17
	v_not_b32_e32 v7, s1
	global_load_dword v5, v6, s[20:21]
	s_mul_i32 s1, s24, s16
	s_cmp_lg_u32 s2, s1
	s_waitcnt vmcnt(0)
	v_and_b32_e32 v5, v5, v7
	v_lshl_or_b32 v5, v0, s17, v5
	ds_write_b32 v6, v5 offset:2112
	s_cbranch_scc1 .LBB80_23
; %bb.19:
	s_add_u32 s14, s14, s6
	s_addc_u32 s15, s15, s7
	s_cmp_lt_i32 s17, 1
	s_mov_b32 s1, -1
	global_store_dword v6, v5, s[14:15]
	s_cbranch_scc0 .LBB80_21
; %bb.20:
	v_cmp_lt_i32_e32 vcc_lo, -1, v5
	s_add_u32 s10, s10, s6
	s_addc_u32 s11, s11, s7
	s_mov_b32 s1, 0
	v_cndmask_b32_e64 v6, 0x80000000, -1, vcc_lo
	v_xor_b32_e32 v5, v6, v5
	v_mov_b32_e32 v6, 0
	global_store_dword v6, v5, s[10:11]
.LBB80_21:
	s_andn2_b32 vcc_lo, exec_lo, s1
	s_cbranch_vccnz .LBB80_23
; %bb.22:
	v_sub_nc_u32_e32 v4, s19, v4
	v_mov_b32_e32 v5, 0
	s_add_u32 s6, s12, s6
	s_addc_u32 s7, s13, s7
	global_store_dword v5, v4, s[6:7]
.LBB80_23:
	s_or_b32 exec_lo, exec_lo, s25
	v_mov_b32_e32 v4, 0
	s_waitcnt lgkmcnt(0)
	s_waitcnt_vscnt null, 0x0
	s_barrier
	buffer_gl0_inv
	s_bitcmp0_b32 s18, 0
	ds_read_b32 v4, v4 offset:2112
	s_mov_b32 s1, 0
	s_waitcnt lgkmcnt(0)
	v_lshrrev_b32_e32 v4, s17, v4
	s_cbranch_scc0 .LBB80_25
; %bb.24:
	v_and_b32_e32 v5, 0xe0, v0
	v_cmp_lt_u32_sdwa s6, v0, v4 src0_sel:DWORD src1_sel:BYTE_0
	v_cmp_lt_u32_sdwa s7, v5, v4 src0_sel:DWORD src1_sel:BYTE_0
	s_andn2_b32 vcc_lo, exec_lo, s1
	s_cbranch_vccz .LBB80_26
	s_branch .LBB80_27
.LBB80_25:
                                        ; implicit-def: $sgpr6
                                        ; implicit-def: $sgpr7
.LBB80_26:
	v_or_b32_e32 v5, 31, v0
	v_cmp_gt_u32_sdwa s1, v0, v4 src0_sel:DWORD src1_sel:BYTE_0
	s_andn2_b32 s6, s6, exec_lo
	s_andn2_b32 s7, s7, exec_lo
	v_cmp_gt_u32_sdwa s10, v5, v4 src0_sel:DWORD src1_sel:BYTE_0
	s_and_b32 s1, s1, exec_lo
	s_or_b32 s6, s6, s1
	s_and_b32 s10, s10, exec_lo
	s_or_b32 s7, s7, s10
.LBB80_27:
	v_mov_b32_e32 v4, 0
	s_and_saveexec_b32 s1, s7
	s_cbranch_execz .LBB80_31
; %bb.28:
	v_mov_b32_e32 v4, 0
	s_and_saveexec_b32 s7, s6
	s_cbranch_execz .LBB80_30
; %bb.29:
	s_lshl_b32 s10, s2, 8
	s_mov_b32 s11, 0
	v_lshlrev_b32_e32 v4, 1, v0
	s_lshl_b64 s[10:11], s[10:11], 1
	s_add_u32 s10, s22, s10
	s_addc_u32 s11, s23, s11
	global_load_sshort v4, v4, s[10:11]
.LBB80_30:
	s_or_b32 exec_lo, exec_lo, s7
	v_lshl_or_b32 v5, v2, 2, 64
	v_cmp_gt_u32_e32 vcc_lo, 24, v2
	s_waitcnt vmcnt(0)
	ds_bpermute_b32 v5, v5, v4
	v_cndmask_b32_e64 v6, 0, 8, vcc_lo
	v_cmp_gt_u32_e32 vcc_lo, 28, v2
	v_add_lshl_u32 v6, v6, v2, 2
	s_waitcnt lgkmcnt(0)
	v_add_nc_u32_e32 v4, v5, v4
	ds_bpermute_b32 v5, v6, v4
	v_cndmask_b32_e64 v6, 0, 4, vcc_lo
	v_cmp_gt_u32_e32 vcc_lo, 30, v2
	v_add_lshl_u32 v6, v6, v2, 2
	s_waitcnt lgkmcnt(0)
	v_add_nc_u32_e32 v4, v5, v4
	ds_bpermute_b32 v5, v6, v4
	v_cndmask_b32_e64 v6, 0, 2, vcc_lo
	v_cmp_ne_u32_e32 vcc_lo, 31, v2
	v_add_lshl_u32 v6, v6, v2, 2
	s_waitcnt lgkmcnt(0)
	v_add_nc_u32_e32 v4, v5, v4
	ds_bpermute_b32 v5, v6, v4
	v_add_co_ci_u32_e64 v6, null, 0, v2, vcc_lo
	s_waitcnt lgkmcnt(0)
	v_add_nc_u32_e32 v4, v5, v4
	v_lshlrev_b32_e32 v5, 2, v6
	ds_bpermute_b32 v5, v5, v4
	s_waitcnt lgkmcnt(0)
	v_add_nc_u32_e32 v4, v5, v4
.LBB80_31:
	s_or_b32 exec_lo, exec_lo, s1
	v_and_b32_e32 v5, 31, v0
	s_mov_b32 s1, exec_lo
	v_cmpx_eq_u32_e32 0, v5
; %bb.32:
	v_lshlrev_b32_e32 v3, 2, v3
	ds_write_b32 v3, v4 offset:2080
; %bb.33:
	s_or_b32 exec_lo, exec_lo, s1
	s_waitcnt lgkmcnt(0)
	s_barrier
	buffer_gl0_inv
	s_and_saveexec_b32 s1, s0
	s_cbranch_execz .LBB80_40
; %bb.34:
	v_mov_b32_e32 v3, 0
	s_mov_b32 s0, exec_lo
	v_cmpx_gt_u32_e32 8, v0
; %bb.35:
	ds_read_b32 v3, v1 offset:2080
; %bb.36:
	s_or_b32 exec_lo, exec_lo, s0
	v_cmp_gt_u32_e32 vcc_lo, 28, v2
	s_mov_b32 s0, exec_lo
	v_cndmask_b32_e64 v1, 0, 4, vcc_lo
	v_cmp_gt_u32_e32 vcc_lo, 30, v2
	v_add_lshl_u32 v1, v1, v2, 2
	v_cndmask_b32_e64 v4, 0, 2, vcc_lo
	v_cmp_ne_u32_e32 vcc_lo, 31, v2
	s_waitcnt lgkmcnt(0)
	ds_bpermute_b32 v1, v1, v3
	v_add_lshl_u32 v4, v4, v2, 2
	v_add_co_ci_u32_e64 v2, null, 0, v2, vcc_lo
	v_lshlrev_b32_e32 v2, 2, v2
	s_waitcnt lgkmcnt(0)
	v_add_nc_u32_e32 v1, v1, v3
	ds_bpermute_b32 v3, v4, v1
	s_waitcnt lgkmcnt(0)
	v_add_nc_u32_e32 v1, v3, v1
	ds_bpermute_b32 v2, v2, v1
	v_cmpx_eq_u32_e32 0, v0
	s_cbranch_execz .LBB80_38
; %bb.37:
	s_lshl_b64 s[6:7], s[2:3], 2
	v_mov_b32_e32 v3, 0
	s_add_u32 s6, s8, s6
	s_addc_u32 s7, s9, s7
	global_load_dword v4, v3, s[6:7]
	s_waitcnt vmcnt(0) lgkmcnt(0)
	v_add3_u32 v1, v2, v1, v4
	global_store_dword v3, v1, s[6:7]
.LBB80_38:
	s_or_b32 exec_lo, exec_lo, s0
	v_or_b32_e32 v0, s17, v0
	v_cmp_eq_u32_e32 vcc_lo, 0, v0
	s_and_b32 exec_lo, exec_lo, vcc_lo
	s_cbranch_execz .LBB80_40
; %bb.39:
	v_mov_b32_e32 v0, 0
	s_waitcnt lgkmcnt(0)
	v_mov_b32_e32 v2, 1
	s_lshl_b32 s0, s2, 8
	s_mov_b32 s1, 0
	s_lshl_b64 s[0:1], s[0:1], 1
	ds_read_b32 v1, v0 offset:2112
	s_add_u32 s0, s22, s0
	s_addc_u32 s1, s23, s1
	s_waitcnt lgkmcnt(0)
	v_lshlrev_b32_sdwa v1, v2, v1 dst_sel:DWORD dst_unused:UNUSED_PAD src0_sel:DWORD src1_sel:BYTE_0
	global_load_sshort v1, v1, s[0:1]
	s_lshl_b64 s[0:1], s[2:3], 2
	s_add_u32 s0, s4, s0
	s_addc_u32 s1, s5, s1
	s_waitcnt vmcnt(0)
	global_store_dword v0, v1, s[0:1]
.LBB80_40:
	s_endpgm
.LBB80_41:
	s_mov_b32 s10, s3
	s_cmp_ge_u32 s10, s16
	s_cbranch_scc0 .LBB80_6
	s_branch .LBB80_7
	.section	.rodata,"a",@progbits
	.p2align	6, 0x0
	.amdhsa_kernel _ZN2at6native6mbtopk29computeBlockwiseWithinKCountsIjfEEvPT_PsPjjibS6_PT0_S6_S4_S6_j
		.amdhsa_group_segment_fixed_size 2116
		.amdhsa_private_segment_fixed_size 0
		.amdhsa_kernarg_size 344
		.amdhsa_user_sgpr_count 6
		.amdhsa_user_sgpr_private_segment_buffer 1
		.amdhsa_user_sgpr_dispatch_ptr 0
		.amdhsa_user_sgpr_queue_ptr 0
		.amdhsa_user_sgpr_kernarg_segment_ptr 1
		.amdhsa_user_sgpr_dispatch_id 0
		.amdhsa_user_sgpr_flat_scratch_init 0
		.amdhsa_user_sgpr_private_segment_size 0
		.amdhsa_wavefront_size32 1
		.amdhsa_uses_dynamic_stack 0
		.amdhsa_system_sgpr_private_segment_wavefront_offset 0
		.amdhsa_system_sgpr_workgroup_id_x 1
		.amdhsa_system_sgpr_workgroup_id_y 1
		.amdhsa_system_sgpr_workgroup_id_z 1
		.amdhsa_system_sgpr_workgroup_info 0
		.amdhsa_system_vgpr_workitem_id 0
		.amdhsa_next_free_vgpr 15
		.amdhsa_next_free_sgpr 26
		.amdhsa_reserve_vcc 1
		.amdhsa_reserve_flat_scratch 0
		.amdhsa_float_round_mode_32 0
		.amdhsa_float_round_mode_16_64 0
		.amdhsa_float_denorm_mode_32 3
		.amdhsa_float_denorm_mode_16_64 3
		.amdhsa_dx10_clamp 1
		.amdhsa_ieee_mode 1
		.amdhsa_fp16_overflow 0
		.amdhsa_workgroup_processor_mode 1
		.amdhsa_memory_ordered 1
		.amdhsa_forward_progress 1
		.amdhsa_shared_vgpr_count 0
		.amdhsa_exception_fp_ieee_invalid_op 0
		.amdhsa_exception_fp_denorm_src 0
		.amdhsa_exception_fp_ieee_div_zero 0
		.amdhsa_exception_fp_ieee_overflow 0
		.amdhsa_exception_fp_ieee_underflow 0
		.amdhsa_exception_fp_ieee_inexact 0
		.amdhsa_exception_int_div_zero 0
	.end_amdhsa_kernel
	.section	.text._ZN2at6native6mbtopk29computeBlockwiseWithinKCountsIjfEEvPT_PsPjjibS6_PT0_S6_S4_S6_j,"axG",@progbits,_ZN2at6native6mbtopk29computeBlockwiseWithinKCountsIjfEEvPT_PsPjjibS6_PT0_S6_S4_S6_j,comdat
.Lfunc_end80:
	.size	_ZN2at6native6mbtopk29computeBlockwiseWithinKCountsIjfEEvPT_PsPjjibS6_PT0_S6_S4_S6_j, .Lfunc_end80-_ZN2at6native6mbtopk29computeBlockwiseWithinKCountsIjfEEvPT_PsPjjibS6_PT0_S6_S4_S6_j
                                        ; -- End function
	.set _ZN2at6native6mbtopk29computeBlockwiseWithinKCountsIjfEEvPT_PsPjjibS6_PT0_S6_S4_S6_j.num_vgpr, 15
	.set _ZN2at6native6mbtopk29computeBlockwiseWithinKCountsIjfEEvPT_PsPjjibS6_PT0_S6_S4_S6_j.num_agpr, 0
	.set _ZN2at6native6mbtopk29computeBlockwiseWithinKCountsIjfEEvPT_PsPjjibS6_PT0_S6_S4_S6_j.numbered_sgpr, 26
	.set _ZN2at6native6mbtopk29computeBlockwiseWithinKCountsIjfEEvPT_PsPjjibS6_PT0_S6_S4_S6_j.num_named_barrier, 0
	.set _ZN2at6native6mbtopk29computeBlockwiseWithinKCountsIjfEEvPT_PsPjjibS6_PT0_S6_S4_S6_j.private_seg_size, 0
	.set _ZN2at6native6mbtopk29computeBlockwiseWithinKCountsIjfEEvPT_PsPjjibS6_PT0_S6_S4_S6_j.uses_vcc, 1
	.set _ZN2at6native6mbtopk29computeBlockwiseWithinKCountsIjfEEvPT_PsPjjibS6_PT0_S6_S4_S6_j.uses_flat_scratch, 0
	.set _ZN2at6native6mbtopk29computeBlockwiseWithinKCountsIjfEEvPT_PsPjjibS6_PT0_S6_S4_S6_j.has_dyn_sized_stack, 0
	.set _ZN2at6native6mbtopk29computeBlockwiseWithinKCountsIjfEEvPT_PsPjjibS6_PT0_S6_S4_S6_j.has_recursion, 0
	.set _ZN2at6native6mbtopk29computeBlockwiseWithinKCountsIjfEEvPT_PsPjjibS6_PT0_S6_S4_S6_j.has_indirect_call, 0
	.section	.AMDGPU.csdata,"",@progbits
; Kernel info:
; codeLenInByte = 2060
; TotalNumSgprs: 28
; NumVgprs: 15
; ScratchSize: 0
; MemoryBound: 0
; FloatMode: 240
; IeeeMode: 1
; LDSByteSize: 2116 bytes/workgroup (compile time only)
; SGPRBlocks: 0
; VGPRBlocks: 1
; NumSGPRsForWavesPerEU: 28
; NumVGPRsForWavesPerEU: 15
; Occupancy: 16
; WaveLimiterHint : 1
; COMPUTE_PGM_RSRC2:SCRATCH_EN: 0
; COMPUTE_PGM_RSRC2:USER_SGPR: 6
; COMPUTE_PGM_RSRC2:TRAP_HANDLER: 0
; COMPUTE_PGM_RSRC2:TGID_X_EN: 1
; COMPUTE_PGM_RSRC2:TGID_Y_EN: 1
; COMPUTE_PGM_RSRC2:TGID_Z_EN: 1
; COMPUTE_PGM_RSRC2:TIDIG_COMP_CNT: 0
	.section	.text._ZN2at6native6mbtopk10gatherTopKIfjLi1EEEvNS_4cuda6detail10TensorInfoIKT_T0_EES8_S8_bjS8_NS5_IS6_S8_EES8_NS5_IlS8_EES8_jjPS6_PjSD_j,"axG",@progbits,_ZN2at6native6mbtopk10gatherTopKIfjLi1EEEvNS_4cuda6detail10TensorInfoIKT_T0_EES8_S8_bjS8_NS5_IS6_S8_EES8_NS5_IlS8_EES8_jjPS6_PjSD_j,comdat
	.protected	_ZN2at6native6mbtopk10gatherTopKIfjLi1EEEvNS_4cuda6detail10TensorInfoIKT_T0_EES8_S8_bjS8_NS5_IS6_S8_EES8_NS5_IlS8_EES8_jjPS6_PjSD_j ; -- Begin function _ZN2at6native6mbtopk10gatherTopKIfjLi1EEEvNS_4cuda6detail10TensorInfoIKT_T0_EES8_S8_bjS8_NS5_IS6_S8_EES8_NS5_IlS8_EES8_jjPS6_PjSD_j
	.globl	_ZN2at6native6mbtopk10gatherTopKIfjLi1EEEvNS_4cuda6detail10TensorInfoIKT_T0_EES8_S8_bjS8_NS5_IS6_S8_EES8_NS5_IlS8_EES8_jjPS6_PjSD_j
	.p2align	8
	.type	_ZN2at6native6mbtopk10gatherTopKIfjLi1EEEvNS_4cuda6detail10TensorInfoIKT_T0_EES8_S8_bjS8_NS5_IS6_S8_EES8_NS5_IlS8_EES8_jjPS6_PjSD_j,@function
_ZN2at6native6mbtopk10gatherTopKIfjLi1EEEvNS_4cuda6detail10TensorInfoIKT_T0_EES8_S8_bjS8_NS5_IS6_S8_EES8_NS5_IlS8_EES8_jjPS6_PjSD_j: ; @_ZN2at6native6mbtopk10gatherTopKIfjLi1EEEvNS_4cuda6detail10TensorInfoIKT_T0_EES8_S8_bjS8_NS5_IS6_S8_EES8_NS5_IlS8_EES8_jjPS6_PjSD_j
; %bb.0:
	s_clause 0x1
	s_load_dwordx2 s[0:1], s[4:5], 0x2d8
	s_load_dword s2, s[4:5], 0x2d0
	s_waitcnt lgkmcnt(0)
	s_mul_i32 s1, s1, s8
	s_add_i32 s1, s1, s7
	s_mul_i32 s0, s1, s0
	s_add_i32 s0, s0, s6
	s_cmp_ge_u32 s0, s2
	s_cbranch_scc1 .LBB81_40
; %bb.1:
	s_load_dwordx8 s[8:15], s[4:5], 0x2a8
	s_waitcnt lgkmcnt(0)
	v_cvt_f32_u32_e32 v1, s10
	s_sub_i32 s2, 0, s10
	v_rcp_iflag_f32_e32 v1, v1
	v_mul_f32_e32 v1, 0x4f7ffffe, v1
	v_cvt_u32_f32_e32 v1, v1
	v_readfirstlane_b32 s1, v1
	s_mul_i32 s2, s2, s1
	s_mul_hi_u32 s2, s1, s2
	s_add_i32 s1, s1, s2
	s_mul_hi_u32 s1, s0, s1
	s_mul_i32 s2, s1, s10
	s_add_i32 s3, s1, 1
	s_sub_i32 s2, s0, s2
	s_sub_i32 s6, s2, s10
	s_cmp_ge_u32 s2, s10
	s_cselect_b32 s1, s3, s1
	s_cselect_b32 s2, s6, s2
	s_add_i32 s3, s1, 1
	s_cmp_ge_u32 s2, s10
	s_cselect_b32 s2, s3, s1
	s_mov_b32 s3, 0
	s_mul_i32 s16, s2, s10
	s_lshl_b64 s[6:7], s[2:3], 2
	s_sub_i32 s11, s0, s16
	s_add_u32 s0, s12, s6
	s_addc_u32 s1, s13, s7
	s_clause 0x2
	s_load_dwordx2 s[6:7], s[4:5], 0x1d0
	s_load_dwordx2 s[20:21], s[4:5], 0xf0
	;; [unrolled: 1-line block ×3, first 2 shown]
	s_load_dword s28, s[0:1], 0x0
	v_cmp_ne_u32_e64 s0, 0, v0
	v_cmp_eq_u32_e64 s1, 0, v0
	s_and_saveexec_b32 s29, s1
	s_cbranch_execz .LBB81_17
; %bb.2:
	s_load_dwordx2 s[12:13], s[4:5], 0x2c8
	s_mov_b32 s17, s3
	s_lshl_b64 s[24:25], s[16:17], 2
	s_add_u32 s16, s14, s24
	s_addc_u32 s17, s15, s25
	s_waitcnt lgkmcnt(0)
	s_add_u32 s18, s12, s24
	s_addc_u32 s19, s13, s25
	s_cmp_lt_u32 s10, 4
	s_cbranch_scc1 .LBB81_14
; %bb.3:
	s_mov_b32 s30, s3
	s_mov_b32 s31, s3
	;; [unrolled: 1-line block ×3, first 2 shown]
.LBB81_4:                               ; =>This Inner Loop Header: Depth=1
	s_add_u32 s16, s14, s24
	s_addc_u32 s17, s15, s25
	s_add_u32 s26, s12, s24
	s_load_dwordx4 s[16:19], s[16:17], 0x0
	s_addc_u32 s27, s13, s25
	s_cmp_ge_u32 s33, s11
	s_cbranch_scc0 .LBB81_11
; %bb.5:                                ;   in Loop: Header=BB81_4 Depth=1
	s_add_i32 s34, s33, 1
	s_cmp_ge_u32 s34, s11
	s_cbranch_scc0 .LBB81_12
.LBB81_6:                               ;   in Loop: Header=BB81_4 Depth=1
	s_add_i32 s34, s34, 1
	s_cmp_ge_u32 s34, s11
	s_cbranch_scc0 .LBB81_13
.LBB81_7:                               ;   in Loop: Header=BB81_4 Depth=1
	s_add_i32 s34, s34, 1
	s_cmp_ge_u32 s34, s11
	s_cbranch_scc1 .LBB81_9
.LBB81_8:                               ;   in Loop: Header=BB81_4 Depth=1
	s_load_dword s26, s[26:27], 0xc
	s_waitcnt lgkmcnt(0)
	s_add_i32 s3, s3, s19
	s_add_i32 s30, s26, s30
.LBB81_9:                               ;   in Loop: Header=BB81_4 Depth=1
	s_waitcnt lgkmcnt(0)
	s_add_i32 s16, s16, s31
	s_add_i32 s16, s16, s17
	;; [unrolled: 1-line block ×4, first 2 shown]
	s_add_u32 s14, s14, 16
	s_addc_u32 s15, s15, 0
	s_add_u32 s12, s12, 16
	s_addc_u32 s13, s13, 0
	s_add_i32 s27, s34, 4
	s_add_u32 s18, s12, s24
	s_addc_u32 s19, s13, s25
	s_add_u32 s16, s14, s24
	s_addc_u32 s17, s15, s25
	s_add_i32 s26, s34, 1
	s_cmp_ge_u32 s27, s10
	s_cbranch_scc1 .LBB81_15
; %bb.10:                               ;   in Loop: Header=BB81_4 Depth=1
	s_mov_b32 s33, s26
	s_branch .LBB81_4
.LBB81_11:                              ;   in Loop: Header=BB81_4 Depth=1
	s_load_dword s34, s[26:27], 0x0
	s_waitcnt lgkmcnt(0)
	s_add_i32 s3, s16, s3
	s_add_i32 s30, s34, s30
	;; [unrolled: 1-line block ×3, first 2 shown]
	s_cmp_ge_u32 s34, s11
	s_cbranch_scc1 .LBB81_6
.LBB81_12:                              ;   in Loop: Header=BB81_4 Depth=1
	s_load_dword s35, s[26:27], 0x4
	s_waitcnt lgkmcnt(0)
	s_add_i32 s3, s3, s17
	s_add_i32 s30, s35, s30
	;; [unrolled: 1-line block ×3, first 2 shown]
	s_cmp_ge_u32 s34, s11
	s_cbranch_scc1 .LBB81_7
.LBB81_13:                              ;   in Loop: Header=BB81_4 Depth=1
	s_load_dword s35, s[26:27], 0x8
	s_waitcnt lgkmcnt(0)
	s_add_i32 s3, s3, s18
	s_add_i32 s30, s35, s30
	;; [unrolled: 1-line block ×3, first 2 shown]
	s_cmp_ge_u32 s34, s11
	s_cbranch_scc0 .LBB81_8
	s_branch .LBB81_9
.LBB81_14:
	s_mov_b32 s30, 0
	s_mov_b32 s31, 0
	;; [unrolled: 1-line block ×3, first 2 shown]
	s_cmp_ge_u32 s12, s10
	s_cbranch_scc0 .LBB81_38
	s_branch .LBB81_16
.LBB81_15:
	s_add_i32 s12, s33, 4
	s_cmp_ge_u32 s12, s10
	s_cbranch_scc0 .LBB81_38
.LBB81_16:
	v_mov_b32_e32 v1, s30
	v_mov_b32_e32 v2, s31
	;; [unrolled: 1-line block ×4, first 2 shown]
	ds_write_b96 v4, v[1:3] offset:1056
.LBB81_17:
	s_or_b32 exec_lo, exec_lo, s29
	s_clause 0x3
	s_load_dword s16, s[4:5], 0x23c
	s_load_dword s17, s[4:5], 0x15c
	;; [unrolled: 1-line block ×3, first 2 shown]
	s_load_dwordx4 s[12:15], s[4:5], 0xd8
	s_mul_i32 s3, s9, s11
	s_add_i32 s11, s11, 1
	s_lshl_b32 s3, s3, 8
	s_waitcnt lgkmcnt(0)
	s_barrier
	buffer_gl0_inv
	s_sub_i32 s15, s12, s3
	s_add_u32 s24, s15, 0xff
	s_addc_u32 s25, 0, 0
	s_lshr_b64 s[24:25], s[24:25], 8
	s_cmp_lt_u32 s11, s10
	s_mov_b32 s11, 0
	s_cselect_b32 s9, s9, s24
	s_cmp_eq_u32 s9, 0
	s_cbranch_scc1 .LBB81_40
; %bb.18:
	s_mul_i32 s10, s2, s18
	v_mov_b32_e32 v5, 0
	s_lshl_b64 s[24:25], s[10:11], 2
	s_mul_i32 s18, s2, s17
	s_mov_b32 s19, s11
	s_add_u32 s10, s22, s24
	s_addc_u32 s15, s23, s25
	s_lshl_b64 s[18:19], s[18:19], 2
	ds_read_b96 v[1:3], v5 offset:1056
	s_mul_i32 s22, s2, s16
	s_mov_b32 s23, s11
	s_add_u32 s16, s20, s18
	s_addc_u32 s11, s21, s19
	s_lshl_b64 s[18:19], s[22:23], 3
	v_lshrrev_b32_e32 v4, 3, v0
	s_add_u32 s6, s6, s18
	s_load_dword s18, s[4:5], 0xe8
	v_add_nc_u32_e32 v9, -1, v0
	s_load_dword s4, s[4:5], 0x1c8
	v_and_b32_e32 v4, 28, v4
	s_addc_u32 s7, s7, s19
	s_cmp_gt_i32 s28, -1
	v_lshrrev_b32_e32 v8, 3, v9
	v_cmp_o_f32_e64 s2, s28, s28
	v_lshl_add_u32 v7, v0, 2, v4
	s_cselect_b32 s17, 0x80000000, -1
	v_lshlrev_b32_e32 v10, 5, v0
	v_and_b32_e32 v4, 0x1ffffffc, v8
	s_waitcnt lgkmcnt(0)
	v_add_nc_u32_e32 v6, v1, v2
	v_add_nc_u32_e32 v1, s3, v0
	s_xor_b32 s17, s17, s28
	v_and_b32_e32 v2, 0xfc, v0
	v_mbcnt_lo_u32_b32 v8, -1, 0
	s_and_b32 s2, s2, exec_lo
	v_cmp_gt_u32_e64 s2, 32, v0
	v_lshl_add_u32 v0, v9, 2, v4
	v_mul_lo_u32 v4, s18, v1
	v_add_nc_u32_e32 v9, v2, v10
	v_and_b32_e32 v10, 15, v8
	v_bfe_i32 v11, v8, 4, 1
	v_add_nc_u32_e32 v12, -1, v8
	s_cselect_b32 s17, s17, -1
	s_bitcmp1_b32 s14, 0
                                        ; implicit-def: $vgpr13
	s_cselect_b32 s3, -1, 0
	s_lshl_b32 s5, s18, 8
	s_branch .LBB81_21
.LBB81_19:                              ;   in Loop: Header=BB81_21 Depth=1
	s_or_b32 exec_lo, exec_lo, s14
	v_add_nc_u32_e32 v6, v16, v6
.LBB81_20:                              ;   in Loop: Header=BB81_21 Depth=1
	v_add_nc_u32_e32 v3, v15, v3
	v_add_nc_u32_e32 v4, s5, v4
	;; [unrolled: 1-line block ×3, first 2 shown]
	s_add_i32 s9, s9, -1
	s_cmp_lg_u32 s9, 0
	s_cbranch_scc0 .LBB81_40
.LBB81_21:                              ; =>This Inner Loop Header: Depth=1
	v_mov_b32_e32 v2, 0
	v_mov_b32_e32 v14, 0
	s_mov_b32 s14, exec_lo
	v_cmpx_gt_u32_e64 s12, v1
	s_cbranch_execz .LBB81_23
; %bb.22:                               ;   in Loop: Header=BB81_21 Depth=1
	v_lshlrev_b64 v[13:14], 2, v[4:5]
	v_add_co_u32 v13, vcc_lo, s10, v13
	v_add_co_ci_u32_e64 v14, null, s15, v14, vcc_lo
	global_load_dword v13, v[13:14], off
	s_waitcnt vmcnt(0)
	v_cmp_lt_i32_e32 vcc_lo, -1, v13
	v_cndmask_b32_e64 v2, -1, 0x80000000, vcc_lo
	v_cmp_o_f32_e32 vcc_lo, v13, v13
	v_xor_b32_e32 v2, v2, v13
	v_cndmask_b32_e32 v14, -1, v2, vcc_lo
	v_cmp_lt_u32_e32 vcc_lo, s17, v14
	v_cndmask_b32_e64 v2, 0, 1, vcc_lo
	v_cmp_gt_u32_e32 vcc_lo, s17, v14
	v_cndmask_b32_e64 v15, 0, 1, vcc_lo
	v_cmp_eq_u32_e32 vcc_lo, s17, v14
	v_cndmask_b32_e64 v2, v15, v2, s3
	v_cndmask_b32_e64 v14, 0, 1, vcc_lo
	v_and_b32_e32 v2, 1, v2
.LBB81_23:                              ;   in Loop: Header=BB81_21 Depth=1
	s_or_b32 exec_lo, exec_lo, s14
	ds_write_b32 v7, v2
	s_waitcnt lgkmcnt(0)
	s_barrier
	buffer_gl0_inv
	s_and_saveexec_b32 s14, s2
	s_cbranch_execz .LBB81_25
; %bb.24:                               ;   in Loop: Header=BB81_21 Depth=1
	ds_read2_b32 v[15:16], v9 offset1:1
	ds_read2_b32 v[17:18], v9 offset0:2 offset1:3
	ds_read2_b32 v[19:20], v9 offset0:4 offset1:5
	;; [unrolled: 1-line block ×3, first 2 shown]
	v_cmp_ne_u32_e32 vcc_lo, 0, v10
	; wave barrier
	s_waitcnt lgkmcnt(3)
	v_add_nc_u32_e32 v16, v16, v15
	s_waitcnt lgkmcnt(2)
	v_add3_u32 v16, v16, v17, v18
	s_waitcnt lgkmcnt(1)
	v_add3_u32 v16, v16, v19, v20
	s_waitcnt lgkmcnt(0)
	v_add3_u32 v16, v16, v21, v22
	v_mov_b32_dpp v17, v16 row_shr:1 row_mask:0xf bank_mask:0xf
	v_cndmask_b32_e32 v17, 0, v17, vcc_lo
	v_cmp_lt_u32_e32 vcc_lo, 1, v10
	v_add_nc_u32_e32 v16, v17, v16
	v_mov_b32_dpp v17, v16 row_shr:2 row_mask:0xf bank_mask:0xf
	v_cndmask_b32_e32 v17, 0, v17, vcc_lo
	v_cmp_lt_u32_e32 vcc_lo, 3, v10
	v_add_nc_u32_e32 v16, v16, v17
	;; [unrolled: 4-line block ×3, first 2 shown]
	v_mov_b32_dpp v17, v16 row_shr:8 row_mask:0xf bank_mask:0xf
	v_cndmask_b32_e32 v17, 0, v17, vcc_lo
	v_cmp_gt_i32_e32 vcc_lo, 0, v12
	v_add_nc_u32_e32 v16, v16, v17
	v_cndmask_b32_e32 v18, v12, v8, vcc_lo
	ds_swizzle_b32 v17, v16 offset:swizzle(BROADCAST,32,15)
	v_lshlrev_b32_e32 v18, 2, v18
	s_waitcnt lgkmcnt(0)
	v_and_b32_e32 v17, v11, v17
	v_add_nc_u32_e32 v16, v16, v17
	ds_bpermute_b32 v16, v18, v16
	s_waitcnt lgkmcnt(0)
	v_add_nc_u32_e32 v15, v16, v15
	v_cndmask_b32_e64 v21, v15, v2, s1
	ds_write_b32 v9, v21
	; wave barrier
	ds_read2_b32 v[15:16], v9 offset0:1 offset1:2
	ds_read2_b32 v[17:18], v9 offset0:3 offset1:4
	;; [unrolled: 1-line block ×3, first 2 shown]
	ds_read_b32 v22, v9 offset:28
	s_waitcnt lgkmcnt(3)
	v_add_nc_u32_e32 v15, v15, v21
	v_add_nc_u32_e32 v16, v16, v15
	s_waitcnt lgkmcnt(2)
	v_add_nc_u32_e32 v17, v17, v16
	v_add_nc_u32_e32 v18, v18, v17
	;; [unrolled: 3-line block ×3, first 2 shown]
	s_waitcnt lgkmcnt(0)
	v_add_nc_u32_e32 v21, v22, v20
	ds_write2_b32 v9, v15, v16 offset0:1 offset1:2
	ds_write2_b32 v9, v17, v18 offset0:3 offset1:4
	;; [unrolled: 1-line block ×3, first 2 shown]
	ds_write_b32 v9, v21 offset:28
.LBB81_25:                              ;   in Loop: Header=BB81_21 Depth=1
	s_or_b32 exec_lo, exec_lo, s14
	v_mov_b32_e32 v16, 0
	s_waitcnt lgkmcnt(0)
	s_barrier
	buffer_gl0_inv
	s_and_saveexec_b32 s14, s0
; %bb.26:                               ;   in Loop: Header=BB81_21 Depth=1
	ds_read_b32 v16, v0
; %bb.27:                               ;   in Loop: Header=BB81_21 Depth=1
	s_or_b32 exec_lo, exec_lo, s14
	ds_read_b32 v15, v5 offset:1048
	s_mov_b32 s14, exec_lo
	s_waitcnt lgkmcnt(0)
	s_barrier
	buffer_gl0_inv
	v_cmpx_ne_u32_e32 0, v2
	s_cbranch_execz .LBB81_29
; %bb.28:                               ;   in Loop: Header=BB81_21 Depth=1
	v_add_nc_u32_e32 v2, v16, v3
	v_mov_b32_e32 v17, v5
	v_mov_b32_e32 v19, v5
	v_mul_lo_u32 v16, v2, s4
	v_mul_lo_u32 v18, v2, s8
	v_mov_b32_e32 v2, v5
	v_lshlrev_b64 v[16:17], 2, v[16:17]
	v_lshlrev_b64 v[18:19], 3, v[18:19]
	v_add_co_u32 v16, vcc_lo, s16, v16
	v_add_co_ci_u32_e64 v17, null, s11, v17, vcc_lo
	v_add_co_u32 v18, vcc_lo, s6, v18
	v_add_co_ci_u32_e64 v19, null, s7, v19, vcc_lo
	global_store_dword v[16:17], v13, off
	global_store_dwordx2 v[18:19], v[1:2], off
.LBB81_29:                              ;   in Loop: Header=BB81_21 Depth=1
	s_or_b32 exec_lo, exec_lo, s14
	v_cmp_le_u32_e32 vcc_lo, s13, v6
	s_cbranch_vccnz .LBB81_20
; %bb.30:                               ;   in Loop: Header=BB81_21 Depth=1
	ds_write_b32 v7, v14
	s_waitcnt lgkmcnt(0)
	s_waitcnt_vscnt null, 0x0
	s_barrier
	buffer_gl0_inv
	s_and_saveexec_b32 s14, s2
	s_cbranch_execz .LBB81_32
; %bb.31:                               ;   in Loop: Header=BB81_21 Depth=1
	ds_read2_b32 v[16:17], v9 offset1:1
	ds_read2_b32 v[18:19], v9 offset0:2 offset1:3
	ds_read2_b32 v[20:21], v9 offset0:4 offset1:5
	;; [unrolled: 1-line block ×3, first 2 shown]
	v_cmp_ne_u32_e32 vcc_lo, 0, v10
	; wave barrier
	s_waitcnt lgkmcnt(3)
	v_add_nc_u32_e32 v2, v17, v16
	s_waitcnt lgkmcnt(2)
	v_add3_u32 v2, v2, v18, v19
	s_waitcnt lgkmcnt(1)
	v_add3_u32 v2, v2, v20, v21
	;; [unrolled: 2-line block ×3, first 2 shown]
	v_mov_b32_dpp v17, v2 row_shr:1 row_mask:0xf bank_mask:0xf
	v_cndmask_b32_e32 v17, 0, v17, vcc_lo
	v_cmp_lt_u32_e32 vcc_lo, 1, v10
	v_add_nc_u32_e32 v2, v17, v2
	v_mov_b32_dpp v17, v2 row_shr:2 row_mask:0xf bank_mask:0xf
	v_cndmask_b32_e32 v17, 0, v17, vcc_lo
	v_cmp_lt_u32_e32 vcc_lo, 3, v10
	v_add_nc_u32_e32 v2, v2, v17
	;; [unrolled: 4-line block ×3, first 2 shown]
	v_mov_b32_dpp v17, v2 row_shr:8 row_mask:0xf bank_mask:0xf
	v_cndmask_b32_e32 v17, 0, v17, vcc_lo
	v_cmp_gt_i32_e32 vcc_lo, 0, v12
	v_add_nc_u32_e32 v2, v2, v17
	v_cndmask_b32_e32 v18, v12, v8, vcc_lo
	ds_swizzle_b32 v17, v2 offset:swizzle(BROADCAST,32,15)
	v_lshlrev_b32_e32 v18, 2, v18
	s_waitcnt lgkmcnt(0)
	v_and_b32_e32 v17, v11, v17
	v_add_nc_u32_e32 v2, v2, v17
	ds_bpermute_b32 v2, v18, v2
	s_waitcnt lgkmcnt(0)
	v_add_nc_u32_e32 v2, v2, v16
	v_cndmask_b32_e64 v2, v2, v14, s1
	ds_write_b32 v9, v2
	; wave barrier
	ds_read2_b32 v[16:17], v9 offset0:1 offset1:2
	ds_read2_b32 v[18:19], v9 offset0:3 offset1:4
	;; [unrolled: 1-line block ×3, first 2 shown]
	ds_read_b32 v22, v9 offset:28
	s_waitcnt lgkmcnt(3)
	v_add_nc_u32_e32 v2, v16, v2
	v_add_nc_u32_e32 v16, v17, v2
	s_waitcnt lgkmcnt(2)
	v_add_nc_u32_e32 v17, v18, v16
	v_add_nc_u32_e32 v18, v19, v17
	;; [unrolled: 3-line block ×3, first 2 shown]
	s_waitcnt lgkmcnt(0)
	v_add_nc_u32_e32 v21, v22, v20
	ds_write2_b32 v9, v2, v16 offset0:1 offset1:2
	ds_write2_b32 v9, v17, v18 offset0:3 offset1:4
	;; [unrolled: 1-line block ×3, first 2 shown]
	ds_write_b32 v9, v21 offset:28
.LBB81_32:                              ;   in Loop: Header=BB81_21 Depth=1
	s_or_b32 exec_lo, exec_lo, s14
	v_mov_b32_e32 v2, 0
	s_waitcnt lgkmcnt(0)
	s_barrier
	buffer_gl0_inv
	s_and_saveexec_b32 s14, s0
; %bb.33:                               ;   in Loop: Header=BB81_21 Depth=1
	ds_read_b32 v2, v0
; %bb.34:                               ;   in Loop: Header=BB81_21 Depth=1
	s_or_b32 exec_lo, exec_lo, s14
	ds_read_b32 v16, v5 offset:1048
	s_mov_b32 s14, exec_lo
	s_waitcnt lgkmcnt(0)
	s_barrier
	buffer_gl0_inv
	v_cmpx_ne_u32_e32 0, v14
	s_cbranch_execz .LBB81_19
; %bb.35:                               ;   in Loop: Header=BB81_21 Depth=1
	v_add_nc_u32_e32 v2, v2, v6
	v_cmp_gt_u32_e32 vcc_lo, s13, v2
	s_and_b32 exec_lo, exec_lo, vcc_lo
	s_cbranch_execz .LBB81_19
; %bb.36:                               ;   in Loop: Header=BB81_21 Depth=1
	v_mul_lo_u32 v17, v2, s4
	v_mul_lo_u32 v19, v2, s8
	v_mov_b32_e32 v18, v5
	v_mov_b32_e32 v20, v5
	;; [unrolled: 1-line block ×3, first 2 shown]
	v_lshlrev_b64 v[17:18], 2, v[17:18]
	v_lshlrev_b64 v[19:20], 3, v[19:20]
	v_add_co_u32 v17, vcc_lo, s16, v17
	v_add_co_ci_u32_e64 v18, null, s11, v18, vcc_lo
	v_add_co_u32 v19, vcc_lo, s6, v19
	v_add_co_ci_u32_e64 v20, null, s7, v20, vcc_lo
	global_store_dword v[17:18], v13, off
	global_store_dwordx2 v[19:20], v[1:2], off
	s_branch .LBB81_19
	.p2align	6
.LBB81_37:                              ;   in Loop: Header=BB81_38 Depth=1
	s_add_u32 s16, s16, 4
	s_addc_u32 s17, s17, 0
	s_waitcnt lgkmcnt(0)
	s_add_i32 s31, s13, s31
	s_add_u32 s18, s18, 4
	s_addc_u32 s19, s19, 0
	s_add_i32 s12, s12, 1
	s_cmp_lt_u32 s12, s10
	s_cbranch_scc0 .LBB81_16
.LBB81_38:                              ; =>This Inner Loop Header: Depth=1
	s_load_dword s13, s[16:17], 0x0
	s_cmp_ge_u32 s12, s11
	s_cbranch_scc1 .LBB81_37
; %bb.39:                               ;   in Loop: Header=BB81_38 Depth=1
	s_load_dword s14, s[18:19], 0x0
	s_waitcnt lgkmcnt(0)
	s_add_i32 s3, s13, s3
	s_add_i32 s30, s14, s30
	s_branch .LBB81_37
.LBB81_40:
	s_endpgm
	.section	.rodata,"a",@progbits
	.p2align	6, 0x0
	.amdhsa_kernel _ZN2at6native6mbtopk10gatherTopKIfjLi1EEEvNS_4cuda6detail10TensorInfoIKT_T0_EES8_S8_bjS8_NS5_IS6_S8_EES8_NS5_IlS8_EES8_jjPS6_PjSD_j
		.amdhsa_group_segment_fixed_size 1068
		.amdhsa_private_segment_fixed_size 0
		.amdhsa_kernarg_size 984
		.amdhsa_user_sgpr_count 6
		.amdhsa_user_sgpr_private_segment_buffer 1
		.amdhsa_user_sgpr_dispatch_ptr 0
		.amdhsa_user_sgpr_queue_ptr 0
		.amdhsa_user_sgpr_kernarg_segment_ptr 1
		.amdhsa_user_sgpr_dispatch_id 0
		.amdhsa_user_sgpr_flat_scratch_init 0
		.amdhsa_user_sgpr_private_segment_size 0
		.amdhsa_wavefront_size32 1
		.amdhsa_uses_dynamic_stack 0
		.amdhsa_system_sgpr_private_segment_wavefront_offset 0
		.amdhsa_system_sgpr_workgroup_id_x 1
		.amdhsa_system_sgpr_workgroup_id_y 1
		.amdhsa_system_sgpr_workgroup_id_z 1
		.amdhsa_system_sgpr_workgroup_info 0
		.amdhsa_system_vgpr_workitem_id 0
		.amdhsa_next_free_vgpr 24
		.amdhsa_next_free_sgpr 36
		.amdhsa_reserve_vcc 1
		.amdhsa_reserve_flat_scratch 0
		.amdhsa_float_round_mode_32 0
		.amdhsa_float_round_mode_16_64 0
		.amdhsa_float_denorm_mode_32 3
		.amdhsa_float_denorm_mode_16_64 3
		.amdhsa_dx10_clamp 1
		.amdhsa_ieee_mode 1
		.amdhsa_fp16_overflow 0
		.amdhsa_workgroup_processor_mode 1
		.amdhsa_memory_ordered 1
		.amdhsa_forward_progress 1
		.amdhsa_shared_vgpr_count 0
		.amdhsa_exception_fp_ieee_invalid_op 0
		.amdhsa_exception_fp_denorm_src 0
		.amdhsa_exception_fp_ieee_div_zero 0
		.amdhsa_exception_fp_ieee_overflow 0
		.amdhsa_exception_fp_ieee_underflow 0
		.amdhsa_exception_fp_ieee_inexact 0
		.amdhsa_exception_int_div_zero 0
	.end_amdhsa_kernel
	.section	.text._ZN2at6native6mbtopk10gatherTopKIfjLi1EEEvNS_4cuda6detail10TensorInfoIKT_T0_EES8_S8_bjS8_NS5_IS6_S8_EES8_NS5_IlS8_EES8_jjPS6_PjSD_j,"axG",@progbits,_ZN2at6native6mbtopk10gatherTopKIfjLi1EEEvNS_4cuda6detail10TensorInfoIKT_T0_EES8_S8_bjS8_NS5_IS6_S8_EES8_NS5_IlS8_EES8_jjPS6_PjSD_j,comdat
.Lfunc_end81:
	.size	_ZN2at6native6mbtopk10gatherTopKIfjLi1EEEvNS_4cuda6detail10TensorInfoIKT_T0_EES8_S8_bjS8_NS5_IS6_S8_EES8_NS5_IlS8_EES8_jjPS6_PjSD_j, .Lfunc_end81-_ZN2at6native6mbtopk10gatherTopKIfjLi1EEEvNS_4cuda6detail10TensorInfoIKT_T0_EES8_S8_bjS8_NS5_IS6_S8_EES8_NS5_IlS8_EES8_jjPS6_PjSD_j
                                        ; -- End function
	.set _ZN2at6native6mbtopk10gatherTopKIfjLi1EEEvNS_4cuda6detail10TensorInfoIKT_T0_EES8_S8_bjS8_NS5_IS6_S8_EES8_NS5_IlS8_EES8_jjPS6_PjSD_j.num_vgpr, 24
	.set _ZN2at6native6mbtopk10gatherTopKIfjLi1EEEvNS_4cuda6detail10TensorInfoIKT_T0_EES8_S8_bjS8_NS5_IS6_S8_EES8_NS5_IlS8_EES8_jjPS6_PjSD_j.num_agpr, 0
	.set _ZN2at6native6mbtopk10gatherTopKIfjLi1EEEvNS_4cuda6detail10TensorInfoIKT_T0_EES8_S8_bjS8_NS5_IS6_S8_EES8_NS5_IlS8_EES8_jjPS6_PjSD_j.numbered_sgpr, 36
	.set _ZN2at6native6mbtopk10gatherTopKIfjLi1EEEvNS_4cuda6detail10TensorInfoIKT_T0_EES8_S8_bjS8_NS5_IS6_S8_EES8_NS5_IlS8_EES8_jjPS6_PjSD_j.num_named_barrier, 0
	.set _ZN2at6native6mbtopk10gatherTopKIfjLi1EEEvNS_4cuda6detail10TensorInfoIKT_T0_EES8_S8_bjS8_NS5_IS6_S8_EES8_NS5_IlS8_EES8_jjPS6_PjSD_j.private_seg_size, 0
	.set _ZN2at6native6mbtopk10gatherTopKIfjLi1EEEvNS_4cuda6detail10TensorInfoIKT_T0_EES8_S8_bjS8_NS5_IS6_S8_EES8_NS5_IlS8_EES8_jjPS6_PjSD_j.uses_vcc, 1
	.set _ZN2at6native6mbtopk10gatherTopKIfjLi1EEEvNS_4cuda6detail10TensorInfoIKT_T0_EES8_S8_bjS8_NS5_IS6_S8_EES8_NS5_IlS8_EES8_jjPS6_PjSD_j.uses_flat_scratch, 0
	.set _ZN2at6native6mbtopk10gatherTopKIfjLi1EEEvNS_4cuda6detail10TensorInfoIKT_T0_EES8_S8_bjS8_NS5_IS6_S8_EES8_NS5_IlS8_EES8_jjPS6_PjSD_j.has_dyn_sized_stack, 0
	.set _ZN2at6native6mbtopk10gatherTopKIfjLi1EEEvNS_4cuda6detail10TensorInfoIKT_T0_EES8_S8_bjS8_NS5_IS6_S8_EES8_NS5_IlS8_EES8_jjPS6_PjSD_j.has_recursion, 0
	.set _ZN2at6native6mbtopk10gatherTopKIfjLi1EEEvNS_4cuda6detail10TensorInfoIKT_T0_EES8_S8_bjS8_NS5_IS6_S8_EES8_NS5_IlS8_EES8_jjPS6_PjSD_j.has_indirect_call, 0
	.section	.AMDGPU.csdata,"",@progbits
; Kernel info:
; codeLenInByte = 2320
; TotalNumSgprs: 38
; NumVgprs: 24
; ScratchSize: 0
; MemoryBound: 0
; FloatMode: 240
; IeeeMode: 1
; LDSByteSize: 1068 bytes/workgroup (compile time only)
; SGPRBlocks: 0
; VGPRBlocks: 2
; NumSGPRsForWavesPerEU: 38
; NumVGPRsForWavesPerEU: 24
; Occupancy: 16
; WaveLimiterHint : 1
; COMPUTE_PGM_RSRC2:SCRATCH_EN: 0
; COMPUTE_PGM_RSRC2:USER_SGPR: 6
; COMPUTE_PGM_RSRC2:TRAP_HANDLER: 0
; COMPUTE_PGM_RSRC2:TGID_X_EN: 1
; COMPUTE_PGM_RSRC2:TGID_Y_EN: 1
; COMPUTE_PGM_RSRC2:TGID_Z_EN: 1
; COMPUTE_PGM_RSRC2:TIDIG_COMP_CNT: 0
	.section	.text._ZN2at6native6sbtopk10gatherTopKIfjLi1ELb0EEEvNS_4cuda6detail10TensorInfoIKT_T0_EES8_S8_bS8_S8_NS5_IS6_S8_EES8_NS5_IlS8_EES8_PS6_,"axG",@progbits,_ZN2at6native6sbtopk10gatherTopKIfjLi1ELb0EEEvNS_4cuda6detail10TensorInfoIKT_T0_EES8_S8_bS8_S8_NS5_IS6_S8_EES8_NS5_IlS8_EES8_PS6_,comdat
	.protected	_ZN2at6native6sbtopk10gatherTopKIfjLi1ELb0EEEvNS_4cuda6detail10TensorInfoIKT_T0_EES8_S8_bS8_S8_NS5_IS6_S8_EES8_NS5_IlS8_EES8_PS6_ ; -- Begin function _ZN2at6native6sbtopk10gatherTopKIfjLi1ELb0EEEvNS_4cuda6detail10TensorInfoIKT_T0_EES8_S8_bS8_S8_NS5_IS6_S8_EES8_NS5_IlS8_EES8_PS6_
	.globl	_ZN2at6native6sbtopk10gatherTopKIfjLi1ELb0EEEvNS_4cuda6detail10TensorInfoIKT_T0_EES8_S8_bS8_S8_NS5_IS6_S8_EES8_NS5_IlS8_EES8_PS6_
	.p2align	8
	.type	_ZN2at6native6sbtopk10gatherTopKIfjLi1ELb0EEEvNS_4cuda6detail10TensorInfoIKT_T0_EES8_S8_bS8_S8_NS5_IS6_S8_EES8_NS5_IlS8_EES8_PS6_,@function
_ZN2at6native6sbtopk10gatherTopKIfjLi1ELb0EEEvNS_4cuda6detail10TensorInfoIKT_T0_EES8_S8_bS8_S8_NS5_IS6_S8_EES8_NS5_IlS8_EES8_PS6_: ; @_ZN2at6native6sbtopk10gatherTopKIfjLi1ELb0EEEvNS_4cuda6detail10TensorInfoIKT_T0_EES8_S8_bS8_S8_NS5_IS6_S8_EES8_NS5_IlS8_EES8_PS6_
; %bb.0:
	s_clause 0x1
	s_load_dwordx2 s[2:3], s[4:5], 0x2b8
	s_load_dwordx4 s[36:39], s[4:5], 0xd8
	s_add_u32 s10, s4, 0x2b8
	s_addc_u32 s11, s5, 0
	s_waitcnt lgkmcnt(0)
	s_mul_i32 s0, s3, s8
	s_add_i32 s0, s0, s7
	s_mul_i32 s45, s0, s2
	s_add_i32 s45, s45, s6
	s_cmp_ge_u32 s45, s39
	s_cbranch_scc1 .LBB82_411
; %bb.1:
	s_clause 0x4
	s_load_dwordx2 s[34:35], s[4:5], 0x1d0
	s_load_dword s30, s[4:5], 0xe8
	s_load_dwordx2 s[40:41], s[4:5], 0xf0
	s_load_dword s7, s[4:5], 0x6c
	s_load_dwordx2 s[0:1], s[4:5], 0x0
	v_cmp_eq_u32_e64 s3, 0, v0
	s_mov_b32 s43, 0
	s_and_saveexec_b32 s8, s3
	s_cbranch_execz .LBB82_3
; %bb.2:
	v_mov_b32_e32 v1, 0
	v_mov_b32_e32 v2, s36
	;; [unrolled: 1-line block ×3, first 2 shown]
	ds_write_b96 v1, v[1:3] offset:4096
.LBB82_3:
	s_or_b32 exec_lo, exec_lo, s8
	s_waitcnt lgkmcnt(0)
	s_barrier
	buffer_gl0_inv
	s_load_dword s12, s[10:11], 0xc
	s_mul_i32 s42, s7, s45
	v_mbcnt_lo_u32_b32 v17, -1, 0
	s_lshl_b64 s[8:9], s[42:43], 2
	v_cmp_gt_u32_e32 vcc_lo, 32, v0
	s_add_u32 s31, s0, s8
	s_addc_u32 s33, s1, s9
	s_bitcmp1_b32 s38, 0
	v_cmp_gt_i32_e64 s0, 4, v17
	s_cselect_b32 s1, -1, 0
	v_mov_b32_e32 v9, 0
	s_xor_b32 s48, s1, -1
	v_mul_lo_u32 v7, s30, v0
	s_and_b32 s49, vcc_lo, s0
	s_clause 0x1
	s_load_dword s46, s[4:5], 0x23c
	s_load_dword s47, s[4:5], 0x15c
	v_mov_b32_e32 v8, v9
	v_lshlrev_b32_e32 v18, 2, v0
	v_lshlrev_b32_e32 v27, 4, v0
	v_lshl_or_b32 v28, v17, 2, 0xc00
	v_mov_b32_e32 v30, s37
	s_waitcnt lgkmcnt(0)
	s_and_b32 s42, s12, 0xffff
	s_bfe_u32 s0, s12, 0xb0005
	s_lshl_b32 s50, s42, 2
	s_bfe_u32 s7, s42, 0x80008
	v_cvt_f32_u32_e32 v1, s50
	s_lshl_b32 s51, s7, 3
	s_cmpk_gt_u32 s36, 0x300
	v_cvt_f32_u32_e32 v2, s42
	s_cselect_b32 s52, -1, 0
	v_rcp_iflag_f32_e32 v1, v1
	s_cmp_gt_u32 s42, 31
	v_mad_u64_u32 v[12:13], null, s30, v18, s[30:31]
	s_cselect_b32 s53, -1, 0
	s_add_i32 s54, s42, -1
	v_rcp_iflag_f32_e32 v2, v2
	s_add_i32 s9, s54, s36
	s_cmp_lt_u32 s6, s2
	v_cmp_gt_u32_e64 s2, s36, v0
	v_mul_f32_e32 v1, 0x4f7ffffe, v1
	s_cselect_b32 s6, 12, 18
	v_add_nc_u32_e32 v20, 0xc00, v18
	s_add_u32 s38, s10, s6
	s_addc_u32 s39, s11, 0
	s_add_i32 s0, s0, -1
	v_cvt_u32_f32_e32 v1, v1
	s_and_b32 s0, s0, 0xffff
	s_bfe_u32 s55, s42, 0x30005
	s_cmp_gt_u32 s0, 6
	v_mul_f32_e32 v3, 0x4f7ffffe, v2
	v_readfirstlane_b32 s7, v1
	s_cselect_b32 s56, -1, 0
	s_cmp_lg_u32 s55, 0
	v_lshlrev_b64 v[1:2], v17, -1
	s_cselect_b32 s57, -1, 0
	s_sub_i32 s0, 0, s50
	v_cvt_u32_f32_e32 v4, v3
	s_mul_i32 s0, s0, s7
	v_lshlrev_b64 v[2:3], 2, v[7:8]
	s_mul_hi_u32 s8, s7, s0
	v_not_b32_e32 v16, v1
	s_add_i32 s58, s7, s8
	v_lshrrev_b32_e32 v1, 1, v0
	s_mul_hi_u32 s7, s36, s58
	v_add_co_u32 v5, vcc_lo, s31, v2
	s_mul_i32 s7, s7, s50
	v_add_co_ci_u32_e64 v6, null, s33, v3, vcc_lo
	s_sub_i32 s7, s36, s7
	v_or_b32_e32 v3, 3, v18
	s_sub_i32 s8, s7, s50
	s_cmp_ge_u32 s7, s50
	v_cmp_gt_u32_e64 s6, 2, v0
	s_cselect_b32 s7, s8, s7
	v_readfirstlane_b32 s8, v4
	s_sub_i32 s10, s7, s50
	s_cmp_ge_u32 s7, s50
	v_mul_lo_u32 v24, s30, v3
	s_cselect_b32 s10, s10, s7
	s_sub_i32 s7, 0, s42
	s_sub_i32 s59, s36, s10
	s_mul_i32 s7, s7, s8
	v_add_nc_u32_e32 v19, s59, v0
	s_mul_hi_u32 s7, s8, s7
	v_cmp_eq_u32_e64 s0, 0, v17
	s_add_i32 s60, s8, s7
	s_movk_i32 s8, 0x1f0
	v_mul_lo_u32 v8, v19, s30
	v_and_or_b32 v21, v1, s8, 0xc00
	s_mul_hi_u32 s7, s9, s60
	v_lshlrev_b32_e32 v25, 2, v7
	s_mul_i32 s7, s7, s42
	v_mov_b32_e32 v13, 1.0
	s_sub_i32 s7, s9, s7
	v_mov_b32_e32 v15, 0
	v_lshlrev_b64 v[1:2], 2, v[8:9]
	s_sub_i32 s11, s7, s42
	s_cmp_ge_u32 s7, s42
	v_mov_b32_e32 v22, 0
	s_cselect_b32 s8, s11, s7
	v_cmp_gt_u32_e64 s7, s59, v18
	v_add_co_u32 v10, vcc_lo, s31, v1
	v_add3_u32 v1, s42, s36, v0
	v_add_co_ci_u32_e64 v11, null, s33, v2, vcc_lo
	v_or_b32_e32 v2, 2, v18
	s_sub_i32 s11, s8, s42
	v_subrev_nc_u32_e32 v1, s10, v1
	s_cmp_ge_u32 s8, s42
	v_mov_b32_e32 v29, 0
	s_cselect_b32 s11, s11, s8
	v_mul_lo_u32 v23, s30, v2
	v_mul_lo_u32 v26, s30, v1
	s_sub_i32 s61, s9, s11
	v_cmp_gt_u32_e64 s8, s36, v19
	v_cmp_gt_u32_e64 s9, s61, v0
	s_mul_i32 s44, s30, s42
	s_lshl_b32 s63, s42, 4
	s_lshl_b32 s62, s44, 2
	s_mov_b32 s69, 30
	s_mov_b32 s65, 0
                                        ; implicit-def: $sgpr64
                                        ; implicit-def: $sgpr68
                                        ; implicit-def: $sgpr67
                                        ; implicit-def: $sgpr70
                                        ; implicit-def: $sgpr66
                                        ; implicit-def: $sgpr74
                                        ; implicit-def: $sgpr75
                                        ; implicit-def: $sgpr71
                                        ; implicit-def: $sgpr73
                                        ; implicit-def: $sgpr72
	s_branch .LBB82_6
.LBB82_4:                               ;   in Loop: Header=BB82_6 Depth=1
	s_or_b32 exec_lo, exec_lo, s13
	v_mov_b32_e32 v30, v32
	s_andn2_b32 s13, s72, exec_lo
	s_and_b32 s12, s12, exec_lo
	s_andn2_b32 s73, s73, exec_lo
	s_or_b32 s72, s13, s12
	s_andn2_b32 s71, s71, exec_lo
	s_andn2_b32 s75, s75, exec_lo
	;; [unrolled: 1-line block ×3, first 2 shown]
	s_orn2_b32 s13, s11, exec_lo
.LBB82_5:                               ;   in Loop: Header=BB82_6 Depth=1
	s_or_b32 exec_lo, exec_lo, s10
	s_and_b32 s10, exec_lo, s13
	s_or_b32 s43, s10, s43
	s_andn2_b32 s10, s66, exec_lo
	s_and_b32 s11, s72, exec_lo
	s_andn2_b32 s12, s70, exec_lo
	s_or_b32 s66, s10, s11
	s_and_b32 s10, s73, exec_lo
	s_andn2_b32 s11, s67, exec_lo
	s_and_b32 s13, s71, exec_lo
	s_or_b32 s70, s12, s10
	s_or_b32 s67, s11, s13
	s_andn2_b32 s10, s68, exec_lo
	s_and_b32 s11, s75, exec_lo
	s_andn2_b32 s12, s64, exec_lo
	s_and_b32 s13, s74, exec_lo
	s_or_b32 s68, s10, s11
	s_or_b32 s64, s12, s13
	s_andn2_b32 exec_lo, exec_lo, s43
	s_cbranch_execz .LBB82_407
.LBB82_6:                               ; =>This Loop Header: Depth=1
                                        ;     Child Loop BB82_12 Depth 2
                                        ;     Child Loop BB82_25 Depth 2
	;; [unrolled: 1-line block ×24, first 2 shown]
	ds_read_b64 v[1:2], v9 offset:4096
	s_waitcnt lgkmcnt(0)
	v_readfirstlane_b32 s76, v1
	s_cmp_lg_u32 s76, 0
	s_cbranch_scc1 .LBB82_33
; %bb.7:                                ;   in Loop: Header=BB82_6 Depth=1
	s_and_b32 vcc_lo, exec_lo, s52
	s_cbranch_vccz .LBB82_20
; %bb.8:                                ;   in Loop: Header=BB82_6 Depth=1
	v_cmp_gt_u32_e32 vcc_lo, 0x301, v2
	s_mov_b32 s12, 0
	s_mov_b32 s10, 0
	s_cbranch_vccz .LBB82_21
; %bb.9:                                ;   in Loop: Header=BB82_6 Depth=1
	s_and_saveexec_b32 s13, s2
	s_cbranch_execz .LBB82_81
; %bb.10:                               ;   in Loop: Header=BB82_6 Depth=1
	global_load_ushort v1, v9, s[38:39]
	global_load_dword v3, v[5:6], off
	v_mov_b32_e32 v4, v0
	s_mov_b32 s14, 0
	s_waitcnt vmcnt(1)
	v_add_nc_u32_e32 v2, v0, v1
	v_mul_lo_u32 v8, s30, v2
	v_mul_lo_u32 v2, s30, v1
	s_branch .LBB82_12
.LBB82_11:                              ;   in Loop: Header=BB82_12 Depth=2
	s_or_b32 exec_lo, exec_lo, s11
	v_add_nc_u32_e32 v8, v8, v2
	v_mov_b32_e32 v3, v14
	s_andn2_b32 exec_lo, exec_lo, s14
	s_cbranch_execz .LBB82_81
.LBB82_12:                              ;   Parent Loop BB82_6 Depth=1
                                        ; =>  This Inner Loop Header: Depth=2
	v_add_nc_u32_e32 v4, v4, v1
	s_waitcnt lgkmcnt(0)
	v_mov_b32_e32 v31, 0
	v_mov_b32_e32 v14, 0
	s_mov_b32 s11, exec_lo
	v_cmp_le_u32_e32 vcc_lo, s36, v4
	v_cmpx_gt_u32_e64 s36, v4
	s_cbranch_execz .LBB82_14
; %bb.13:                               ;   in Loop: Header=BB82_12 Depth=2
	v_lshlrev_b64 v[32:33], 2, v[8:9]
	v_add_co_u32 v32, s10, s31, v32
	v_add_co_ci_u32_e64 v33, null, s33, v33, s10
	global_load_dword v14, v[32:33], off
.LBB82_14:                              ;   in Loop: Header=BB82_12 Depth=2
	s_or_b32 exec_lo, exec_lo, s11
	s_waitcnt vmcnt(0)
	v_cmp_lt_i32_e64 s10, -1, v3
	v_cndmask_b32_e64 v32, -1, 0x80000000, s10
	v_cmp_o_f32_e64 s10, v3, v3
	v_xor_b32_e32 v32, v32, v3
	v_cndmask_b32_e64 v32, -1, v32, s10
	v_and_b32_e32 v32, v32, v29
	v_cmp_eq_u32_e64 s10, v32, v22
	s_cmp_lg_u32 s10, 0
	s_cselect_b32 s11, -1, 0
	s_and_b32 s11, s0, s11
	s_and_saveexec_b32 s15, s11
	s_cbranch_execz .LBB82_18
; %bb.15:                               ;   in Loop: Header=BB82_12 Depth=2
	s_mov_b32 s18, exec_lo
	s_bcnt1_i32_b32 s16, s10
	v_mbcnt_lo_u32_b32 v31, s18, 0
	s_mov_b32 s17, exec_lo
                                        ; implicit-def: $vgpr32
	v_cmpx_eq_u32_e32 0, v31
; %bb.16:                               ;   in Loop: Header=BB82_12 Depth=2
	s_bcnt1_i32_b32 s11, s18
	s_mul_i32 s11, s16, s11
	v_mov_b32_e32 v32, s11
	ds_add_rtn_u32 v32, v9, v32 offset:4104
; %bb.17:                               ;   in Loop: Header=BB82_12 Depth=2
	s_or_b32 exec_lo, exec_lo, s17
	s_waitcnt lgkmcnt(0)
	v_readfirstlane_b32 s11, v32
	v_mad_u32_u24 v31, s16, v31, s11
.LBB82_18:                              ;   in Loop: Header=BB82_12 Depth=2
	s_or_b32 exec_lo, exec_lo, s15
	ds_bpermute_b32 v31, v9, v31
	s_and_b32 s11, exec_lo, vcc_lo
	s_or_b32 s14, s11, s14
	s_and_saveexec_b32 s11, s10
	s_cbranch_execz .LBB82_11
; %bb.19:                               ;   in Loop: Header=BB82_12 Depth=2
	v_and_b32_e32 v32, s10, v16
	v_bcnt_u32_b32 v32, v32, 0
	v_lshlrev_b32_e32 v32, 2, v32
	s_waitcnt lgkmcnt(0)
	v_lshl_add_u32 v31, v31, 2, v32
	ds_write_b32 v31, v3
	s_branch .LBB82_11
.LBB82_20:                              ;   in Loop: Header=BB82_6 Depth=1
	s_mov_b32 s12, -1
	s_mov_b32 s10, 0
.LBB82_21:                              ;   in Loop: Header=BB82_6 Depth=1
	s_and_b32 vcc_lo, exec_lo, s12
	s_cbranch_vccz .LBB82_31
.LBB82_22:                              ;   in Loop: Header=BB82_6 Depth=1
	s_and_saveexec_b32 s10, s2
	s_cbranch_execz .LBB82_28
; %bb.23:                               ;   in Loop: Header=BB82_6 Depth=1
	global_load_ushort v1, v9, s[38:39]
	global_load_dword v3, v[5:6], off
	v_mov_b32_e32 v2, v0
	s_mov_b32 s11, exec_lo
	s_waitcnt vmcnt(1)
	v_add_nc_u32_e32 v4, v0, v1
	v_cmpx_gt_u32_e64 s36, v4
	s_cbranch_execz .LBB82_27
; %bb.24:                               ;   in Loop: Header=BB82_6 Depth=1
	v_mul_lo_u32 v8, s30, v4
	v_mul_lo_u32 v4, s30, v1
	v_lshlrev_b32_e32 v14, 2, v1
	v_mov_b32_e32 v31, v18
	v_mov_b32_e32 v2, v0
	s_mov_b32 s12, 0
	.p2align	6
.LBB82_25:                              ;   Parent Loop BB82_6 Depth=1
                                        ; =>  This Inner Loop Header: Depth=2
	v_lshlrev_b64 v[32:33], 2, v[8:9]
	v_add_nc_u32_e32 v2, v2, v1
	s_waitcnt vmcnt(0)
	ds_write_b32 v31, v3
	v_add_nc_u32_e32 v31, v31, v14
	v_add_nc_u32_e32 v8, v8, v4
	v_add_co_u32 v32, vcc_lo, s31, v32
	v_add_co_ci_u32_e64 v33, null, s33, v33, vcc_lo
	global_load_dword v32, v[32:33], off
	v_add_nc_u32_e32 v33, v1, v2
	v_cmp_le_u32_e32 vcc_lo, s36, v33
	s_or_b32 s12, vcc_lo, s12
	s_waitcnt vmcnt(0)
	v_mov_b32_e32 v3, v32
	s_andn2_b32 exec_lo, exec_lo, s12
	s_cbranch_execnz .LBB82_25
; %bb.26:                               ;   in Loop: Header=BB82_6 Depth=1
	s_or_b32 exec_lo, exec_lo, s12
	v_mov_b32_e32 v3, v32
.LBB82_27:                              ;   in Loop: Header=BB82_6 Depth=1
	s_or_b32 exec_lo, exec_lo, s11
	v_lshlrev_b32_e32 v1, 2, v2
	s_waitcnt vmcnt(0)
	ds_write_b32 v1, v3
.LBB82_28:                              ;   in Loop: Header=BB82_6 Depth=1
	s_or_b32 exec_lo, exec_lo, s10
	s_waitcnt lgkmcnt(0)
	s_barrier
	buffer_gl0_inv
	s_and_saveexec_b32 s10, s3
; %bb.29:                               ;   in Loop: Header=BB82_6 Depth=1
	v_mov_b32_e32 v1, s36
	ds_write_b32 v9, v1 offset:4096
; %bb.30:                               ;   in Loop: Header=BB82_6 Depth=1
	s_or_b32 exec_lo, exec_lo, s10
	s_mov_b32 s10, -1
	s_waitcnt lgkmcnt(0)
	s_barrier
.LBB82_31:                              ;   in Loop: Header=BB82_6 Depth=1
	s_and_b32 vcc_lo, exec_lo, s10
	s_mov_b32 s76, 0
	s_cbranch_vccz .LBB82_33
; %bb.32:                               ;   in Loop: Header=BB82_6 Depth=1
	buffer_gl0_inv
	ds_read_b32 v1, v9 offset:4096
	s_waitcnt lgkmcnt(0)
	v_readfirstlane_b32 s76, v1
.LBB82_33:                              ;   in Loop: Header=BB82_6 Depth=1
	s_cmp_lt_i32 s76, 1
	s_mov_b32 s10, -1
                                        ; implicit-def: $vgpr1
	s_cbranch_scc1 .LBB82_43
; %bb.34:                               ;   in Loop: Header=BB82_6 Depth=1
	s_and_b32 vcc_lo, exec_lo, s10
	s_cbranch_vccnz .LBB82_54
.LBB82_35:                              ;   in Loop: Header=BB82_6 Depth=1
	s_lshl_b32 s10, s65, 7
	s_and_saveexec_b32 s11, s0
.LBB82_36:                              ;   in Loop: Header=BB82_6 Depth=1
	v_lshl_add_u32 v8, s10, 2, v21
	ds_write_b128 v8, v[1:4]
.LBB82_37:                              ;   in Loop: Header=BB82_6 Depth=1
	s_or_b32 exec_lo, exec_lo, s11
	s_waitcnt lgkmcnt(0)
	s_barrier
	buffer_gl0_inv
	s_and_saveexec_b32 s11, s49
	s_cbranch_execz .LBB82_67
; %bb.38:                               ;   in Loop: Header=BB82_6 Depth=1
	v_mov_b32_e32 v1, 0
	s_andn2_b32 vcc_lo, exec_lo, s53
	s_cbranch_vccnz .LBB82_66
; %bb.39:                               ;   in Loop: Header=BB82_6 Depth=1
	s_andn2_b32 vcc_lo, exec_lo, s56
	s_cbranch_vccnz .LBB82_63
; %bb.40:                               ;   in Loop: Header=BB82_6 Depth=1
	v_lshl_add_u32 v2, s65, 9, v28
	v_mov_b32_e32 v1, 0
	s_mov_b32 s12, 0
	.p2align	6
.LBB82_41:                              ;   Parent Loop BB82_6 Depth=1
                                        ; =>  This Inner Loop Header: Depth=2
	ds_read2_b32 v[3:4], v2 offset1:4
	ds_read2_b32 v[31:32], v2 offset0:8 offset1:12
	ds_read2_b32 v[33:34], v2 offset0:16 offset1:20
	;; [unrolled: 1-line block ×3, first 2 shown]
	v_add_nc_u32_e32 v2, 0x80, v2
	s_add_i32 s12, s12, 8
	s_cmp_eq_u32 s51, s12
	s_waitcnt lgkmcnt(3)
	v_add3_u32 v1, v3, v1, v4
	s_waitcnt lgkmcnt(2)
	v_add3_u32 v1, v31, v1, v32
	s_waitcnt lgkmcnt(1)
	v_add3_u32 v1, v33, v1, v34
	s_waitcnt lgkmcnt(0)
	v_add3_u32 v1, v35, v1, v36
	s_cbranch_scc0 .LBB82_41
; %bb.42:                               ;   in Loop: Header=BB82_6 Depth=1
	s_mov_b32 s12, s51
	s_andn2_b32 vcc_lo, exec_lo, s57
	s_cbranch_vccz .LBB82_64
	s_branch .LBB82_66
.LBB82_43:                              ;   in Loop: Header=BB82_6 Depth=1
	v_mov_b32_e32 v1, 0
	v_mov_b32_e32 v2, 0
	v_mov_b32_e32 v3, 0
	v_mov_b32_e32 v4, 0
	s_and_saveexec_b32 s21, s7
	s_cbranch_execz .LBB82_47
; %bb.44:                               ;   in Loop: Header=BB82_6 Depth=1
	v_mov_b32_e32 v14, v18
	s_mov_b32 s22, 0
	s_mov_b32 s23, 0
	;; [unrolled: 1-line block ×6, first 2 shown]
.LBB82_45:                              ;   Parent Loop BB82_6 Depth=1
                                        ; =>  This Inner Loop Header: Depth=2
	v_add_nc_u32_e32 v8, s23, v25
	v_add_nc_u32_e32 v14, s50, v14
	v_lshlrev_b64 v[1:2], 2, v[8:9]
	v_add_nc_u32_e32 v8, s23, v12
	v_lshlrev_b64 v[3:4], 2, v[8:9]
	v_add_nc_u32_e32 v8, s23, v23
	v_add_co_u32 v1, vcc_lo, s31, v1
	v_add_co_ci_u32_e64 v2, null, s33, v2, vcc_lo
	v_lshlrev_b64 v[31:32], 2, v[8:9]
	v_add_nc_u32_e32 v8, s23, v24
	s_add_i32 s23, s23, s62
	global_load_dword v33, v[1:2], off
	v_add_co_u32 v1, vcc_lo, s31, v3
	v_add_co_ci_u32_e64 v2, null, s33, v4, vcc_lo
	v_add_co_u32 v31, vcc_lo, s31, v31
	v_add_co_ci_u32_e64 v32, null, s33, v32, vcc_lo
	v_lshlrev_b64 v[3:4], 2, v[8:9]
	s_clause 0x1
	global_load_dword v8, v[1:2], off
	global_load_dword v31, v[31:32], off
	v_add_co_u32 v1, vcc_lo, s31, v3
	v_add_co_ci_u32_e64 v2, null, s33, v4, vcc_lo
	v_cmp_le_u32_e32 vcc_lo, s59, v14
	global_load_dword v1, v[1:2], off
	s_waitcnt vmcnt(3)
	v_cmp_lt_i32_e64 s10, -1, v33
	v_cndmask_b32_e64 v2, -1, 0x80000000, s10
	s_waitcnt vmcnt(2)
	v_cmp_lt_i32_e64 s10, -1, v8
	v_xor_b32_e32 v2, v2, v33
	s_waitcnt vmcnt(1)
	v_cmp_lt_i32_e64 s11, -1, v31
	v_cndmask_b32_e64 v3, -1, 0x80000000, s10
	v_cmp_o_f32_e64 s10, v33, v33
	v_cndmask_b32_e64 v4, -1, 0x80000000, s11
	v_xor_b32_e32 v3, v3, v8
	v_cndmask_b32_e64 v2, -1, v2, s10
	v_cmp_o_f32_e64 s10, v8, v8
	v_xor_b32_e32 v4, v4, v31
	s_waitcnt vmcnt(0)
	v_cmp_o_f32_e64 s15, v1, v1
	v_and_b32_e32 v32, v2, v29
	v_cndmask_b32_e64 v3, -1, v3, s10
	v_cmp_lt_i32_e64 s10, -1, v1
	v_bfe_u32 v2, v2, s69, 2
	v_cndmask_b32_e64 v8, -1, 0x80000000, s10
	v_cmp_o_f32_e64 s10, v31, v31
	v_cmp_eq_u32_e64 s11, 0, v2
	v_and_b32_e32 v31, v3, v29
	v_bfe_u32 v3, v3, s69, 2
	v_xor_b32_e32 v8, v8, v1
	v_cndmask_b32_e64 v4, -1, v4, s10
	v_cmp_eq_u32_e64 s10, v32, v22
	v_cmp_eq_u32_e64 s12, 1, v2
	;; [unrolled: 1-line block ×4, first 2 shown]
	v_cndmask_b32_e64 v1, -1, v8, s15
	s_and_b32 s11, s10, s11
	v_cmp_eq_u32_e64 s15, v31, v22
	v_cmp_eq_u32_e64 s16, 0, v3
	v_cndmask_b32_e64 v8, 0, 1, s11
	v_cmp_eq_u32_e64 s11, 1, v3
	s_and_b32 s12, s10, s12
	v_and_b32_e32 v2, v4, v29
	v_bfe_u32 v4, v4, s69, 2
	v_cndmask_b32_e64 v31, 0, 1, s12
	v_cmp_eq_u32_e64 s12, 2, v3
	s_and_b32 s13, s10, s13
	s_and_b32 s10, s10, s14
	v_cndmask_b32_e64 v32, 0, 1, s13
	s_and_b32 s16, s15, s16
	s_and_b32 s11, s15, s11
	v_cmp_eq_u32_e64 s13, 3, v3
	v_cndmask_b32_e64 v3, 0, 1, s10
	v_cmp_eq_u32_e64 s10, v2, v22
	v_cmp_eq_u32_e64 s14, 0, v4
	v_cmp_ne_u32_e64 s17, 0, v8
	v_cndmask_b32_e64 v8, 0, 1, s16
	v_cmp_eq_u32_e64 s16, 1, v4
	v_cmp_ne_u32_e64 s18, 0, v31
	v_cndmask_b32_e64 v31, 0, 1, s11
	v_cmp_eq_u32_e64 s11, 2, v4
	s_and_b32 s12, s15, s12
	v_and_b32_e32 v2, v1, v29
	v_bfe_u32 v1, v1, s69, 2
	v_cmp_ne_u32_e64 s19, 0, v32
	v_cndmask_b32_e64 v32, 0, 1, s12
	v_cmp_eq_u32_e64 s12, 3, v4
	s_and_b32 s13, s15, s13
	s_and_b32 s14, s10, s14
	;; [unrolled: 1-line block ×4, first 2 shown]
	v_cmp_ne_u32_e64 s20, 0, v3
	v_cndmask_b32_e64 v3, 0, 1, s13
	v_cmp_eq_u32_e64 s13, v2, v22
	v_cmp_eq_u32_e64 s15, 0, v1
	s_bcnt1_i32_b32 s28, s17
	v_cmp_ne_u32_e64 s17, 0, v8
	v_cndmask_b32_e64 v2, 0, 1, s14
	v_cmp_eq_u32_e64 s14, 1, v1
	v_cndmask_b32_e64 v4, 0, 1, s16
	v_cmp_eq_u32_e64 s16, 2, v1
	;; [unrolled: 2-line block ×3, first 2 shown]
	s_and_b32 s10, s10, s12
	s_bcnt1_i32_b32 s78, s20
	v_cndmask_b32_e64 v1, 0, 1, s10
	v_cmp_ne_u32_e64 s20, 0, v3
	s_and_b32 s12, s13, s15
	s_and_b32 s14, s13, s14
	s_and_b32 s15, s13, s16
	s_and_b32 s11, s13, s11
	v_cmp_ne_u32_e64 s10, 0, v2
	v_cndmask_b32_e64 v2, 0, 1, s12
	v_cmp_ne_u32_e64 s12, 0, v4
	v_cndmask_b32_e64 v3, 0, 1, s14
	v_cndmask_b32_e64 v4, 0, 1, s15
	v_cmp_ne_u32_e64 s15, 0, v1
	v_cndmask_b32_e64 v1, 0, 1, s11
	s_bcnt1_i32_b32 s29, s18
	v_cmp_ne_u32_e64 s18, 0, v31
	s_bcnt1_i32_b32 s77, s19
	v_cmp_ne_u32_e64 s19, 0, v32
	s_add_i32 s24, s78, s24
	v_cmp_ne_u32_e64 s14, 0, v8
	s_bcnt1_i32_b32 s16, s20
	s_bcnt1_i32_b32 s20, s10
	s_add_i32 s16, s24, s16
	v_cmp_ne_u32_e64 s10, 0, v2
	s_bcnt1_i32_b32 s24, s12
	v_cmp_ne_u32_e64 s11, 0, v3
	v_cmp_ne_u32_e64 s12, 0, v4
	;; [unrolled: 1-line block ×3, first 2 shown]
	s_add_i32 s27, s28, s27
	s_add_i32 s26, s29, s26
	;; [unrolled: 1-line block ×3, first 2 shown]
	s_bcnt1_i32_b32 s17, s17
	s_bcnt1_i32_b32 s18, s18
	;; [unrolled: 1-line block ×3, first 2 shown]
	s_add_i32 s17, s27, s17
	s_add_i32 s18, s26, s18
	s_add_i32 s19, s25, s19
	s_bcnt1_i32_b32 s14, s14
	s_bcnt1_i32_b32 s15, s15
	s_add_i32 s17, s17, s20
	s_add_i32 s18, s18, s24
	;; [unrolled: 1-line block ×4, first 2 shown]
	s_bcnt1_i32_b32 s10, s10
	s_bcnt1_i32_b32 s11, s11
	;; [unrolled: 1-line block ×4, first 2 shown]
	s_add_i32 s27, s17, s10
	s_add_i32 s26, s18, s11
	;; [unrolled: 1-line block ×4, first 2 shown]
	v_mov_b32_e32 v1, s27
	v_mov_b32_e32 v2, s26
	;; [unrolled: 1-line block ×4, first 2 shown]
	s_or_b32 s22, vcc_lo, s22
	s_andn2_b32 exec_lo, exec_lo, s22
	s_cbranch_execnz .LBB82_45
; %bb.46:                               ;   in Loop: Header=BB82_6 Depth=1
	s_or_b32 exec_lo, exec_lo, s22
.LBB82_47:                              ;   in Loop: Header=BB82_6 Depth=1
	s_or_b32 exec_lo, exec_lo, s21
	s_and_saveexec_b32 s14, s8
	s_cbranch_execz .LBB82_53
; %bb.48:                               ;   in Loop: Header=BB82_6 Depth=1
	global_load_dword v32, v[10:11], off
	v_mov_b32_e32 v8, v26
	v_mov_b32_e32 v14, v19
	s_mov_b32 s15, 0
	s_branch .LBB82_50
.LBB82_49:                              ;   in Loop: Header=BB82_50 Depth=2
	s_or_b32 exec_lo, exec_lo, s11
	s_waitcnt vmcnt(0)
	v_cmp_lt_i32_e64 s10, -1, v32
	s_and_b32 s11, exec_lo, vcc_lo
	v_add_nc_u32_e32 v8, s44, v8
	s_or_b32 s15, s11, s15
	v_cndmask_b32_e64 v33, -1, 0x80000000, s10
	v_cmp_o_f32_e64 s10, v32, v32
	v_xor_b32_e32 v33, v33, v32
	v_cndmask_b32_e64 v32, -1, v33, s10
	v_and_b32_e32 v33, v32, v29
	v_bfe_u32 v32, v32, s69, 2
	v_cmp_eq_u32_e32 vcc_lo, v33, v22
	v_cmp_eq_u32_e64 s10, 0, v32
	v_cmp_eq_u32_e64 s11, 1, v32
	;; [unrolled: 1-line block ×4, first 2 shown]
	s_and_b32 s10, vcc_lo, s10
	v_cndmask_b32_e64 v32, 0, 1, s10
	s_and_b32 s10, vcc_lo, s11
	v_cndmask_b32_e64 v33, 0, 1, s10
	;; [unrolled: 2-line block ×3, first 2 shown]
	s_and_b32 s10, vcc_lo, s13
	v_cmp_ne_u32_e32 vcc_lo, 0, v32
	v_cndmask_b32_e64 v35, 0, 1, s10
	v_cmp_ne_u32_e64 s10, 0, v33
	v_cmp_ne_u32_e64 s11, 0, v34
	v_mov_b32_e32 v32, v31
	s_bcnt1_i32_b32 s13, vcc_lo
	v_cmp_ne_u32_e64 s12, 0, v35
	s_bcnt1_i32_b32 s10, s10
	s_bcnt1_i32_b32 s11, s11
	v_add_nc_u32_e32 v1, s13, v1
	v_add_nc_u32_e32 v2, s10, v2
	s_bcnt1_i32_b32 s12, s12
	v_add_nc_u32_e32 v3, s11, v3
	v_add_nc_u32_e32 v4, s12, v4
	s_andn2_b32 exec_lo, exec_lo, s15
	s_cbranch_execz .LBB82_52
.LBB82_50:                              ;   Parent Loop BB82_6 Depth=1
                                        ; =>  This Inner Loop Header: Depth=2
	v_add_nc_u32_e32 v14, s42, v14
	v_mov_b32_e32 v31, 0
	s_mov_b32 s11, exec_lo
	v_cmp_le_u32_e32 vcc_lo, s36, v14
	v_cmpx_gt_u32_e64 s36, v14
	s_cbranch_execz .LBB82_49
; %bb.51:                               ;   in Loop: Header=BB82_50 Depth=2
	v_lshlrev_b64 v[33:34], 2, v[8:9]
	v_add_co_u32 v33, s10, s31, v33
	v_add_co_ci_u32_e64 v34, null, s33, v34, s10
	global_load_dword v31, v[33:34], off
	s_branch .LBB82_49
.LBB82_52:                              ;   in Loop: Header=BB82_6 Depth=1
	s_or_b32 exec_lo, exec_lo, s15
.LBB82_53:                              ;   in Loop: Header=BB82_6 Depth=1
	s_or_b32 exec_lo, exec_lo, s14
	s_branch .LBB82_35
.LBB82_54:                              ;   in Loop: Header=BB82_6 Depth=1
	s_mul_hi_u32 s10, s76, s58
	v_mov_b32_e32 v1, 0
	s_mul_i32 s10, s10, s50
	v_mov_b32_e32 v2, 0
	s_sub_i32 s10, s76, s10
	v_mov_b32_e32 v3, 0
	s_sub_i32 s11, s10, s50
	s_cmp_ge_u32 s10, s50
	v_mov_b32_e32 v4, 0
	s_cselect_b32 s10, s11, s10
	s_mov_b32 s78, exec_lo
	s_sub_i32 s11, s10, s50
	s_cmp_ge_u32 s10, s50
	s_cselect_b32 s10, s11, s10
	s_sub_i32 s77, s76, s10
	v_cmpx_gt_u32_e64 s77, v18
	s_cbranch_execz .LBB82_58
; %bb.55:                               ;   in Loop: Header=BB82_6 Depth=1
	v_mov_b32_e32 v8, v27
	v_mov_b32_e32 v14, v18
	s_mov_b32 s79, 0
	s_mov_b32 s80, 0
	;; [unrolled: 1-line block ×5, first 2 shown]
.LBB82_56:                              ;   Parent Loop BB82_6 Depth=1
                                        ; =>  This Inner Loop Header: Depth=2
	ds_read_b128 v[1:4], v8
	v_add_nc_u32_e32 v14, s50, v14
	v_add_nc_u32_e32 v8, s63, v8
	v_cmp_le_u32_e32 vcc_lo, s77, v14
	s_waitcnt lgkmcnt(0)
	v_cmp_lt_i32_e64 s10, -1, v1
	v_cmp_o_f32_e64 s13, v1, v1
	v_cmp_o_f32_e64 s11, v3, v3
	;; [unrolled: 1-line block ×3, first 2 shown]
	v_cndmask_b32_e64 v31, -1, 0x80000000, s10
	v_cmp_lt_i32_e64 s10, -1, v2
	v_xor_b32_e32 v31, v31, v1
	v_cndmask_b32_e64 v32, -1, 0x80000000, s10
	v_cmp_lt_i32_e64 s10, -1, v3
	v_cndmask_b32_e64 v1, -1, v31, s13
	v_xor_b32_e32 v32, v32, v2
	v_cndmask_b32_e64 v33, -1, 0x80000000, s10
	v_cmp_lt_i32_e64 s10, -1, v4
	v_and_b32_e32 v31, v1, v29
	v_bfe_u32 v1, v1, s69, 2
	v_cndmask_b32_e64 v34, -1, 0x80000000, s10
	v_cmp_o_f32_e64 s10, v2, v2
	v_xor_b32_e32 v2, v33, v3
	v_cmp_eq_u32_e64 s14, 0, v1
	v_cmp_eq_u32_e64 s18, 1, v1
	v_xor_b32_e32 v3, v34, v4
	v_cndmask_b32_e64 v4, -1, v32, s10
	v_cndmask_b32_e64 v2, -1, v2, s11
	v_cmp_eq_u32_e64 s10, v31, v22
	v_cmp_eq_u32_e64 s22, 2, v1
	v_cndmask_b32_e64 v3, -1, v3, s12
	v_and_b32_e32 v32, v4, v29
	v_bfe_u32 v4, v4, s69, 2
	v_and_b32_e32 v33, v2, v29
	v_bfe_u32 v2, v2, s69, 2
	;; [unrolled: 2-line block ×3, first 2 shown]
	v_cmp_eq_u32_e64 s11, v32, v22
	v_cmp_eq_u32_e64 s15, 0, v4
	;; [unrolled: 1-line block ×4, first 2 shown]
	s_and_b32 s14, s10, s14
	v_cmp_eq_u32_e64 s13, v34, v22
	v_cmp_eq_u32_e64 s17, 0, v3
	v_cmp_eq_u32_e64 s26, 3, v1
	v_cndmask_b32_e64 v1, 0, 1, s14
	s_and_b32 s14, s11, s15
	v_cmp_eq_u32_e64 s20, 1, v2
	v_cmp_eq_u32_e64 s24, 2, v2
	;; [unrolled: 1-line block ×3, first 2 shown]
	v_cndmask_b32_e64 v2, 0, 1, s14
	s_and_b32 s14, s12, s16
	v_cmp_eq_u32_e64 s19, 1, v4
	v_cmp_eq_u32_e64 s21, 1, v3
	;; [unrolled: 1-line block ×4, first 2 shown]
	v_cndmask_b32_e64 v3, 0, 1, s14
	s_and_b32 s14, s13, s17
	v_cmp_eq_u32_e64 s23, 2, v4
	v_cmp_eq_u32_e64 s27, 3, v4
	v_cndmask_b32_e64 v4, 0, 1, s14
	s_and_b32 s14, s10, s18
	v_cndmask_b32_e64 v31, 0, 1, s14
	s_and_b32 s14, s11, s19
	;; [unrolled: 2-line block ×4, first 2 shown]
	v_cmp_ne_u32_e64 s15, 0, v32
	v_cndmask_b32_e64 v34, 0, 1, s14
	s_and_b32 s14, s10, s22
	s_and_b32 s10, s10, s26
	v_cndmask_b32_e64 v35, 0, 1, s14
	s_and_b32 s14, s11, s23
	v_cndmask_b32_e64 v39, 0, 1, s10
	s_and_b32 s10, s11, s27
	v_cndmask_b32_e64 v36, 0, 1, s14
	s_and_b32 s14, s12, s24
	v_cndmask_b32_e64 v40, 0, 1, s10
	s_and_b32 s10, s12, s28
	v_cndmask_b32_e64 v37, 0, 1, s14
	s_and_b32 s14, s13, s25
	v_cndmask_b32_e64 v41, 0, 1, s10
	s_and_b32 s10, s13, s29
	v_cndmask_b32_e64 v38, 0, 1, s14
	v_cndmask_b32_e64 v42, 0, 1, s10
	v_cmp_ne_u32_e64 s10, 0, v1
	v_cmp_ne_u32_e64 s14, 0, v31
	;; [unrolled: 1-line block ×11, first 2 shown]
	s_bcnt1_i32_b32 s10, s10
	s_bcnt1_i32_b32 s14, s14
	s_bcnt1_i32_b32 s18, s18
	s_bcnt1_i32_b32 s22, s22
	v_cmp_ne_u32_e64 s13, 0, v4
	v_cmp_ne_u32_e64 s17, 0, v34
	v_cmp_ne_u32_e64 s21, 0, v38
	v_cmp_ne_u32_e64 s25, 0, v42
	s_bcnt1_i32_b32 s11, s11
	s_bcnt1_i32_b32 s15, s15
	s_bcnt1_i32_b32 s19, s19
	s_bcnt1_i32_b32 s23, s23
	s_add_i32 s10, s10, s83
	s_add_i32 s14, s14, s82
	s_add_i32 s18, s18, s81
	s_add_i32 s22, s22, s80
	s_bcnt1_i32_b32 s12, s12
	s_bcnt1_i32_b32 s16, s16
	s_bcnt1_i32_b32 s20, s20
	s_bcnt1_i32_b32 s24, s24
	s_add_i32 s10, s10, s11
	s_add_i32 s11, s14, s15
	s_add_i32 s14, s18, s19
	s_add_i32 s15, s22, s23
	;; [unrolled: 8-line block ×3, first 2 shown]
	s_add_i32 s83, s10, s13
	s_add_i32 s82, s11, s17
	;; [unrolled: 1-line block ×4, first 2 shown]
	v_mov_b32_e32 v1, s83
	v_mov_b32_e32 v2, s82
	;; [unrolled: 1-line block ×4, first 2 shown]
	s_or_b32 s79, vcc_lo, s79
	s_andn2_b32 exec_lo, exec_lo, s79
	s_cbranch_execnz .LBB82_56
; %bb.57:                               ;   in Loop: Header=BB82_6 Depth=1
	s_or_b32 exec_lo, exec_lo, s79
.LBB82_58:                              ;   in Loop: Header=BB82_6 Depth=1
	s_or_b32 exec_lo, exec_lo, s78
	v_add_nc_u32_e32 v8, s77, v0
	s_mov_b32 s15, exec_lo
	v_cmpx_gt_u32_e64 s76, v8
	s_cbranch_execz .LBB82_62
; %bb.59:                               ;   in Loop: Header=BB82_6 Depth=1
	v_lshlrev_b32_e32 v14, 2, v8
	s_mov_b32 s16, 0
.LBB82_60:                              ;   Parent Loop BB82_6 Depth=1
                                        ; =>  This Inner Loop Header: Depth=2
	ds_read_b32 v31, v14
	v_add_nc_u32_e32 v8, s42, v8
	v_add_nc_u32_e32 v14, s50, v14
	v_cmp_le_u32_e32 vcc_lo, s76, v8
	s_waitcnt lgkmcnt(0)
	v_cmp_lt_i32_e64 s10, -1, v31
	v_cndmask_b32_e64 v32, -1, 0x80000000, s10
	v_cmp_o_f32_e64 s10, v31, v31
	v_xor_b32_e32 v32, v32, v31
	v_cndmask_b32_e64 v31, -1, v32, s10
	v_and_b32_e32 v32, v31, v29
	v_bfe_u32 v31, v31, s69, 2
	v_cmp_eq_u32_e64 s10, v32, v22
	v_cmp_eq_u32_e64 s11, 0, v31
	;; [unrolled: 1-line block ×5, first 2 shown]
	s_and_b32 s11, s10, s11
	v_cndmask_b32_e64 v31, 0, 1, s11
	s_and_b32 s11, s10, s12
	v_cndmask_b32_e64 v32, 0, 1, s11
	s_and_b32 s11, s10, s13
	s_and_b32 s10, s10, s14
	v_cndmask_b32_e64 v33, 0, 1, s11
	v_cndmask_b32_e64 v34, 0, 1, s10
	v_cmp_ne_u32_e64 s10, 0, v31
	v_cmp_ne_u32_e64 s11, 0, v32
	v_cmp_ne_u32_e64 s12, 0, v33
	v_cmp_ne_u32_e64 s13, 0, v34
	s_bcnt1_i32_b32 s10, s10
	s_bcnt1_i32_b32 s11, s11
	v_add_nc_u32_e32 v1, s10, v1
	s_bcnt1_i32_b32 s12, s12
	s_bcnt1_i32_b32 s13, s13
	v_add_nc_u32_e32 v2, s11, v2
	v_add_nc_u32_e32 v3, s12, v3
	v_add_nc_u32_e32 v4, s13, v4
	s_or_b32 s16, vcc_lo, s16
	s_andn2_b32 exec_lo, exec_lo, s16
	s_cbranch_execnz .LBB82_60
; %bb.61:                               ;   in Loop: Header=BB82_6 Depth=1
	s_or_b32 exec_lo, exec_lo, s16
.LBB82_62:                              ;   in Loop: Header=BB82_6 Depth=1
	s_or_b32 exec_lo, exec_lo, s15
	s_lshl_b32 s10, s65, 7
	s_and_saveexec_b32 s11, s0
	s_cbranch_execnz .LBB82_36
	s_branch .LBB82_37
.LBB82_63:                              ;   in Loop: Header=BB82_6 Depth=1
	v_mov_b32_e32 v1, 0
	s_mov_b32 s12, 0
	s_andn2_b32 vcc_lo, exec_lo, s57
	s_cbranch_vccnz .LBB82_66
.LBB82_64:                              ;   in Loop: Header=BB82_6 Depth=1
	s_lshl_b32 s13, s65, 9
	s_lshl_b32 s12, s12, 4
	v_add3_u32 v2, s13, s12, v28
	s_mov_b32 s12, s55
.LBB82_65:                              ;   Parent Loop BB82_6 Depth=1
                                        ; =>  This Inner Loop Header: Depth=2
	ds_read_b32 v3, v2
	v_add_nc_u32_e32 v2, 16, v2
	s_add_i32 s12, s12, -1
	s_cmp_lg_u32 s12, 0
	s_waitcnt lgkmcnt(0)
	v_add_nc_u32_e32 v1, v3, v1
	s_cbranch_scc1 .LBB82_65
.LBB82_66:                              ;   in Loop: Header=BB82_6 Depth=1
	v_add_lshl_u32 v2, s10, v17, 2
	ds_write_b32 v2, v1 offset:3072
.LBB82_67:                              ;   in Loop: Header=BB82_6 Depth=1
	s_or_b32 exec_lo, exec_lo, s11
	s_lshl_b32 s10, s10, 2
	s_waitcnt lgkmcnt(0)
	v_mov_b32_e32 v1, s10
	s_barrier
	buffer_gl0_inv
	v_cmp_eq_u32_e64 s10, 1, v30
	s_lshl_b32 s14, 3, s69
	ds_read_b128 v[1:4], v1 offset:3072
	s_mov_b32 s22, -1
	s_not_b32 s15, s14
	s_mov_b32 s12, 0
	s_andn2_b32 vcc_lo, exec_lo, s48
	s_mov_b32 s19, 0
	s_mov_b32 s11, 0
                                        ; implicit-def: $sgpr20
                                        ; implicit-def: $sgpr21
                                        ; implicit-def: $vgpr32
                                        ; implicit-def: $vgpr31
	s_waitcnt lgkmcnt(0)
	v_readfirstlane_b32 s13, v1
	v_readfirstlane_b32 s16, v2
	;; [unrolled: 1-line block ×4, first 2 shown]
                                        ; implicit-def: $vgpr3
                                        ; implicit-def: $vgpr4
                                        ; implicit-def: $vgpr2
	s_cbranch_vccnz .LBB82_236
; %bb.68:                               ;   in Loop: Header=BB82_6 Depth=1
	s_cmp_eq_u32 s13, 1
	v_mov_b32_e32 v4, v22
	v_mov_b32_e32 v31, v29
	v_mov_b32_e32 v2, v15
	s_cselect_b32 s11, -1, 0
	s_mov_b32 s25, -1
	s_and_b32 s24, s11, s10
                                        ; implicit-def: $sgpr21
                                        ; implicit-def: $sgpr20
	s_and_saveexec_b32 s11, s24
	s_cbranch_execz .LBB82_99
; %bb.69:                               ;   in Loop: Header=BB82_6 Depth=1
	ds_read_b32 v1, v9 offset:4096
	s_waitcnt lgkmcnt(0)
	s_barrier
	buffer_gl0_inv
	v_readfirstlane_b32 s22, v1
	s_and_saveexec_b32 s19, s6
; %bb.70:                               ;   in Loop: Header=BB82_6 Depth=1
	ds_write_b32 v20, v9
; %bb.71:                               ;   in Loop: Header=BB82_6 Depth=1
	s_or_b32 exec_lo, exec_lo, s19
	v_and_b32_e32 v4, s15, v22
	v_or_b32_e32 v31, s14, v29
	s_mov_b32 s20, -1
	s_mov_b32 s21, 0
	s_cmp_eq_u32 s22, 0
	s_mov_b32 s19, 0
	s_mov_b32 s23, -1
	s_waitcnt lgkmcnt(0)
	s_barrier
	buffer_gl0_inv
                                        ; implicit-def: $vgpr2
	s_cbranch_scc1 .LBB82_86
; %bb.72:                               ;   in Loop: Header=BB82_6 Depth=1
	s_add_i32 s19, s22, s54
                                        ; implicit-def: $vgpr2
	s_mul_hi_u32 s23, s19, s60
	s_mul_i32 s23, s23, s42
	s_sub_i32 s23, s19, s23
	s_sub_i32 s25, s23, s42
	s_cmp_ge_u32 s23, s42
	s_cselect_b32 s23, s25, s23
	s_sub_i32 s25, s23, s42
	s_cmp_ge_u32 s23, s42
	s_cselect_b32 s23, s25, s23
	s_mov_b32 s25, exec_lo
	s_sub_i32 s26, s19, s23
	s_mov_b32 s23, 0
	s_mov_b32 s19, 0
	v_cmpx_gt_u32_e64 s26, v0
	s_cbranch_execz .LBB82_85
; %bb.73:                               ;   in Loop: Header=BB82_6 Depth=1
	v_mov_b32_e32 v3, v18
	v_mov_b32_e32 v8, v0
                                        ; implicit-def: $sgpr27
	s_inst_prefetch 0x1
	s_branch .LBB82_77
	.p2align	6
.LBB82_74:                              ;   in Loop: Header=BB82_77 Depth=2
	s_or_b32 exec_lo, exec_lo, s28
	s_waitcnt lgkmcnt(0)
	s_barrier
	buffer_gl0_inv
	ds_read_b64 v[1:2], v9 offset:3072
	s_waitcnt lgkmcnt(0)
	s_barrier
	buffer_gl0_inv
	v_cmp_neq_f32_e32 vcc_lo, 0, v1
	s_cbranch_vccnz .LBB82_80
; %bb.75:                               ;   in Loop: Header=BB82_77 Depth=2
	v_add_nc_u32_e32 v8, s42, v8
	v_add_nc_u32_e32 v3, s50, v3
	s_mov_b32 s28, 0
	v_cmp_le_u32_e32 vcc_lo, s26, v8
	s_orn2_b32 s29, vcc_lo, exec_lo
.LBB82_76:                              ;   in Loop: Header=BB82_77 Depth=2
	s_and_b32 s29, exec_lo, s29
	s_or_b32 s19, s29, s19
	s_andn2_b32 s27, s27, exec_lo
	s_and_b32 s28, s28, exec_lo
	s_or_b32 s27, s27, s28
	s_andn2_b32 exec_lo, exec_lo, s19
	s_cbranch_execz .LBB82_84
.LBB82_77:                              ;   Parent Loop BB82_6 Depth=1
                                        ; =>  This Inner Loop Header: Depth=2
	s_mov_b32 s28, exec_lo
	v_cmpx_gt_u32_e64 s22, v8
	s_cbranch_execz .LBB82_74
; %bb.78:                               ;   in Loop: Header=BB82_77 Depth=2
	ds_read_b32 v14, v3
	s_waitcnt lgkmcnt(0)
	v_cmp_lt_i32_e32 vcc_lo, -1, v14
	v_cndmask_b32_e64 v1, -1, 0x80000000, vcc_lo
	v_cmp_o_f32_e32 vcc_lo, v14, v14
	v_xor_b32_e32 v1, v1, v14
	v_cndmask_b32_e32 v1, -1, v1, vcc_lo
	v_and_b32_e32 v1, v1, v31
	v_cmp_eq_u32_e32 vcc_lo, v1, v4
	s_and_b32 exec_lo, exec_lo, vcc_lo
	s_cbranch_execz .LBB82_74
; %bb.79:                               ;   in Loop: Header=BB82_77 Depth=2
	ds_write_b64 v9, v[13:14] offset:3072
	s_branch .LBB82_74
.LBB82_80:                              ;   in Loop: Header=BB82_77 Depth=2
	s_mov_b32 s29, -1
	s_mov_b32 s28, -1
                                        ; implicit-def: $vgpr8
                                        ; implicit-def: $vgpr3
	s_branch .LBB82_76
.LBB82_81:                              ;   in Loop: Header=BB82_6 Depth=1
	s_or_b32 exec_lo, exec_lo, s13
	s_waitcnt lgkmcnt(0)
	s_barrier
	buffer_gl0_inv
	s_and_saveexec_b32 s10, s3
	s_cbranch_execz .LBB82_83
; %bb.82:                               ;   in Loop: Header=BB82_6 Depth=1
	ds_read_b32 v1, v9 offset:4104
	s_waitcnt lgkmcnt(0)
	ds_write_b32 v9, v1 offset:4096
.LBB82_83:                              ;   in Loop: Header=BB82_6 Depth=1
	s_or_b32 exec_lo, exec_lo, s10
	s_waitcnt lgkmcnt(0)
	s_mov_b32 s10, -1
	s_barrier
	s_and_b32 vcc_lo, exec_lo, s12
	s_cbranch_vccnz .LBB82_22
	s_branch .LBB82_31
.LBB82_84:                              ;   in Loop: Header=BB82_6 Depth=1
	s_inst_prefetch 0x2
	s_or_b32 exec_lo, exec_lo, s19
	s_and_b32 s19, s27, exec_lo
.LBB82_85:                              ;   in Loop: Header=BB82_6 Depth=1
	s_or_b32 exec_lo, exec_lo, s25
.LBB82_86:                              ;   in Loop: Header=BB82_6 Depth=1
	s_and_b32 vcc_lo, exec_lo, s23
	s_cbranch_vccz .LBB82_98
; %bb.87:                               ;   in Loop: Header=BB82_6 Depth=1
                                        ; implicit-def: $vgpr2
	s_and_saveexec_b32 s20, s9
	s_cbranch_execz .LBB82_97
; %bb.88:                               ;   in Loop: Header=BB82_6 Depth=1
	v_mov_b32_e32 v8, v7
	v_mov_b32_e32 v3, v0
	s_mov_b32 s21, 0
                                        ; implicit-def: $sgpr22
	s_branch .LBB82_92
.LBB82_89:                              ;   in Loop: Header=BB82_92 Depth=2
	s_or_b32 exec_lo, exec_lo, s23
	s_waitcnt lgkmcnt(0)
	s_barrier
	buffer_gl0_inv
	ds_read_b64 v[1:2], v9 offset:3072
	s_waitcnt lgkmcnt(0)
	s_barrier
	buffer_gl0_inv
	v_cmp_neq_f32_e32 vcc_lo, 0, v1
	s_cbranch_vccnz .LBB82_95
; %bb.90:                               ;   in Loop: Header=BB82_92 Depth=2
	v_add_nc_u32_e32 v3, s42, v3
	v_add_nc_u32_e32 v8, s44, v8
	s_mov_b32 s23, 0
	v_cmp_le_u32_e32 vcc_lo, s61, v3
	s_orn2_b32 s25, vcc_lo, exec_lo
.LBB82_91:                              ;   in Loop: Header=BB82_92 Depth=2
	s_and_b32 s25, exec_lo, s25
	s_or_b32 s21, s25, s21
	s_andn2_b32 s22, s22, exec_lo
	s_and_b32 s23, s23, exec_lo
	s_or_b32 s22, s22, s23
	s_andn2_b32 exec_lo, exec_lo, s21
	s_cbranch_execz .LBB82_96
.LBB82_92:                              ;   Parent Loop BB82_6 Depth=1
                                        ; =>  This Inner Loop Header: Depth=2
	s_mov_b32 s23, exec_lo
	v_cmpx_gt_u32_e64 s36, v3
	s_cbranch_execz .LBB82_89
; %bb.93:                               ;   in Loop: Header=BB82_92 Depth=2
	v_lshlrev_b64 v[1:2], 2, v[8:9]
	v_add_co_u32 v1, vcc_lo, s31, v1
	v_add_co_ci_u32_e64 v2, null, s33, v2, vcc_lo
	global_load_dword v14, v[1:2], off
	s_waitcnt vmcnt(0)
	v_cmp_lt_i32_e32 vcc_lo, -1, v14
	v_cndmask_b32_e64 v1, -1, 0x80000000, vcc_lo
	v_cmp_o_f32_e32 vcc_lo, v14, v14
	v_xor_b32_e32 v1, v1, v14
	v_cndmask_b32_e32 v1, -1, v1, vcc_lo
	v_and_b32_e32 v1, v1, v31
	v_cmp_eq_u32_e32 vcc_lo, v1, v4
	s_and_b32 exec_lo, exec_lo, vcc_lo
	s_cbranch_execz .LBB82_89
; %bb.94:                               ;   in Loop: Header=BB82_92 Depth=2
	ds_write_b64 v9, v[13:14] offset:3072
	s_branch .LBB82_89
.LBB82_95:                              ;   in Loop: Header=BB82_92 Depth=2
	s_mov_b32 s25, -1
	s_mov_b32 s23, -1
                                        ; implicit-def: $vgpr3
	s_branch .LBB82_91
.LBB82_96:                              ;   in Loop: Header=BB82_6 Depth=1
	s_or_b32 exec_lo, exec_lo, s21
	s_andn2_b32 s19, s19, exec_lo
	s_and_b32 s21, s22, exec_lo
	s_or_b32 s19, s19, s21
.LBB82_97:                              ;   in Loop: Header=BB82_6 Depth=1
	s_or_b32 exec_lo, exec_lo, s20
	s_mov_b32 s20, 0
	s_mov_b32 s21, -1
.LBB82_98:                              ;   in Loop: Header=BB82_6 Depth=1
	s_orn2_b32 s25, s19, exec_lo
.LBB82_99:                              ;   in Loop: Header=BB82_6 Depth=1
	s_or_b32 exec_lo, exec_lo, s11
	s_mov_b32 s22, 0
	s_mov_b32 s19, 0
	;; [unrolled: 1-line block ×3, first 2 shown]
                                        ; implicit-def: $vgpr32
                                        ; implicit-def: $vgpr3
	s_and_saveexec_b32 s23, s25
	s_cbranch_execz .LBB82_235
; %bb.100:                              ;   in Loop: Header=BB82_6 Depth=1
	v_mov_b32_e32 v32, 1
	v_mov_b32_e32 v3, 1
	s_xor_b32 s19, s24, -1
	s_mov_b32 s26, 0
	s_and_saveexec_b32 s11, s19
	s_cbranch_execz .LBB82_109
; %bb.101:                              ;   in Loop: Header=BB82_6 Depth=1
	s_mov_b32 s19, exec_lo
	v_cmpx_ge_u32_e64 s13, v30
	s_xor_b32 s19, exec_lo, s19
	s_cbranch_execz .LBB82_106
; %bb.102:                              ;   in Loop: Header=BB82_6 Depth=1
	ds_read_b32 v1, v9 offset:4096
	v_and_b32_e32 v4, s15, v4
	v_or_b32_e32 v31, s14, v31
	s_waitcnt lgkmcnt(0)
	v_cmp_ne_u32_e32 vcc_lo, 0, v1
	s_cbranch_vccnz .LBB82_106
; %bb.103:                              ;   in Loop: Header=BB82_6 Depth=1
	s_and_saveexec_b32 s24, s3
; %bb.104:                              ;   in Loop: Header=BB82_6 Depth=1
	v_mov_b32_e32 v1, s13
	ds_write_b32 v9, v1 offset:4100
; %bb.105:                              ;   in Loop: Header=BB82_6 Depth=1
	s_or_b32 exec_lo, exec_lo, s24
	s_waitcnt lgkmcnt(0)
	s_barrier
	buffer_gl0_inv
.LBB82_106:                             ;   in Loop: Header=BB82_6 Depth=1
	s_or_saveexec_b32 s19, s19
	v_mov_b32_e32 v3, 8
	v_mov_b32_e32 v32, v30
	s_mov_b32 s24, 0
	s_xor_b32 exec_lo, exec_lo, s19
; %bb.107:                              ;   in Loop: Header=BB82_6 Depth=1
	v_subrev_nc_u32_e32 v32, s13, v30
	v_mov_b32_e32 v3, 0
	s_mov_b32 s24, exec_lo
; %bb.108:                              ;   in Loop: Header=BB82_6 Depth=1
	s_or_b32 exec_lo, exec_lo, s19
	s_and_b32 s26, s24, exec_lo
.LBB82_109:                             ;   in Loop: Header=BB82_6 Depth=1
	s_or_b32 exec_lo, exec_lo, s11
	s_mov_b32 s25, -1
                                        ; implicit-def: $sgpr19
                                        ; implicit-def: $sgpr24
	s_and_saveexec_b32 s11, s26
	s_xor_b32 s11, exec_lo, s11
	s_cbranch_execz .LBB82_232
; %bb.110:                              ;   in Loop: Header=BB82_6 Depth=1
	v_cmp_eq_u32_e32 vcc_lo, 1, v32
	s_cmp_eq_u32 s16, 1
	s_mov_b32 s27, -1
	s_cselect_b32 s19, -1, 0
                                        ; implicit-def: $sgpr24
	s_and_b32 s26, s19, vcc_lo
                                        ; implicit-def: $sgpr19
	s_and_saveexec_b32 s25, s26
	s_cbranch_execz .LBB82_138
; %bb.111:                              ;   in Loop: Header=BB82_6 Depth=1
	ds_read_b32 v1, v9 offset:4096
	s_waitcnt lgkmcnt(0)
	s_barrier
	buffer_gl0_inv
	v_readfirstlane_b32 s28, v1
	s_and_saveexec_b32 s19, s6
; %bb.112:                              ;   in Loop: Header=BB82_6 Depth=1
	ds_write_b32 v20, v9
; %bb.113:                              ;   in Loop: Header=BB82_6 Depth=1
	s_or_b32 exec_lo, exec_lo, s19
	s_lshl_b32 s19, 1, s69
	v_or_b32_e32 v31, s14, v31
	v_and_or_b32 v4, v4, s15, s19
	s_mov_b32 s19, -1
	s_mov_b32 s24, 0
	s_cmp_eq_u32 s28, 0
	s_mov_b32 s27, 0
	s_mov_b32 s29, -1
	s_waitcnt lgkmcnt(0)
	s_barrier
	buffer_gl0_inv
                                        ; implicit-def: $vgpr2
	s_cbranch_scc1 .LBB82_125
; %bb.114:                              ;   in Loop: Header=BB82_6 Depth=1
	s_add_i32 s27, s28, s54
                                        ; implicit-def: $vgpr2
	s_mul_hi_u32 s29, s27, s60
	s_mul_i32 s29, s29, s42
	s_sub_i32 s29, s27, s29
	s_sub_i32 s76, s29, s42
	s_cmp_ge_u32 s29, s42
	s_cselect_b32 s29, s76, s29
	s_sub_i32 s76, s29, s42
	s_cmp_ge_u32 s29, s42
	s_cselect_b32 s29, s76, s29
	s_mov_b32 s76, exec_lo
	s_sub_i32 s77, s27, s29
	s_mov_b32 s29, 0
	s_mov_b32 s27, 0
	v_cmpx_gt_u32_e64 s77, v0
	s_cbranch_execz .LBB82_124
; %bb.115:                              ;   in Loop: Header=BB82_6 Depth=1
	v_mov_b32_e32 v8, v18
	v_mov_b32_e32 v33, v0
                                        ; implicit-def: $sgpr78
	s_inst_prefetch 0x1
	s_branch .LBB82_119
	.p2align	6
.LBB82_116:                             ;   in Loop: Header=BB82_119 Depth=2
	s_or_b32 exec_lo, exec_lo, s79
	s_waitcnt lgkmcnt(0)
	s_barrier
	buffer_gl0_inv
	ds_read_b64 v[1:2], v9 offset:3072
	s_waitcnt lgkmcnt(0)
	s_barrier
	buffer_gl0_inv
	v_cmp_neq_f32_e32 vcc_lo, 0, v1
	s_cbranch_vccnz .LBB82_122
; %bb.117:                              ;   in Loop: Header=BB82_119 Depth=2
	v_add_nc_u32_e32 v33, s42, v33
	v_add_nc_u32_e32 v8, s50, v8
	s_mov_b32 s79, 0
	v_cmp_le_u32_e32 vcc_lo, s77, v33
	s_orn2_b32 s80, vcc_lo, exec_lo
.LBB82_118:                             ;   in Loop: Header=BB82_119 Depth=2
	s_and_b32 s80, exec_lo, s80
	s_or_b32 s27, s80, s27
	s_andn2_b32 s78, s78, exec_lo
	s_and_b32 s79, s79, exec_lo
	s_or_b32 s78, s78, s79
	s_andn2_b32 exec_lo, exec_lo, s27
	s_cbranch_execz .LBB82_123
.LBB82_119:                             ;   Parent Loop BB82_6 Depth=1
                                        ; =>  This Inner Loop Header: Depth=2
	s_mov_b32 s79, exec_lo
	v_cmpx_gt_u32_e64 s28, v33
	s_cbranch_execz .LBB82_116
; %bb.120:                              ;   in Loop: Header=BB82_119 Depth=2
	ds_read_b32 v14, v8
	s_waitcnt lgkmcnt(0)
	v_cmp_lt_i32_e32 vcc_lo, -1, v14
	v_cndmask_b32_e64 v1, -1, 0x80000000, vcc_lo
	v_cmp_o_f32_e32 vcc_lo, v14, v14
	v_xor_b32_e32 v1, v1, v14
	v_cndmask_b32_e32 v1, -1, v1, vcc_lo
	v_and_b32_e32 v1, v1, v31
	v_cmp_eq_u32_e32 vcc_lo, v1, v4
	s_and_b32 exec_lo, exec_lo, vcc_lo
	s_cbranch_execz .LBB82_116
; %bb.121:                              ;   in Loop: Header=BB82_119 Depth=2
	ds_write_b64 v9, v[13:14] offset:3072
	s_branch .LBB82_116
.LBB82_122:                             ;   in Loop: Header=BB82_119 Depth=2
	s_mov_b32 s80, -1
	s_mov_b32 s79, -1
                                        ; implicit-def: $vgpr33
                                        ; implicit-def: $vgpr8
	s_branch .LBB82_118
.LBB82_123:                             ;   in Loop: Header=BB82_6 Depth=1
	s_inst_prefetch 0x2
	s_or_b32 exec_lo, exec_lo, s27
	s_and_b32 s27, s78, exec_lo
.LBB82_124:                             ;   in Loop: Header=BB82_6 Depth=1
	s_or_b32 exec_lo, exec_lo, s76
.LBB82_125:                             ;   in Loop: Header=BB82_6 Depth=1
	s_and_b32 vcc_lo, exec_lo, s29
	s_cbranch_vccz .LBB82_137
; %bb.126:                              ;   in Loop: Header=BB82_6 Depth=1
                                        ; implicit-def: $vgpr2
	s_and_saveexec_b32 s19, s9
	s_cbranch_execz .LBB82_136
; %bb.127:                              ;   in Loop: Header=BB82_6 Depth=1
	v_mov_b32_e32 v8, v7
	v_mov_b32_e32 v33, v0
	s_mov_b32 s24, 0
                                        ; implicit-def: $sgpr28
	s_branch .LBB82_131
.LBB82_128:                             ;   in Loop: Header=BB82_131 Depth=2
	s_or_b32 exec_lo, exec_lo, s29
	s_waitcnt lgkmcnt(0)
	s_barrier
	buffer_gl0_inv
	ds_read_b64 v[1:2], v9 offset:3072
	s_waitcnt lgkmcnt(0)
	s_barrier
	buffer_gl0_inv
	v_cmp_eq_f32_e32 vcc_lo, 0, v1
	s_cbranch_vccz .LBB82_134
; %bb.129:                              ;   in Loop: Header=BB82_131 Depth=2
	v_add_nc_u32_e32 v33, s42, v33
	v_add_nc_u32_e32 v8, s44, v8
	s_mov_b32 s29, 0
	v_cmp_le_u32_e32 vcc_lo, s61, v33
	s_orn2_b32 s76, vcc_lo, exec_lo
.LBB82_130:                             ;   in Loop: Header=BB82_131 Depth=2
	s_and_b32 s76, exec_lo, s76
	s_or_b32 s24, s76, s24
	s_andn2_b32 s28, s28, exec_lo
	s_and_b32 s29, s29, exec_lo
	s_or_b32 s28, s28, s29
	s_andn2_b32 exec_lo, exec_lo, s24
	s_cbranch_execz .LBB82_135
.LBB82_131:                             ;   Parent Loop BB82_6 Depth=1
                                        ; =>  This Inner Loop Header: Depth=2
	s_mov_b32 s29, exec_lo
	v_cmpx_gt_u32_e64 s36, v33
	s_cbranch_execz .LBB82_128
; %bb.132:                              ;   in Loop: Header=BB82_131 Depth=2
	v_lshlrev_b64 v[1:2], 2, v[8:9]
	v_add_co_u32 v1, vcc_lo, s31, v1
	v_add_co_ci_u32_e64 v2, null, s33, v2, vcc_lo
	global_load_dword v14, v[1:2], off
	s_waitcnt vmcnt(0)
	v_cmp_lt_i32_e32 vcc_lo, -1, v14
	v_cndmask_b32_e64 v1, -1, 0x80000000, vcc_lo
	v_cmp_o_f32_e32 vcc_lo, v14, v14
	v_xor_b32_e32 v1, v1, v14
	v_cndmask_b32_e32 v1, -1, v1, vcc_lo
	v_and_b32_e32 v1, v1, v31
	v_cmp_eq_u32_e32 vcc_lo, v1, v4
	s_and_b32 exec_lo, exec_lo, vcc_lo
	s_cbranch_execz .LBB82_128
; %bb.133:                              ;   in Loop: Header=BB82_131 Depth=2
	ds_write_b64 v9, v[13:14] offset:3072
	s_branch .LBB82_128
.LBB82_134:                             ;   in Loop: Header=BB82_131 Depth=2
	s_mov_b32 s76, -1
	s_mov_b32 s29, -1
                                        ; implicit-def: $vgpr33
	s_branch .LBB82_130
.LBB82_135:                             ;   in Loop: Header=BB82_6 Depth=1
	s_or_b32 exec_lo, exec_lo, s24
	s_andn2_b32 s24, s27, exec_lo
	s_and_b32 s27, s28, exec_lo
	s_or_b32 s27, s24, s27
.LBB82_136:                             ;   in Loop: Header=BB82_6 Depth=1
	s_or_b32 exec_lo, exec_lo, s19
	s_mov_b32 s19, 0
	s_mov_b32 s24, -1
.LBB82_137:                             ;   in Loop: Header=BB82_6 Depth=1
	s_orn2_b32 s27, s27, exec_lo
.LBB82_138:                             ;   in Loop: Header=BB82_6 Depth=1
	s_or_b32 exec_lo, exec_lo, s25
	s_mov_b32 s28, 0
	s_and_saveexec_b32 s25, s27
	s_cbranch_execz .LBB82_231
; %bb.139:                              ;   in Loop: Header=BB82_6 Depth=1
	v_mov_b32_e32 v33, 1
	v_mov_b32_e32 v3, 1
	s_xor_b32 s27, s26, -1
	s_mov_b32 s76, 0
	s_and_saveexec_b32 s26, s27
	s_cbranch_execz .LBB82_148
; %bb.140:                              ;   in Loop: Header=BB82_6 Depth=1
	s_mov_b32 s27, exec_lo
	v_cmpx_ge_u32_e64 s16, v32
	s_xor_b32 s27, exec_lo, s27
	s_cbranch_execz .LBB82_145
; %bb.141:                              ;   in Loop: Header=BB82_6 Depth=1
	ds_read_b32 v1, v9 offset:4096
	s_lshl_b32 s28, 1, s69
	v_or_b32_e32 v31, s14, v31
	v_and_or_b32 v4, v4, s15, s28
	s_waitcnt lgkmcnt(0)
	v_cmp_ne_u32_e32 vcc_lo, 0, v1
	s_cbranch_vccnz .LBB82_145
; %bb.142:                              ;   in Loop: Header=BB82_6 Depth=1
	s_and_saveexec_b32 s28, s3
; %bb.143:                              ;   in Loop: Header=BB82_6 Depth=1
	v_mov_b32_e32 v1, s16
	ds_write_b32 v9, v1 offset:4100
; %bb.144:                              ;   in Loop: Header=BB82_6 Depth=1
	s_or_b32 exec_lo, exec_lo, s28
	s_waitcnt lgkmcnt(0)
	s_barrier
	buffer_gl0_inv
.LBB82_145:                             ;   in Loop: Header=BB82_6 Depth=1
	s_or_saveexec_b32 s27, s27
	v_mov_b32_e32 v3, 8
	s_mov_b32 s28, 0
	s_xor_b32 exec_lo, exec_lo, s27
; %bb.146:                              ;   in Loop: Header=BB82_6 Depth=1
	v_subrev_nc_u32_e32 v32, s16, v32
	v_mov_b32_e32 v3, 0
	s_mov_b32 s28, exec_lo
; %bb.147:                              ;   in Loop: Header=BB82_6 Depth=1
	s_or_b32 exec_lo, exec_lo, s27
	v_mov_b32_e32 v33, v32
	s_and_b32 s76, s28, exec_lo
.LBB82_148:                             ;   in Loop: Header=BB82_6 Depth=1
	s_or_b32 exec_lo, exec_lo, s26
	s_mov_b32 s29, -1
                                        ; implicit-def: $sgpr27
                                        ; implicit-def: $sgpr28
	s_and_saveexec_b32 s26, s76
	s_cbranch_execz .LBB82_230
; %bb.149:                              ;   in Loop: Header=BB82_6 Depth=1
	v_cmp_eq_u32_e32 vcc_lo, 1, v33
	s_cmp_eq_u32 s17, 1
	s_mov_b32 s77, -1
	s_cselect_b32 s27, -1, 0
                                        ; implicit-def: $sgpr28
	s_and_b32 s76, s27, vcc_lo
                                        ; implicit-def: $sgpr27
	s_and_saveexec_b32 s29, s76
	s_cbranch_execz .LBB82_177
; %bb.150:                              ;   in Loop: Header=BB82_6 Depth=1
	ds_read_b32 v1, v9 offset:4096
	s_waitcnt lgkmcnt(0)
	s_barrier
	buffer_gl0_inv
	v_readfirstlane_b32 s78, v1
	s_and_saveexec_b32 s27, s6
; %bb.151:                              ;   in Loop: Header=BB82_6 Depth=1
	ds_write_b32 v20, v9
; %bb.152:                              ;   in Loop: Header=BB82_6 Depth=1
	s_or_b32 exec_lo, exec_lo, s27
	s_lshl_b32 s27, 2, s69
	v_or_b32_e32 v31, s14, v31
	v_and_or_b32 v4, v4, s15, s27
	s_mov_b32 s27, -1
	s_mov_b32 s28, 0
	s_cmp_eq_u32 s78, 0
	s_mov_b32 s77, 0
	s_mov_b32 s79, -1
	s_waitcnt lgkmcnt(0)
	s_barrier
	buffer_gl0_inv
                                        ; implicit-def: $vgpr2
	s_cbranch_scc1 .LBB82_164
; %bb.153:                              ;   in Loop: Header=BB82_6 Depth=1
	s_add_i32 s77, s78, s54
                                        ; implicit-def: $vgpr2
	s_mul_hi_u32 s79, s77, s60
	s_mul_i32 s79, s79, s42
	s_sub_i32 s79, s77, s79
	s_sub_i32 s80, s79, s42
	s_cmp_ge_u32 s79, s42
	s_cselect_b32 s79, s80, s79
	s_sub_i32 s80, s79, s42
	s_cmp_ge_u32 s79, s42
	s_cselect_b32 s79, s80, s79
	s_mov_b32 s80, exec_lo
	s_sub_i32 s81, s77, s79
	s_mov_b32 s79, 0
	s_mov_b32 s77, 0
	v_cmpx_gt_u32_e64 s81, v0
	s_cbranch_execz .LBB82_163
; %bb.154:                              ;   in Loop: Header=BB82_6 Depth=1
	v_mov_b32_e32 v8, v18
	v_mov_b32_e32 v32, v0
                                        ; implicit-def: $sgpr82
	s_inst_prefetch 0x1
	s_branch .LBB82_158
	.p2align	6
.LBB82_155:                             ;   in Loop: Header=BB82_158 Depth=2
	s_or_b32 exec_lo, exec_lo, s83
	s_waitcnt lgkmcnt(0)
	s_barrier
	buffer_gl0_inv
	ds_read_b64 v[1:2], v9 offset:3072
	s_waitcnt lgkmcnt(0)
	s_barrier
	buffer_gl0_inv
	v_cmp_neq_f32_e32 vcc_lo, 0, v1
	s_cbranch_vccnz .LBB82_161
; %bb.156:                              ;   in Loop: Header=BB82_158 Depth=2
	v_add_nc_u32_e32 v32, s42, v32
	v_add_nc_u32_e32 v8, s50, v8
	s_mov_b32 s83, 0
	v_cmp_le_u32_e32 vcc_lo, s81, v32
	s_orn2_b32 s84, vcc_lo, exec_lo
.LBB82_157:                             ;   in Loop: Header=BB82_158 Depth=2
	s_and_b32 s84, exec_lo, s84
	s_or_b32 s77, s84, s77
	s_andn2_b32 s82, s82, exec_lo
	s_and_b32 s83, s83, exec_lo
	s_or_b32 s82, s82, s83
	s_andn2_b32 exec_lo, exec_lo, s77
	s_cbranch_execz .LBB82_162
.LBB82_158:                             ;   Parent Loop BB82_6 Depth=1
                                        ; =>  This Inner Loop Header: Depth=2
	s_mov_b32 s83, exec_lo
	v_cmpx_gt_u32_e64 s78, v32
	s_cbranch_execz .LBB82_155
; %bb.159:                              ;   in Loop: Header=BB82_158 Depth=2
	ds_read_b32 v14, v8
	s_waitcnt lgkmcnt(0)
	v_cmp_lt_i32_e32 vcc_lo, -1, v14
	v_cndmask_b32_e64 v1, -1, 0x80000000, vcc_lo
	v_cmp_o_f32_e32 vcc_lo, v14, v14
	v_xor_b32_e32 v1, v1, v14
	v_cndmask_b32_e32 v1, -1, v1, vcc_lo
	v_and_b32_e32 v1, v1, v31
	v_cmp_eq_u32_e32 vcc_lo, v1, v4
	s_and_b32 exec_lo, exec_lo, vcc_lo
	s_cbranch_execz .LBB82_155
; %bb.160:                              ;   in Loop: Header=BB82_158 Depth=2
	ds_write_b64 v9, v[13:14] offset:3072
	s_branch .LBB82_155
.LBB82_161:                             ;   in Loop: Header=BB82_158 Depth=2
	s_mov_b32 s84, -1
	s_mov_b32 s83, -1
                                        ; implicit-def: $vgpr32
                                        ; implicit-def: $vgpr8
	s_branch .LBB82_157
.LBB82_162:                             ;   in Loop: Header=BB82_6 Depth=1
	s_inst_prefetch 0x2
	s_or_b32 exec_lo, exec_lo, s77
	s_and_b32 s77, s82, exec_lo
.LBB82_163:                             ;   in Loop: Header=BB82_6 Depth=1
	s_or_b32 exec_lo, exec_lo, s80
.LBB82_164:                             ;   in Loop: Header=BB82_6 Depth=1
	s_and_b32 vcc_lo, exec_lo, s79
	s_cbranch_vccz .LBB82_176
; %bb.165:                              ;   in Loop: Header=BB82_6 Depth=1
                                        ; implicit-def: $vgpr2
	s_and_saveexec_b32 s27, s9
	s_cbranch_execz .LBB82_175
; %bb.166:                              ;   in Loop: Header=BB82_6 Depth=1
	v_mov_b32_e32 v8, v7
	v_mov_b32_e32 v32, v0
	s_mov_b32 s28, 0
                                        ; implicit-def: $sgpr78
	s_branch .LBB82_170
.LBB82_167:                             ;   in Loop: Header=BB82_170 Depth=2
	s_or_b32 exec_lo, exec_lo, s79
	s_waitcnt lgkmcnt(0)
	s_barrier
	buffer_gl0_inv
	ds_read_b64 v[1:2], v9 offset:3072
	s_waitcnt lgkmcnt(0)
	s_barrier
	buffer_gl0_inv
	v_cmp_eq_f32_e32 vcc_lo, 0, v1
	s_cbranch_vccz .LBB82_173
; %bb.168:                              ;   in Loop: Header=BB82_170 Depth=2
	v_add_nc_u32_e32 v32, s42, v32
	v_add_nc_u32_e32 v8, s44, v8
	s_mov_b32 s79, 0
	v_cmp_le_u32_e32 vcc_lo, s61, v32
	s_orn2_b32 s80, vcc_lo, exec_lo
.LBB82_169:                             ;   in Loop: Header=BB82_170 Depth=2
	s_and_b32 s80, exec_lo, s80
	s_or_b32 s28, s80, s28
	s_andn2_b32 s78, s78, exec_lo
	s_and_b32 s79, s79, exec_lo
	s_or_b32 s78, s78, s79
	s_andn2_b32 exec_lo, exec_lo, s28
	s_cbranch_execz .LBB82_174
.LBB82_170:                             ;   Parent Loop BB82_6 Depth=1
                                        ; =>  This Inner Loop Header: Depth=2
	s_mov_b32 s79, exec_lo
	v_cmpx_gt_u32_e64 s36, v32
	s_cbranch_execz .LBB82_167
; %bb.171:                              ;   in Loop: Header=BB82_170 Depth=2
	v_lshlrev_b64 v[1:2], 2, v[8:9]
	v_add_co_u32 v1, vcc_lo, s31, v1
	v_add_co_ci_u32_e64 v2, null, s33, v2, vcc_lo
	global_load_dword v14, v[1:2], off
	s_waitcnt vmcnt(0)
	v_cmp_lt_i32_e32 vcc_lo, -1, v14
	v_cndmask_b32_e64 v1, -1, 0x80000000, vcc_lo
	v_cmp_o_f32_e32 vcc_lo, v14, v14
	v_xor_b32_e32 v1, v1, v14
	v_cndmask_b32_e32 v1, -1, v1, vcc_lo
	v_and_b32_e32 v1, v1, v31
	v_cmp_eq_u32_e32 vcc_lo, v1, v4
	s_and_b32 exec_lo, exec_lo, vcc_lo
	s_cbranch_execz .LBB82_167
; %bb.172:                              ;   in Loop: Header=BB82_170 Depth=2
	ds_write_b64 v9, v[13:14] offset:3072
	s_branch .LBB82_167
.LBB82_173:                             ;   in Loop: Header=BB82_170 Depth=2
	s_mov_b32 s80, -1
	s_mov_b32 s79, -1
                                        ; implicit-def: $vgpr32
	s_branch .LBB82_169
.LBB82_174:                             ;   in Loop: Header=BB82_6 Depth=1
	s_or_b32 exec_lo, exec_lo, s28
	s_andn2_b32 s28, s77, exec_lo
	s_and_b32 s77, s78, exec_lo
	s_or_b32 s77, s28, s77
.LBB82_175:                             ;   in Loop: Header=BB82_6 Depth=1
	s_or_b32 exec_lo, exec_lo, s27
	s_mov_b32 s27, 0
	s_mov_b32 s28, -1
.LBB82_176:                             ;   in Loop: Header=BB82_6 Depth=1
	s_orn2_b32 s77, s77, exec_lo
.LBB82_177:                             ;   in Loop: Header=BB82_6 Depth=1
	s_or_b32 exec_lo, exec_lo, s29
	s_mov_b32 s78, 0
	s_and_saveexec_b32 s29, s77
	s_cbranch_execz .LBB82_229
; %bb.178:                              ;   in Loop: Header=BB82_6 Depth=1
	v_mov_b32_e32 v32, 1
	v_mov_b32_e32 v3, 1
	s_xor_b32 s77, s76, -1
	s_mov_b32 s80, 0
	s_and_saveexec_b32 s76, s77
	s_cbranch_execz .LBB82_187
; %bb.179:                              ;   in Loop: Header=BB82_6 Depth=1
	s_mov_b32 s77, exec_lo
	v_cmpx_ge_u32_e64 s17, v33
	s_xor_b32 s77, exec_lo, s77
	s_cbranch_execz .LBB82_184
; %bb.180:                              ;   in Loop: Header=BB82_6 Depth=1
	ds_read_b32 v1, v9 offset:4096
	s_lshl_b32 s78, 2, s69
	v_or_b32_e32 v31, s14, v31
	v_and_or_b32 v4, v4, s15, s78
	s_waitcnt lgkmcnt(0)
	v_cmp_ne_u32_e32 vcc_lo, 0, v1
	s_cbranch_vccnz .LBB82_184
; %bb.181:                              ;   in Loop: Header=BB82_6 Depth=1
	s_and_saveexec_b32 s78, s3
; %bb.182:                              ;   in Loop: Header=BB82_6 Depth=1
	v_mov_b32_e32 v1, s17
	ds_write_b32 v9, v1 offset:4100
; %bb.183:                              ;   in Loop: Header=BB82_6 Depth=1
	s_or_b32 exec_lo, exec_lo, s78
	s_waitcnt lgkmcnt(0)
	s_barrier
	buffer_gl0_inv
.LBB82_184:                             ;   in Loop: Header=BB82_6 Depth=1
	s_or_saveexec_b32 s77, s77
	v_mov_b32_e32 v3, 8
	s_mov_b32 s78, 0
	s_xor_b32 exec_lo, exec_lo, s77
; %bb.185:                              ;   in Loop: Header=BB82_6 Depth=1
	v_subrev_nc_u32_e32 v33, s17, v33
	v_mov_b32_e32 v3, 0
	s_mov_b32 s78, exec_lo
; %bb.186:                              ;   in Loop: Header=BB82_6 Depth=1
	s_or_b32 exec_lo, exec_lo, s77
	v_mov_b32_e32 v32, v33
	s_and_b32 s80, s78, exec_lo
.LBB82_187:                             ;   in Loop: Header=BB82_6 Depth=1
	s_or_b32 exec_lo, exec_lo, s76
	s_mov_b32 s77, -1
                                        ; implicit-def: $sgpr79
                                        ; implicit-def: $sgpr78
	s_and_saveexec_b32 s76, s80
	s_cbranch_execz .LBB82_228
; %bb.188:                              ;   in Loop: Header=BB82_6 Depth=1
	v_cmp_eq_u32_e32 vcc_lo, 1, v32
	s_cmp_eq_u32 s18, 1
	s_mov_b32 s81, -1
	s_cselect_b32 s77, -1, 0
                                        ; implicit-def: $sgpr79
                                        ; implicit-def: $sgpr78
	s_and_b32 s77, s77, vcc_lo
	s_and_saveexec_b32 s80, s77
	s_cbranch_execz .LBB82_216
; %bb.189:                              ;   in Loop: Header=BB82_6 Depth=1
	ds_read_b32 v1, v9 offset:4096
	s_waitcnt lgkmcnt(0)
	s_barrier
	buffer_gl0_inv
	v_readfirstlane_b32 s82, v1
	s_and_saveexec_b32 s78, s6
; %bb.190:                              ;   in Loop: Header=BB82_6 Depth=1
	ds_write_b32 v20, v9
; %bb.191:                              ;   in Loop: Header=BB82_6 Depth=1
	s_or_b32 exec_lo, exec_lo, s78
	v_or_b32_e32 v4, s14, v4
	v_or_b32_e32 v31, s14, v31
	s_mov_b32 s78, -1
	s_mov_b32 s79, 0
	s_cmp_eq_u32 s82, 0
	s_mov_b32 s81, 0
	s_mov_b32 s83, -1
	s_waitcnt lgkmcnt(0)
	s_barrier
	buffer_gl0_inv
                                        ; implicit-def: $vgpr2
	s_cbranch_scc1 .LBB82_203
; %bb.192:                              ;   in Loop: Header=BB82_6 Depth=1
	s_add_i32 s81, s82, s54
                                        ; implicit-def: $vgpr2
	s_mul_hi_u32 s83, s81, s60
	s_mul_i32 s83, s83, s42
	s_sub_i32 s83, s81, s83
	s_sub_i32 s84, s83, s42
	s_cmp_ge_u32 s83, s42
	s_cselect_b32 s83, s84, s83
	s_sub_i32 s84, s83, s42
	s_cmp_ge_u32 s83, s42
	s_cselect_b32 s83, s84, s83
	s_mov_b32 s84, exec_lo
	s_sub_i32 s85, s81, s83
	s_mov_b32 s83, 0
	s_mov_b32 s81, 0
	v_cmpx_gt_u32_e64 s85, v0
	s_cbranch_execz .LBB82_202
; %bb.193:                              ;   in Loop: Header=BB82_6 Depth=1
	v_mov_b32_e32 v8, v18
	v_mov_b32_e32 v33, v0
                                        ; implicit-def: $sgpr86
	s_inst_prefetch 0x1
	s_branch .LBB82_197
	.p2align	6
.LBB82_194:                             ;   in Loop: Header=BB82_197 Depth=2
	s_or_b32 exec_lo, exec_lo, s87
	s_waitcnt lgkmcnt(0)
	s_barrier
	buffer_gl0_inv
	ds_read_b64 v[1:2], v9 offset:3072
	s_waitcnt lgkmcnt(0)
	s_barrier
	buffer_gl0_inv
	v_cmp_neq_f32_e32 vcc_lo, 0, v1
	s_cbranch_vccnz .LBB82_200
; %bb.195:                              ;   in Loop: Header=BB82_197 Depth=2
	v_add_nc_u32_e32 v33, s42, v33
	v_add_nc_u32_e32 v8, s50, v8
	s_mov_b32 s87, 0
	v_cmp_le_u32_e32 vcc_lo, s85, v33
	s_orn2_b32 s88, vcc_lo, exec_lo
.LBB82_196:                             ;   in Loop: Header=BB82_197 Depth=2
	s_and_b32 s88, exec_lo, s88
	s_or_b32 s81, s88, s81
	s_andn2_b32 s86, s86, exec_lo
	s_and_b32 s87, s87, exec_lo
	s_or_b32 s86, s86, s87
	s_andn2_b32 exec_lo, exec_lo, s81
	s_cbranch_execz .LBB82_201
.LBB82_197:                             ;   Parent Loop BB82_6 Depth=1
                                        ; =>  This Inner Loop Header: Depth=2
	s_mov_b32 s87, exec_lo
	v_cmpx_gt_u32_e64 s82, v33
	s_cbranch_execz .LBB82_194
; %bb.198:                              ;   in Loop: Header=BB82_197 Depth=2
	ds_read_b32 v14, v8
	s_waitcnt lgkmcnt(0)
	v_cmp_lt_i32_e32 vcc_lo, -1, v14
	v_cndmask_b32_e64 v1, -1, 0x80000000, vcc_lo
	v_cmp_o_f32_e32 vcc_lo, v14, v14
	v_xor_b32_e32 v1, v1, v14
	v_cndmask_b32_e32 v1, -1, v1, vcc_lo
	v_and_b32_e32 v1, v1, v31
	v_cmp_eq_u32_e32 vcc_lo, v1, v4
	s_and_b32 exec_lo, exec_lo, vcc_lo
	s_cbranch_execz .LBB82_194
; %bb.199:                              ;   in Loop: Header=BB82_197 Depth=2
	ds_write_b64 v9, v[13:14] offset:3072
	s_branch .LBB82_194
.LBB82_200:                             ;   in Loop: Header=BB82_197 Depth=2
	s_mov_b32 s88, -1
	s_mov_b32 s87, -1
                                        ; implicit-def: $vgpr33
                                        ; implicit-def: $vgpr8
	s_branch .LBB82_196
.LBB82_201:                             ;   in Loop: Header=BB82_6 Depth=1
	s_inst_prefetch 0x2
	s_or_b32 exec_lo, exec_lo, s81
	s_and_b32 s81, s86, exec_lo
.LBB82_202:                             ;   in Loop: Header=BB82_6 Depth=1
	s_or_b32 exec_lo, exec_lo, s84
.LBB82_203:                             ;   in Loop: Header=BB82_6 Depth=1
	s_and_b32 vcc_lo, exec_lo, s83
	s_cbranch_vccz .LBB82_215
; %bb.204:                              ;   in Loop: Header=BB82_6 Depth=1
                                        ; implicit-def: $vgpr2
	s_and_saveexec_b32 s78, s9
	s_cbranch_execz .LBB82_214
; %bb.205:                              ;   in Loop: Header=BB82_6 Depth=1
	v_mov_b32_e32 v8, v7
	v_mov_b32_e32 v33, v0
	s_mov_b32 s79, 0
                                        ; implicit-def: $sgpr82
	s_branch .LBB82_209
.LBB82_206:                             ;   in Loop: Header=BB82_209 Depth=2
	s_or_b32 exec_lo, exec_lo, s83
	s_waitcnt lgkmcnt(0)
	s_barrier
	buffer_gl0_inv
	ds_read_b64 v[1:2], v9 offset:3072
	s_waitcnt lgkmcnt(0)
	s_barrier
	buffer_gl0_inv
	v_cmp_eq_f32_e32 vcc_lo, 0, v1
	s_cbranch_vccz .LBB82_212
; %bb.207:                              ;   in Loop: Header=BB82_209 Depth=2
	v_add_nc_u32_e32 v33, s42, v33
	v_add_nc_u32_e32 v8, s44, v8
	s_mov_b32 s83, 0
	v_cmp_le_u32_e32 vcc_lo, s61, v33
	s_orn2_b32 s84, vcc_lo, exec_lo
.LBB82_208:                             ;   in Loop: Header=BB82_209 Depth=2
	s_and_b32 s84, exec_lo, s84
	s_or_b32 s79, s84, s79
	s_andn2_b32 s82, s82, exec_lo
	s_and_b32 s83, s83, exec_lo
	s_or_b32 s82, s82, s83
	s_andn2_b32 exec_lo, exec_lo, s79
	s_cbranch_execz .LBB82_213
.LBB82_209:                             ;   Parent Loop BB82_6 Depth=1
                                        ; =>  This Inner Loop Header: Depth=2
	s_mov_b32 s83, exec_lo
	v_cmpx_gt_u32_e64 s36, v33
	s_cbranch_execz .LBB82_206
; %bb.210:                              ;   in Loop: Header=BB82_209 Depth=2
	v_lshlrev_b64 v[1:2], 2, v[8:9]
	v_add_co_u32 v1, vcc_lo, s31, v1
	v_add_co_ci_u32_e64 v2, null, s33, v2, vcc_lo
	global_load_dword v14, v[1:2], off
	s_waitcnt vmcnt(0)
	v_cmp_lt_i32_e32 vcc_lo, -1, v14
	v_cndmask_b32_e64 v1, -1, 0x80000000, vcc_lo
	v_cmp_o_f32_e32 vcc_lo, v14, v14
	v_xor_b32_e32 v1, v1, v14
	v_cndmask_b32_e32 v1, -1, v1, vcc_lo
	v_and_b32_e32 v1, v1, v31
	v_cmp_eq_u32_e32 vcc_lo, v1, v4
	s_and_b32 exec_lo, exec_lo, vcc_lo
	s_cbranch_execz .LBB82_206
; %bb.211:                              ;   in Loop: Header=BB82_209 Depth=2
	ds_write_b64 v9, v[13:14] offset:3072
	s_branch .LBB82_206
.LBB82_212:                             ;   in Loop: Header=BB82_209 Depth=2
	s_mov_b32 s84, -1
	s_mov_b32 s83, -1
                                        ; implicit-def: $vgpr33
	s_branch .LBB82_208
.LBB82_213:                             ;   in Loop: Header=BB82_6 Depth=1
	s_or_b32 exec_lo, exec_lo, s79
	s_andn2_b32 s79, s81, exec_lo
	s_and_b32 s81, s82, exec_lo
	s_or_b32 s81, s79, s81
.LBB82_214:                             ;   in Loop: Header=BB82_6 Depth=1
	s_or_b32 exec_lo, exec_lo, s78
	s_mov_b32 s78, 0
	s_mov_b32 s79, -1
.LBB82_215:                             ;   in Loop: Header=BB82_6 Depth=1
	s_orn2_b32 s81, s81, exec_lo
.LBB82_216:                             ;   in Loop: Header=BB82_6 Depth=1
	s_or_b32 exec_lo, exec_lo, s80
	s_mov_b32 s82, 0
	s_and_saveexec_b32 s80, s81
	s_cbranch_execz .LBB82_227
; %bb.217:                              ;   in Loop: Header=BB82_6 Depth=1
	v_mov_b32_e32 v3, 1
	v_mov_b32_e32 v1, 1
	s_xor_b32 s81, s77, -1
	s_and_saveexec_b32 s77, s81
	s_cbranch_execz .LBB82_226
; %bb.218:                              ;   in Loop: Header=BB82_6 Depth=1
	s_mov_b32 s81, exec_lo
	v_cmpx_ge_u32_e64 s18, v32
	s_xor_b32 s81, exec_lo, s81
	s_cbranch_execz .LBB82_223
; %bb.219:                              ;   in Loop: Header=BB82_6 Depth=1
	ds_read_b32 v1, v9 offset:4096
	v_or_b32_e32 v4, s14, v4
	v_or_b32_e32 v31, s14, v31
	s_waitcnt lgkmcnt(0)
	v_cmp_ne_u32_e32 vcc_lo, 0, v1
	s_cbranch_vccnz .LBB82_223
; %bb.220:                              ;   in Loop: Header=BB82_6 Depth=1
	s_and_saveexec_b32 s82, s3
; %bb.221:                              ;   in Loop: Header=BB82_6 Depth=1
	v_mov_b32_e32 v1, s18
	ds_write_b32 v9, v1 offset:4100
; %bb.222:                              ;   in Loop: Header=BB82_6 Depth=1
	s_or_b32 exec_lo, exec_lo, s82
	s_waitcnt lgkmcnt(0)
	s_barrier
	buffer_gl0_inv
.LBB82_223:                             ;   in Loop: Header=BB82_6 Depth=1
	s_andn2_saveexec_b32 s81, s81
; %bb.224:                              ;   in Loop: Header=BB82_6 Depth=1
	v_subrev_nc_u32_e32 v32, s18, v32
; %bb.225:                              ;   in Loop: Header=BB82_6 Depth=1
	s_or_b32 exec_lo, exec_lo, s81
	v_mov_b32_e32 v3, 8
	v_mov_b32_e32 v1, v32
.LBB82_226:                             ;   in Loop: Header=BB82_6 Depth=1
	s_or_b32 exec_lo, exec_lo, s77
	v_mov_b32_e32 v32, v1
	s_mov_b32 s82, exec_lo
.LBB82_227:                             ;   in Loop: Header=BB82_6 Depth=1
	s_or_b32 exec_lo, exec_lo, s80
	s_orn2_b32 s77, s82, exec_lo
.LBB82_228:                             ;   in Loop: Header=BB82_6 Depth=1
	s_or_b32 exec_lo, exec_lo, s76
	v_mov_b32_e32 v33, v32
	s_andn2_b32 s28, s28, exec_lo
	s_and_b32 s76, s79, exec_lo
	s_andn2_b32 s27, s27, exec_lo
	s_and_b32 s78, s78, exec_lo
	s_or_b32 s28, s28, s76
	s_or_b32 s27, s27, s78
	s_and_b32 s78, s77, exec_lo
.LBB82_229:                             ;   in Loop: Header=BB82_6 Depth=1
	s_or_b32 exec_lo, exec_lo, s29
	s_orn2_b32 s29, s78, exec_lo
.LBB82_230:                             ;   in Loop: Header=BB82_6 Depth=1
	s_or_b32 exec_lo, exec_lo, s26
	v_mov_b32_e32 v32, v33
	s_andn2_b32 s24, s24, exec_lo
	s_and_b32 s26, s28, exec_lo
	s_andn2_b32 s19, s19, exec_lo
	s_and_b32 s27, s27, exec_lo
	s_or_b32 s24, s24, s26
	s_or_b32 s19, s19, s27
	s_and_b32 s28, s29, exec_lo
.LBB82_231:                             ;   in Loop: Header=BB82_6 Depth=1
	s_or_b32 exec_lo, exec_lo, s25
	s_orn2_b32 s25, s28, exec_lo
.LBB82_232:                             ;   in Loop: Header=BB82_6 Depth=1
	s_or_b32 exec_lo, exec_lo, s11
	s_mov_b32 s26, 0
	s_mov_b32 s27, 0
	s_and_saveexec_b32 s11, s25
	s_xor_b32 s25, exec_lo, s11
; %bb.233:                              ;   in Loop: Header=BB82_6 Depth=1
	v_cmp_ne_u32_e32 vcc_lo, 8, v3
	v_cmp_eq_u32_e64 s11, 8, v3
	s_and_b32 s27, vcc_lo, exec_lo
	s_and_b32 s26, s11, exec_lo
; %bb.234:                              ;   in Loop: Header=BB82_6 Depth=1
	s_or_b32 exec_lo, exec_lo, s25
	s_andn2_b32 s11, s21, exec_lo
	s_and_b32 s21, s24, exec_lo
	s_andn2_b32 s20, s20, exec_lo
	s_and_b32 s19, s19, exec_lo
	s_or_b32 s21, s11, s21
	s_or_b32 s20, s20, s19
	s_and_b32 s11, s27, exec_lo
	s_and_b32 s19, s26, exec_lo
.LBB82_235:                             ;   in Loop: Header=BB82_6 Depth=1
	s_or_b32 exec_lo, exec_lo, s23
.LBB82_236:                             ;   in Loop: Header=BB82_6 Depth=1
	s_and_b32 vcc_lo, exec_lo, s22
	s_cbranch_vccz .LBB82_250
; %bb.237:                              ;   in Loop: Header=BB82_6 Depth=1
	s_cmp_eq_u32 s18, 1
	s_mov_b32 s21, -1
	s_cselect_b32 s12, -1, 0
                                        ; implicit-def: $sgpr22
	s_and_b32 s10, s12, s10
                                        ; implicit-def: $sgpr12
	s_and_saveexec_b32 s20, s10
	s_cbranch_execz .LBB82_266
; %bb.238:                              ;   in Loop: Header=BB82_6 Depth=1
	ds_read_b32 v1, v9 offset:4096
	s_waitcnt lgkmcnt(0)
	s_barrier
	buffer_gl0_inv
	v_readfirstlane_b32 s23, v1
	s_and_saveexec_b32 s12, s6
; %bb.239:                              ;   in Loop: Header=BB82_6 Depth=1
	ds_write_b32 v20, v9
; %bb.240:                              ;   in Loop: Header=BB82_6 Depth=1
	s_or_b32 exec_lo, exec_lo, s12
	v_or_b32_e32 v22, s14, v22
	v_or_b32_e32 v29, s14, v29
	s_mov_b32 s12, -1
	s_mov_b32 s22, 0
	s_cmp_eq_u32 s23, 0
	s_mov_b32 s21, 0
	s_mov_b32 s24, -1
	s_waitcnt lgkmcnt(0)
	s_barrier
	buffer_gl0_inv
                                        ; implicit-def: $vgpr15
	s_cbranch_scc1 .LBB82_253
; %bb.241:                              ;   in Loop: Header=BB82_6 Depth=1
	s_add_i32 s21, s23, s54
                                        ; implicit-def: $vgpr15
	s_mul_hi_u32 s24, s21, s60
	s_mul_i32 s24, s24, s42
	s_sub_i32 s24, s21, s24
	s_sub_i32 s25, s24, s42
	s_cmp_ge_u32 s24, s42
	s_cselect_b32 s24, s25, s24
	s_sub_i32 s25, s24, s42
	s_cmp_ge_u32 s24, s42
	s_cselect_b32 s24, s25, s24
	s_mov_b32 s25, exec_lo
	s_sub_i32 s26, s21, s24
	s_mov_b32 s24, 0
	s_mov_b32 s21, 0
	v_cmpx_gt_u32_e64 s26, v0
	s_cbranch_execz .LBB82_252
; %bb.242:                              ;   in Loop: Header=BB82_6 Depth=1
	v_mov_b32_e32 v1, v18
	v_mov_b32_e32 v2, v0
                                        ; implicit-def: $sgpr27
	s_inst_prefetch 0x1
	s_branch .LBB82_246
	.p2align	6
.LBB82_243:                             ;   in Loop: Header=BB82_246 Depth=2
	s_or_b32 exec_lo, exec_lo, s28
	s_waitcnt lgkmcnt(0)
	s_barrier
	buffer_gl0_inv
	ds_read_b64 v[14:15], v9 offset:3072
	s_waitcnt lgkmcnt(0)
	s_barrier
	buffer_gl0_inv
	v_cmp_neq_f32_e32 vcc_lo, 0, v14
	s_cbranch_vccnz .LBB82_249
; %bb.244:                              ;   in Loop: Header=BB82_246 Depth=2
	v_add_nc_u32_e32 v2, s42, v2
	v_add_nc_u32_e32 v1, s50, v1
	s_mov_b32 s28, 0
	v_cmp_le_u32_e32 vcc_lo, s26, v2
	s_orn2_b32 s29, vcc_lo, exec_lo
.LBB82_245:                             ;   in Loop: Header=BB82_246 Depth=2
	s_and_b32 s29, exec_lo, s29
	s_or_b32 s21, s29, s21
	s_andn2_b32 s27, s27, exec_lo
	s_and_b32 s28, s28, exec_lo
	s_or_b32 s27, s27, s28
	s_andn2_b32 exec_lo, exec_lo, s21
	s_cbranch_execz .LBB82_251
.LBB82_246:                             ;   Parent Loop BB82_6 Depth=1
                                        ; =>  This Inner Loop Header: Depth=2
	s_mov_b32 s28, exec_lo
	v_cmpx_gt_u32_e64 s23, v2
	s_cbranch_execz .LBB82_243
; %bb.247:                              ;   in Loop: Header=BB82_246 Depth=2
	ds_read_b32 v14, v1
	s_waitcnt lgkmcnt(0)
	v_cmp_lt_i32_e32 vcc_lo, -1, v14
	v_cndmask_b32_e64 v3, -1, 0x80000000, vcc_lo
	v_cmp_o_f32_e32 vcc_lo, v14, v14
	v_xor_b32_e32 v3, v3, v14
	v_cndmask_b32_e32 v3, -1, v3, vcc_lo
	v_and_b32_e32 v3, v3, v29
	v_cmp_eq_u32_e32 vcc_lo, v3, v22
	s_and_b32 exec_lo, exec_lo, vcc_lo
	s_cbranch_execz .LBB82_243
; %bb.248:                              ;   in Loop: Header=BB82_246 Depth=2
	ds_write_b64 v9, v[13:14] offset:3072
	s_branch .LBB82_243
.LBB82_249:                             ;   in Loop: Header=BB82_246 Depth=2
	s_mov_b32 s29, -1
	s_mov_b32 s28, -1
                                        ; implicit-def: $vgpr2
                                        ; implicit-def: $vgpr1
	s_branch .LBB82_245
.LBB82_250:                             ;   in Loop: Header=BB82_6 Depth=1
	v_mov_b32_e32 v22, v4
	v_mov_b32_e32 v29, v31
	;; [unrolled: 1-line block ×3, first 2 shown]
	s_mov_b32 s22, 0
	s_and_saveexec_b32 s10, s19
	s_cbranch_execnz .LBB82_403
	s_branch .LBB82_404
.LBB82_251:                             ;   in Loop: Header=BB82_6 Depth=1
	s_inst_prefetch 0x2
	s_or_b32 exec_lo, exec_lo, s21
	s_and_b32 s21, s27, exec_lo
.LBB82_252:                             ;   in Loop: Header=BB82_6 Depth=1
	s_or_b32 exec_lo, exec_lo, s25
.LBB82_253:                             ;   in Loop: Header=BB82_6 Depth=1
	s_and_b32 vcc_lo, exec_lo, s24
	s_cbranch_vccz .LBB82_265
; %bb.254:                              ;   in Loop: Header=BB82_6 Depth=1
                                        ; implicit-def: $vgpr15
	s_and_saveexec_b32 s12, s9
	s_cbranch_execz .LBB82_264
; %bb.255:                              ;   in Loop: Header=BB82_6 Depth=1
	v_mov_b32_e32 v8, v7
	v_mov_b32_e32 v1, v0
	s_mov_b32 s22, 0
                                        ; implicit-def: $sgpr23
	s_branch .LBB82_259
.LBB82_256:                             ;   in Loop: Header=BB82_259 Depth=2
	s_or_b32 exec_lo, exec_lo, s24
	s_waitcnt lgkmcnt(0)
	s_barrier
	buffer_gl0_inv
	ds_read_b64 v[14:15], v9 offset:3072
	s_waitcnt lgkmcnt(0)
	s_barrier
	buffer_gl0_inv
	v_cmp_neq_f32_e32 vcc_lo, 0, v14
	s_cbranch_vccnz .LBB82_262
; %bb.257:                              ;   in Loop: Header=BB82_259 Depth=2
	v_add_nc_u32_e32 v1, s42, v1
	v_add_nc_u32_e32 v8, s44, v8
	s_mov_b32 s24, 0
	v_cmp_le_u32_e32 vcc_lo, s61, v1
	s_orn2_b32 s25, vcc_lo, exec_lo
.LBB82_258:                             ;   in Loop: Header=BB82_259 Depth=2
	s_and_b32 s25, exec_lo, s25
	s_or_b32 s22, s25, s22
	s_andn2_b32 s23, s23, exec_lo
	s_and_b32 s24, s24, exec_lo
	s_or_b32 s23, s23, s24
	s_andn2_b32 exec_lo, exec_lo, s22
	s_cbranch_execz .LBB82_263
.LBB82_259:                             ;   Parent Loop BB82_6 Depth=1
                                        ; =>  This Inner Loop Header: Depth=2
	s_mov_b32 s24, exec_lo
	v_cmpx_gt_u32_e64 s36, v1
	s_cbranch_execz .LBB82_256
; %bb.260:                              ;   in Loop: Header=BB82_259 Depth=2
	v_lshlrev_b64 v[2:3], 2, v[8:9]
	v_add_co_u32 v2, vcc_lo, s31, v2
	v_add_co_ci_u32_e64 v3, null, s33, v3, vcc_lo
	global_load_dword v14, v[2:3], off
	s_waitcnt vmcnt(0)
	v_cmp_lt_i32_e32 vcc_lo, -1, v14
	v_cndmask_b32_e64 v2, -1, 0x80000000, vcc_lo
	v_cmp_o_f32_e32 vcc_lo, v14, v14
	v_xor_b32_e32 v2, v2, v14
	v_cndmask_b32_e32 v2, -1, v2, vcc_lo
	v_and_b32_e32 v2, v2, v29
	v_cmp_eq_u32_e32 vcc_lo, v2, v22
	s_and_b32 exec_lo, exec_lo, vcc_lo
	s_cbranch_execz .LBB82_256
; %bb.261:                              ;   in Loop: Header=BB82_259 Depth=2
	ds_write_b64 v9, v[13:14] offset:3072
	s_branch .LBB82_256
.LBB82_262:                             ;   in Loop: Header=BB82_259 Depth=2
	s_mov_b32 s25, -1
	s_mov_b32 s24, -1
                                        ; implicit-def: $vgpr1
	s_branch .LBB82_258
.LBB82_263:                             ;   in Loop: Header=BB82_6 Depth=1
	s_or_b32 exec_lo, exec_lo, s22
	s_andn2_b32 s21, s21, exec_lo
	s_and_b32 s22, s23, exec_lo
	s_or_b32 s21, s21, s22
.LBB82_264:                             ;   in Loop: Header=BB82_6 Depth=1
	s_or_b32 exec_lo, exec_lo, s12
	s_mov_b32 s12, 0
	s_mov_b32 s22, -1
.LBB82_265:                             ;   in Loop: Header=BB82_6 Depth=1
	s_orn2_b32 s21, s21, exec_lo
.LBB82_266:                             ;   in Loop: Header=BB82_6 Depth=1
	s_or_b32 exec_lo, exec_lo, s20
                                        ; implicit-def: $vgpr32
                                        ; implicit-def: $vgpr3
	s_and_saveexec_b32 s20, s21
	s_cbranch_execz .LBB82_402
; %bb.267:                              ;   in Loop: Header=BB82_6 Depth=1
	v_mov_b32_e32 v32, 1
	v_mov_b32_e32 v3, 1
	s_xor_b32 s21, s10, -1
	s_mov_b32 s24, 0
	s_and_saveexec_b32 s10, s21
	s_cbranch_execz .LBB82_276
; %bb.268:                              ;   in Loop: Header=BB82_6 Depth=1
	s_mov_b32 s21, exec_lo
	v_cmpx_ge_u32_e64 s18, v30
	s_xor_b32 s21, exec_lo, s21
	s_cbranch_execz .LBB82_273
; %bb.269:                              ;   in Loop: Header=BB82_6 Depth=1
	ds_read_b32 v1, v9 offset:4096
	v_or_b32_e32 v22, s14, v22
	v_or_b32_e32 v29, s14, v29
	s_waitcnt lgkmcnt(0)
	v_cmp_ne_u32_e32 vcc_lo, 0, v1
	s_cbranch_vccnz .LBB82_273
; %bb.270:                              ;   in Loop: Header=BB82_6 Depth=1
	s_and_saveexec_b32 s23, s3
; %bb.271:                              ;   in Loop: Header=BB82_6 Depth=1
	v_mov_b32_e32 v1, s18
	ds_write_b32 v9, v1 offset:4100
; %bb.272:                              ;   in Loop: Header=BB82_6 Depth=1
	s_or_b32 exec_lo, exec_lo, s23
	s_waitcnt lgkmcnt(0)
	s_barrier
	buffer_gl0_inv
.LBB82_273:                             ;   in Loop: Header=BB82_6 Depth=1
	s_or_saveexec_b32 s21, s21
	v_mov_b32_e32 v3, 5
	s_mov_b32 s23, 0
	s_xor_b32 exec_lo, exec_lo, s21
; %bb.274:                              ;   in Loop: Header=BB82_6 Depth=1
	v_subrev_nc_u32_e32 v30, s18, v30
	v_mov_b32_e32 v3, 0
	s_mov_b32 s23, exec_lo
; %bb.275:                              ;   in Loop: Header=BB82_6 Depth=1
	s_or_b32 exec_lo, exec_lo, s21
	v_mov_b32_e32 v32, v30
	s_and_b32 s24, s23, exec_lo
.LBB82_276:                             ;   in Loop: Header=BB82_6 Depth=1
	s_or_b32 exec_lo, exec_lo, s10
	s_mov_b32 s23, -1
                                        ; implicit-def: $sgpr18
                                        ; implicit-def: $sgpr21
	s_and_saveexec_b32 s10, s24
	s_xor_b32 s10, exec_lo, s10
	s_cbranch_execz .LBB82_399
; %bb.277:                              ;   in Loop: Header=BB82_6 Depth=1
	v_cmp_eq_u32_e32 vcc_lo, 1, v32
	s_cmp_eq_u32 s17, 1
	s_mov_b32 s25, -1
	s_cselect_b32 s18, -1, 0
                                        ; implicit-def: $sgpr21
	s_and_b32 s24, s18, vcc_lo
                                        ; implicit-def: $sgpr18
	s_and_saveexec_b32 s23, s24
	s_cbranch_execz .LBB82_305
; %bb.278:                              ;   in Loop: Header=BB82_6 Depth=1
	ds_read_b32 v1, v9 offset:4096
	s_waitcnt lgkmcnt(0)
	s_barrier
	buffer_gl0_inv
	v_readfirstlane_b32 s26, v1
	s_and_saveexec_b32 s18, s6
; %bb.279:                              ;   in Loop: Header=BB82_6 Depth=1
	ds_write_b32 v20, v9
; %bb.280:                              ;   in Loop: Header=BB82_6 Depth=1
	s_or_b32 exec_lo, exec_lo, s18
	s_lshl_b32 s18, 2, s69
	v_or_b32_e32 v29, s14, v29
	v_and_or_b32 v22, v22, s15, s18
	s_mov_b32 s18, -1
	s_mov_b32 s21, 0
	s_cmp_eq_u32 s26, 0
	s_mov_b32 s25, 0
	s_mov_b32 s27, -1
	s_waitcnt lgkmcnt(0)
	s_barrier
	buffer_gl0_inv
                                        ; implicit-def: $vgpr15
	s_cbranch_scc1 .LBB82_292
; %bb.281:                              ;   in Loop: Header=BB82_6 Depth=1
	s_add_i32 s25, s26, s54
                                        ; implicit-def: $vgpr15
	s_mul_hi_u32 s27, s25, s60
	s_mul_i32 s27, s27, s42
	s_sub_i32 s27, s25, s27
	s_sub_i32 s28, s27, s42
	s_cmp_ge_u32 s27, s42
	s_cselect_b32 s27, s28, s27
	s_sub_i32 s28, s27, s42
	s_cmp_ge_u32 s27, s42
	s_cselect_b32 s27, s28, s27
	s_mov_b32 s28, exec_lo
	s_sub_i32 s29, s25, s27
	s_mov_b32 s27, 0
	s_mov_b32 s25, 0
	v_cmpx_gt_u32_e64 s29, v0
	s_cbranch_execz .LBB82_291
; %bb.282:                              ;   in Loop: Header=BB82_6 Depth=1
	v_mov_b32_e32 v1, v18
	v_mov_b32_e32 v2, v0
                                        ; implicit-def: $sgpr76
	s_inst_prefetch 0x1
	s_branch .LBB82_286
	.p2align	6
.LBB82_283:                             ;   in Loop: Header=BB82_286 Depth=2
	s_or_b32 exec_lo, exec_lo, s77
	s_waitcnt lgkmcnt(0)
	s_barrier
	buffer_gl0_inv
	ds_read_b64 v[14:15], v9 offset:3072
	s_waitcnt lgkmcnt(0)
	s_barrier
	buffer_gl0_inv
	v_cmp_neq_f32_e32 vcc_lo, 0, v14
	s_cbranch_vccnz .LBB82_289
; %bb.284:                              ;   in Loop: Header=BB82_286 Depth=2
	v_add_nc_u32_e32 v2, s42, v2
	v_add_nc_u32_e32 v1, s50, v1
	s_mov_b32 s77, 0
	v_cmp_le_u32_e32 vcc_lo, s29, v2
	s_orn2_b32 s78, vcc_lo, exec_lo
.LBB82_285:                             ;   in Loop: Header=BB82_286 Depth=2
	s_and_b32 s78, exec_lo, s78
	s_or_b32 s25, s78, s25
	s_andn2_b32 s76, s76, exec_lo
	s_and_b32 s77, s77, exec_lo
	s_or_b32 s76, s76, s77
	s_andn2_b32 exec_lo, exec_lo, s25
	s_cbranch_execz .LBB82_290
.LBB82_286:                             ;   Parent Loop BB82_6 Depth=1
                                        ; =>  This Inner Loop Header: Depth=2
	s_mov_b32 s77, exec_lo
	v_cmpx_gt_u32_e64 s26, v2
	s_cbranch_execz .LBB82_283
; %bb.287:                              ;   in Loop: Header=BB82_286 Depth=2
	ds_read_b32 v14, v1
	s_waitcnt lgkmcnt(0)
	v_cmp_lt_i32_e32 vcc_lo, -1, v14
	v_cndmask_b32_e64 v4, -1, 0x80000000, vcc_lo
	v_cmp_o_f32_e32 vcc_lo, v14, v14
	v_xor_b32_e32 v4, v4, v14
	v_cndmask_b32_e32 v4, -1, v4, vcc_lo
	v_and_b32_e32 v4, v4, v29
	v_cmp_eq_u32_e32 vcc_lo, v4, v22
	s_and_b32 exec_lo, exec_lo, vcc_lo
	s_cbranch_execz .LBB82_283
; %bb.288:                              ;   in Loop: Header=BB82_286 Depth=2
	ds_write_b64 v9, v[13:14] offset:3072
	s_branch .LBB82_283
.LBB82_289:                             ;   in Loop: Header=BB82_286 Depth=2
	s_mov_b32 s78, -1
	s_mov_b32 s77, -1
                                        ; implicit-def: $vgpr2
                                        ; implicit-def: $vgpr1
	s_branch .LBB82_285
.LBB82_290:                             ;   in Loop: Header=BB82_6 Depth=1
	s_inst_prefetch 0x2
	s_or_b32 exec_lo, exec_lo, s25
	s_and_b32 s25, s76, exec_lo
.LBB82_291:                             ;   in Loop: Header=BB82_6 Depth=1
	s_or_b32 exec_lo, exec_lo, s28
.LBB82_292:                             ;   in Loop: Header=BB82_6 Depth=1
	s_and_b32 vcc_lo, exec_lo, s27
	s_cbranch_vccz .LBB82_304
; %bb.293:                              ;   in Loop: Header=BB82_6 Depth=1
                                        ; implicit-def: $vgpr15
	s_and_saveexec_b32 s18, s9
	s_cbranch_execz .LBB82_303
; %bb.294:                              ;   in Loop: Header=BB82_6 Depth=1
	v_mov_b32_e32 v8, v7
	v_mov_b32_e32 v1, v0
	s_mov_b32 s21, 0
                                        ; implicit-def: $sgpr26
	s_branch .LBB82_298
.LBB82_295:                             ;   in Loop: Header=BB82_298 Depth=2
	s_or_b32 exec_lo, exec_lo, s27
	s_waitcnt lgkmcnt(0)
	s_barrier
	buffer_gl0_inv
	ds_read_b64 v[14:15], v9 offset:3072
	s_waitcnt lgkmcnt(0)
	s_barrier
	buffer_gl0_inv
	v_cmp_eq_f32_e32 vcc_lo, 0, v14
	s_cbranch_vccz .LBB82_301
; %bb.296:                              ;   in Loop: Header=BB82_298 Depth=2
	v_add_nc_u32_e32 v1, s42, v1
	v_add_nc_u32_e32 v8, s44, v8
	s_mov_b32 s27, 0
	v_cmp_le_u32_e32 vcc_lo, s61, v1
	s_orn2_b32 s28, vcc_lo, exec_lo
.LBB82_297:                             ;   in Loop: Header=BB82_298 Depth=2
	s_and_b32 s28, exec_lo, s28
	s_or_b32 s21, s28, s21
	s_andn2_b32 s26, s26, exec_lo
	s_and_b32 s27, s27, exec_lo
	s_or_b32 s26, s26, s27
	s_andn2_b32 exec_lo, exec_lo, s21
	s_cbranch_execz .LBB82_302
.LBB82_298:                             ;   Parent Loop BB82_6 Depth=1
                                        ; =>  This Inner Loop Header: Depth=2
	s_mov_b32 s27, exec_lo
	v_cmpx_gt_u32_e64 s36, v1
	s_cbranch_execz .LBB82_295
; %bb.299:                              ;   in Loop: Header=BB82_298 Depth=2
	v_lshlrev_b64 v[14:15], 2, v[8:9]
	v_add_co_u32 v14, vcc_lo, s31, v14
	v_add_co_ci_u32_e64 v15, null, s33, v15, vcc_lo
	global_load_dword v14, v[14:15], off
	s_waitcnt vmcnt(0)
	v_cmp_lt_i32_e32 vcc_lo, -1, v14
	v_cndmask_b32_e64 v2, -1, 0x80000000, vcc_lo
	v_cmp_o_f32_e32 vcc_lo, v14, v14
	v_xor_b32_e32 v2, v2, v14
	v_cndmask_b32_e32 v2, -1, v2, vcc_lo
	v_and_b32_e32 v2, v2, v29
	v_cmp_eq_u32_e32 vcc_lo, v2, v22
	s_and_b32 exec_lo, exec_lo, vcc_lo
	s_cbranch_execz .LBB82_295
; %bb.300:                              ;   in Loop: Header=BB82_298 Depth=2
	ds_write_b64 v9, v[13:14] offset:3072
	s_branch .LBB82_295
.LBB82_301:                             ;   in Loop: Header=BB82_298 Depth=2
	s_mov_b32 s28, -1
	s_mov_b32 s27, -1
                                        ; implicit-def: $vgpr1
	s_branch .LBB82_297
.LBB82_302:                             ;   in Loop: Header=BB82_6 Depth=1
	s_or_b32 exec_lo, exec_lo, s21
	s_andn2_b32 s21, s25, exec_lo
	s_and_b32 s25, s26, exec_lo
	s_or_b32 s25, s21, s25
.LBB82_303:                             ;   in Loop: Header=BB82_6 Depth=1
	s_or_b32 exec_lo, exec_lo, s18
	s_mov_b32 s18, 0
	s_mov_b32 s21, -1
.LBB82_304:                             ;   in Loop: Header=BB82_6 Depth=1
	s_orn2_b32 s25, s25, exec_lo
.LBB82_305:                             ;   in Loop: Header=BB82_6 Depth=1
	s_or_b32 exec_lo, exec_lo, s23
	s_mov_b32 s26, 0
	s_and_saveexec_b32 s23, s25
	s_cbranch_execz .LBB82_398
; %bb.306:                              ;   in Loop: Header=BB82_6 Depth=1
	v_mov_b32_e32 v1, 1
	v_mov_b32_e32 v3, 1
	s_xor_b32 s25, s24, -1
	s_mov_b32 s27, 0
	s_and_saveexec_b32 s24, s25
	s_cbranch_execz .LBB82_315
; %bb.307:                              ;   in Loop: Header=BB82_6 Depth=1
	s_mov_b32 s25, exec_lo
	v_cmpx_ge_u32_e64 s17, v32
	s_xor_b32 s25, exec_lo, s25
	s_cbranch_execz .LBB82_312
; %bb.308:                              ;   in Loop: Header=BB82_6 Depth=1
	ds_read_b32 v1, v9 offset:4096
	s_lshl_b32 s26, 2, s69
	v_or_b32_e32 v29, s14, v29
	v_and_or_b32 v22, v22, s15, s26
	s_waitcnt lgkmcnt(0)
	v_cmp_ne_u32_e32 vcc_lo, 0, v1
	s_cbranch_vccnz .LBB82_312
; %bb.309:                              ;   in Loop: Header=BB82_6 Depth=1
	s_and_saveexec_b32 s26, s3
; %bb.310:                              ;   in Loop: Header=BB82_6 Depth=1
	v_mov_b32_e32 v1, s17
	ds_write_b32 v9, v1 offset:4100
; %bb.311:                              ;   in Loop: Header=BB82_6 Depth=1
	s_or_b32 exec_lo, exec_lo, s26
	s_waitcnt lgkmcnt(0)
	s_barrier
	buffer_gl0_inv
.LBB82_312:                             ;   in Loop: Header=BB82_6 Depth=1
	s_or_saveexec_b32 s25, s25
	v_mov_b32_e32 v3, 5
	s_mov_b32 s26, 0
	s_xor_b32 exec_lo, exec_lo, s25
; %bb.313:                              ;   in Loop: Header=BB82_6 Depth=1
	v_subrev_nc_u32_e32 v32, s17, v32
	v_mov_b32_e32 v3, 0
	s_mov_b32 s26, exec_lo
; %bb.314:                              ;   in Loop: Header=BB82_6 Depth=1
	s_or_b32 exec_lo, exec_lo, s25
	v_mov_b32_e32 v1, v32
	s_and_b32 s27, s26, exec_lo
.LBB82_315:                             ;   in Loop: Header=BB82_6 Depth=1
	s_or_b32 exec_lo, exec_lo, s24
	s_mov_b32 s26, -1
                                        ; implicit-def: $sgpr24
                                        ; implicit-def: $sgpr25
	s_and_saveexec_b32 s17, s27
	s_cbranch_execz .LBB82_397
; %bb.316:                              ;   in Loop: Header=BB82_6 Depth=1
	v_cmp_eq_u32_e32 vcc_lo, 1, v1
	s_cmp_eq_u32 s16, 1
	s_mov_b32 s28, -1
	s_cselect_b32 s24, -1, 0
                                        ; implicit-def: $sgpr25
	s_and_b32 s27, s24, vcc_lo
                                        ; implicit-def: $sgpr24
	s_and_saveexec_b32 s26, s27
	s_cbranch_execz .LBB82_344
; %bb.317:                              ;   in Loop: Header=BB82_6 Depth=1
	ds_read_b32 v2, v9 offset:4096
	s_waitcnt lgkmcnt(0)
	s_barrier
	buffer_gl0_inv
	v_readfirstlane_b32 s29, v2
	s_and_saveexec_b32 s24, s6
; %bb.318:                              ;   in Loop: Header=BB82_6 Depth=1
	ds_write_b32 v20, v9
; %bb.319:                              ;   in Loop: Header=BB82_6 Depth=1
	s_or_b32 exec_lo, exec_lo, s24
	s_lshl_b32 s24, 1, s69
	v_or_b32_e32 v29, s14, v29
	v_and_or_b32 v22, v22, s15, s24
	s_mov_b32 s24, -1
	s_mov_b32 s25, 0
	s_cmp_eq_u32 s29, 0
	s_mov_b32 s28, 0
	s_mov_b32 s76, -1
	s_waitcnt lgkmcnt(0)
	s_barrier
	buffer_gl0_inv
                                        ; implicit-def: $vgpr15
	s_cbranch_scc1 .LBB82_331
; %bb.320:                              ;   in Loop: Header=BB82_6 Depth=1
	s_add_i32 s28, s29, s54
                                        ; implicit-def: $vgpr15
	s_mul_hi_u32 s76, s28, s60
	s_mul_i32 s76, s76, s42
	s_sub_i32 s76, s28, s76
	s_sub_i32 s77, s76, s42
	s_cmp_ge_u32 s76, s42
	s_cselect_b32 s76, s77, s76
	s_sub_i32 s77, s76, s42
	s_cmp_ge_u32 s76, s42
	s_cselect_b32 s76, s77, s76
	s_mov_b32 s77, exec_lo
	s_sub_i32 s78, s28, s76
	s_mov_b32 s76, 0
	s_mov_b32 s28, 0
	v_cmpx_gt_u32_e64 s78, v0
	s_cbranch_execz .LBB82_330
; %bb.321:                              ;   in Loop: Header=BB82_6 Depth=1
	v_mov_b32_e32 v2, v18
	v_mov_b32_e32 v4, v0
                                        ; implicit-def: $sgpr79
	s_inst_prefetch 0x1
	s_branch .LBB82_325
	.p2align	6
.LBB82_322:                             ;   in Loop: Header=BB82_325 Depth=2
	s_or_b32 exec_lo, exec_lo, s80
	s_waitcnt lgkmcnt(0)
	s_barrier
	buffer_gl0_inv
	ds_read_b64 v[14:15], v9 offset:3072
	s_waitcnt lgkmcnt(0)
	s_barrier
	buffer_gl0_inv
	v_cmp_neq_f32_e32 vcc_lo, 0, v14
	s_cbranch_vccnz .LBB82_328
; %bb.323:                              ;   in Loop: Header=BB82_325 Depth=2
	v_add_nc_u32_e32 v4, s42, v4
	v_add_nc_u32_e32 v2, s50, v2
	s_mov_b32 s80, 0
	v_cmp_le_u32_e32 vcc_lo, s78, v4
	s_orn2_b32 s81, vcc_lo, exec_lo
.LBB82_324:                             ;   in Loop: Header=BB82_325 Depth=2
	s_and_b32 s81, exec_lo, s81
	s_or_b32 s28, s81, s28
	s_andn2_b32 s79, s79, exec_lo
	s_and_b32 s80, s80, exec_lo
	s_or_b32 s79, s79, s80
	s_andn2_b32 exec_lo, exec_lo, s28
	s_cbranch_execz .LBB82_329
.LBB82_325:                             ;   Parent Loop BB82_6 Depth=1
                                        ; =>  This Inner Loop Header: Depth=2
	s_mov_b32 s80, exec_lo
	v_cmpx_gt_u32_e64 s29, v4
	s_cbranch_execz .LBB82_322
; %bb.326:                              ;   in Loop: Header=BB82_325 Depth=2
	ds_read_b32 v14, v2
	s_waitcnt lgkmcnt(0)
	v_cmp_lt_i32_e32 vcc_lo, -1, v14
	v_cndmask_b32_e64 v8, -1, 0x80000000, vcc_lo
	v_cmp_o_f32_e32 vcc_lo, v14, v14
	v_xor_b32_e32 v8, v8, v14
	v_cndmask_b32_e32 v8, -1, v8, vcc_lo
	v_and_b32_e32 v8, v8, v29
	v_cmp_eq_u32_e32 vcc_lo, v8, v22
	s_and_b32 exec_lo, exec_lo, vcc_lo
	s_cbranch_execz .LBB82_322
; %bb.327:                              ;   in Loop: Header=BB82_325 Depth=2
	ds_write_b64 v9, v[13:14] offset:3072
	s_branch .LBB82_322
.LBB82_328:                             ;   in Loop: Header=BB82_325 Depth=2
	s_mov_b32 s81, -1
	s_mov_b32 s80, -1
                                        ; implicit-def: $vgpr4
                                        ; implicit-def: $vgpr2
	s_branch .LBB82_324
.LBB82_329:                             ;   in Loop: Header=BB82_6 Depth=1
	s_inst_prefetch 0x2
	s_or_b32 exec_lo, exec_lo, s28
	s_and_b32 s28, s79, exec_lo
.LBB82_330:                             ;   in Loop: Header=BB82_6 Depth=1
	s_or_b32 exec_lo, exec_lo, s77
.LBB82_331:                             ;   in Loop: Header=BB82_6 Depth=1
	s_and_b32 vcc_lo, exec_lo, s76
	s_cbranch_vccz .LBB82_343
; %bb.332:                              ;   in Loop: Header=BB82_6 Depth=1
                                        ; implicit-def: $vgpr15
	s_and_saveexec_b32 s24, s9
	s_cbranch_execz .LBB82_342
; %bb.333:                              ;   in Loop: Header=BB82_6 Depth=1
	v_mov_b32_e32 v8, v7
	v_mov_b32_e32 v2, v0
	s_mov_b32 s25, 0
                                        ; implicit-def: $sgpr29
	s_branch .LBB82_337
.LBB82_334:                             ;   in Loop: Header=BB82_337 Depth=2
	s_or_b32 exec_lo, exec_lo, s76
	s_waitcnt lgkmcnt(0)
	s_barrier
	buffer_gl0_inv
	ds_read_b64 v[14:15], v9 offset:3072
	s_waitcnt lgkmcnt(0)
	s_barrier
	buffer_gl0_inv
	v_cmp_eq_f32_e32 vcc_lo, 0, v14
	s_cbranch_vccz .LBB82_340
; %bb.335:                              ;   in Loop: Header=BB82_337 Depth=2
	v_add_nc_u32_e32 v2, s42, v2
	v_add_nc_u32_e32 v8, s44, v8
	s_mov_b32 s76, 0
	v_cmp_le_u32_e32 vcc_lo, s61, v2
	s_orn2_b32 s77, vcc_lo, exec_lo
.LBB82_336:                             ;   in Loop: Header=BB82_337 Depth=2
	s_and_b32 s77, exec_lo, s77
	s_or_b32 s25, s77, s25
	s_andn2_b32 s29, s29, exec_lo
	s_and_b32 s76, s76, exec_lo
	s_or_b32 s29, s29, s76
	s_andn2_b32 exec_lo, exec_lo, s25
	s_cbranch_execz .LBB82_341
.LBB82_337:                             ;   Parent Loop BB82_6 Depth=1
                                        ; =>  This Inner Loop Header: Depth=2
	s_mov_b32 s76, exec_lo
	v_cmpx_gt_u32_e64 s36, v2
	s_cbranch_execz .LBB82_334
; %bb.338:                              ;   in Loop: Header=BB82_337 Depth=2
	v_lshlrev_b64 v[14:15], 2, v[8:9]
	v_add_co_u32 v14, vcc_lo, s31, v14
	v_add_co_ci_u32_e64 v15, null, s33, v15, vcc_lo
	global_load_dword v14, v[14:15], off
	s_waitcnt vmcnt(0)
	v_cmp_lt_i32_e32 vcc_lo, -1, v14
	v_cndmask_b32_e64 v4, -1, 0x80000000, vcc_lo
	v_cmp_o_f32_e32 vcc_lo, v14, v14
	v_xor_b32_e32 v4, v4, v14
	v_cndmask_b32_e32 v4, -1, v4, vcc_lo
	v_and_b32_e32 v4, v4, v29
	v_cmp_eq_u32_e32 vcc_lo, v4, v22
	s_and_b32 exec_lo, exec_lo, vcc_lo
	s_cbranch_execz .LBB82_334
; %bb.339:                              ;   in Loop: Header=BB82_337 Depth=2
	ds_write_b64 v9, v[13:14] offset:3072
	s_branch .LBB82_334
.LBB82_340:                             ;   in Loop: Header=BB82_337 Depth=2
	s_mov_b32 s77, -1
	s_mov_b32 s76, -1
                                        ; implicit-def: $vgpr2
	s_branch .LBB82_336
.LBB82_341:                             ;   in Loop: Header=BB82_6 Depth=1
	s_or_b32 exec_lo, exec_lo, s25
	s_andn2_b32 s25, s28, exec_lo
	s_and_b32 s28, s29, exec_lo
	s_or_b32 s28, s25, s28
.LBB82_342:                             ;   in Loop: Header=BB82_6 Depth=1
	s_or_b32 exec_lo, exec_lo, s24
	s_mov_b32 s24, 0
	s_mov_b32 s25, -1
.LBB82_343:                             ;   in Loop: Header=BB82_6 Depth=1
	s_orn2_b32 s28, s28, exec_lo
.LBB82_344:                             ;   in Loop: Header=BB82_6 Depth=1
	s_or_b32 exec_lo, exec_lo, s26
	s_mov_b32 s29, 0
	s_and_saveexec_b32 s26, s28
	s_cbranch_execz .LBB82_396
; %bb.345:                              ;   in Loop: Header=BB82_6 Depth=1
	v_mov_b32_e32 v2, 1
	v_mov_b32_e32 v3, 1
	s_xor_b32 s28, s27, -1
	s_mov_b32 s76, 0
	s_and_saveexec_b32 s27, s28
	s_cbranch_execz .LBB82_354
; %bb.346:                              ;   in Loop: Header=BB82_6 Depth=1
	s_mov_b32 s28, exec_lo
	v_cmpx_ge_u32_e64 s16, v1
	s_xor_b32 s28, exec_lo, s28
	s_cbranch_execz .LBB82_351
; %bb.347:                              ;   in Loop: Header=BB82_6 Depth=1
	ds_read_b32 v2, v9 offset:4096
	s_lshl_b32 s29, 1, s69
	v_or_b32_e32 v29, s14, v29
	v_and_or_b32 v22, v22, s15, s29
	s_waitcnt lgkmcnt(0)
	v_cmp_ne_u32_e32 vcc_lo, 0, v2
	s_cbranch_vccnz .LBB82_351
; %bb.348:                              ;   in Loop: Header=BB82_6 Depth=1
	s_and_saveexec_b32 s29, s3
; %bb.349:                              ;   in Loop: Header=BB82_6 Depth=1
	v_mov_b32_e32 v2, s16
	ds_write_b32 v9, v2 offset:4100
; %bb.350:                              ;   in Loop: Header=BB82_6 Depth=1
	s_or_b32 exec_lo, exec_lo, s29
	s_waitcnt lgkmcnt(0)
	s_barrier
	buffer_gl0_inv
.LBB82_351:                             ;   in Loop: Header=BB82_6 Depth=1
	s_or_saveexec_b32 s28, s28
	v_mov_b32_e32 v3, 5
	s_mov_b32 s29, 0
	s_xor_b32 exec_lo, exec_lo, s28
; %bb.352:                              ;   in Loop: Header=BB82_6 Depth=1
	v_subrev_nc_u32_e32 v1, s16, v1
	v_mov_b32_e32 v3, 0
	s_mov_b32 s29, exec_lo
; %bb.353:                              ;   in Loop: Header=BB82_6 Depth=1
	s_or_b32 exec_lo, exec_lo, s28
	v_mov_b32_e32 v2, v1
	s_and_b32 s76, s29, exec_lo
.LBB82_354:                             ;   in Loop: Header=BB82_6 Depth=1
	s_or_b32 exec_lo, exec_lo, s27
	s_mov_b32 s27, -1
                                        ; implicit-def: $sgpr29
                                        ; implicit-def: $sgpr28
	s_and_saveexec_b32 s16, s76
	s_cbranch_execz .LBB82_395
; %bb.355:                              ;   in Loop: Header=BB82_6 Depth=1
	v_cmp_eq_u32_e32 vcc_lo, 1, v2
	s_cmp_eq_u32 s13, 1
	s_mov_b32 s77, -1
	s_cselect_b32 s27, -1, 0
                                        ; implicit-def: $sgpr29
                                        ; implicit-def: $sgpr28
	s_and_b32 s27, s27, vcc_lo
	s_and_saveexec_b32 s76, s27
	s_cbranch_execz .LBB82_383
; %bb.356:                              ;   in Loop: Header=BB82_6 Depth=1
	ds_read_b32 v1, v9 offset:4096
	s_waitcnt lgkmcnt(0)
	s_barrier
	buffer_gl0_inv
	v_readfirstlane_b32 s78, v1
	s_and_saveexec_b32 s28, s6
; %bb.357:                              ;   in Loop: Header=BB82_6 Depth=1
	ds_write_b32 v20, v9
; %bb.358:                              ;   in Loop: Header=BB82_6 Depth=1
	s_or_b32 exec_lo, exec_lo, s28
	v_and_b32_e32 v22, s15, v22
	v_or_b32_e32 v29, s14, v29
	s_mov_b32 s28, -1
	s_mov_b32 s29, 0
	s_cmp_eq_u32 s78, 0
	s_mov_b32 s77, 0
	s_mov_b32 s79, -1
	s_waitcnt lgkmcnt(0)
	s_barrier
	buffer_gl0_inv
                                        ; implicit-def: $vgpr15
	s_cbranch_scc1 .LBB82_370
; %bb.359:                              ;   in Loop: Header=BB82_6 Depth=1
	s_add_i32 s77, s78, s54
                                        ; implicit-def: $vgpr15
	s_mul_hi_u32 s79, s77, s60
	s_mul_i32 s79, s79, s42
	s_sub_i32 s79, s77, s79
	s_sub_i32 s80, s79, s42
	s_cmp_ge_u32 s79, s42
	s_cselect_b32 s79, s80, s79
	s_sub_i32 s80, s79, s42
	s_cmp_ge_u32 s79, s42
	s_cselect_b32 s79, s80, s79
	s_mov_b32 s80, exec_lo
	s_sub_i32 s81, s77, s79
	s_mov_b32 s79, 0
	s_mov_b32 s77, 0
	v_cmpx_gt_u32_e64 s81, v0
	s_cbranch_execz .LBB82_369
; %bb.360:                              ;   in Loop: Header=BB82_6 Depth=1
	v_mov_b32_e32 v1, v18
	v_mov_b32_e32 v4, v0
                                        ; implicit-def: $sgpr82
	s_inst_prefetch 0x1
	s_branch .LBB82_364
	.p2align	6
.LBB82_361:                             ;   in Loop: Header=BB82_364 Depth=2
	s_or_b32 exec_lo, exec_lo, s83
	s_waitcnt lgkmcnt(0)
	s_barrier
	buffer_gl0_inv
	ds_read_b64 v[14:15], v9 offset:3072
	s_waitcnt lgkmcnt(0)
	s_barrier
	buffer_gl0_inv
	v_cmp_neq_f32_e32 vcc_lo, 0, v14
	s_cbranch_vccnz .LBB82_367
; %bb.362:                              ;   in Loop: Header=BB82_364 Depth=2
	v_add_nc_u32_e32 v4, s42, v4
	v_add_nc_u32_e32 v1, s50, v1
	s_mov_b32 s83, 0
	v_cmp_le_u32_e32 vcc_lo, s81, v4
	s_orn2_b32 s84, vcc_lo, exec_lo
.LBB82_363:                             ;   in Loop: Header=BB82_364 Depth=2
	s_and_b32 s84, exec_lo, s84
	s_or_b32 s77, s84, s77
	s_andn2_b32 s82, s82, exec_lo
	s_and_b32 s83, s83, exec_lo
	s_or_b32 s82, s82, s83
	s_andn2_b32 exec_lo, exec_lo, s77
	s_cbranch_execz .LBB82_368
.LBB82_364:                             ;   Parent Loop BB82_6 Depth=1
                                        ; =>  This Inner Loop Header: Depth=2
	s_mov_b32 s83, exec_lo
	v_cmpx_gt_u32_e64 s78, v4
	s_cbranch_execz .LBB82_361
; %bb.365:                              ;   in Loop: Header=BB82_364 Depth=2
	ds_read_b32 v14, v1
	s_waitcnt lgkmcnt(0)
	v_cmp_lt_i32_e32 vcc_lo, -1, v14
	v_cndmask_b32_e64 v8, -1, 0x80000000, vcc_lo
	v_cmp_o_f32_e32 vcc_lo, v14, v14
	v_xor_b32_e32 v8, v8, v14
	v_cndmask_b32_e32 v8, -1, v8, vcc_lo
	v_and_b32_e32 v8, v8, v29
	v_cmp_eq_u32_e32 vcc_lo, v8, v22
	s_and_b32 exec_lo, exec_lo, vcc_lo
	s_cbranch_execz .LBB82_361
; %bb.366:                              ;   in Loop: Header=BB82_364 Depth=2
	ds_write_b64 v9, v[13:14] offset:3072
	s_branch .LBB82_361
.LBB82_367:                             ;   in Loop: Header=BB82_364 Depth=2
	s_mov_b32 s84, -1
	s_mov_b32 s83, -1
                                        ; implicit-def: $vgpr4
                                        ; implicit-def: $vgpr1
	s_branch .LBB82_363
.LBB82_368:                             ;   in Loop: Header=BB82_6 Depth=1
	s_inst_prefetch 0x2
	s_or_b32 exec_lo, exec_lo, s77
	s_and_b32 s77, s82, exec_lo
.LBB82_369:                             ;   in Loop: Header=BB82_6 Depth=1
	s_or_b32 exec_lo, exec_lo, s80
.LBB82_370:                             ;   in Loop: Header=BB82_6 Depth=1
	s_and_b32 vcc_lo, exec_lo, s79
	s_cbranch_vccz .LBB82_382
; %bb.371:                              ;   in Loop: Header=BB82_6 Depth=1
                                        ; implicit-def: $vgpr15
	s_and_saveexec_b32 s28, s9
	s_cbranch_execz .LBB82_381
; %bb.372:                              ;   in Loop: Header=BB82_6 Depth=1
	v_mov_b32_e32 v8, v7
	v_mov_b32_e32 v1, v0
	s_mov_b32 s29, 0
                                        ; implicit-def: $sgpr78
	s_branch .LBB82_376
.LBB82_373:                             ;   in Loop: Header=BB82_376 Depth=2
	s_or_b32 exec_lo, exec_lo, s79
	s_waitcnt lgkmcnt(0)
	s_barrier
	buffer_gl0_inv
	ds_read_b64 v[14:15], v9 offset:3072
	s_waitcnt lgkmcnt(0)
	s_barrier
	buffer_gl0_inv
	v_cmp_eq_f32_e32 vcc_lo, 0, v14
	s_cbranch_vccz .LBB82_379
; %bb.374:                              ;   in Loop: Header=BB82_376 Depth=2
	v_add_nc_u32_e32 v1, s42, v1
	v_add_nc_u32_e32 v8, s44, v8
	s_mov_b32 s79, 0
	v_cmp_le_u32_e32 vcc_lo, s61, v1
	s_orn2_b32 s80, vcc_lo, exec_lo
.LBB82_375:                             ;   in Loop: Header=BB82_376 Depth=2
	s_and_b32 s80, exec_lo, s80
	s_or_b32 s29, s80, s29
	s_andn2_b32 s78, s78, exec_lo
	s_and_b32 s79, s79, exec_lo
	s_or_b32 s78, s78, s79
	s_andn2_b32 exec_lo, exec_lo, s29
	s_cbranch_execz .LBB82_380
.LBB82_376:                             ;   Parent Loop BB82_6 Depth=1
                                        ; =>  This Inner Loop Header: Depth=2
	s_mov_b32 s79, exec_lo
	v_cmpx_gt_u32_e64 s36, v1
	s_cbranch_execz .LBB82_373
; %bb.377:                              ;   in Loop: Header=BB82_376 Depth=2
	v_lshlrev_b64 v[14:15], 2, v[8:9]
	v_add_co_u32 v14, vcc_lo, s31, v14
	v_add_co_ci_u32_e64 v15, null, s33, v15, vcc_lo
	global_load_dword v14, v[14:15], off
	s_waitcnt vmcnt(0)
	v_cmp_lt_i32_e32 vcc_lo, -1, v14
	v_cndmask_b32_e64 v4, -1, 0x80000000, vcc_lo
	v_cmp_o_f32_e32 vcc_lo, v14, v14
	v_xor_b32_e32 v4, v4, v14
	v_cndmask_b32_e32 v4, -1, v4, vcc_lo
	v_and_b32_e32 v4, v4, v29
	v_cmp_eq_u32_e32 vcc_lo, v4, v22
	s_and_b32 exec_lo, exec_lo, vcc_lo
	s_cbranch_execz .LBB82_373
; %bb.378:                              ;   in Loop: Header=BB82_376 Depth=2
	ds_write_b64 v9, v[13:14] offset:3072
	s_branch .LBB82_373
.LBB82_379:                             ;   in Loop: Header=BB82_376 Depth=2
	s_mov_b32 s80, -1
	s_mov_b32 s79, -1
                                        ; implicit-def: $vgpr1
	s_branch .LBB82_375
.LBB82_380:                             ;   in Loop: Header=BB82_6 Depth=1
	s_or_b32 exec_lo, exec_lo, s29
	s_andn2_b32 s29, s77, exec_lo
	s_and_b32 s77, s78, exec_lo
	s_or_b32 s77, s29, s77
.LBB82_381:                             ;   in Loop: Header=BB82_6 Depth=1
	s_or_b32 exec_lo, exec_lo, s28
	s_mov_b32 s28, 0
	s_mov_b32 s29, -1
.LBB82_382:                             ;   in Loop: Header=BB82_6 Depth=1
	s_orn2_b32 s77, s77, exec_lo
.LBB82_383:                             ;   in Loop: Header=BB82_6 Depth=1
	s_or_b32 exec_lo, exec_lo, s76
	s_mov_b32 s78, 0
	s_and_saveexec_b32 s76, s77
	s_cbranch_execz .LBB82_394
; %bb.384:                              ;   in Loop: Header=BB82_6 Depth=1
	v_mov_b32_e32 v3, 1
	v_mov_b32_e32 v1, 1
	s_xor_b32 s77, s27, -1
	s_and_saveexec_b32 s27, s77
	s_cbranch_execz .LBB82_393
; %bb.385:                              ;   in Loop: Header=BB82_6 Depth=1
	s_mov_b32 s77, exec_lo
	v_cmpx_ge_u32_e64 s13, v2
	s_xor_b32 s77, exec_lo, s77
	s_cbranch_execz .LBB82_390
; %bb.386:                              ;   in Loop: Header=BB82_6 Depth=1
	ds_read_b32 v1, v9 offset:4096
	v_and_b32_e32 v22, s15, v22
	v_or_b32_e32 v29, s14, v29
	s_waitcnt lgkmcnt(0)
	v_cmp_ne_u32_e32 vcc_lo, 0, v1
	s_cbranch_vccnz .LBB82_390
; %bb.387:                              ;   in Loop: Header=BB82_6 Depth=1
	s_and_saveexec_b32 s14, s3
; %bb.388:                              ;   in Loop: Header=BB82_6 Depth=1
	v_mov_b32_e32 v1, s13
	ds_write_b32 v9, v1 offset:4100
; %bb.389:                              ;   in Loop: Header=BB82_6 Depth=1
	s_or_b32 exec_lo, exec_lo, s14
	s_waitcnt lgkmcnt(0)
	s_barrier
	buffer_gl0_inv
.LBB82_390:                             ;   in Loop: Header=BB82_6 Depth=1
	s_andn2_saveexec_b32 s14, s77
; %bb.391:                              ;   in Loop: Header=BB82_6 Depth=1
	v_subrev_nc_u32_e32 v2, s13, v2
; %bb.392:                              ;   in Loop: Header=BB82_6 Depth=1
	s_or_b32 exec_lo, exec_lo, s14
	v_mov_b32_e32 v3, 5
	v_mov_b32_e32 v1, v2
.LBB82_393:                             ;   in Loop: Header=BB82_6 Depth=1
	s_or_b32 exec_lo, exec_lo, s27
	v_mov_b32_e32 v2, v1
	s_mov_b32 s78, exec_lo
.LBB82_394:                             ;   in Loop: Header=BB82_6 Depth=1
	s_or_b32 exec_lo, exec_lo, s76
	s_orn2_b32 s27, s78, exec_lo
.LBB82_395:                             ;   in Loop: Header=BB82_6 Depth=1
	s_or_b32 exec_lo, exec_lo, s16
	s_andn2_b32 s13, s25, exec_lo
	s_and_b32 s14, s29, exec_lo
	s_andn2_b32 s15, s24, exec_lo
	s_and_b32 s16, s28, exec_lo
	v_mov_b32_e32 v1, v2
	s_or_b32 s25, s13, s14
	s_or_b32 s24, s15, s16
	s_and_b32 s29, s27, exec_lo
.LBB82_396:                             ;   in Loop: Header=BB82_6 Depth=1
	s_or_b32 exec_lo, exec_lo, s26
	s_orn2_b32 s26, s29, exec_lo
.LBB82_397:                             ;   in Loop: Header=BB82_6 Depth=1
	s_or_b32 exec_lo, exec_lo, s17
	s_andn2_b32 s13, s21, exec_lo
	s_and_b32 s14, s25, exec_lo
	s_andn2_b32 s15, s18, exec_lo
	s_and_b32 s16, s24, exec_lo
	v_mov_b32_e32 v32, v1
	s_or_b32 s21, s13, s14
	s_or_b32 s18, s15, s16
	s_and_b32 s26, s26, exec_lo
.LBB82_398:                             ;   in Loop: Header=BB82_6 Depth=1
	s_or_b32 exec_lo, exec_lo, s23
	s_orn2_b32 s23, s26, exec_lo
.LBB82_399:                             ;   in Loop: Header=BB82_6 Depth=1
	s_or_b32 exec_lo, exec_lo, s10
	s_mov_b32 s10, s19
	s_mov_b32 s13, s11
	s_and_saveexec_b32 s14, s23
; %bb.400:                              ;   in Loop: Header=BB82_6 Depth=1
	v_cmp_ne_u32_e32 vcc_lo, 5, v3
	v_cmp_eq_u32_e64 s10, 5, v3
	s_andn2_b32 s13, s11, exec_lo
	s_andn2_b32 s15, s19, exec_lo
	s_and_b32 s16, vcc_lo, exec_lo
	s_and_b32 s10, s10, exec_lo
	s_or_b32 s13, s13, s16
	s_or_b32 s10, s15, s10
; %bb.401:                              ;   in Loop: Header=BB82_6 Depth=1
	s_or_b32 exec_lo, exec_lo, s14
	s_andn2_b32 s14, s22, exec_lo
	s_and_b32 s15, s21, exec_lo
	s_andn2_b32 s12, s12, exec_lo
	s_and_b32 s16, s18, exec_lo
	s_or_b32 s22, s14, s15
	s_andn2_b32 s11, s11, exec_lo
	s_and_b32 s13, s13, exec_lo
	s_andn2_b32 s14, s19, exec_lo
	s_and_b32 s10, s10, exec_lo
	s_or_b32 s12, s12, s16
	s_or_b32 s11, s11, s13
	;; [unrolled: 1-line block ×3, first 2 shown]
.LBB82_402:                             ;   in Loop: Header=BB82_6 Depth=1
	s_or_b32 exec_lo, exec_lo, s20
	s_mov_b32 s20, 0
	s_mov_b32 s21, 0
	s_and_saveexec_b32 s10, s19
.LBB82_403:                             ;   in Loop: Header=BB82_6 Depth=1
	v_mov_b32_e32 v3, 0
	s_or_b32 s11, s11, exec_lo
.LBB82_404:                             ;   in Loop: Header=BB82_6 Depth=1
	s_or_b32 exec_lo, exec_lo, s10
	s_andn2_b32 s10, s73, exec_lo
	s_and_b32 s14, s22, exec_lo
	s_andn2_b32 s15, s71, exec_lo
	s_and_b32 s12, s12, exec_lo
	v_mov_b32_e32 v30, v32
	s_or_b32 s73, s10, s14
	s_or_b32 s71, s15, s12
	s_andn2_b32 s10, s75, exec_lo
	s_and_b32 s12, s21, exec_lo
	s_andn2_b32 s14, s74, exec_lo
	s_and_b32 s15, s20, exec_lo
	s_mov_b32 s13, -1
	s_andn2_b32 s72, s72, exec_lo
	s_or_b32 s75, s10, s12
	s_or_b32 s74, s14, s15
	s_and_saveexec_b32 s10, s11
	s_xor_b32 s10, exec_lo, s10
	s_cbranch_execz .LBB82_5
; %bb.405:                              ;   in Loop: Header=BB82_6 Depth=1
	s_mov_b32 s11, -1
	s_mov_b32 s12, -1
	s_mov_b32 s13, exec_lo
	v_cmpx_eq_u32_e32 0, v3
	s_cbranch_execz .LBB82_4
; %bb.406:                              ;   in Loop: Header=BB82_6 Depth=1
	s_xor_b32 s65, s65, 1
	s_add_i32 s14, s69, -2
	s_cmp_eq_u32 s69, 0
	s_mov_b32 s69, s14
	s_cselect_b32 s11, -1, 0
	s_xor_b32 s12, exec_lo, -1
	s_orn2_b32 s11, s11, exec_lo
	s_branch .LBB82_4
.LBB82_407:
	s_or_b32 exec_lo, exec_lo, s43
	s_xor_b32 s9, s70, -1
	s_xor_b32 s12, s67, -1
	;; [unrolled: 1-line block ×5, first 2 shown]
	s_mov_b32 s7, 0
	s_and_saveexec_b32 s8, s6
	s_xor_b32 s6, exec_lo, s8
	s_cbranch_execnz .LBB82_412
; %bb.408:
	s_andn2_saveexec_b32 s0, s6
	s_cbranch_execnz .LBB82_431
.LBB82_409:
	s_or_b32 exec_lo, exec_lo, s0
	s_and_saveexec_b32 s0, s7
.LBB82_410:
	; divergent unreachable
.LBB82_411:
	s_endpgm
.LBB82_412:
	s_mov_b32 s8, 0
	s_and_saveexec_b32 s7, s11
	s_xor_b32 s7, exec_lo, s7
	s_cbranch_execz .LBB82_429
; %bb.413:
	s_mov_b32 s11, 0
	s_and_saveexec_b32 s8, s12
	s_xor_b32 s8, exec_lo, s8
	s_cbranch_execz .LBB82_427
; %bb.414:
	s_and_saveexec_b32 s12, s9
	s_xor_b32 s9, exec_lo, s12
	s_cbranch_execz .LBB82_425
; %bb.415:
	s_and_saveexec_b32 s11, s10
	s_xor_b32 s10, exec_lo, s11
; %bb.416:
	v_cmp_lt_i32_e32 vcc_lo, -1, v22
	v_cndmask_b32_e64 v1, 0x80000000, -1, vcc_lo
	v_xor_b32_e32 v15, v1, v22
; %bb.417:
	s_or_b32 exec_lo, exec_lo, s10
	s_and_saveexec_b32 s10, s3
; %bb.418:
	v_mov_b32_e32 v1, 0
	ds_write_b32 v1, v1 offset:4108
; %bb.419:
	s_or_b32 exec_lo, exec_lo, s10
	v_mov_b32_e32 v8, 0
	s_waitcnt lgkmcnt(0)
	s_barrier
	buffer_gl0_inv
	s_and_saveexec_b32 s3, s2
	s_cbranch_execz .LBB82_421
; %bb.420:
	global_load_dword v8, v[5:6], off
.LBB82_421:
	s_or_b32 exec_lo, exec_lo, s3
	v_cmp_lt_i32_e32 vcc_lo, -1, v15
	s_clause 0x1
	s_load_dword s10, s[4:5], 0x1c8
	s_load_dword s11, s[4:5], 0x2a8
	s_mul_i32 s4, s47, s45
	s_mov_b32 s5, 0
	s_add_i32 s12, s36, 31
	v_cndmask_b32_e64 v1, -1, 0x80000000, vcc_lo
	v_cmp_o_f32_e32 vcc_lo, v15, v15
	s_lshl_b64 s[14:15], s[4:5], 2
	s_andn2_b32 s12, s12, 31
	s_mul_i32 s16, s46, s45
	v_xor_b32_e32 v1, v1, v15
	s_mov_b32 s17, s5
	s_add_u32 s13, s40, s14
	s_addc_u32 s14, s41, s15
	s_lshl_b64 s[16:17], s[16:17], 3
	v_cndmask_b32_e32 v7, -1, v1, vcc_lo
	v_cmp_gt_u32_e32 vcc_lo, s12, v0
	s_add_u32 s15, s34, s16
	s_mov_b32 s18, -1
	s_addc_u32 s16, s35, s17
	s_mov_b32 s3, 0
	s_and_saveexec_b32 s17, vcc_lo
	s_cbranch_execnz .LBB82_432
; %bb.422:
	s_or_b32 exec_lo, exec_lo, s17
	s_and_saveexec_b32 s4, s18
	s_cbranch_execnz .LBB82_449
.LBB82_423:
	s_or_b32 exec_lo, exec_lo, s4
	s_and_saveexec_b32 s0, s3
	s_xor_b32 s0, exec_lo, s0
	s_cbranch_execnz .LBB82_472
.LBB82_424:
	s_or_b32 exec_lo, exec_lo, s0
	s_waitcnt lgkmcnt(0)
	s_and_b32 s11, s5, exec_lo
.LBB82_425:
	s_andn2_saveexec_b32 s0, s9
	s_cbranch_execnz .LBB82_474
.LBB82_426:
	s_or_b32 exec_lo, exec_lo, s0
	s_and_b32 s11, s11, exec_lo
.LBB82_427:
	s_andn2_saveexec_b32 s0, s8
	s_cbranch_execnz .LBB82_473
.LBB82_428:
	s_or_b32 exec_lo, exec_lo, s0
	s_and_b32 s8, s11, exec_lo
.LBB82_429:
	s_andn2_saveexec_b32 s0, s7
	s_cbranch_execnz .LBB82_468
.LBB82_430:
	s_or_b32 exec_lo, exec_lo, s0
	s_and_b32 s7, s8, exec_lo
	s_andn2_saveexec_b32 s0, s6
	s_cbranch_execz .LBB82_409
.LBB82_431:
	s_or_b32 s7, s7, exec_lo
	s_trap 2
	s_or_b32 exec_lo, exec_lo, s0
	s_and_saveexec_b32 s0, s7
	s_cbranch_execnz .LBB82_410
	s_branch .LBB82_411
.LBB82_432:
	v_add_nc_u32_e32 v1, s42, v0
	v_mov_b32_e32 v2, 0
	v_mov_b32_e32 v3, v0
	s_mov_b32 s18, 0
                                        ; implicit-def: $sgpr19
                                        ; implicit-def: $vgpr10
	v_mul_lo_u32 v1, s30, v1
	s_branch .LBB82_434
.LBB82_433:                             ;   in Loop: Header=BB82_434 Depth=1
	s_or_b32 exec_lo, exec_lo, s21
	s_xor_b32 s3, s20, -1
	s_and_b32 s4, exec_lo, s4
	s_waitcnt vmcnt(0)
	v_mov_b32_e32 v8, v11
	s_or_b32 s18, s4, s18
	v_mov_b32_e32 v3, v9
	s_andn2_b32 s4, s19, exec_lo
	s_and_b32 s3, s3, exec_lo
	s_or_b32 s19, s4, s3
	s_andn2_b32 exec_lo, exec_lo, s18
	s_cbranch_execz .LBB82_448
.LBB82_434:                             ; =>This Inner Loop Header: Depth=1
	v_add_nc_u32_e32 v9, s42, v3
	v_mov_b32_e32 v11, 0
	s_mov_b32 s4, exec_lo
	v_cmpx_gt_u32_e64 s36, v9
	s_cbranch_execz .LBB82_436
; %bb.435:                              ;   in Loop: Header=BB82_434 Depth=1
	v_lshlrev_b64 v[11:12], 2, v[1:2]
	v_add_co_u32 v11, s3, s31, v11
	v_add_co_ci_u32_e64 v12, null, s33, v12, s3
	global_load_dword v11, v[11:12], off
.LBB82_436:                             ;   in Loop: Header=BB82_434 Depth=1
	s_or_b32 exec_lo, exec_lo, s4
	s_mov_b32 s20, 0
	s_mov_b32 s4, exec_lo
	v_cmpx_gt_u32_e64 s36, v3
	s_cbranch_execz .LBB82_438
; %bb.437:                              ;   in Loop: Header=BB82_434 Depth=1
	s_waitcnt vmcnt(0)
	v_cmp_lt_i32_e64 s3, -1, v8
	v_cndmask_b32_e64 v4, -1, 0x80000000, s3
	v_cmp_o_f32_e64 s3, v8, v8
	v_xor_b32_e32 v4, v4, v8
	v_cndmask_b32_e64 v4, -1, v4, s3
	v_cmp_gt_u32_e64 s3, v4, v7
	v_cndmask_b32_e64 v12, 0, 1, s3
	v_cmp_lt_u32_e64 s3, v4, v7
	v_cndmask_b32_e64 v4, 0, 1, s3
	v_cndmask_b32_e64 v4, v4, v12, s1
	v_and_b32_e32 v4, 1, v4
	v_cmp_eq_u32_e64 s3, 1, v4
	s_and_b32 s20, s3, exec_lo
.LBB82_438:                             ;   in Loop: Header=BB82_434 Depth=1
	s_or_b32 exec_lo, exec_lo, s4
	v_cndmask_b32_e64 v4, 0, 1, s20
	v_cmp_ne_u32_e64 s3, 0, v4
	s_cmp_lg_u32 s3, 0
	s_cselect_b32 s4, -1, 0
	s_and_b32 s4, s0, s4
	s_and_saveexec_b32 s21, s4
	s_cbranch_execz .LBB82_442
; %bb.439:                              ;   in Loop: Header=BB82_434 Depth=1
	s_mov_b32 s24, exec_lo
	s_bcnt1_i32_b32 s22, s3
	v_mbcnt_lo_u32_b32 v4, s24, 0
	s_mov_b32 s23, exec_lo
                                        ; implicit-def: $vgpr10
	v_cmpx_eq_u32_e32 0, v4
	s_cbranch_execz .LBB82_441
; %bb.440:                              ;   in Loop: Header=BB82_434 Depth=1
	s_bcnt1_i32_b32 s4, s24
	s_mul_i32 s4, s22, s4
	s_waitcnt lgkmcnt(0)
	v_mov_b32_e32 v10, s4
	ds_add_rtn_u32 v10, v2, v10 offset:4108
.LBB82_441:                             ;   in Loop: Header=BB82_434 Depth=1
	s_or_b32 exec_lo, exec_lo, s23
	s_waitcnt lgkmcnt(0)
	v_readfirstlane_b32 s4, v10
	v_mad_u32_u24 v10, s22, v4, s4
.LBB82_442:                             ;   in Loop: Header=BB82_434 Depth=1
	s_or_b32 exec_lo, exec_lo, s21
	s_waitcnt lgkmcnt(0)
	ds_bpermute_b32 v10, v2, v10
	s_mov_b32 s4, -1
	s_mov_b32 s22, -1
	s_and_saveexec_b32 s21, s20
	s_cbranch_execz .LBB82_446
; %bb.443:                              ;   in Loop: Header=BB82_434 Depth=1
	v_and_b32_e32 v4, s3, v16
	s_mov_b32 s20, 0
	s_mov_b32 s22, exec_lo
	s_waitcnt lgkmcnt(0)
	v_bcnt_u32_b32 v4, v4, v10
	v_cmpx_gt_u32_e64 s37, v4
	s_cbranch_execz .LBB82_445
; %bb.444:                              ;   in Loop: Header=BB82_434 Depth=1
	v_mul_lo_u32 v12, v4, s10
	v_mul_lo_u32 v14, v4, s11
	v_mov_b32_e32 v13, v2
	v_mov_b32_e32 v15, v2
	;; [unrolled: 1-line block ×3, first 2 shown]
	s_mov_b32 s20, exec_lo
	v_lshlrev_b64 v[12:13], 2, v[12:13]
	v_lshlrev_b64 v[14:15], 3, v[14:15]
	v_add_co_u32 v12, s3, s13, v12
	v_add_co_ci_u32_e64 v13, null, s14, v13, s3
	v_add_co_u32 v14, s3, s15, v14
	v_add_co_ci_u32_e64 v15, null, s16, v15, s3
	s_waitcnt vmcnt(0)
	global_store_dword v[12:13], v8, off
	global_store_dwordx2 v[14:15], v[3:4], off
.LBB82_445:                             ;   in Loop: Header=BB82_434 Depth=1
	s_or_b32 exec_lo, exec_lo, s22
	s_orn2_b32 s22, s20, exec_lo
.LBB82_446:                             ;   in Loop: Header=BB82_434 Depth=1
	s_or_b32 exec_lo, exec_lo, s21
	s_mov_b32 s20, -1
	s_and_saveexec_b32 s21, s22
	s_cbranch_execz .LBB82_433
; %bb.447:                              ;   in Loop: Header=BB82_434 Depth=1
	v_cmp_le_u32_e64 s3, s12, v9
	v_add_nc_u32_e32 v1, s44, v1
	s_xor_b32 s20, exec_lo, -1
	s_orn2_b32 s4, s3, exec_lo
	s_branch .LBB82_433
.LBB82_448:
	s_or_b32 exec_lo, exec_lo, s18
	s_mov_b32 s3, exec_lo
	s_orn2_b32 s18, s19, exec_lo
	s_or_b32 exec_lo, exec_lo, s17
	s_and_saveexec_b32 s4, s18
	s_cbranch_execz .LBB82_423
.LBB82_449:
	s_waitcnt vmcnt(0)
	v_mov_b32_e32 v8, 0
	s_waitcnt lgkmcnt(0)
	s_waitcnt_vscnt null, 0x0
	s_barrier
	buffer_gl0_inv
	s_and_saveexec_b32 s1, s2
	s_cbranch_execz .LBB82_451
; %bb.450:
	global_load_dword v8, v[5:6], off
.LBB82_451:
	s_or_b32 exec_lo, exec_lo, s1
	s_mov_b32 s1, 0
	s_and_saveexec_b32 s2, vcc_lo
	s_cbranch_execz .LBB82_471
; %bb.452:
	v_add_nc_u32_e32 v1, s42, v0
	v_mov_b32_e32 v3, 0
	s_mov_b32 s5, 0
                                        ; implicit-def: $sgpr17
                                        ; implicit-def: $vgpr5
	v_mul_lo_u32 v2, s30, v1
	s_branch .LBB82_455
.LBB82_453:                             ;   in Loop: Header=BB82_455 Depth=1
	s_or_b32 exec_lo, exec_lo, s19
	s_orn2_b32 s20, s21, exec_lo
	s_orn2_b32 s18, s18, exec_lo
.LBB82_454:                             ;   in Loop: Header=BB82_455 Depth=1
	s_or_b32 exec_lo, exec_lo, s1
	s_xor_b32 s1, s20, -1
	s_and_b32 s18, exec_lo, s18
	v_mov_b32_e32 v0, v4
	s_or_b32 s5, s18, s5
	v_mov_b32_e32 v8, v6
	s_andn2_b32 s17, s17, exec_lo
	s_and_b32 s1, s1, exec_lo
	s_or_b32 s17, s17, s1
	s_andn2_b32 exec_lo, exec_lo, s5
	s_cbranch_execz .LBB82_469
.LBB82_455:                             ; =>This Inner Loop Header: Depth=1
	v_add_nc_u32_e32 v4, s42, v0
	v_mov_b32_e32 v6, 0
	s_mov_b32 s1, exec_lo
	v_cmpx_gt_u32_e64 s36, v4
	s_cbranch_execz .LBB82_457
; %bb.456:                              ;   in Loop: Header=BB82_455 Depth=1
	v_lshlrev_b64 v[9:10], 2, v[2:3]
	v_add_co_u32 v9, vcc_lo, s31, v9
	v_add_co_ci_u32_e64 v10, null, s33, v10, vcc_lo
	global_load_dword v6, v[9:10], off
.LBB82_457:                             ;   in Loop: Header=BB82_455 Depth=1
	s_or_b32 exec_lo, exec_lo, s1
	s_waitcnt vmcnt(0)
	v_cmp_lt_i32_e32 vcc_lo, -1, v8
	v_cndmask_b32_e64 v1, -1, 0x80000000, vcc_lo
	v_cmp_o_f32_e32 vcc_lo, v8, v8
	v_xor_b32_e32 v1, v1, v8
	v_cndmask_b32_e32 v1, -1, v1, vcc_lo
	v_cmp_gt_u32_e32 vcc_lo, s36, v0
	v_cmp_eq_u32_e64 s1, v1, v7
	s_and_b32 s19, vcc_lo, s1
	v_cndmask_b32_e64 v1, 0, 1, s19
	v_cmp_ne_u32_e32 vcc_lo, 0, v1
	s_cmp_lg_u32 vcc_lo, 0
	s_cselect_b32 s1, -1, 0
	s_and_b32 s1, s0, s1
	s_and_saveexec_b32 s18, s1
	s_cbranch_execz .LBB82_461
; %bb.458:                              ;   in Loop: Header=BB82_455 Depth=1
	s_mov_b32 s22, exec_lo
	s_bcnt1_i32_b32 s20, vcc_lo
	v_mbcnt_lo_u32_b32 v1, s22, 0
	s_mov_b32 s21, exec_lo
                                        ; implicit-def: $vgpr5
	v_cmpx_eq_u32_e32 0, v1
; %bb.459:                              ;   in Loop: Header=BB82_455 Depth=1
	s_bcnt1_i32_b32 s1, s22
	s_mul_i32 s1, s20, s1
	v_mov_b32_e32 v5, s1
	ds_add_rtn_u32 v5, v3, v5 offset:4108
; %bb.460:                              ;   in Loop: Header=BB82_455 Depth=1
	s_or_b32 exec_lo, exec_lo, s21
	s_waitcnt lgkmcnt(0)
	v_readfirstlane_b32 s1, v5
	v_mad_u32_u24 v5, s20, v1, s1
.LBB82_461:                             ;   in Loop: Header=BB82_455 Depth=1
	s_or_b32 exec_lo, exec_lo, s18
	ds_bpermute_b32 v5, v3, v5
	s_cmp_eq_u32 vcc_lo, 0
	s_mov_b32 s18, -1
	s_cselect_b32 s20, -1, 0
	s_waitcnt lgkmcnt(0)
	v_cmp_gt_u32_e64 s1, s37, v5
	s_or_b32 s21, s20, s1
	s_mov_b32 s20, -1
	s_and_saveexec_b32 s1, s21
	s_cbranch_execz .LBB82_454
; %bb.462:                              ;   in Loop: Header=BB82_455 Depth=1
	v_and_b32_e32 v1, vcc_lo, v16
	v_sub_nc_u32_e32 v9, s37, v5
	s_mov_b32 s21, -1
	v_bcnt_u32_b32 v1, v1, 0
	v_bcnt_u32_b32 v1, 0, v1
	v_cmp_gt_u32_e32 vcc_lo, v9, v1
	s_and_b32 s22, s19, vcc_lo
	s_and_saveexec_b32 s19, s22
	s_cbranch_execz .LBB82_466
; %bb.463:                              ;   in Loop: Header=BB82_455 Depth=1
	v_add_nc_u32_e32 v1, v5, v1
	s_mov_b32 s20, 0
	s_mov_b32 s21, exec_lo
	v_cmpx_gt_u32_e64 s37, v1
; %bb.464:                              ;   in Loop: Header=BB82_455 Depth=1
	v_mul_lo_u32 v9, v1, s10
	v_mul_lo_u32 v11, v1, s11
	v_mov_b32_e32 v10, v3
	v_mov_b32_e32 v12, v3
	;; [unrolled: 1-line block ×3, first 2 shown]
	s_mov_b32 s20, exec_lo
	v_lshlrev_b64 v[9:10], 2, v[9:10]
	v_lshlrev_b64 v[11:12], 3, v[11:12]
	v_add_co_u32 v9, vcc_lo, s13, v9
	v_add_co_ci_u32_e64 v10, null, s14, v10, vcc_lo
	v_add_co_u32 v11, vcc_lo, s15, v11
	v_add_co_ci_u32_e64 v12, null, s16, v12, vcc_lo
	global_store_dword v[9:10], v8, off
	global_store_dwordx2 v[11:12], v[0:1], off
; %bb.465:                              ;   in Loop: Header=BB82_455 Depth=1
	s_or_b32 exec_lo, exec_lo, s21
	s_xor_b32 s21, exec_lo, -1
	s_orn2_b32 s20, s20, exec_lo
.LBB82_466:                             ;   in Loop: Header=BB82_455 Depth=1
	s_or_b32 exec_lo, exec_lo, s19
	s_and_saveexec_b32 s19, s20
	s_cbranch_execz .LBB82_453
; %bb.467:                              ;   in Loop: Header=BB82_455 Depth=1
	v_cmp_le_u32_e32 vcc_lo, s12, v4
	v_add_nc_u32_e32 v2, s44, v2
	s_or_b32 s21, s21, exec_lo
	s_orn2_b32 s18, vcc_lo, exec_lo
	s_branch .LBB82_453
.LBB82_468:
	s_or_b32 s8, s8, exec_lo
	s_trap 2
	s_branch .LBB82_430
.LBB82_469:
	s_or_b32 exec_lo, exec_lo, s5
	s_mov_b32 s0, 0
	s_and_saveexec_b32 s1, s17
	s_xor_b32 s1, exec_lo, s1
	s_cbranch_execnz .LBB82_475
.LBB82_470:
	s_or_b32 exec_lo, exec_lo, s1
	s_and_b32 s1, s0, exec_lo
.LBB82_471:
	s_or_b32 exec_lo, exec_lo, s2
	s_and_b32 s5, s1, exec_lo
	s_andn2_b32 s3, s3, exec_lo
	s_or_b32 exec_lo, exec_lo, s4
	s_and_saveexec_b32 s0, s3
	s_xor_b32 s0, exec_lo, s0
	s_cbranch_execz .LBB82_424
.LBB82_472:
	s_or_b32 s5, s5, exec_lo
	s_trap 2
	s_branch .LBB82_424
.LBB82_473:
	s_or_b32 s11, s11, exec_lo
	s_trap 2
	s_branch .LBB82_428
.LBB82_474:
	s_or_b32 s11, s11, exec_lo
	s_trap 2
	s_branch .LBB82_426
.LBB82_475:
	s_mov_b32 s0, exec_lo
	s_trap 2
	s_branch .LBB82_470
	.section	.rodata,"a",@progbits
	.p2align	6, 0x0
	.amdhsa_kernel _ZN2at6native6sbtopk10gatherTopKIfjLi1ELb0EEEvNS_4cuda6detail10TensorInfoIKT_T0_EES8_S8_bS8_S8_NS5_IS6_S8_EES8_NS5_IlS8_EES8_PS6_
		.amdhsa_group_segment_fixed_size 4112
		.amdhsa_private_segment_fixed_size 0
		.amdhsa_kernarg_size 952
		.amdhsa_user_sgpr_count 6
		.amdhsa_user_sgpr_private_segment_buffer 1
		.amdhsa_user_sgpr_dispatch_ptr 0
		.amdhsa_user_sgpr_queue_ptr 0
		.amdhsa_user_sgpr_kernarg_segment_ptr 1
		.amdhsa_user_sgpr_dispatch_id 0
		.amdhsa_user_sgpr_flat_scratch_init 0
		.amdhsa_user_sgpr_private_segment_size 0
		.amdhsa_wavefront_size32 1
		.amdhsa_uses_dynamic_stack 0
		.amdhsa_system_sgpr_private_segment_wavefront_offset 0
		.amdhsa_system_sgpr_workgroup_id_x 1
		.amdhsa_system_sgpr_workgroup_id_y 1
		.amdhsa_system_sgpr_workgroup_id_z 1
		.amdhsa_system_sgpr_workgroup_info 0
		.amdhsa_system_vgpr_workitem_id 0
		.amdhsa_next_free_vgpr 43
		.amdhsa_next_free_sgpr 89
		.amdhsa_reserve_vcc 1
		.amdhsa_reserve_flat_scratch 0
		.amdhsa_float_round_mode_32 0
		.amdhsa_float_round_mode_16_64 0
		.amdhsa_float_denorm_mode_32 3
		.amdhsa_float_denorm_mode_16_64 3
		.amdhsa_dx10_clamp 1
		.amdhsa_ieee_mode 1
		.amdhsa_fp16_overflow 0
		.amdhsa_workgroup_processor_mode 1
		.amdhsa_memory_ordered 1
		.amdhsa_forward_progress 1
		.amdhsa_shared_vgpr_count 0
		.amdhsa_exception_fp_ieee_invalid_op 0
		.amdhsa_exception_fp_denorm_src 0
		.amdhsa_exception_fp_ieee_div_zero 0
		.amdhsa_exception_fp_ieee_overflow 0
		.amdhsa_exception_fp_ieee_underflow 0
		.amdhsa_exception_fp_ieee_inexact 0
		.amdhsa_exception_int_div_zero 0
	.end_amdhsa_kernel
	.section	.text._ZN2at6native6sbtopk10gatherTopKIfjLi1ELb0EEEvNS_4cuda6detail10TensorInfoIKT_T0_EES8_S8_bS8_S8_NS5_IS6_S8_EES8_NS5_IlS8_EES8_PS6_,"axG",@progbits,_ZN2at6native6sbtopk10gatherTopKIfjLi1ELb0EEEvNS_4cuda6detail10TensorInfoIKT_T0_EES8_S8_bS8_S8_NS5_IS6_S8_EES8_NS5_IlS8_EES8_PS6_,comdat
.Lfunc_end82:
	.size	_ZN2at6native6sbtopk10gatherTopKIfjLi1ELb0EEEvNS_4cuda6detail10TensorInfoIKT_T0_EES8_S8_bS8_S8_NS5_IS6_S8_EES8_NS5_IlS8_EES8_PS6_, .Lfunc_end82-_ZN2at6native6sbtopk10gatherTopKIfjLi1ELb0EEEvNS_4cuda6detail10TensorInfoIKT_T0_EES8_S8_bS8_S8_NS5_IS6_S8_EES8_NS5_IlS8_EES8_PS6_
                                        ; -- End function
	.set _ZN2at6native6sbtopk10gatherTopKIfjLi1ELb0EEEvNS_4cuda6detail10TensorInfoIKT_T0_EES8_S8_bS8_S8_NS5_IS6_S8_EES8_NS5_IlS8_EES8_PS6_.num_vgpr, 43
	.set _ZN2at6native6sbtopk10gatherTopKIfjLi1ELb0EEEvNS_4cuda6detail10TensorInfoIKT_T0_EES8_S8_bS8_S8_NS5_IS6_S8_EES8_NS5_IlS8_EES8_PS6_.num_agpr, 0
	.set _ZN2at6native6sbtopk10gatherTopKIfjLi1ELb0EEEvNS_4cuda6detail10TensorInfoIKT_T0_EES8_S8_bS8_S8_NS5_IS6_S8_EES8_NS5_IlS8_EES8_PS6_.numbered_sgpr, 89
	.set _ZN2at6native6sbtopk10gatherTopKIfjLi1ELb0EEEvNS_4cuda6detail10TensorInfoIKT_T0_EES8_S8_bS8_S8_NS5_IS6_S8_EES8_NS5_IlS8_EES8_PS6_.num_named_barrier, 0
	.set _ZN2at6native6sbtopk10gatherTopKIfjLi1ELb0EEEvNS_4cuda6detail10TensorInfoIKT_T0_EES8_S8_bS8_S8_NS5_IS6_S8_EES8_NS5_IlS8_EES8_PS6_.private_seg_size, 0
	.set _ZN2at6native6sbtopk10gatherTopKIfjLi1ELb0EEEvNS_4cuda6detail10TensorInfoIKT_T0_EES8_S8_bS8_S8_NS5_IS6_S8_EES8_NS5_IlS8_EES8_PS6_.uses_vcc, 1
	.set _ZN2at6native6sbtopk10gatherTopKIfjLi1ELb0EEEvNS_4cuda6detail10TensorInfoIKT_T0_EES8_S8_bS8_S8_NS5_IS6_S8_EES8_NS5_IlS8_EES8_PS6_.uses_flat_scratch, 0
	.set _ZN2at6native6sbtopk10gatherTopKIfjLi1ELb0EEEvNS_4cuda6detail10TensorInfoIKT_T0_EES8_S8_bS8_S8_NS5_IS6_S8_EES8_NS5_IlS8_EES8_PS6_.has_dyn_sized_stack, 0
	.set _ZN2at6native6sbtopk10gatherTopKIfjLi1ELb0EEEvNS_4cuda6detail10TensorInfoIKT_T0_EES8_S8_bS8_S8_NS5_IS6_S8_EES8_NS5_IlS8_EES8_PS6_.has_recursion, 0
	.set _ZN2at6native6sbtopk10gatherTopKIfjLi1ELb0EEEvNS_4cuda6detail10TensorInfoIKT_T0_EES8_S8_bS8_S8_NS5_IS6_S8_EES8_NS5_IlS8_EES8_PS6_.has_indirect_call, 0
	.section	.AMDGPU.csdata,"",@progbits
; Kernel info:
; codeLenInByte = 14404
; TotalNumSgprs: 91
; NumVgprs: 43
; ScratchSize: 0
; MemoryBound: 0
; FloatMode: 240
; IeeeMode: 1
; LDSByteSize: 4112 bytes/workgroup (compile time only)
; SGPRBlocks: 0
; VGPRBlocks: 5
; NumSGPRsForWavesPerEU: 91
; NumVGPRsForWavesPerEU: 43
; Occupancy: 16
; WaveLimiterHint : 1
; COMPUTE_PGM_RSRC2:SCRATCH_EN: 0
; COMPUTE_PGM_RSRC2:USER_SGPR: 6
; COMPUTE_PGM_RSRC2:TRAP_HANDLER: 0
; COMPUTE_PGM_RSRC2:TGID_X_EN: 1
; COMPUTE_PGM_RSRC2:TGID_Y_EN: 1
; COMPUTE_PGM_RSRC2:TGID_Z_EN: 1
; COMPUTE_PGM_RSRC2:TIDIG_COMP_CNT: 0
	.section	.text._ZN2at6native6mbtopk23computeBlockDigitCountsIfjjLi2EEEvNS_4cuda6detail10TensorInfoIKT_T0_EEjPjjS8_iijT1_PSB_Ps,"axG",@progbits,_ZN2at6native6mbtopk23computeBlockDigitCountsIfjjLi2EEEvNS_4cuda6detail10TensorInfoIKT_T0_EEjPjjS8_iijT1_PSB_Ps,comdat
	.protected	_ZN2at6native6mbtopk23computeBlockDigitCountsIfjjLi2EEEvNS_4cuda6detail10TensorInfoIKT_T0_EEjPjjS8_iijT1_PSB_Ps ; -- Begin function _ZN2at6native6mbtopk23computeBlockDigitCountsIfjjLi2EEEvNS_4cuda6detail10TensorInfoIKT_T0_EEjPjjS8_iijT1_PSB_Ps
	.globl	_ZN2at6native6mbtopk23computeBlockDigitCountsIfjjLi2EEEvNS_4cuda6detail10TensorInfoIKT_T0_EEjPjjS8_iijT1_PSB_Ps
	.p2align	8
	.type	_ZN2at6native6mbtopk23computeBlockDigitCountsIfjjLi2EEEvNS_4cuda6detail10TensorInfoIKT_T0_EEjPjjS8_iijT1_PSB_Ps,@function
_ZN2at6native6mbtopk23computeBlockDigitCountsIfjjLi2EEEvNS_4cuda6detail10TensorInfoIKT_T0_EEjPjjS8_iijT1_PSB_Ps: ; @_ZN2at6native6mbtopk23computeBlockDigitCountsIfjjLi2EEEvNS_4cuda6detail10TensorInfoIKT_T0_EEjPjjS8_iijT1_PSB_Ps
; %bb.0:
	s_clause 0x2
	s_load_dwordx2 s[10:11], s[4:5], 0xf8
	s_load_dwordx4 s[12:15], s[4:5], 0xe8
	s_load_dwordx2 s[0:1], s[4:5], 0x110
	s_waitcnt lgkmcnt(0)
	v_cvt_f32_u32_e32 v1, s10
	s_sub_i32 s3, 0, s10
	s_mul_i32 s1, s1, s8
	s_add_i32 s1, s1, s7
	v_rcp_iflag_f32_e32 v1, v1
	s_mul_i32 s16, s1, s0
	s_mov_b32 s7, 0
	s_add_i32 s16, s16, s6
	v_mul_f32_e32 v1, 0x4f7ffffe, v1
	v_cvt_u32_f32_e32 v1, v1
	v_readfirstlane_b32 s2, v1
	s_mul_i32 s3, s3, s2
	s_mul_hi_u32 s0, s2, s3
	s_add_i32 s2, s2, s0
	s_mul_hi_u32 s0, s16, s2
	s_mul_i32 s1, s0, s10
	s_add_i32 s2, s0, 1
	s_sub_i32 s1, s16, s1
	s_sub_i32 s3, s1, s10
	s_cmp_ge_u32 s1, s10
	s_cselect_b32 s0, s2, s0
	s_cselect_b32 s1, s3, s1
	s_add_i32 s2, s0, 1
	s_cmp_ge_u32 s1, s10
	s_cselect_b32 s6, s2, s0
	s_cmp_ge_u32 s6, s12
	s_cbranch_scc1 .LBB83_27
; %bb.1:
	s_clause 0x1
	s_load_dword s17, s[4:5], 0xc
	s_load_dwordx4 s[0:3], s[4:5], 0x100
	s_lshl_b64 s[8:9], s[6:7], 2
	v_cmp_gt_u32_e32 vcc_lo, 0x100, v0
	v_lshlrev_b32_e32 v3, 2, v0
	s_waitcnt lgkmcnt(0)
	v_cvt_f32_u32_e32 v1, s17
	s_add_u32 s8, s0, s8
	s_addc_u32 s9, s1, s9
	v_rcp_iflag_f32_e32 v1, v1
	v_mul_f32_e32 v1, 0x4f7ffffe, v1
	v_cvt_u32_f32_e32 v1, v1
	v_readfirstlane_b32 s18, v1
	s_and_saveexec_b32 s0, vcc_lo
; %bb.2:
	v_mov_b32_e32 v1, 0
	ds_write_b32 v3, v1
; %bb.3:
	s_or_b32 exec_lo, exec_lo, s0
	s_load_dword s7, s[4:5], 0xd8
	s_mul_i32 s0, s6, s10
	s_waitcnt lgkmcnt(0)
	s_sub_i32 s0, s16, s0
	s_barrier
	s_mul_i32 s1, s15, s0
	s_add_i32 s19, s0, 1
	s_lshl_b32 s12, s1, 8
	buffer_gl0_inv
	s_sub_i32 s1, s7, s12
	s_add_u32 s0, s1, 0xff
	s_addc_u32 s1, 0, 0
	s_lshr_b64 s[0:1], s[0:1], 8
	s_cmp_lt_u32 s19, s10
	s_mov_b32 s1, 0
	s_cselect_b32 s10, s15, s0
	s_cmp_lt_i32 s10, 1
	s_cbranch_scc1 .LBB83_25
; %bb.4:
	s_sub_i32 s0, 0, s17
	s_load_dwordx2 s[20:21], s[4:5], 0x0
	s_mul_i32 s0, s0, s18
	s_mul_hi_u32 s0, s18, s0
	s_add_i32 s0, s18, s0
	s_load_dwordx2 s[18:19], s[4:5], 0x6c
	s_mul_hi_u32 s0, s6, s0
	s_load_dword s4, s[8:9], 0x0
	s_mul_i32 s15, s0, s17
	s_sub_i32 s5, s6, s15
	s_add_i32 s15, s0, 1
	s_sub_i32 s22, s5, s17
	s_cmp_ge_u32 s5, s17
	s_cselect_b32 s0, s15, s0
	s_cselect_b32 s5, s22, s5
	s_add_i32 s8, s0, 1
	s_cmp_ge_u32 s5, s17
	s_cselect_b32 s0, s8, s0
	s_mul_i32 s5, s0, s17
	s_sub_i32 s5, s6, s5
	s_waitcnt lgkmcnt(0)
	s_mul_i32 s0, s0, s18
	s_mul_i32 s5, s5, s19
	s_add_i32 s0, s0, s5
	s_lshl_b64 s[8:9], s[0:1], 2
	s_add_u32 s5, s20, s8
	s_addc_u32 s6, s21, s9
	s_and_b32 s8, s14, 0xff
	s_cmp_lt_u32 s10, 4
	s_cbranch_scc1 .LBB83_19
; %bb.5:
	v_add_nc_u32_e32 v1, s12, v0
	v_mov_b32_e32 v9, 1
	s_and_b32 s1, s10, 0x7ffffffc
	s_lshl_b32 s9, s13, 10
	s_mov_b32 s14, 0
	v_add_nc_u32_e32 v4, 0x300, v1
	v_add_nc_u32_e32 v2, 0x200, v1
	;; [unrolled: 1-line block ×3, first 2 shown]
	v_mul_lo_u32 v8, s13, v1
	s_mov_b32 s15, 0
	v_mul_lo_u32 v5, s13, v4
	v_mul_lo_u32 v6, s13, v2
	;; [unrolled: 1-line block ×3, first 2 shown]
	v_mov_b32_e32 v2, 0
	s_branch .LBB83_7
.LBB83_6:                               ;   in Loop: Header=BB83_7 Depth=1
	s_or_b32 exec_lo, exec_lo, s17
	v_add_nc_u32_e32 v4, 0x400, v4
	s_add_i32 s15, s15, 4
	s_add_i32 s14, s14, s9
	s_cmp_eq_u32 s1, s15
	s_cbranch_scc1 .LBB83_19
.LBB83_7:                               ; =>This Inner Loop Header: Depth=1
	v_add_nc_u32_e32 v1, 0xfffffd00, v4
	s_mov_b32 s17, exec_lo
	v_cmpx_gt_u32_e64 s7, v1
	s_cbranch_execz .LBB83_10
; %bb.8:                                ;   in Loop: Header=BB83_7 Depth=1
	v_add_nc_u32_e32 v1, s14, v8
	v_lshlrev_b64 v[10:11], 2, v[1:2]
	v_add_co_u32 v10, s0, s5, v10
	v_add_co_ci_u32_e64 v11, null, s6, v11, s0
	global_load_dword v1, v[10:11], off
	s_waitcnt vmcnt(0)
	v_cmp_lt_i32_e64 s0, -1, v1
	v_cndmask_b32_e64 v10, -1, 0x80000000, s0
	v_cmp_o_f32_e64 s0, v1, v1
	v_xor_b32_e32 v10, v10, v1
	v_cndmask_b32_e64 v1, -1, v10, s0
	v_xor_b32_e32 v10, s4, v1
	v_and_b32_e32 v10, s11, v10
	v_cmp_eq_u32_e64 s0, 0, v10
	s_and_b32 exec_lo, exec_lo, s0
; %bb.9:                                ;   in Loop: Header=BB83_7 Depth=1
	v_bfe_u32 v1, v1, s8, 8
	v_lshlrev_b32_e32 v1, 2, v1
	ds_add_u32 v1, v9
.LBB83_10:                              ;   in Loop: Header=BB83_7 Depth=1
	s_or_b32 exec_lo, exec_lo, s17
	v_add_nc_u32_e32 v1, 0xfffffe00, v4
	s_mov_b32 s17, exec_lo
	v_cmpx_gt_u32_e64 s7, v1
	s_cbranch_execz .LBB83_13
; %bb.11:                               ;   in Loop: Header=BB83_7 Depth=1
	v_add_nc_u32_e32 v1, s14, v7
	v_lshlrev_b64 v[10:11], 2, v[1:2]
	v_add_co_u32 v10, s0, s5, v10
	v_add_co_ci_u32_e64 v11, null, s6, v11, s0
	global_load_dword v1, v[10:11], off
	s_waitcnt vmcnt(0)
	v_cmp_lt_i32_e64 s0, -1, v1
	v_cndmask_b32_e64 v10, -1, 0x80000000, s0
	v_cmp_o_f32_e64 s0, v1, v1
	v_xor_b32_e32 v10, v10, v1
	v_cndmask_b32_e64 v1, -1, v10, s0
	v_xor_b32_e32 v10, s4, v1
	v_and_b32_e32 v10, s11, v10
	v_cmp_eq_u32_e64 s0, 0, v10
	s_and_b32 exec_lo, exec_lo, s0
; %bb.12:                               ;   in Loop: Header=BB83_7 Depth=1
	v_bfe_u32 v1, v1, s8, 8
	v_lshlrev_b32_e32 v1, 2, v1
	ds_add_u32 v1, v9
.LBB83_13:                              ;   in Loop: Header=BB83_7 Depth=1
	s_or_b32 exec_lo, exec_lo, s17
	v_add_nc_u32_e32 v1, 0xffffff00, v4
	s_mov_b32 s17, exec_lo
	v_cmpx_gt_u32_e64 s7, v1
	s_cbranch_execz .LBB83_16
; %bb.14:                               ;   in Loop: Header=BB83_7 Depth=1
	v_add_nc_u32_e32 v1, s14, v6
	v_lshlrev_b64 v[10:11], 2, v[1:2]
	v_add_co_u32 v10, s0, s5, v10
	v_add_co_ci_u32_e64 v11, null, s6, v11, s0
	global_load_dword v1, v[10:11], off
	s_waitcnt vmcnt(0)
	v_cmp_lt_i32_e64 s0, -1, v1
	v_cndmask_b32_e64 v10, -1, 0x80000000, s0
	v_cmp_o_f32_e64 s0, v1, v1
	v_xor_b32_e32 v10, v10, v1
	v_cndmask_b32_e64 v1, -1, v10, s0
	v_xor_b32_e32 v10, s4, v1
	v_and_b32_e32 v10, s11, v10
	v_cmp_eq_u32_e64 s0, 0, v10
	s_and_b32 exec_lo, exec_lo, s0
; %bb.15:                               ;   in Loop: Header=BB83_7 Depth=1
	v_bfe_u32 v1, v1, s8, 8
	v_lshlrev_b32_e32 v1, 2, v1
	ds_add_u32 v1, v9
.LBB83_16:                              ;   in Loop: Header=BB83_7 Depth=1
	s_or_b32 exec_lo, exec_lo, s17
	s_mov_b32 s17, exec_lo
	v_cmpx_gt_u32_e64 s7, v4
	s_cbranch_execz .LBB83_6
; %bb.17:                               ;   in Loop: Header=BB83_7 Depth=1
	v_add_nc_u32_e32 v1, s14, v5
	v_lshlrev_b64 v[10:11], 2, v[1:2]
	v_add_co_u32 v10, s0, s5, v10
	v_add_co_ci_u32_e64 v11, null, s6, v11, s0
	global_load_dword v1, v[10:11], off
	s_waitcnt vmcnt(0)
	v_cmp_lt_i32_e64 s0, -1, v1
	v_cndmask_b32_e64 v10, -1, 0x80000000, s0
	v_cmp_o_f32_e64 s0, v1, v1
	v_xor_b32_e32 v10, v10, v1
	v_cndmask_b32_e64 v1, -1, v10, s0
	v_xor_b32_e32 v10, s4, v1
	v_and_b32_e32 v10, s11, v10
	v_cmp_eq_u32_e64 s0, 0, v10
	s_and_b32 exec_lo, exec_lo, s0
	s_cbranch_execz .LBB83_6
; %bb.18:                               ;   in Loop: Header=BB83_7 Depth=1
	v_bfe_u32 v1, v1, s8, 8
	v_lshlrev_b32_e32 v1, 2, v1
	ds_add_u32 v1, v9
	s_branch .LBB83_6
.LBB83_19:
	s_and_b32 s9, s10, 3
	s_cmp_eq_u32 s9, 0
	s_cbranch_scc1 .LBB83_25
; %bb.20:
	s_lshl_b32 s0, s1, 8
	v_mov_b32_e32 v2, 0
	v_add3_u32 v4, s0, s12, v0
	v_mov_b32_e32 v5, 1
	s_lshl_b32 s1, s13, 8
	v_mul_lo_u32 v1, s13, v4
	s_inst_prefetch 0x1
	s_branch .LBB83_22
	.p2align	6
.LBB83_21:                              ;   in Loop: Header=BB83_22 Depth=1
	s_or_b32 exec_lo, exec_lo, s10
	v_add_nc_u32_e32 v1, s1, v1
	v_add_nc_u32_e32 v4, 0x100, v4
	s_add_i32 s9, s9, -1
	s_cmp_lg_u32 s9, 0
	s_cbranch_scc0 .LBB83_25
.LBB83_22:                              ; =>This Inner Loop Header: Depth=1
	s_mov_b32 s10, exec_lo
	v_cmpx_gt_u32_e64 s7, v4
	s_cbranch_execz .LBB83_21
; %bb.23:                               ;   in Loop: Header=BB83_22 Depth=1
	v_lshlrev_b64 v[6:7], 2, v[1:2]
	v_add_co_u32 v6, s0, s5, v6
	v_add_co_ci_u32_e64 v7, null, s6, v7, s0
	global_load_dword v6, v[6:7], off
	s_waitcnt vmcnt(0)
	v_cmp_lt_i32_e64 s0, -1, v6
	v_cndmask_b32_e64 v7, -1, 0x80000000, s0
	v_cmp_o_f32_e64 s0, v6, v6
	v_xor_b32_e32 v7, v7, v6
	v_cndmask_b32_e64 v6, -1, v7, s0
	v_xor_b32_e32 v7, s4, v6
	v_and_b32_e32 v7, s11, v7
	v_cmp_eq_u32_e64 s0, 0, v7
	s_and_b32 exec_lo, exec_lo, s0
	s_cbranch_execz .LBB83_21
; %bb.24:                               ;   in Loop: Header=BB83_22 Depth=1
	v_bfe_u32 v6, v6, s8, 8
	v_lshlrev_b32_e32 v6, 2, v6
	ds_add_u32 v6, v5
	s_branch .LBB83_21
.LBB83_25:
	s_inst_prefetch 0x2
	s_waitcnt lgkmcnt(0)
	s_barrier
	buffer_gl0_inv
	s_and_saveexec_b32 s0, vcc_lo
	s_cbranch_execz .LBB83_27
; %bb.26:
	ds_read_b32 v2, v3
	v_lshl_or_b32 v0, s16, 8, v0
	v_mov_b32_e32 v1, 0
	v_lshlrev_b64 v[0:1], 1, v[0:1]
	v_add_co_u32 v0, vcc_lo, s2, v0
	v_add_co_ci_u32_e64 v1, null, s3, v1, vcc_lo
	s_waitcnt lgkmcnt(0)
	global_store_short v[0:1], v2, off
.LBB83_27:
	s_endpgm
	.section	.rodata,"a",@progbits
	.p2align	6, 0x0
	.amdhsa_kernel _ZN2at6native6mbtopk23computeBlockDigitCountsIfjjLi2EEEvNS_4cuda6detail10TensorInfoIKT_T0_EEjPjjS8_iijT1_PSB_Ps
		.amdhsa_group_segment_fixed_size 1024
		.amdhsa_private_segment_fixed_size 0
		.amdhsa_kernarg_size 528
		.amdhsa_user_sgpr_count 6
		.amdhsa_user_sgpr_private_segment_buffer 1
		.amdhsa_user_sgpr_dispatch_ptr 0
		.amdhsa_user_sgpr_queue_ptr 0
		.amdhsa_user_sgpr_kernarg_segment_ptr 1
		.amdhsa_user_sgpr_dispatch_id 0
		.amdhsa_user_sgpr_flat_scratch_init 0
		.amdhsa_user_sgpr_private_segment_size 0
		.amdhsa_wavefront_size32 1
		.amdhsa_uses_dynamic_stack 0
		.amdhsa_system_sgpr_private_segment_wavefront_offset 0
		.amdhsa_system_sgpr_workgroup_id_x 1
		.amdhsa_system_sgpr_workgroup_id_y 1
		.amdhsa_system_sgpr_workgroup_id_z 1
		.amdhsa_system_sgpr_workgroup_info 0
		.amdhsa_system_vgpr_workitem_id 0
		.amdhsa_next_free_vgpr 12
		.amdhsa_next_free_sgpr 23
		.amdhsa_reserve_vcc 1
		.amdhsa_reserve_flat_scratch 0
		.amdhsa_float_round_mode_32 0
		.amdhsa_float_round_mode_16_64 0
		.amdhsa_float_denorm_mode_32 3
		.amdhsa_float_denorm_mode_16_64 3
		.amdhsa_dx10_clamp 1
		.amdhsa_ieee_mode 1
		.amdhsa_fp16_overflow 0
		.amdhsa_workgroup_processor_mode 1
		.amdhsa_memory_ordered 1
		.amdhsa_forward_progress 1
		.amdhsa_shared_vgpr_count 0
		.amdhsa_exception_fp_ieee_invalid_op 0
		.amdhsa_exception_fp_denorm_src 0
		.amdhsa_exception_fp_ieee_div_zero 0
		.amdhsa_exception_fp_ieee_overflow 0
		.amdhsa_exception_fp_ieee_underflow 0
		.amdhsa_exception_fp_ieee_inexact 0
		.amdhsa_exception_int_div_zero 0
	.end_amdhsa_kernel
	.section	.text._ZN2at6native6mbtopk23computeBlockDigitCountsIfjjLi2EEEvNS_4cuda6detail10TensorInfoIKT_T0_EEjPjjS8_iijT1_PSB_Ps,"axG",@progbits,_ZN2at6native6mbtopk23computeBlockDigitCountsIfjjLi2EEEvNS_4cuda6detail10TensorInfoIKT_T0_EEjPjjS8_iijT1_PSB_Ps,comdat
.Lfunc_end83:
	.size	_ZN2at6native6mbtopk23computeBlockDigitCountsIfjjLi2EEEvNS_4cuda6detail10TensorInfoIKT_T0_EEjPjjS8_iijT1_PSB_Ps, .Lfunc_end83-_ZN2at6native6mbtopk23computeBlockDigitCountsIfjjLi2EEEvNS_4cuda6detail10TensorInfoIKT_T0_EEjPjjS8_iijT1_PSB_Ps
                                        ; -- End function
	.set _ZN2at6native6mbtopk23computeBlockDigitCountsIfjjLi2EEEvNS_4cuda6detail10TensorInfoIKT_T0_EEjPjjS8_iijT1_PSB_Ps.num_vgpr, 12
	.set _ZN2at6native6mbtopk23computeBlockDigitCountsIfjjLi2EEEvNS_4cuda6detail10TensorInfoIKT_T0_EEjPjjS8_iijT1_PSB_Ps.num_agpr, 0
	.set _ZN2at6native6mbtopk23computeBlockDigitCountsIfjjLi2EEEvNS_4cuda6detail10TensorInfoIKT_T0_EEjPjjS8_iijT1_PSB_Ps.numbered_sgpr, 23
	.set _ZN2at6native6mbtopk23computeBlockDigitCountsIfjjLi2EEEvNS_4cuda6detail10TensorInfoIKT_T0_EEjPjjS8_iijT1_PSB_Ps.num_named_barrier, 0
	.set _ZN2at6native6mbtopk23computeBlockDigitCountsIfjjLi2EEEvNS_4cuda6detail10TensorInfoIKT_T0_EEjPjjS8_iijT1_PSB_Ps.private_seg_size, 0
	.set _ZN2at6native6mbtopk23computeBlockDigitCountsIfjjLi2EEEvNS_4cuda6detail10TensorInfoIKT_T0_EEjPjjS8_iijT1_PSB_Ps.uses_vcc, 1
	.set _ZN2at6native6mbtopk23computeBlockDigitCountsIfjjLi2EEEvNS_4cuda6detail10TensorInfoIKT_T0_EEjPjjS8_iijT1_PSB_Ps.uses_flat_scratch, 0
	.set _ZN2at6native6mbtopk23computeBlockDigitCountsIfjjLi2EEEvNS_4cuda6detail10TensorInfoIKT_T0_EEjPjjS8_iijT1_PSB_Ps.has_dyn_sized_stack, 0
	.set _ZN2at6native6mbtopk23computeBlockDigitCountsIfjjLi2EEEvNS_4cuda6detail10TensorInfoIKT_T0_EEjPjjS8_iijT1_PSB_Ps.has_recursion, 0
	.set _ZN2at6native6mbtopk23computeBlockDigitCountsIfjjLi2EEEvNS_4cuda6detail10TensorInfoIKT_T0_EEjPjjS8_iijT1_PSB_Ps.has_indirect_call, 0
	.section	.AMDGPU.csdata,"",@progbits
; Kernel info:
; codeLenInByte = 1472
; TotalNumSgprs: 25
; NumVgprs: 12
; ScratchSize: 0
; MemoryBound: 0
; FloatMode: 240
; IeeeMode: 1
; LDSByteSize: 1024 bytes/workgroup (compile time only)
; SGPRBlocks: 0
; VGPRBlocks: 1
; NumSGPRsForWavesPerEU: 25
; NumVGPRsForWavesPerEU: 12
; Occupancy: 16
; WaveLimiterHint : 1
; COMPUTE_PGM_RSRC2:SCRATCH_EN: 0
; COMPUTE_PGM_RSRC2:USER_SGPR: 6
; COMPUTE_PGM_RSRC2:TRAP_HANDLER: 0
; COMPUTE_PGM_RSRC2:TGID_X_EN: 1
; COMPUTE_PGM_RSRC2:TGID_Y_EN: 1
; COMPUTE_PGM_RSRC2:TGID_Z_EN: 1
; COMPUTE_PGM_RSRC2:TIDIG_COMP_CNT: 0
	.section	.text._ZN2at6native6mbtopk10gatherTopKIfjLi2EEEvNS_4cuda6detail10TensorInfoIKT_T0_EES8_S8_bjS8_NS5_IS6_S8_EES8_NS5_IlS8_EES8_jjPS6_PjSD_j,"axG",@progbits,_ZN2at6native6mbtopk10gatherTopKIfjLi2EEEvNS_4cuda6detail10TensorInfoIKT_T0_EES8_S8_bjS8_NS5_IS6_S8_EES8_NS5_IlS8_EES8_jjPS6_PjSD_j,comdat
	.protected	_ZN2at6native6mbtopk10gatherTopKIfjLi2EEEvNS_4cuda6detail10TensorInfoIKT_T0_EES8_S8_bjS8_NS5_IS6_S8_EES8_NS5_IlS8_EES8_jjPS6_PjSD_j ; -- Begin function _ZN2at6native6mbtopk10gatherTopKIfjLi2EEEvNS_4cuda6detail10TensorInfoIKT_T0_EES8_S8_bjS8_NS5_IS6_S8_EES8_NS5_IlS8_EES8_jjPS6_PjSD_j
	.globl	_ZN2at6native6mbtopk10gatherTopKIfjLi2EEEvNS_4cuda6detail10TensorInfoIKT_T0_EES8_S8_bjS8_NS5_IS6_S8_EES8_NS5_IlS8_EES8_jjPS6_PjSD_j
	.p2align	8
	.type	_ZN2at6native6mbtopk10gatherTopKIfjLi2EEEvNS_4cuda6detail10TensorInfoIKT_T0_EES8_S8_bjS8_NS5_IS6_S8_EES8_NS5_IlS8_EES8_jjPS6_PjSD_j,@function
_ZN2at6native6mbtopk10gatherTopKIfjLi2EEEvNS_4cuda6detail10TensorInfoIKT_T0_EES8_S8_bjS8_NS5_IS6_S8_EES8_NS5_IlS8_EES8_jjPS6_PjSD_j: ; @_ZN2at6native6mbtopk10gatherTopKIfjLi2EEEvNS_4cuda6detail10TensorInfoIKT_T0_EES8_S8_bjS8_NS5_IS6_S8_EES8_NS5_IlS8_EES8_jjPS6_PjSD_j
; %bb.0:
	s_clause 0x1
	s_load_dwordx2 s[0:1], s[4:5], 0x2d8
	s_load_dword s2, s[4:5], 0x2d0
	s_waitcnt lgkmcnt(0)
	s_mul_i32 s1, s1, s8
	s_add_i32 s1, s1, s7
	s_mul_i32 s0, s1, s0
	s_add_i32 s0, s0, s6
	s_cmp_ge_u32 s0, s2
	s_cbranch_scc1 .LBB84_40
; %bb.1:
	s_clause 0x3
	s_load_dwordx8 s[8:15], s[4:5], 0x2a8
	s_load_dword s37, s[4:5], 0xc
	s_load_dword s36, s[4:5], 0xfc
	s_load_dword s33, s[4:5], 0x1dc
	s_mov_b32 s23, 0
	s_clause 0x4
	s_load_dwordx2 s[6:7], s[4:5], 0xf0
	s_load_dwordx2 s[28:29], s[4:5], 0x6c
	;; [unrolled: 1-line block ×5, first 2 shown]
	s_waitcnt lgkmcnt(0)
	v_cvt_f32_u32_e32 v1, s10
	v_cvt_f32_u32_e32 v2, s37
	;; [unrolled: 1-line block ×4, first 2 shown]
	s_sub_i32 s11, 0, s10
	v_rcp_iflag_f32_e32 v1, v1
	v_rcp_iflag_f32_e32 v2, v2
	v_rcp_iflag_f32_e32 v3, v3
	v_rcp_iflag_f32_e32 v4, v4
	v_mul_f32_e32 v1, 0x4f7ffffe, v1
	v_cvt_u32_f32_e32 v1, v1
	v_readfirstlane_b32 s1, v1
	v_mul_f32_e32 v1, 0x4f7ffffe, v2
	v_mul_f32_e32 v2, 0x4f7ffffe, v3
	;; [unrolled: 1-line block ×3, first 2 shown]
	s_mul_i32 s11, s11, s1
	v_cvt_u32_f32_e32 v1, v1
	s_mul_hi_u32 s11, s1, s11
	v_cvt_u32_f32_e32 v2, v2
	s_add_i32 s1, s1, s11
	v_cvt_u32_f32_e32 v3, v3
	s_mul_hi_u32 s1, s0, s1
	v_readfirstlane_b32 s17, v1
	s_mul_i32 s11, s1, s10
	s_add_i32 s16, s1, 1
	s_sub_i32 s11, s0, s11
	v_readfirstlane_b32 s26, v2
	s_sub_i32 s18, s11, s10
	s_cmp_ge_u32 s11, s10
	v_readfirstlane_b32 s27, v3
	s_cselect_b32 s1, s16, s1
	s_cselect_b32 s11, s18, s11
	s_add_i32 s16, s1, 1
	s_cmp_ge_u32 s11, s10
	s_cselect_b32 s22, s16, s1
	s_sub_i32 s1, 0, s37
	s_sub_i32 s11, 0, s36
	;; [unrolled: 1-line block ×3, first 2 shown]
	s_mul_i32 s16, s22, s10
	s_mul_i32 s1, s1, s17
	;; [unrolled: 1-line block ×4, first 2 shown]
	s_sub_i32 s11, s0, s16
	s_mul_hi_u32 s0, s17, s1
	s_mul_hi_u32 s1, s26, s30
	;; [unrolled: 1-line block ×3, first 2 shown]
	s_lshl_b64 s[18:19], s[22:23], 2
	s_add_i32 s17, s17, s0
	s_add_i32 s31, s26, s1
	s_add_i32 s30, s27, s30
	s_add_u32 s0, s12, s18
	s_addc_u32 s1, s13, s19
	s_load_dwordx2 s[26:27], s[4:5], 0x23c
	s_load_dword s38, s[0:1], 0x0
	v_cmp_ne_u32_e64 s0, 0, v0
	v_cmp_eq_u32_e64 s1, 0, v0
	s_mul_hi_u32 s41, s22, s17
	s_mul_hi_u32 s40, s22, s31
	;; [unrolled: 1-line block ×3, first 2 shown]
	s_and_saveexec_b32 s42, s1
	s_cbranch_execz .LBB84_17
; %bb.2:
	s_load_dwordx2 s[12:13], s[4:5], 0x2c8
	s_mov_b32 s17, s23
	s_lshl_b64 s[30:31], s[16:17], 2
	s_add_u32 s16, s14, s30
	s_addc_u32 s17, s15, s31
	s_waitcnt lgkmcnt(0)
	s_add_u32 s18, s12, s30
	s_addc_u32 s19, s13, s31
	s_cmp_lt_u32 s10, 4
	s_cbranch_scc1 .LBB84_14
; %bb.3:
	s_mov_b32 s43, s23
	s_mov_b32 s44, s23
	;; [unrolled: 1-line block ×3, first 2 shown]
.LBB84_4:                               ; =>This Inner Loop Header: Depth=1
	s_add_u32 s16, s14, s30
	s_addc_u32 s17, s15, s31
	s_add_u32 s34, s12, s30
	s_load_dwordx4 s[16:19], s[16:17], 0x0
	s_addc_u32 s35, s13, s31
	s_cmp_ge_u32 s45, s11
	s_cbranch_scc0 .LBB84_11
; %bb.5:                                ;   in Loop: Header=BB84_4 Depth=1
	s_add_i32 s46, s45, 1
	s_cmp_ge_u32 s46, s11
	s_cbranch_scc0 .LBB84_12
.LBB84_6:                               ;   in Loop: Header=BB84_4 Depth=1
	s_add_i32 s46, s46, 1
	s_cmp_ge_u32 s46, s11
	s_cbranch_scc0 .LBB84_13
.LBB84_7:                               ;   in Loop: Header=BB84_4 Depth=1
	s_add_i32 s46, s46, 1
	s_cmp_ge_u32 s46, s11
	s_cbranch_scc1 .LBB84_9
.LBB84_8:                               ;   in Loop: Header=BB84_4 Depth=1
	s_load_dword s34, s[34:35], 0xc
	s_waitcnt lgkmcnt(0)
	s_add_i32 s23, s23, s19
	s_add_i32 s43, s34, s43
.LBB84_9:                               ;   in Loop: Header=BB84_4 Depth=1
	s_waitcnt lgkmcnt(0)
	s_add_i32 s16, s16, s44
	s_add_i32 s16, s16, s17
	;; [unrolled: 1-line block ×4, first 2 shown]
	s_add_u32 s14, s14, 16
	s_addc_u32 s15, s15, 0
	s_add_u32 s12, s12, 16
	s_addc_u32 s13, s13, 0
	s_add_i32 s35, s46, 4
	s_add_u32 s18, s12, s30
	s_addc_u32 s19, s13, s31
	s_add_u32 s16, s14, s30
	s_addc_u32 s17, s15, s31
	s_add_i32 s34, s46, 1
	s_cmp_ge_u32 s35, s10
	s_cbranch_scc1 .LBB84_15
; %bb.10:                               ;   in Loop: Header=BB84_4 Depth=1
	s_mov_b32 s45, s34
	s_branch .LBB84_4
.LBB84_11:                              ;   in Loop: Header=BB84_4 Depth=1
	s_load_dword s46, s[34:35], 0x0
	s_waitcnt lgkmcnt(0)
	s_add_i32 s23, s16, s23
	s_add_i32 s43, s46, s43
	;; [unrolled: 1-line block ×3, first 2 shown]
	s_cmp_ge_u32 s46, s11
	s_cbranch_scc1 .LBB84_6
.LBB84_12:                              ;   in Loop: Header=BB84_4 Depth=1
	s_load_dword s47, s[34:35], 0x4
	s_waitcnt lgkmcnt(0)
	s_add_i32 s23, s23, s17
	s_add_i32 s43, s47, s43
	;; [unrolled: 1-line block ×3, first 2 shown]
	s_cmp_ge_u32 s46, s11
	s_cbranch_scc1 .LBB84_7
.LBB84_13:                              ;   in Loop: Header=BB84_4 Depth=1
	s_load_dword s47, s[34:35], 0x8
	s_waitcnt lgkmcnt(0)
	s_add_i32 s23, s23, s18
	s_add_i32 s43, s47, s43
	;; [unrolled: 1-line block ×3, first 2 shown]
	s_cmp_ge_u32 s46, s11
	s_cbranch_scc0 .LBB84_8
	s_branch .LBB84_9
.LBB84_14:
	s_mov_b32 s43, 0
	s_mov_b32 s44, 0
	;; [unrolled: 1-line block ×3, first 2 shown]
	s_cmp_ge_u32 s12, s10
	s_cbranch_scc0 .LBB84_38
	s_branch .LBB84_16
.LBB84_15:
	s_add_i32 s12, s45, 4
	s_cmp_ge_u32 s12, s10
	s_cbranch_scc0 .LBB84_38
.LBB84_16:
	v_mov_b32_e32 v1, s43
	v_mov_b32_e32 v2, s44
	;; [unrolled: 1-line block ×4, first 2 shown]
	ds_write_b96 v4, v[1:3] offset:1056
.LBB84_17:
	s_or_b32 exec_lo, exec_lo, s42
	s_load_dwordx4 s[12:15], s[4:5], 0xd8
	s_waitcnt lgkmcnt(0)
	s_mul_i32 s15, s9, s11
	s_add_i32 s11, s11, 1
	s_lshl_b32 s18, s15, 8
	s_barrier
	buffer_gl0_inv
	s_sub_i32 s15, s12, s18
	s_add_u32 s16, s15, 0xff
	s_addc_u32 s17, 0, 0
	s_lshr_b64 s[16:17], s[16:17], 8
	s_cmp_lt_u32 s11, s10
	s_mov_b32 s11, 0
	s_cselect_b32 s9, s9, s16
	s_cmp_eq_u32 s9, 0
	s_cbranch_scc1 .LBB84_40
; %bb.18:
	s_mul_i32 s10, s41, s37
	s_add_i32 s15, s41, 1
	s_sub_i32 s10, s22, s10
	v_mov_b32_e32 v5, 0
	s_sub_i32 s16, s10, s37
	s_cmp_ge_u32 s10, s37
	v_lshrrev_b32_e32 v4, 3, v0
	s_cselect_b32 s15, s15, s41
	s_cselect_b32 s10, s16, s10
	s_add_i32 s16, s15, 1
	s_cmp_ge_u32 s10, s37
	s_mul_i32 s10, s40, s36
	s_cselect_b32 s15, s16, s15
	s_sub_i32 s16, s22, s10
	s_mul_i32 s10, s15, s37
	s_mul_i32 s15, s15, s28
	s_sub_i32 s10, s22, s10
	s_add_i32 s17, s40, 1
	s_mul_i32 s10, s10, s29
	s_sub_i32 s19, s16, s36
	s_add_i32 s10, s15, s10
	s_cmp_ge_u32 s16, s36
	s_mul_i32 s15, s39, s33
	s_cselect_b32 s23, s17, s40
	s_cselect_b32 s16, s19, s16
	s_add_i32 s19, s23, 1
	s_cmp_ge_u32 s16, s36
	ds_read_b96 v[1:3], v5 offset:1056
	s_cselect_b32 s16, s19, s23
	s_sub_i32 s15, s22, s15
	s_mul_i32 s19, s16, s36
	s_mul_i32 s16, s16, s24
	s_sub_i32 s19, s22, s19
	s_add_i32 s23, s39, 1
	s_mul_i32 s19, s19, s25
	s_sub_i32 s24, s15, s33
	s_add_i32 s16, s16, s19
	s_cmp_ge_u32 s15, s33
	s_mov_b32 s17, s11
	s_cselect_b32 s19, s23, s39
	s_cselect_b32 s15, s24, s15
	s_add_i32 s24, s19, 1
	s_cmp_ge_u32 s15, s33
	s_mov_b32 s23, s11
	s_cselect_b32 s15, s24, s19
	s_lshl_b64 s[10:11], s[10:11], 2
	s_mul_i32 s24, s15, s33
	s_mul_i32 s15, s15, s26
	s_sub_i32 s22, s22, s24
	v_add_nc_u32_e32 v9, -1, v0
	s_mul_i32 s22, s22, s27
	v_and_b32_e32 v4, 28, v4
	s_add_i32 s22, s15, s22
	s_add_u32 s10, s20, s10
	s_load_dword s20, s[4:5], 0xe8
	s_addc_u32 s11, s21, s11
	s_lshl_b64 s[16:17], s[16:17], 2
	s_load_dword s4, s[4:5], 0x1c8
	s_add_u32 s6, s6, s16
	s_addc_u32 s7, s7, s17
	s_lshl_b64 s[16:17], s[22:23], 3
	v_lshrrev_b32_e32 v8, 3, v9
	s_add_u32 s15, s2, s16
	s_addc_u32 s16, s3, s17
	v_cmp_o_f32_e64 s19, s38, s38
	s_cmp_gt_i32 s38, -1
	s_waitcnt lgkmcnt(0)
	v_add_nc_u32_e32 v6, v1, v2
	v_lshl_add_u32 v7, v0, 2, v4
	v_and_b32_e32 v4, 0x1ffffffc, v8
	v_add_nc_u32_e32 v1, s18, v0
	s_cselect_b32 s2, 0x80000000, -1
	v_and_b32_e32 v2, 0xfc, v0
	s_xor_b32 s2, s2, s38
	v_lshlrev_b32_e32 v10, 5, v0
	v_mbcnt_lo_u32_b32 v8, -1, 0
	s_and_b32 s3, s19, exec_lo
	s_cselect_b32 s17, s2, -1
	v_cmp_gt_u32_e64 s2, 32, v0
	v_lshl_add_u32 v0, v9, 2, v4
	v_mul_lo_u32 v4, s20, v1
	v_add_nc_u32_e32 v9, v2, v10
	v_and_b32_e32 v10, 15, v8
	v_bfe_i32 v11, v8, 4, 1
	v_add_nc_u32_e32 v12, -1, v8
	s_bitcmp1_b32 s14, 0
                                        ; implicit-def: $vgpr13
	s_cselect_b32 s3, -1, 0
	s_lshl_b32 s5, s20, 8
	s_branch .LBB84_21
.LBB84_19:                              ;   in Loop: Header=BB84_21 Depth=1
	s_or_b32 exec_lo, exec_lo, s14
	v_add_nc_u32_e32 v6, v16, v6
.LBB84_20:                              ;   in Loop: Header=BB84_21 Depth=1
	v_add_nc_u32_e32 v3, v15, v3
	v_add_nc_u32_e32 v4, s5, v4
	;; [unrolled: 1-line block ×3, first 2 shown]
	s_add_i32 s9, s9, -1
	s_cmp_lg_u32 s9, 0
	s_cbranch_scc0 .LBB84_40
.LBB84_21:                              ; =>This Inner Loop Header: Depth=1
	v_mov_b32_e32 v2, 0
	v_mov_b32_e32 v14, 0
	s_mov_b32 s14, exec_lo
	v_cmpx_gt_u32_e64 s12, v1
	s_cbranch_execz .LBB84_23
; %bb.22:                               ;   in Loop: Header=BB84_21 Depth=1
	v_lshlrev_b64 v[13:14], 2, v[4:5]
	v_add_co_u32 v13, vcc_lo, s10, v13
	v_add_co_ci_u32_e64 v14, null, s11, v14, vcc_lo
	global_load_dword v13, v[13:14], off
	s_waitcnt vmcnt(0)
	v_cmp_lt_i32_e32 vcc_lo, -1, v13
	v_cndmask_b32_e64 v2, -1, 0x80000000, vcc_lo
	v_cmp_o_f32_e32 vcc_lo, v13, v13
	v_xor_b32_e32 v2, v2, v13
	v_cndmask_b32_e32 v14, -1, v2, vcc_lo
	v_cmp_lt_u32_e32 vcc_lo, s17, v14
	v_cndmask_b32_e64 v2, 0, 1, vcc_lo
	v_cmp_gt_u32_e32 vcc_lo, s17, v14
	v_cndmask_b32_e64 v15, 0, 1, vcc_lo
	v_cmp_eq_u32_e32 vcc_lo, s17, v14
	v_cndmask_b32_e64 v2, v15, v2, s3
	v_cndmask_b32_e64 v14, 0, 1, vcc_lo
	v_and_b32_e32 v2, 1, v2
.LBB84_23:                              ;   in Loop: Header=BB84_21 Depth=1
	s_or_b32 exec_lo, exec_lo, s14
	ds_write_b32 v7, v2
	s_waitcnt lgkmcnt(0)
	s_barrier
	buffer_gl0_inv
	s_and_saveexec_b32 s14, s2
	s_cbranch_execz .LBB84_25
; %bb.24:                               ;   in Loop: Header=BB84_21 Depth=1
	ds_read2_b32 v[15:16], v9 offset1:1
	ds_read2_b32 v[17:18], v9 offset0:2 offset1:3
	ds_read2_b32 v[19:20], v9 offset0:4 offset1:5
	;; [unrolled: 1-line block ×3, first 2 shown]
	v_cmp_ne_u32_e32 vcc_lo, 0, v10
	; wave barrier
	s_waitcnt lgkmcnt(3)
	v_add_nc_u32_e32 v16, v16, v15
	s_waitcnt lgkmcnt(2)
	v_add3_u32 v16, v16, v17, v18
	s_waitcnt lgkmcnt(1)
	v_add3_u32 v16, v16, v19, v20
	;; [unrolled: 2-line block ×3, first 2 shown]
	v_mov_b32_dpp v17, v16 row_shr:1 row_mask:0xf bank_mask:0xf
	v_cndmask_b32_e32 v17, 0, v17, vcc_lo
	v_cmp_lt_u32_e32 vcc_lo, 1, v10
	v_add_nc_u32_e32 v16, v17, v16
	v_mov_b32_dpp v17, v16 row_shr:2 row_mask:0xf bank_mask:0xf
	v_cndmask_b32_e32 v17, 0, v17, vcc_lo
	v_cmp_lt_u32_e32 vcc_lo, 3, v10
	v_add_nc_u32_e32 v16, v16, v17
	;; [unrolled: 4-line block ×3, first 2 shown]
	v_mov_b32_dpp v17, v16 row_shr:8 row_mask:0xf bank_mask:0xf
	v_cndmask_b32_e32 v17, 0, v17, vcc_lo
	v_cmp_gt_i32_e32 vcc_lo, 0, v12
	v_add_nc_u32_e32 v16, v16, v17
	v_cndmask_b32_e32 v18, v12, v8, vcc_lo
	ds_swizzle_b32 v17, v16 offset:swizzle(BROADCAST,32,15)
	v_lshlrev_b32_e32 v18, 2, v18
	s_waitcnt lgkmcnt(0)
	v_and_b32_e32 v17, v11, v17
	v_add_nc_u32_e32 v16, v16, v17
	ds_bpermute_b32 v16, v18, v16
	s_waitcnt lgkmcnt(0)
	v_add_nc_u32_e32 v15, v16, v15
	v_cndmask_b32_e64 v21, v15, v2, s1
	ds_write_b32 v9, v21
	; wave barrier
	ds_read2_b32 v[15:16], v9 offset0:1 offset1:2
	ds_read2_b32 v[17:18], v9 offset0:3 offset1:4
	;; [unrolled: 1-line block ×3, first 2 shown]
	ds_read_b32 v22, v9 offset:28
	s_waitcnt lgkmcnt(3)
	v_add_nc_u32_e32 v15, v15, v21
	v_add_nc_u32_e32 v16, v16, v15
	s_waitcnt lgkmcnt(2)
	v_add_nc_u32_e32 v17, v17, v16
	v_add_nc_u32_e32 v18, v18, v17
	;; [unrolled: 3-line block ×3, first 2 shown]
	s_waitcnt lgkmcnt(0)
	v_add_nc_u32_e32 v21, v22, v20
	ds_write2_b32 v9, v15, v16 offset0:1 offset1:2
	ds_write2_b32 v9, v17, v18 offset0:3 offset1:4
	;; [unrolled: 1-line block ×3, first 2 shown]
	ds_write_b32 v9, v21 offset:28
.LBB84_25:                              ;   in Loop: Header=BB84_21 Depth=1
	s_or_b32 exec_lo, exec_lo, s14
	v_mov_b32_e32 v16, 0
	s_waitcnt lgkmcnt(0)
	s_barrier
	buffer_gl0_inv
	s_and_saveexec_b32 s14, s0
; %bb.26:                               ;   in Loop: Header=BB84_21 Depth=1
	ds_read_b32 v16, v0
; %bb.27:                               ;   in Loop: Header=BB84_21 Depth=1
	s_or_b32 exec_lo, exec_lo, s14
	ds_read_b32 v15, v5 offset:1048
	s_mov_b32 s14, exec_lo
	s_waitcnt lgkmcnt(0)
	s_barrier
	buffer_gl0_inv
	v_cmpx_ne_u32_e32 0, v2
	s_cbranch_execz .LBB84_29
; %bb.28:                               ;   in Loop: Header=BB84_21 Depth=1
	v_add_nc_u32_e32 v2, v16, v3
	v_mov_b32_e32 v17, v5
	v_mov_b32_e32 v19, v5
	v_mul_lo_u32 v16, v2, s4
	v_mul_lo_u32 v18, v2, s8
	v_mov_b32_e32 v2, v5
	v_lshlrev_b64 v[16:17], 2, v[16:17]
	v_lshlrev_b64 v[18:19], 3, v[18:19]
	v_add_co_u32 v16, vcc_lo, s6, v16
	v_add_co_ci_u32_e64 v17, null, s7, v17, vcc_lo
	v_add_co_u32 v18, vcc_lo, s15, v18
	v_add_co_ci_u32_e64 v19, null, s16, v19, vcc_lo
	global_store_dword v[16:17], v13, off
	global_store_dwordx2 v[18:19], v[1:2], off
.LBB84_29:                              ;   in Loop: Header=BB84_21 Depth=1
	s_or_b32 exec_lo, exec_lo, s14
	v_cmp_le_u32_e32 vcc_lo, s13, v6
	s_cbranch_vccnz .LBB84_20
; %bb.30:                               ;   in Loop: Header=BB84_21 Depth=1
	ds_write_b32 v7, v14
	s_waitcnt lgkmcnt(0)
	s_waitcnt_vscnt null, 0x0
	s_barrier
	buffer_gl0_inv
	s_and_saveexec_b32 s14, s2
	s_cbranch_execz .LBB84_32
; %bb.31:                               ;   in Loop: Header=BB84_21 Depth=1
	ds_read2_b32 v[16:17], v9 offset1:1
	ds_read2_b32 v[18:19], v9 offset0:2 offset1:3
	ds_read2_b32 v[20:21], v9 offset0:4 offset1:5
	;; [unrolled: 1-line block ×3, first 2 shown]
	v_cmp_ne_u32_e32 vcc_lo, 0, v10
	; wave barrier
	s_waitcnt lgkmcnt(3)
	v_add_nc_u32_e32 v2, v17, v16
	s_waitcnt lgkmcnt(2)
	v_add3_u32 v2, v2, v18, v19
	s_waitcnt lgkmcnt(1)
	v_add3_u32 v2, v2, v20, v21
	;; [unrolled: 2-line block ×3, first 2 shown]
	v_mov_b32_dpp v17, v2 row_shr:1 row_mask:0xf bank_mask:0xf
	v_cndmask_b32_e32 v17, 0, v17, vcc_lo
	v_cmp_lt_u32_e32 vcc_lo, 1, v10
	v_add_nc_u32_e32 v2, v17, v2
	v_mov_b32_dpp v17, v2 row_shr:2 row_mask:0xf bank_mask:0xf
	v_cndmask_b32_e32 v17, 0, v17, vcc_lo
	v_cmp_lt_u32_e32 vcc_lo, 3, v10
	v_add_nc_u32_e32 v2, v2, v17
	;; [unrolled: 4-line block ×3, first 2 shown]
	v_mov_b32_dpp v17, v2 row_shr:8 row_mask:0xf bank_mask:0xf
	v_cndmask_b32_e32 v17, 0, v17, vcc_lo
	v_cmp_gt_i32_e32 vcc_lo, 0, v12
	v_add_nc_u32_e32 v2, v2, v17
	v_cndmask_b32_e32 v18, v12, v8, vcc_lo
	ds_swizzle_b32 v17, v2 offset:swizzle(BROADCAST,32,15)
	v_lshlrev_b32_e32 v18, 2, v18
	s_waitcnt lgkmcnt(0)
	v_and_b32_e32 v17, v11, v17
	v_add_nc_u32_e32 v2, v2, v17
	ds_bpermute_b32 v2, v18, v2
	s_waitcnt lgkmcnt(0)
	v_add_nc_u32_e32 v2, v2, v16
	v_cndmask_b32_e64 v2, v2, v14, s1
	ds_write_b32 v9, v2
	; wave barrier
	ds_read2_b32 v[16:17], v9 offset0:1 offset1:2
	ds_read2_b32 v[18:19], v9 offset0:3 offset1:4
	;; [unrolled: 1-line block ×3, first 2 shown]
	ds_read_b32 v22, v9 offset:28
	s_waitcnt lgkmcnt(3)
	v_add_nc_u32_e32 v2, v16, v2
	v_add_nc_u32_e32 v16, v17, v2
	s_waitcnt lgkmcnt(2)
	v_add_nc_u32_e32 v17, v18, v16
	v_add_nc_u32_e32 v18, v19, v17
	;; [unrolled: 3-line block ×3, first 2 shown]
	s_waitcnt lgkmcnt(0)
	v_add_nc_u32_e32 v21, v22, v20
	ds_write2_b32 v9, v2, v16 offset0:1 offset1:2
	ds_write2_b32 v9, v17, v18 offset0:3 offset1:4
	;; [unrolled: 1-line block ×3, first 2 shown]
	ds_write_b32 v9, v21 offset:28
.LBB84_32:                              ;   in Loop: Header=BB84_21 Depth=1
	s_or_b32 exec_lo, exec_lo, s14
	v_mov_b32_e32 v2, 0
	s_waitcnt lgkmcnt(0)
	s_barrier
	buffer_gl0_inv
	s_and_saveexec_b32 s14, s0
; %bb.33:                               ;   in Loop: Header=BB84_21 Depth=1
	ds_read_b32 v2, v0
; %bb.34:                               ;   in Loop: Header=BB84_21 Depth=1
	s_or_b32 exec_lo, exec_lo, s14
	ds_read_b32 v16, v5 offset:1048
	s_mov_b32 s14, exec_lo
	s_waitcnt lgkmcnt(0)
	s_barrier
	buffer_gl0_inv
	v_cmpx_ne_u32_e32 0, v14
	s_cbranch_execz .LBB84_19
; %bb.35:                               ;   in Loop: Header=BB84_21 Depth=1
	v_add_nc_u32_e32 v2, v2, v6
	v_cmp_gt_u32_e32 vcc_lo, s13, v2
	s_and_b32 exec_lo, exec_lo, vcc_lo
	s_cbranch_execz .LBB84_19
; %bb.36:                               ;   in Loop: Header=BB84_21 Depth=1
	v_mul_lo_u32 v17, v2, s4
	v_mul_lo_u32 v19, v2, s8
	v_mov_b32_e32 v18, v5
	v_mov_b32_e32 v20, v5
	v_mov_b32_e32 v2, v5
	v_lshlrev_b64 v[17:18], 2, v[17:18]
	v_lshlrev_b64 v[19:20], 3, v[19:20]
	v_add_co_u32 v17, vcc_lo, s6, v17
	v_add_co_ci_u32_e64 v18, null, s7, v18, vcc_lo
	v_add_co_u32 v19, vcc_lo, s15, v19
	v_add_co_ci_u32_e64 v20, null, s16, v20, vcc_lo
	global_store_dword v[17:18], v13, off
	global_store_dwordx2 v[19:20], v[1:2], off
	s_branch .LBB84_19
	.p2align	6
.LBB84_37:                              ;   in Loop: Header=BB84_38 Depth=1
	s_add_u32 s16, s16, 4
	s_addc_u32 s17, s17, 0
	s_waitcnt lgkmcnt(0)
	s_add_i32 s44, s13, s44
	s_add_u32 s18, s18, 4
	s_addc_u32 s19, s19, 0
	s_add_i32 s12, s12, 1
	s_cmp_lt_u32 s12, s10
	s_cbranch_scc0 .LBB84_16
.LBB84_38:                              ; =>This Inner Loop Header: Depth=1
	s_load_dword s13, s[16:17], 0x0
	s_cmp_ge_u32 s12, s11
	s_cbranch_scc1 .LBB84_37
; %bb.39:                               ;   in Loop: Header=BB84_38 Depth=1
	s_load_dword s14, s[18:19], 0x0
	s_waitcnt lgkmcnt(0)
	s_add_i32 s23, s13, s23
	s_add_i32 s43, s14, s43
	s_branch .LBB84_37
.LBB84_40:
	s_endpgm
	.section	.rodata,"a",@progbits
	.p2align	6, 0x0
	.amdhsa_kernel _ZN2at6native6mbtopk10gatherTopKIfjLi2EEEvNS_4cuda6detail10TensorInfoIKT_T0_EES8_S8_bjS8_NS5_IS6_S8_EES8_NS5_IlS8_EES8_jjPS6_PjSD_j
		.amdhsa_group_segment_fixed_size 1068
		.amdhsa_private_segment_fixed_size 0
		.amdhsa_kernarg_size 984
		.amdhsa_user_sgpr_count 6
		.amdhsa_user_sgpr_private_segment_buffer 1
		.amdhsa_user_sgpr_dispatch_ptr 0
		.amdhsa_user_sgpr_queue_ptr 0
		.amdhsa_user_sgpr_kernarg_segment_ptr 1
		.amdhsa_user_sgpr_dispatch_id 0
		.amdhsa_user_sgpr_flat_scratch_init 0
		.amdhsa_user_sgpr_private_segment_size 0
		.amdhsa_wavefront_size32 1
		.amdhsa_uses_dynamic_stack 0
		.amdhsa_system_sgpr_private_segment_wavefront_offset 0
		.amdhsa_system_sgpr_workgroup_id_x 1
		.amdhsa_system_sgpr_workgroup_id_y 1
		.amdhsa_system_sgpr_workgroup_id_z 1
		.amdhsa_system_sgpr_workgroup_info 0
		.amdhsa_system_vgpr_workitem_id 0
		.amdhsa_next_free_vgpr 24
		.amdhsa_next_free_sgpr 48
		.amdhsa_reserve_vcc 1
		.amdhsa_reserve_flat_scratch 0
		.amdhsa_float_round_mode_32 0
		.amdhsa_float_round_mode_16_64 0
		.amdhsa_float_denorm_mode_32 3
		.amdhsa_float_denorm_mode_16_64 3
		.amdhsa_dx10_clamp 1
		.amdhsa_ieee_mode 1
		.amdhsa_fp16_overflow 0
		.amdhsa_workgroup_processor_mode 1
		.amdhsa_memory_ordered 1
		.amdhsa_forward_progress 1
		.amdhsa_shared_vgpr_count 0
		.amdhsa_exception_fp_ieee_invalid_op 0
		.amdhsa_exception_fp_denorm_src 0
		.amdhsa_exception_fp_ieee_div_zero 0
		.amdhsa_exception_fp_ieee_overflow 0
		.amdhsa_exception_fp_ieee_underflow 0
		.amdhsa_exception_fp_ieee_inexact 0
		.amdhsa_exception_int_div_zero 0
	.end_amdhsa_kernel
	.section	.text._ZN2at6native6mbtopk10gatherTopKIfjLi2EEEvNS_4cuda6detail10TensorInfoIKT_T0_EES8_S8_bjS8_NS5_IS6_S8_EES8_NS5_IlS8_EES8_jjPS6_PjSD_j,"axG",@progbits,_ZN2at6native6mbtopk10gatherTopKIfjLi2EEEvNS_4cuda6detail10TensorInfoIKT_T0_EES8_S8_bjS8_NS5_IS6_S8_EES8_NS5_IlS8_EES8_jjPS6_PjSD_j,comdat
.Lfunc_end84:
	.size	_ZN2at6native6mbtopk10gatherTopKIfjLi2EEEvNS_4cuda6detail10TensorInfoIKT_T0_EES8_S8_bjS8_NS5_IS6_S8_EES8_NS5_IlS8_EES8_jjPS6_PjSD_j, .Lfunc_end84-_ZN2at6native6mbtopk10gatherTopKIfjLi2EEEvNS_4cuda6detail10TensorInfoIKT_T0_EES8_S8_bjS8_NS5_IS6_S8_EES8_NS5_IlS8_EES8_jjPS6_PjSD_j
                                        ; -- End function
	.set _ZN2at6native6mbtopk10gatherTopKIfjLi2EEEvNS_4cuda6detail10TensorInfoIKT_T0_EES8_S8_bjS8_NS5_IS6_S8_EES8_NS5_IlS8_EES8_jjPS6_PjSD_j.num_vgpr, 24
	.set _ZN2at6native6mbtopk10gatherTopKIfjLi2EEEvNS_4cuda6detail10TensorInfoIKT_T0_EES8_S8_bjS8_NS5_IS6_S8_EES8_NS5_IlS8_EES8_jjPS6_PjSD_j.num_agpr, 0
	.set _ZN2at6native6mbtopk10gatherTopKIfjLi2EEEvNS_4cuda6detail10TensorInfoIKT_T0_EES8_S8_bjS8_NS5_IS6_S8_EES8_NS5_IlS8_EES8_jjPS6_PjSD_j.numbered_sgpr, 48
	.set _ZN2at6native6mbtopk10gatherTopKIfjLi2EEEvNS_4cuda6detail10TensorInfoIKT_T0_EES8_S8_bjS8_NS5_IS6_S8_EES8_NS5_IlS8_EES8_jjPS6_PjSD_j.num_named_barrier, 0
	.set _ZN2at6native6mbtopk10gatherTopKIfjLi2EEEvNS_4cuda6detail10TensorInfoIKT_T0_EES8_S8_bjS8_NS5_IS6_S8_EES8_NS5_IlS8_EES8_jjPS6_PjSD_j.private_seg_size, 0
	.set _ZN2at6native6mbtopk10gatherTopKIfjLi2EEEvNS_4cuda6detail10TensorInfoIKT_T0_EES8_S8_bjS8_NS5_IS6_S8_EES8_NS5_IlS8_EES8_jjPS6_PjSD_j.uses_vcc, 1
	.set _ZN2at6native6mbtopk10gatherTopKIfjLi2EEEvNS_4cuda6detail10TensorInfoIKT_T0_EES8_S8_bjS8_NS5_IS6_S8_EES8_NS5_IlS8_EES8_jjPS6_PjSD_j.uses_flat_scratch, 0
	.set _ZN2at6native6mbtopk10gatherTopKIfjLi2EEEvNS_4cuda6detail10TensorInfoIKT_T0_EES8_S8_bjS8_NS5_IS6_S8_EES8_NS5_IlS8_EES8_jjPS6_PjSD_j.has_dyn_sized_stack, 0
	.set _ZN2at6native6mbtopk10gatherTopKIfjLi2EEEvNS_4cuda6detail10TensorInfoIKT_T0_EES8_S8_bjS8_NS5_IS6_S8_EES8_NS5_IlS8_EES8_jjPS6_PjSD_j.has_recursion, 0
	.set _ZN2at6native6mbtopk10gatherTopKIfjLi2EEEvNS_4cuda6detail10TensorInfoIKT_T0_EES8_S8_bjS8_NS5_IS6_S8_EES8_NS5_IlS8_EES8_jjPS6_PjSD_j.has_indirect_call, 0
	.section	.AMDGPU.csdata,"",@progbits
; Kernel info:
; codeLenInByte = 2640
; TotalNumSgprs: 50
; NumVgprs: 24
; ScratchSize: 0
; MemoryBound: 0
; FloatMode: 240
; IeeeMode: 1
; LDSByteSize: 1068 bytes/workgroup (compile time only)
; SGPRBlocks: 0
; VGPRBlocks: 2
; NumSGPRsForWavesPerEU: 50
; NumVGPRsForWavesPerEU: 24
; Occupancy: 16
; WaveLimiterHint : 1
; COMPUTE_PGM_RSRC2:SCRATCH_EN: 0
; COMPUTE_PGM_RSRC2:USER_SGPR: 6
; COMPUTE_PGM_RSRC2:TRAP_HANDLER: 0
; COMPUTE_PGM_RSRC2:TGID_X_EN: 1
; COMPUTE_PGM_RSRC2:TGID_Y_EN: 1
; COMPUTE_PGM_RSRC2:TGID_Z_EN: 1
; COMPUTE_PGM_RSRC2:TIDIG_COMP_CNT: 0
	.section	.text._ZN2at6native6sbtopk10gatherTopKIfjLi2ELb0EEEvNS_4cuda6detail10TensorInfoIKT_T0_EES8_S8_bS8_S8_NS5_IS6_S8_EES8_NS5_IlS8_EES8_PS6_,"axG",@progbits,_ZN2at6native6sbtopk10gatherTopKIfjLi2ELb0EEEvNS_4cuda6detail10TensorInfoIKT_T0_EES8_S8_bS8_S8_NS5_IS6_S8_EES8_NS5_IlS8_EES8_PS6_,comdat
	.protected	_ZN2at6native6sbtopk10gatherTopKIfjLi2ELb0EEEvNS_4cuda6detail10TensorInfoIKT_T0_EES8_S8_bS8_S8_NS5_IS6_S8_EES8_NS5_IlS8_EES8_PS6_ ; -- Begin function _ZN2at6native6sbtopk10gatherTopKIfjLi2ELb0EEEvNS_4cuda6detail10TensorInfoIKT_T0_EES8_S8_bS8_S8_NS5_IS6_S8_EES8_NS5_IlS8_EES8_PS6_
	.globl	_ZN2at6native6sbtopk10gatherTopKIfjLi2ELb0EEEvNS_4cuda6detail10TensorInfoIKT_T0_EES8_S8_bS8_S8_NS5_IS6_S8_EES8_NS5_IlS8_EES8_PS6_
	.p2align	8
	.type	_ZN2at6native6sbtopk10gatherTopKIfjLi2ELb0EEEvNS_4cuda6detail10TensorInfoIKT_T0_EES8_S8_bS8_S8_NS5_IS6_S8_EES8_NS5_IlS8_EES8_PS6_,@function
_ZN2at6native6sbtopk10gatherTopKIfjLi2ELb0EEEvNS_4cuda6detail10TensorInfoIKT_T0_EES8_S8_bS8_S8_NS5_IS6_S8_EES8_NS5_IlS8_EES8_PS6_: ; @_ZN2at6native6sbtopk10gatherTopKIfjLi2ELb0EEEvNS_4cuda6detail10TensorInfoIKT_T0_EES8_S8_bS8_S8_NS5_IS6_S8_EES8_NS5_IlS8_EES8_PS6_
; %bb.0:
	s_clause 0x1
	s_load_dwordx2 s[2:3], s[4:5], 0x2b8
	s_load_dwordx4 s[36:39], s[4:5], 0xd8
	s_add_u32 s10, s4, 0x2b8
	s_addc_u32 s11, s5, 0
	s_waitcnt lgkmcnt(0)
	s_mul_i32 s0, s3, s8
	s_add_i32 s0, s0, s7
	s_mul_i32 s49, s0, s2
	s_add_i32 s49, s49, s6
	s_cmp_ge_u32 s49, s39
	s_cbranch_scc1 .LBB85_411
; %bb.1:
	s_clause 0x9
	s_load_dword s7, s[4:5], 0xc
	s_load_dword s51, s[4:5], 0xfc
	;; [unrolled: 1-line block ×3, first 2 shown]
	s_load_dwordx2 s[34:35], s[4:5], 0xf0
	s_load_dwordx2 s[42:43], s[4:5], 0x23c
	;; [unrolled: 1-line block ×4, first 2 shown]
	s_load_dword s30, s[4:5], 0xe8
	s_load_dwordx2 s[8:9], s[4:5], 0x6c
	s_load_dwordx2 s[0:1], s[4:5], 0x0
	v_cmp_eq_u32_e64 s3, 0, v0
	s_mov_b32 s47, 0
	s_waitcnt lgkmcnt(0)
	v_cvt_f32_u32_e32 v1, s7
	v_cvt_f32_u32_e32 v2, s51
	;; [unrolled: 1-line block ×3, first 2 shown]
	s_sub_i32 s12, 0, s7
	s_sub_i32 s16, 0, s51
	v_rcp_iflag_f32_e32 v1, v1
	v_rcp_iflag_f32_e32 v2, v2
	;; [unrolled: 1-line block ×3, first 2 shown]
	s_sub_i32 s17, 0, s50
	v_mul_f32_e32 v1, 0x4f7ffffe, v1
	v_mul_f32_e32 v2, 0x4f7ffffe, v2
	;; [unrolled: 1-line block ×3, first 2 shown]
	v_cvt_u32_f32_e32 v1, v1
	v_cvt_u32_f32_e32 v2, v2
	;; [unrolled: 1-line block ×3, first 2 shown]
	v_readfirstlane_b32 s13, v1
	v_readfirstlane_b32 s14, v2
	;; [unrolled: 1-line block ×3, first 2 shown]
	s_mul_i32 s12, s12, s13
	s_mul_i32 s16, s16, s14
	s_mul_i32 s17, s17, s15
	s_mul_hi_u32 s12, s13, s12
	s_mul_hi_u32 s16, s14, s16
	;; [unrolled: 1-line block ×3, first 2 shown]
	s_add_i32 s13, s13, s12
	s_add_i32 s14, s14, s16
	;; [unrolled: 1-line block ×3, first 2 shown]
	s_mul_hi_u32 s12, s49, s13
	s_mul_hi_u32 s53, s49, s14
	;; [unrolled: 1-line block ×3, first 2 shown]
	s_and_saveexec_b32 s13, s3
	s_cbranch_execz .LBB85_3
; %bb.2:
	v_mov_b32_e32 v1, 0
	v_mov_b32_e32 v2, s36
	;; [unrolled: 1-line block ×3, first 2 shown]
	ds_write_b96 v1, v[1:3] offset:4096
.LBB85_3:
	s_or_b32 exec_lo, exec_lo, s13
	s_mul_i32 s13, s12, s7
	s_add_i32 s14, s12, 1
	s_sub_i32 s13, s49, s13
	s_waitcnt lgkmcnt(0)
	s_sub_i32 s15, s13, s7
	s_cmp_ge_u32 s13, s7
	s_barrier
	s_cselect_b32 s12, s14, s12
	s_cselect_b32 s13, s15, s13
	buffer_gl0_inv
	s_load_dword s15, s[10:11], 0xc
	s_add_i32 s14, s12, 1
	s_cmp_ge_u32 s13, s7
	v_mbcnt_lo_u32_b32 v17, -1, 0
	s_cselect_b32 s12, s14, s12
	v_cmp_gt_u32_e32 vcc_lo, 32, v0
	s_mul_i32 s7, s12, s7
	s_mul_i32 s8, s12, s8
	s_sub_i32 s7, s49, s7
	v_mov_b32_e32 v9, 0
	s_mul_i32 s7, s7, s9
	v_mul_lo_u32 v7, s30, v0
	s_add_i32 s46, s8, s7
	v_lshlrev_b32_e32 v18, 2, v0
	s_lshl_b64 s[8:9], s[46:47], 2
	v_mov_b32_e32 v8, v9
	s_add_u32 s31, s0, s8
	s_addc_u32 s33, s1, s9
	s_bitcmp1_b32 s38, 0
	v_cmp_gt_i32_e64 s0, 4, v17
	s_cselect_b32 s1, -1, 0
	s_waitcnt lgkmcnt(0)
	s_and_b32 s46, s15, 0xffff
	s_bfe_u32 s7, s15, 0xb0005
	s_lshl_b32 s55, s46, 2
	s_bfe_u32 s8, s46, 0x80008
	v_cvt_f32_u32_e32 v1, s55
	s_xor_b32 s54, s1, -1
	s_lshl_b32 s56, s8, 3
	s_and_b32 s57, vcc_lo, s0
	s_cmpk_gt_u32 s36, 0x300
	v_rcp_iflag_f32_e32 v1, v1
	s_cselect_b32 s58, -1, 0
	s_cmp_gt_u32 s46, 31
	v_cvt_f32_u32_e32 v2, s46
	s_cselect_b32 s59, -1, 0
	s_add_i32 s60, s46, -1
	v_mad_u64_u32 v[12:13], null, s30, v18, s[30:31]
	s_add_i32 s9, s60, s36
	s_cmp_lt_u32 s6, s2
	v_mul_f32_e32 v1, 0x4f7ffffe, v1
	s_cselect_b32 s0, 12, 18
	v_rcp_iflag_f32_e32 v3, v2
	s_add_u32 s38, s10, s0
	s_addc_u32 s39, s11, 0
	s_add_i32 s7, s7, -1
	v_cvt_u32_f32_e32 v1, v1
	s_and_b32 s0, s7, 0xffff
	s_bfe_u32 s61, s46, 0x30005
	s_cmp_gt_u32 s0, 6
	v_add_nc_u32_e32 v20, 0xc00, v18
	v_readfirstlane_b32 s0, v1
	s_cselect_b32 s62, -1, 0
	s_cmp_lg_u32 s61, 0
	v_lshlrev_b64 v[1:2], 2, v[7:8]
	s_cselect_b32 s63, -1, 0
	s_sub_i32 s2, 0, s55
	v_mul_f32_e32 v3, 0x4f7ffffe, v3
	s_mul_i32 s2, s2, s0
	v_lshlrev_b32_e32 v25, 2, v7
	s_mul_hi_u32 s6, s0, s2
	v_add_co_u32 v5, vcc_lo, s31, v1
	s_add_i32 s64, s0, s6
	v_cvt_u32_f32_e32 v1, v3
	s_mul_hi_u32 s6, s36, s64
	v_add_co_ci_u32_e64 v6, null, s33, v2, vcc_lo
	s_mul_i32 s6, s6, s55
	v_readfirstlane_b32 s10, v1
	s_sub_i32 s6, s36, s6
	v_lshlrev_b64 v[1:2], v17, -1
	s_sub_i32 s7, s6, s55
	s_cmp_ge_u32 s6, s55
	v_or_b32_e32 v3, 3, v18
	s_cselect_b32 s7, s7, s6
	v_cmp_gt_u32_e64 s2, s36, v0
	s_sub_i32 s8, s7, s55
	s_cmp_ge_u32 s7, s55
	v_not_b32_e32 v16, v1
	s_cselect_b32 s11, s8, s7
	s_sub_i32 s7, 0, s46
	s_sub_i32 s65, s36, s11
	s_mul_i32 s7, s7, s10
	v_add_nc_u32_e32 v19, s65, v0
	v_lshrrev_b32_e32 v1, 1, v0
	s_mul_hi_u32 s7, s10, s7
	s_movk_i32 s8, 0x1f0
	s_add_i32 s66, s10, s7
	v_mul_lo_u32 v8, v19, s30
	v_and_or_b32 v21, v1, s8, 0xc00
	s_mul_hi_u32 s7, s9, s66
	v_mul_lo_u32 v24, s30, v3
	s_mul_i32 s7, s7, s46
	v_cmp_eq_u32_e64 s0, 0, v17
	s_sub_i32 s7, s9, s7
	v_cmp_gt_u32_e64 s6, 2, v0
	v_lshlrev_b64 v[1:2], 2, v[8:9]
	s_sub_i32 s10, s7, s46
	s_cmp_ge_u32 s7, s46
	v_lshlrev_b32_e32 v27, 4, v0
	s_cselect_b32 s8, s10, s7
	v_cmp_gt_u32_e64 s7, s65, v18
	v_add_co_u32 v10, vcc_lo, s31, v1
	v_add3_u32 v1, s46, s36, v0
	v_add_co_ci_u32_e64 v11, null, s33, v2, vcc_lo
	v_or_b32_e32 v2, 2, v18
	s_sub_i32 s10, s8, s46
	v_subrev_nc_u32_e32 v1, s11, v1
	s_cmp_ge_u32 s8, s46
	v_lshl_or_b32 v28, v17, 2, 0xc00
	s_cselect_b32 s10, s10, s8
	v_mul_lo_u32 v23, s30, v2
	v_mul_lo_u32 v26, s30, v1
	s_sub_i32 s67, s9, s10
	v_cmp_gt_u32_e64 s8, s36, v19
	v_cmp_gt_u32_e64 s9, s67, v0
	v_mov_b32_e32 v30, s37
	v_mov_b32_e32 v13, 1.0
	v_mov_b32_e32 v15, 0
	v_mov_b32_e32 v22, 0
	;; [unrolled: 1-line block ×3, first 2 shown]
	s_mul_i32 s48, s30, s46
	s_lshl_b32 s69, s46, 4
	s_lshl_b32 s68, s48, 2
	s_mov_b32 s75, 30
	s_mov_b32 s71, 0
                                        ; implicit-def: $sgpr70
                                        ; implicit-def: $sgpr74
                                        ; implicit-def: $sgpr73
                                        ; implicit-def: $sgpr76
                                        ; implicit-def: $sgpr72
                                        ; implicit-def: $sgpr80
                                        ; implicit-def: $sgpr81
                                        ; implicit-def: $sgpr77
                                        ; implicit-def: $sgpr79
                                        ; implicit-def: $sgpr78
	s_branch .LBB85_6
.LBB85_4:                               ;   in Loop: Header=BB85_6 Depth=1
	s_or_b32 exec_lo, exec_lo, s13
	v_mov_b32_e32 v30, v32
	s_andn2_b32 s13, s78, exec_lo
	s_and_b32 s12, s12, exec_lo
	s_andn2_b32 s79, s79, exec_lo
	s_or_b32 s78, s13, s12
	s_andn2_b32 s77, s77, exec_lo
	s_andn2_b32 s81, s81, exec_lo
	;; [unrolled: 1-line block ×3, first 2 shown]
	s_orn2_b32 s13, s11, exec_lo
.LBB85_5:                               ;   in Loop: Header=BB85_6 Depth=1
	s_or_b32 exec_lo, exec_lo, s10
	s_and_b32 s10, exec_lo, s13
	s_or_b32 s47, s10, s47
	s_andn2_b32 s10, s72, exec_lo
	s_and_b32 s11, s78, exec_lo
	s_andn2_b32 s12, s76, exec_lo
	s_or_b32 s72, s10, s11
	s_and_b32 s10, s79, exec_lo
	s_andn2_b32 s11, s73, exec_lo
	s_and_b32 s13, s77, exec_lo
	s_or_b32 s76, s12, s10
	s_or_b32 s73, s11, s13
	s_andn2_b32 s10, s74, exec_lo
	s_and_b32 s11, s81, exec_lo
	s_andn2_b32 s12, s70, exec_lo
	s_and_b32 s13, s80, exec_lo
	s_or_b32 s74, s10, s11
	s_or_b32 s70, s12, s13
	s_andn2_b32 exec_lo, exec_lo, s47
	s_cbranch_execz .LBB85_407
.LBB85_6:                               ; =>This Loop Header: Depth=1
                                        ;     Child Loop BB85_12 Depth 2
                                        ;     Child Loop BB85_25 Depth 2
	;; [unrolled: 1-line block ×24, first 2 shown]
	ds_read_b64 v[1:2], v9 offset:4096
	s_waitcnt lgkmcnt(0)
	v_readfirstlane_b32 s82, v1
	s_cmp_lg_u32 s82, 0
	s_cbranch_scc1 .LBB85_33
; %bb.7:                                ;   in Loop: Header=BB85_6 Depth=1
	s_and_b32 vcc_lo, exec_lo, s58
	s_cbranch_vccz .LBB85_20
; %bb.8:                                ;   in Loop: Header=BB85_6 Depth=1
	v_cmp_gt_u32_e32 vcc_lo, 0x301, v2
	s_mov_b32 s12, 0
	s_mov_b32 s10, 0
	s_cbranch_vccz .LBB85_21
; %bb.9:                                ;   in Loop: Header=BB85_6 Depth=1
	s_and_saveexec_b32 s13, s2
	s_cbranch_execz .LBB85_81
; %bb.10:                               ;   in Loop: Header=BB85_6 Depth=1
	global_load_ushort v1, v9, s[38:39]
	global_load_dword v3, v[5:6], off
	v_mov_b32_e32 v4, v0
	s_mov_b32 s14, 0
	s_waitcnt vmcnt(1)
	v_add_nc_u32_e32 v2, v0, v1
	v_mul_lo_u32 v8, s30, v2
	v_mul_lo_u32 v2, s30, v1
	s_branch .LBB85_12
.LBB85_11:                              ;   in Loop: Header=BB85_12 Depth=2
	s_or_b32 exec_lo, exec_lo, s11
	v_add_nc_u32_e32 v8, v8, v2
	v_mov_b32_e32 v3, v14
	s_andn2_b32 exec_lo, exec_lo, s14
	s_cbranch_execz .LBB85_81
.LBB85_12:                              ;   Parent Loop BB85_6 Depth=1
                                        ; =>  This Inner Loop Header: Depth=2
	v_add_nc_u32_e32 v4, v4, v1
	s_waitcnt lgkmcnt(0)
	v_mov_b32_e32 v31, 0
	v_mov_b32_e32 v14, 0
	s_mov_b32 s11, exec_lo
	v_cmp_le_u32_e32 vcc_lo, s36, v4
	v_cmpx_gt_u32_e64 s36, v4
	s_cbranch_execz .LBB85_14
; %bb.13:                               ;   in Loop: Header=BB85_12 Depth=2
	v_lshlrev_b64 v[32:33], 2, v[8:9]
	v_add_co_u32 v32, s10, s31, v32
	v_add_co_ci_u32_e64 v33, null, s33, v33, s10
	global_load_dword v14, v[32:33], off
.LBB85_14:                              ;   in Loop: Header=BB85_12 Depth=2
	s_or_b32 exec_lo, exec_lo, s11
	s_waitcnt vmcnt(0)
	v_cmp_lt_i32_e64 s10, -1, v3
	v_cndmask_b32_e64 v32, -1, 0x80000000, s10
	v_cmp_o_f32_e64 s10, v3, v3
	v_xor_b32_e32 v32, v32, v3
	v_cndmask_b32_e64 v32, -1, v32, s10
	v_and_b32_e32 v32, v32, v29
	v_cmp_eq_u32_e64 s10, v32, v22
	s_cmp_lg_u32 s10, 0
	s_cselect_b32 s11, -1, 0
	s_and_b32 s11, s0, s11
	s_and_saveexec_b32 s15, s11
	s_cbranch_execz .LBB85_18
; %bb.15:                               ;   in Loop: Header=BB85_12 Depth=2
	s_mov_b32 s18, exec_lo
	s_bcnt1_i32_b32 s16, s10
	v_mbcnt_lo_u32_b32 v31, s18, 0
	s_mov_b32 s17, exec_lo
                                        ; implicit-def: $vgpr32
	v_cmpx_eq_u32_e32 0, v31
; %bb.16:                               ;   in Loop: Header=BB85_12 Depth=2
	s_bcnt1_i32_b32 s11, s18
	s_mul_i32 s11, s16, s11
	v_mov_b32_e32 v32, s11
	ds_add_rtn_u32 v32, v9, v32 offset:4104
; %bb.17:                               ;   in Loop: Header=BB85_12 Depth=2
	s_or_b32 exec_lo, exec_lo, s17
	s_waitcnt lgkmcnt(0)
	v_readfirstlane_b32 s11, v32
	v_mad_u32_u24 v31, s16, v31, s11
.LBB85_18:                              ;   in Loop: Header=BB85_12 Depth=2
	s_or_b32 exec_lo, exec_lo, s15
	ds_bpermute_b32 v31, v9, v31
	s_and_b32 s11, exec_lo, vcc_lo
	s_or_b32 s14, s11, s14
	s_and_saveexec_b32 s11, s10
	s_cbranch_execz .LBB85_11
; %bb.19:                               ;   in Loop: Header=BB85_12 Depth=2
	v_and_b32_e32 v32, s10, v16
	v_bcnt_u32_b32 v32, v32, 0
	v_lshlrev_b32_e32 v32, 2, v32
	s_waitcnt lgkmcnt(0)
	v_lshl_add_u32 v31, v31, 2, v32
	ds_write_b32 v31, v3
	s_branch .LBB85_11
.LBB85_20:                              ;   in Loop: Header=BB85_6 Depth=1
	s_mov_b32 s12, -1
	s_mov_b32 s10, 0
.LBB85_21:                              ;   in Loop: Header=BB85_6 Depth=1
	s_and_b32 vcc_lo, exec_lo, s12
	s_cbranch_vccz .LBB85_31
.LBB85_22:                              ;   in Loop: Header=BB85_6 Depth=1
	s_and_saveexec_b32 s10, s2
	s_cbranch_execz .LBB85_28
; %bb.23:                               ;   in Loop: Header=BB85_6 Depth=1
	global_load_ushort v1, v9, s[38:39]
	global_load_dword v3, v[5:6], off
	v_mov_b32_e32 v2, v0
	s_mov_b32 s11, exec_lo
	s_waitcnt vmcnt(1)
	v_add_nc_u32_e32 v4, v0, v1
	v_cmpx_gt_u32_e64 s36, v4
	s_cbranch_execz .LBB85_27
; %bb.24:                               ;   in Loop: Header=BB85_6 Depth=1
	v_mul_lo_u32 v8, s30, v4
	v_mul_lo_u32 v4, s30, v1
	v_lshlrev_b32_e32 v14, 2, v1
	v_mov_b32_e32 v31, v18
	v_mov_b32_e32 v2, v0
	s_mov_b32 s12, 0
	.p2align	6
.LBB85_25:                              ;   Parent Loop BB85_6 Depth=1
                                        ; =>  This Inner Loop Header: Depth=2
	v_lshlrev_b64 v[32:33], 2, v[8:9]
	v_add_nc_u32_e32 v2, v2, v1
	s_waitcnt vmcnt(0)
	ds_write_b32 v31, v3
	v_add_nc_u32_e32 v31, v31, v14
	v_add_nc_u32_e32 v8, v8, v4
	v_add_co_u32 v32, vcc_lo, s31, v32
	v_add_co_ci_u32_e64 v33, null, s33, v33, vcc_lo
	global_load_dword v32, v[32:33], off
	v_add_nc_u32_e32 v33, v1, v2
	v_cmp_le_u32_e32 vcc_lo, s36, v33
	s_or_b32 s12, vcc_lo, s12
	s_waitcnt vmcnt(0)
	v_mov_b32_e32 v3, v32
	s_andn2_b32 exec_lo, exec_lo, s12
	s_cbranch_execnz .LBB85_25
; %bb.26:                               ;   in Loop: Header=BB85_6 Depth=1
	s_or_b32 exec_lo, exec_lo, s12
	v_mov_b32_e32 v3, v32
.LBB85_27:                              ;   in Loop: Header=BB85_6 Depth=1
	s_or_b32 exec_lo, exec_lo, s11
	v_lshlrev_b32_e32 v1, 2, v2
	s_waitcnt vmcnt(0)
	ds_write_b32 v1, v3
.LBB85_28:                              ;   in Loop: Header=BB85_6 Depth=1
	s_or_b32 exec_lo, exec_lo, s10
	s_waitcnt lgkmcnt(0)
	s_barrier
	buffer_gl0_inv
	s_and_saveexec_b32 s10, s3
; %bb.29:                               ;   in Loop: Header=BB85_6 Depth=1
	v_mov_b32_e32 v1, s36
	ds_write_b32 v9, v1 offset:4096
; %bb.30:                               ;   in Loop: Header=BB85_6 Depth=1
	s_or_b32 exec_lo, exec_lo, s10
	s_mov_b32 s10, -1
	s_waitcnt lgkmcnt(0)
	s_barrier
.LBB85_31:                              ;   in Loop: Header=BB85_6 Depth=1
	s_and_b32 vcc_lo, exec_lo, s10
	s_mov_b32 s82, 0
	s_cbranch_vccz .LBB85_33
; %bb.32:                               ;   in Loop: Header=BB85_6 Depth=1
	buffer_gl0_inv
	ds_read_b32 v1, v9 offset:4096
	s_waitcnt lgkmcnt(0)
	v_readfirstlane_b32 s82, v1
.LBB85_33:                              ;   in Loop: Header=BB85_6 Depth=1
	s_cmp_lt_i32 s82, 1
	s_mov_b32 s10, -1
                                        ; implicit-def: $vgpr1
	s_cbranch_scc1 .LBB85_43
; %bb.34:                               ;   in Loop: Header=BB85_6 Depth=1
	s_and_b32 vcc_lo, exec_lo, s10
	s_cbranch_vccnz .LBB85_54
.LBB85_35:                              ;   in Loop: Header=BB85_6 Depth=1
	s_lshl_b32 s10, s71, 7
	s_and_saveexec_b32 s11, s0
.LBB85_36:                              ;   in Loop: Header=BB85_6 Depth=1
	v_lshl_add_u32 v8, s10, 2, v21
	ds_write_b128 v8, v[1:4]
.LBB85_37:                              ;   in Loop: Header=BB85_6 Depth=1
	s_or_b32 exec_lo, exec_lo, s11
	s_waitcnt lgkmcnt(0)
	s_barrier
	buffer_gl0_inv
	s_and_saveexec_b32 s11, s57
	s_cbranch_execz .LBB85_67
; %bb.38:                               ;   in Loop: Header=BB85_6 Depth=1
	v_mov_b32_e32 v1, 0
	s_andn2_b32 vcc_lo, exec_lo, s59
	s_cbranch_vccnz .LBB85_66
; %bb.39:                               ;   in Loop: Header=BB85_6 Depth=1
	s_andn2_b32 vcc_lo, exec_lo, s62
	s_cbranch_vccnz .LBB85_63
; %bb.40:                               ;   in Loop: Header=BB85_6 Depth=1
	v_lshl_add_u32 v2, s71, 9, v28
	v_mov_b32_e32 v1, 0
	s_mov_b32 s12, 0
	.p2align	6
.LBB85_41:                              ;   Parent Loop BB85_6 Depth=1
                                        ; =>  This Inner Loop Header: Depth=2
	ds_read2_b32 v[3:4], v2 offset1:4
	ds_read2_b32 v[31:32], v2 offset0:8 offset1:12
	ds_read2_b32 v[33:34], v2 offset0:16 offset1:20
	;; [unrolled: 1-line block ×3, first 2 shown]
	v_add_nc_u32_e32 v2, 0x80, v2
	s_add_i32 s12, s12, 8
	s_cmp_eq_u32 s56, s12
	s_waitcnt lgkmcnt(3)
	v_add3_u32 v1, v3, v1, v4
	s_waitcnt lgkmcnt(2)
	v_add3_u32 v1, v31, v1, v32
	;; [unrolled: 2-line block ×4, first 2 shown]
	s_cbranch_scc0 .LBB85_41
; %bb.42:                               ;   in Loop: Header=BB85_6 Depth=1
	s_mov_b32 s12, s56
	s_andn2_b32 vcc_lo, exec_lo, s63
	s_cbranch_vccz .LBB85_64
	s_branch .LBB85_66
.LBB85_43:                              ;   in Loop: Header=BB85_6 Depth=1
	v_mov_b32_e32 v1, 0
	v_mov_b32_e32 v2, 0
	;; [unrolled: 1-line block ×4, first 2 shown]
	s_and_saveexec_b32 s21, s7
	s_cbranch_execz .LBB85_47
; %bb.44:                               ;   in Loop: Header=BB85_6 Depth=1
	v_mov_b32_e32 v14, v18
	s_mov_b32 s22, 0
	s_mov_b32 s23, 0
	;; [unrolled: 1-line block ×6, first 2 shown]
.LBB85_45:                              ;   Parent Loop BB85_6 Depth=1
                                        ; =>  This Inner Loop Header: Depth=2
	v_add_nc_u32_e32 v8, s23, v25
	v_add_nc_u32_e32 v14, s55, v14
	v_lshlrev_b64 v[1:2], 2, v[8:9]
	v_add_nc_u32_e32 v8, s23, v12
	v_lshlrev_b64 v[3:4], 2, v[8:9]
	v_add_nc_u32_e32 v8, s23, v23
	v_add_co_u32 v1, vcc_lo, s31, v1
	v_add_co_ci_u32_e64 v2, null, s33, v2, vcc_lo
	v_lshlrev_b64 v[31:32], 2, v[8:9]
	v_add_nc_u32_e32 v8, s23, v24
	s_add_i32 s23, s23, s68
	global_load_dword v33, v[1:2], off
	v_add_co_u32 v1, vcc_lo, s31, v3
	v_add_co_ci_u32_e64 v2, null, s33, v4, vcc_lo
	v_add_co_u32 v31, vcc_lo, s31, v31
	v_add_co_ci_u32_e64 v32, null, s33, v32, vcc_lo
	v_lshlrev_b64 v[3:4], 2, v[8:9]
	s_clause 0x1
	global_load_dword v8, v[1:2], off
	global_load_dword v31, v[31:32], off
	v_add_co_u32 v1, vcc_lo, s31, v3
	v_add_co_ci_u32_e64 v2, null, s33, v4, vcc_lo
	v_cmp_le_u32_e32 vcc_lo, s65, v14
	global_load_dword v1, v[1:2], off
	s_waitcnt vmcnt(3)
	v_cmp_lt_i32_e64 s10, -1, v33
	v_cndmask_b32_e64 v2, -1, 0x80000000, s10
	s_waitcnt vmcnt(2)
	v_cmp_lt_i32_e64 s10, -1, v8
	v_xor_b32_e32 v2, v2, v33
	s_waitcnt vmcnt(1)
	v_cmp_lt_i32_e64 s11, -1, v31
	v_cndmask_b32_e64 v3, -1, 0x80000000, s10
	v_cmp_o_f32_e64 s10, v33, v33
	v_cndmask_b32_e64 v4, -1, 0x80000000, s11
	v_xor_b32_e32 v3, v3, v8
	v_cndmask_b32_e64 v2, -1, v2, s10
	v_cmp_o_f32_e64 s10, v8, v8
	v_xor_b32_e32 v4, v4, v31
	s_waitcnt vmcnt(0)
	v_cmp_o_f32_e64 s15, v1, v1
	v_and_b32_e32 v32, v2, v29
	v_cndmask_b32_e64 v3, -1, v3, s10
	v_cmp_lt_i32_e64 s10, -1, v1
	v_bfe_u32 v2, v2, s75, 2
	v_cndmask_b32_e64 v8, -1, 0x80000000, s10
	v_cmp_o_f32_e64 s10, v31, v31
	v_cmp_eq_u32_e64 s11, 0, v2
	v_and_b32_e32 v31, v3, v29
	v_bfe_u32 v3, v3, s75, 2
	v_xor_b32_e32 v8, v8, v1
	v_cndmask_b32_e64 v4, -1, v4, s10
	v_cmp_eq_u32_e64 s10, v32, v22
	v_cmp_eq_u32_e64 s12, 1, v2
	;; [unrolled: 1-line block ×4, first 2 shown]
	v_cndmask_b32_e64 v1, -1, v8, s15
	s_and_b32 s11, s10, s11
	v_cmp_eq_u32_e64 s15, v31, v22
	v_cmp_eq_u32_e64 s16, 0, v3
	v_cndmask_b32_e64 v8, 0, 1, s11
	v_cmp_eq_u32_e64 s11, 1, v3
	s_and_b32 s12, s10, s12
	v_and_b32_e32 v2, v4, v29
	v_bfe_u32 v4, v4, s75, 2
	v_cndmask_b32_e64 v31, 0, 1, s12
	v_cmp_eq_u32_e64 s12, 2, v3
	s_and_b32 s13, s10, s13
	s_and_b32 s10, s10, s14
	v_cndmask_b32_e64 v32, 0, 1, s13
	s_and_b32 s16, s15, s16
	s_and_b32 s11, s15, s11
	v_cmp_eq_u32_e64 s13, 3, v3
	v_cndmask_b32_e64 v3, 0, 1, s10
	v_cmp_eq_u32_e64 s10, v2, v22
	v_cmp_eq_u32_e64 s14, 0, v4
	v_cmp_ne_u32_e64 s17, 0, v8
	v_cndmask_b32_e64 v8, 0, 1, s16
	v_cmp_eq_u32_e64 s16, 1, v4
	v_cmp_ne_u32_e64 s18, 0, v31
	v_cndmask_b32_e64 v31, 0, 1, s11
	v_cmp_eq_u32_e64 s11, 2, v4
	s_and_b32 s12, s15, s12
	v_and_b32_e32 v2, v1, v29
	v_bfe_u32 v1, v1, s75, 2
	v_cmp_ne_u32_e64 s19, 0, v32
	v_cndmask_b32_e64 v32, 0, 1, s12
	v_cmp_eq_u32_e64 s12, 3, v4
	s_and_b32 s13, s15, s13
	s_and_b32 s14, s10, s14
	;; [unrolled: 1-line block ×4, first 2 shown]
	v_cmp_ne_u32_e64 s20, 0, v3
	v_cndmask_b32_e64 v3, 0, 1, s13
	v_cmp_eq_u32_e64 s13, v2, v22
	v_cmp_eq_u32_e64 s15, 0, v1
	s_bcnt1_i32_b32 s28, s17
	v_cmp_ne_u32_e64 s17, 0, v8
	v_cndmask_b32_e64 v2, 0, 1, s14
	v_cmp_eq_u32_e64 s14, 1, v1
	v_cndmask_b32_e64 v4, 0, 1, s16
	v_cmp_eq_u32_e64 s16, 2, v1
	;; [unrolled: 2-line block ×3, first 2 shown]
	s_and_b32 s10, s10, s12
	s_bcnt1_i32_b32 s84, s20
	v_cndmask_b32_e64 v1, 0, 1, s10
	v_cmp_ne_u32_e64 s20, 0, v3
	s_and_b32 s12, s13, s15
	s_and_b32 s14, s13, s14
	;; [unrolled: 1-line block ×4, first 2 shown]
	v_cmp_ne_u32_e64 s10, 0, v2
	v_cndmask_b32_e64 v2, 0, 1, s12
	v_cmp_ne_u32_e64 s12, 0, v4
	v_cndmask_b32_e64 v3, 0, 1, s14
	v_cndmask_b32_e64 v4, 0, 1, s15
	v_cmp_ne_u32_e64 s15, 0, v1
	v_cndmask_b32_e64 v1, 0, 1, s11
	s_bcnt1_i32_b32 s29, s18
	v_cmp_ne_u32_e64 s18, 0, v31
	s_bcnt1_i32_b32 s83, s19
	v_cmp_ne_u32_e64 s19, 0, v32
	s_add_i32 s24, s84, s24
	v_cmp_ne_u32_e64 s14, 0, v8
	s_bcnt1_i32_b32 s16, s20
	s_bcnt1_i32_b32 s20, s10
	s_add_i32 s16, s24, s16
	v_cmp_ne_u32_e64 s10, 0, v2
	s_bcnt1_i32_b32 s24, s12
	v_cmp_ne_u32_e64 s11, 0, v3
	v_cmp_ne_u32_e64 s12, 0, v4
	;; [unrolled: 1-line block ×3, first 2 shown]
	s_add_i32 s27, s28, s27
	s_add_i32 s26, s29, s26
	;; [unrolled: 1-line block ×3, first 2 shown]
	s_bcnt1_i32_b32 s17, s17
	s_bcnt1_i32_b32 s18, s18
	;; [unrolled: 1-line block ×3, first 2 shown]
	s_add_i32 s17, s27, s17
	s_add_i32 s18, s26, s18
	;; [unrolled: 1-line block ×3, first 2 shown]
	s_bcnt1_i32_b32 s14, s14
	s_bcnt1_i32_b32 s15, s15
	s_add_i32 s17, s17, s20
	s_add_i32 s18, s18, s24
	;; [unrolled: 1-line block ×4, first 2 shown]
	s_bcnt1_i32_b32 s10, s10
	s_bcnt1_i32_b32 s11, s11
	;; [unrolled: 1-line block ×4, first 2 shown]
	s_add_i32 s27, s17, s10
	s_add_i32 s26, s18, s11
	;; [unrolled: 1-line block ×4, first 2 shown]
	v_mov_b32_e32 v1, s27
	v_mov_b32_e32 v2, s26
	;; [unrolled: 1-line block ×4, first 2 shown]
	s_or_b32 s22, vcc_lo, s22
	s_andn2_b32 exec_lo, exec_lo, s22
	s_cbranch_execnz .LBB85_45
; %bb.46:                               ;   in Loop: Header=BB85_6 Depth=1
	s_or_b32 exec_lo, exec_lo, s22
.LBB85_47:                              ;   in Loop: Header=BB85_6 Depth=1
	s_or_b32 exec_lo, exec_lo, s21
	s_and_saveexec_b32 s14, s8
	s_cbranch_execz .LBB85_53
; %bb.48:                               ;   in Loop: Header=BB85_6 Depth=1
	global_load_dword v32, v[10:11], off
	v_mov_b32_e32 v8, v26
	v_mov_b32_e32 v14, v19
	s_mov_b32 s15, 0
	s_branch .LBB85_50
.LBB85_49:                              ;   in Loop: Header=BB85_50 Depth=2
	s_or_b32 exec_lo, exec_lo, s11
	s_waitcnt vmcnt(0)
	v_cmp_lt_i32_e64 s10, -1, v32
	s_and_b32 s11, exec_lo, vcc_lo
	v_add_nc_u32_e32 v8, s48, v8
	s_or_b32 s15, s11, s15
	v_cndmask_b32_e64 v33, -1, 0x80000000, s10
	v_cmp_o_f32_e64 s10, v32, v32
	v_xor_b32_e32 v33, v33, v32
	v_cndmask_b32_e64 v32, -1, v33, s10
	v_and_b32_e32 v33, v32, v29
	v_bfe_u32 v32, v32, s75, 2
	v_cmp_eq_u32_e32 vcc_lo, v33, v22
	v_cmp_eq_u32_e64 s10, 0, v32
	v_cmp_eq_u32_e64 s11, 1, v32
	;; [unrolled: 1-line block ×4, first 2 shown]
	s_and_b32 s10, vcc_lo, s10
	v_cndmask_b32_e64 v32, 0, 1, s10
	s_and_b32 s10, vcc_lo, s11
	v_cndmask_b32_e64 v33, 0, 1, s10
	;; [unrolled: 2-line block ×3, first 2 shown]
	s_and_b32 s10, vcc_lo, s13
	v_cmp_ne_u32_e32 vcc_lo, 0, v32
	v_cndmask_b32_e64 v35, 0, 1, s10
	v_cmp_ne_u32_e64 s10, 0, v33
	v_cmp_ne_u32_e64 s11, 0, v34
	v_mov_b32_e32 v32, v31
	s_bcnt1_i32_b32 s13, vcc_lo
	v_cmp_ne_u32_e64 s12, 0, v35
	s_bcnt1_i32_b32 s10, s10
	s_bcnt1_i32_b32 s11, s11
	v_add_nc_u32_e32 v1, s13, v1
	v_add_nc_u32_e32 v2, s10, v2
	s_bcnt1_i32_b32 s12, s12
	v_add_nc_u32_e32 v3, s11, v3
	v_add_nc_u32_e32 v4, s12, v4
	s_andn2_b32 exec_lo, exec_lo, s15
	s_cbranch_execz .LBB85_52
.LBB85_50:                              ;   Parent Loop BB85_6 Depth=1
                                        ; =>  This Inner Loop Header: Depth=2
	v_add_nc_u32_e32 v14, s46, v14
	v_mov_b32_e32 v31, 0
	s_mov_b32 s11, exec_lo
	v_cmp_le_u32_e32 vcc_lo, s36, v14
	v_cmpx_gt_u32_e64 s36, v14
	s_cbranch_execz .LBB85_49
; %bb.51:                               ;   in Loop: Header=BB85_50 Depth=2
	v_lshlrev_b64 v[33:34], 2, v[8:9]
	v_add_co_u32 v33, s10, s31, v33
	v_add_co_ci_u32_e64 v34, null, s33, v34, s10
	global_load_dword v31, v[33:34], off
	s_branch .LBB85_49
.LBB85_52:                              ;   in Loop: Header=BB85_6 Depth=1
	s_or_b32 exec_lo, exec_lo, s15
.LBB85_53:                              ;   in Loop: Header=BB85_6 Depth=1
	s_or_b32 exec_lo, exec_lo, s14
	s_branch .LBB85_35
.LBB85_54:                              ;   in Loop: Header=BB85_6 Depth=1
	s_mul_hi_u32 s10, s82, s64
	v_mov_b32_e32 v1, 0
	s_mul_i32 s10, s10, s55
	v_mov_b32_e32 v2, 0
	s_sub_i32 s10, s82, s10
	v_mov_b32_e32 v3, 0
	s_sub_i32 s11, s10, s55
	s_cmp_ge_u32 s10, s55
	v_mov_b32_e32 v4, 0
	s_cselect_b32 s10, s11, s10
	s_mov_b32 s84, exec_lo
	s_sub_i32 s11, s10, s55
	s_cmp_ge_u32 s10, s55
	s_cselect_b32 s10, s11, s10
	s_sub_i32 s83, s82, s10
	v_cmpx_gt_u32_e64 s83, v18
	s_cbranch_execz .LBB85_58
; %bb.55:                               ;   in Loop: Header=BB85_6 Depth=1
	v_mov_b32_e32 v8, v27
	v_mov_b32_e32 v14, v18
	s_mov_b32 s85, 0
	s_mov_b32 s86, 0
	;; [unrolled: 1-line block ×5, first 2 shown]
.LBB85_56:                              ;   Parent Loop BB85_6 Depth=1
                                        ; =>  This Inner Loop Header: Depth=2
	ds_read_b128 v[1:4], v8
	v_add_nc_u32_e32 v14, s55, v14
	v_add_nc_u32_e32 v8, s69, v8
	v_cmp_le_u32_e32 vcc_lo, s83, v14
	s_waitcnt lgkmcnt(0)
	v_cmp_lt_i32_e64 s10, -1, v1
	v_cmp_o_f32_e64 s13, v1, v1
	v_cmp_o_f32_e64 s11, v3, v3
	;; [unrolled: 1-line block ×3, first 2 shown]
	v_cndmask_b32_e64 v31, -1, 0x80000000, s10
	v_cmp_lt_i32_e64 s10, -1, v2
	v_xor_b32_e32 v31, v31, v1
	v_cndmask_b32_e64 v32, -1, 0x80000000, s10
	v_cmp_lt_i32_e64 s10, -1, v3
	v_cndmask_b32_e64 v1, -1, v31, s13
	v_xor_b32_e32 v32, v32, v2
	v_cndmask_b32_e64 v33, -1, 0x80000000, s10
	v_cmp_lt_i32_e64 s10, -1, v4
	v_and_b32_e32 v31, v1, v29
	v_bfe_u32 v1, v1, s75, 2
	v_cndmask_b32_e64 v34, -1, 0x80000000, s10
	v_cmp_o_f32_e64 s10, v2, v2
	v_xor_b32_e32 v2, v33, v3
	v_cmp_eq_u32_e64 s14, 0, v1
	v_cmp_eq_u32_e64 s18, 1, v1
	v_xor_b32_e32 v3, v34, v4
	v_cndmask_b32_e64 v4, -1, v32, s10
	v_cndmask_b32_e64 v2, -1, v2, s11
	v_cmp_eq_u32_e64 s10, v31, v22
	v_cmp_eq_u32_e64 s22, 2, v1
	v_cndmask_b32_e64 v3, -1, v3, s12
	v_and_b32_e32 v32, v4, v29
	v_bfe_u32 v4, v4, s75, 2
	v_and_b32_e32 v33, v2, v29
	v_bfe_u32 v2, v2, s75, 2
	;; [unrolled: 2-line block ×3, first 2 shown]
	v_cmp_eq_u32_e64 s11, v32, v22
	v_cmp_eq_u32_e64 s15, 0, v4
	;; [unrolled: 1-line block ×4, first 2 shown]
	s_and_b32 s14, s10, s14
	v_cmp_eq_u32_e64 s13, v34, v22
	v_cmp_eq_u32_e64 s17, 0, v3
	;; [unrolled: 1-line block ×3, first 2 shown]
	v_cndmask_b32_e64 v1, 0, 1, s14
	s_and_b32 s14, s11, s15
	v_cmp_eq_u32_e64 s20, 1, v2
	v_cmp_eq_u32_e64 s24, 2, v2
	;; [unrolled: 1-line block ×3, first 2 shown]
	v_cndmask_b32_e64 v2, 0, 1, s14
	s_and_b32 s14, s12, s16
	v_cmp_eq_u32_e64 s19, 1, v4
	v_cmp_eq_u32_e64 s21, 1, v3
	;; [unrolled: 1-line block ×4, first 2 shown]
	v_cndmask_b32_e64 v3, 0, 1, s14
	s_and_b32 s14, s13, s17
	v_cmp_eq_u32_e64 s23, 2, v4
	v_cmp_eq_u32_e64 s27, 3, v4
	v_cndmask_b32_e64 v4, 0, 1, s14
	s_and_b32 s14, s10, s18
	v_cndmask_b32_e64 v31, 0, 1, s14
	s_and_b32 s14, s11, s19
	;; [unrolled: 2-line block ×4, first 2 shown]
	v_cmp_ne_u32_e64 s15, 0, v32
	v_cndmask_b32_e64 v34, 0, 1, s14
	s_and_b32 s14, s10, s22
	s_and_b32 s10, s10, s26
	v_cndmask_b32_e64 v35, 0, 1, s14
	s_and_b32 s14, s11, s23
	v_cndmask_b32_e64 v39, 0, 1, s10
	;; [unrolled: 2-line block ×7, first 2 shown]
	v_cndmask_b32_e64 v42, 0, 1, s10
	v_cmp_ne_u32_e64 s10, 0, v1
	v_cmp_ne_u32_e64 s14, 0, v31
	v_cmp_ne_u32_e64 s18, 0, v35
	v_cmp_ne_u32_e64 s22, 0, v39
	v_cmp_ne_u32_e64 s11, 0, v2
	v_cmp_ne_u32_e64 s19, 0, v36
	v_cmp_ne_u32_e64 s23, 0, v40
	v_cmp_ne_u32_e64 s12, 0, v3
	v_cmp_ne_u32_e64 s16, 0, v33
	v_cmp_ne_u32_e64 s20, 0, v37
	v_cmp_ne_u32_e64 s24, 0, v41
	s_bcnt1_i32_b32 s10, s10
	s_bcnt1_i32_b32 s14, s14
	;; [unrolled: 1-line block ×4, first 2 shown]
	v_cmp_ne_u32_e64 s13, 0, v4
	v_cmp_ne_u32_e64 s17, 0, v34
	;; [unrolled: 1-line block ×4, first 2 shown]
	s_bcnt1_i32_b32 s11, s11
	s_bcnt1_i32_b32 s15, s15
	s_bcnt1_i32_b32 s19, s19
	s_bcnt1_i32_b32 s23, s23
	s_add_i32 s10, s10, s89
	s_add_i32 s14, s14, s88
	s_add_i32 s18, s18, s87
	s_add_i32 s22, s22, s86
	s_bcnt1_i32_b32 s12, s12
	s_bcnt1_i32_b32 s16, s16
	s_bcnt1_i32_b32 s20, s20
	s_bcnt1_i32_b32 s24, s24
	s_add_i32 s10, s10, s11
	s_add_i32 s11, s14, s15
	s_add_i32 s14, s18, s19
	s_add_i32 s15, s22, s23
	;; [unrolled: 8-line block ×3, first 2 shown]
	s_add_i32 s89, s10, s13
	s_add_i32 s88, s11, s17
	;; [unrolled: 1-line block ×4, first 2 shown]
	v_mov_b32_e32 v1, s89
	v_mov_b32_e32 v2, s88
	;; [unrolled: 1-line block ×4, first 2 shown]
	s_or_b32 s85, vcc_lo, s85
	s_andn2_b32 exec_lo, exec_lo, s85
	s_cbranch_execnz .LBB85_56
; %bb.57:                               ;   in Loop: Header=BB85_6 Depth=1
	s_or_b32 exec_lo, exec_lo, s85
.LBB85_58:                              ;   in Loop: Header=BB85_6 Depth=1
	s_or_b32 exec_lo, exec_lo, s84
	v_add_nc_u32_e32 v8, s83, v0
	s_mov_b32 s15, exec_lo
	v_cmpx_gt_u32_e64 s82, v8
	s_cbranch_execz .LBB85_62
; %bb.59:                               ;   in Loop: Header=BB85_6 Depth=1
	v_lshlrev_b32_e32 v14, 2, v8
	s_mov_b32 s16, 0
.LBB85_60:                              ;   Parent Loop BB85_6 Depth=1
                                        ; =>  This Inner Loop Header: Depth=2
	ds_read_b32 v31, v14
	v_add_nc_u32_e32 v8, s46, v8
	v_add_nc_u32_e32 v14, s55, v14
	v_cmp_le_u32_e32 vcc_lo, s82, v8
	s_waitcnt lgkmcnt(0)
	v_cmp_lt_i32_e64 s10, -1, v31
	v_cndmask_b32_e64 v32, -1, 0x80000000, s10
	v_cmp_o_f32_e64 s10, v31, v31
	v_xor_b32_e32 v32, v32, v31
	v_cndmask_b32_e64 v31, -1, v32, s10
	v_and_b32_e32 v32, v31, v29
	v_bfe_u32 v31, v31, s75, 2
	v_cmp_eq_u32_e64 s10, v32, v22
	v_cmp_eq_u32_e64 s11, 0, v31
	v_cmp_eq_u32_e64 s12, 1, v31
	v_cmp_eq_u32_e64 s13, 2, v31
	v_cmp_eq_u32_e64 s14, 3, v31
	s_and_b32 s11, s10, s11
	v_cndmask_b32_e64 v31, 0, 1, s11
	s_and_b32 s11, s10, s12
	v_cndmask_b32_e64 v32, 0, 1, s11
	s_and_b32 s11, s10, s13
	s_and_b32 s10, s10, s14
	v_cndmask_b32_e64 v33, 0, 1, s11
	v_cndmask_b32_e64 v34, 0, 1, s10
	v_cmp_ne_u32_e64 s10, 0, v31
	v_cmp_ne_u32_e64 s11, 0, v32
	;; [unrolled: 1-line block ×4, first 2 shown]
	s_bcnt1_i32_b32 s10, s10
	s_bcnt1_i32_b32 s11, s11
	v_add_nc_u32_e32 v1, s10, v1
	s_bcnt1_i32_b32 s12, s12
	s_bcnt1_i32_b32 s13, s13
	v_add_nc_u32_e32 v2, s11, v2
	v_add_nc_u32_e32 v3, s12, v3
	;; [unrolled: 1-line block ×3, first 2 shown]
	s_or_b32 s16, vcc_lo, s16
	s_andn2_b32 exec_lo, exec_lo, s16
	s_cbranch_execnz .LBB85_60
; %bb.61:                               ;   in Loop: Header=BB85_6 Depth=1
	s_or_b32 exec_lo, exec_lo, s16
.LBB85_62:                              ;   in Loop: Header=BB85_6 Depth=1
	s_or_b32 exec_lo, exec_lo, s15
	s_lshl_b32 s10, s71, 7
	s_and_saveexec_b32 s11, s0
	s_cbranch_execnz .LBB85_36
	s_branch .LBB85_37
.LBB85_63:                              ;   in Loop: Header=BB85_6 Depth=1
	v_mov_b32_e32 v1, 0
	s_mov_b32 s12, 0
	s_andn2_b32 vcc_lo, exec_lo, s63
	s_cbranch_vccnz .LBB85_66
.LBB85_64:                              ;   in Loop: Header=BB85_6 Depth=1
	s_lshl_b32 s13, s71, 9
	s_lshl_b32 s12, s12, 4
	v_add3_u32 v2, s13, s12, v28
	s_mov_b32 s12, s61
.LBB85_65:                              ;   Parent Loop BB85_6 Depth=1
                                        ; =>  This Inner Loop Header: Depth=2
	ds_read_b32 v3, v2
	v_add_nc_u32_e32 v2, 16, v2
	s_add_i32 s12, s12, -1
	s_cmp_lg_u32 s12, 0
	s_waitcnt lgkmcnt(0)
	v_add_nc_u32_e32 v1, v3, v1
	s_cbranch_scc1 .LBB85_65
.LBB85_66:                              ;   in Loop: Header=BB85_6 Depth=1
	v_add_lshl_u32 v2, s10, v17, 2
	ds_write_b32 v2, v1 offset:3072
.LBB85_67:                              ;   in Loop: Header=BB85_6 Depth=1
	s_or_b32 exec_lo, exec_lo, s11
	s_lshl_b32 s10, s10, 2
	s_waitcnt lgkmcnt(0)
	v_mov_b32_e32 v1, s10
	s_barrier
	buffer_gl0_inv
	v_cmp_eq_u32_e64 s10, 1, v30
	s_lshl_b32 s14, 3, s75
	ds_read_b128 v[1:4], v1 offset:3072
	s_mov_b32 s22, -1
	s_not_b32 s15, s14
	s_mov_b32 s12, 0
	s_andn2_b32 vcc_lo, exec_lo, s54
	s_mov_b32 s19, 0
	s_mov_b32 s11, 0
                                        ; implicit-def: $sgpr20
                                        ; implicit-def: $sgpr21
                                        ; implicit-def: $vgpr32
                                        ; implicit-def: $vgpr31
	s_waitcnt lgkmcnt(0)
	v_readfirstlane_b32 s13, v1
	v_readfirstlane_b32 s16, v2
	v_readfirstlane_b32 s17, v3
	v_readfirstlane_b32 s18, v4
                                        ; implicit-def: $vgpr3
                                        ; implicit-def: $vgpr4
                                        ; implicit-def: $vgpr2
	s_cbranch_vccnz .LBB85_236
; %bb.68:                               ;   in Loop: Header=BB85_6 Depth=1
	s_cmp_eq_u32 s13, 1
	v_mov_b32_e32 v4, v22
	v_mov_b32_e32 v31, v29
	v_mov_b32_e32 v2, v15
	s_cselect_b32 s11, -1, 0
	s_mov_b32 s25, -1
	s_and_b32 s24, s11, s10
                                        ; implicit-def: $sgpr21
                                        ; implicit-def: $sgpr20
	s_and_saveexec_b32 s11, s24
	s_cbranch_execz .LBB85_99
; %bb.69:                               ;   in Loop: Header=BB85_6 Depth=1
	ds_read_b32 v1, v9 offset:4096
	s_waitcnt lgkmcnt(0)
	s_barrier
	buffer_gl0_inv
	v_readfirstlane_b32 s22, v1
	s_and_saveexec_b32 s19, s6
; %bb.70:                               ;   in Loop: Header=BB85_6 Depth=1
	ds_write_b32 v20, v9
; %bb.71:                               ;   in Loop: Header=BB85_6 Depth=1
	s_or_b32 exec_lo, exec_lo, s19
	v_and_b32_e32 v4, s15, v22
	v_or_b32_e32 v31, s14, v29
	s_mov_b32 s20, -1
	s_mov_b32 s21, 0
	s_cmp_eq_u32 s22, 0
	s_mov_b32 s19, 0
	s_mov_b32 s23, -1
	s_waitcnt lgkmcnt(0)
	s_barrier
	buffer_gl0_inv
                                        ; implicit-def: $vgpr2
	s_cbranch_scc1 .LBB85_86
; %bb.72:                               ;   in Loop: Header=BB85_6 Depth=1
	s_add_i32 s19, s22, s60
                                        ; implicit-def: $vgpr2
	s_mul_hi_u32 s23, s19, s66
	s_mul_i32 s23, s23, s46
	s_sub_i32 s23, s19, s23
	s_sub_i32 s25, s23, s46
	s_cmp_ge_u32 s23, s46
	s_cselect_b32 s23, s25, s23
	s_sub_i32 s25, s23, s46
	s_cmp_ge_u32 s23, s46
	s_cselect_b32 s23, s25, s23
	s_mov_b32 s25, exec_lo
	s_sub_i32 s26, s19, s23
	s_mov_b32 s23, 0
	s_mov_b32 s19, 0
	v_cmpx_gt_u32_e64 s26, v0
	s_cbranch_execz .LBB85_85
; %bb.73:                               ;   in Loop: Header=BB85_6 Depth=1
	v_mov_b32_e32 v3, v18
	v_mov_b32_e32 v8, v0
                                        ; implicit-def: $sgpr27
	s_inst_prefetch 0x1
	s_branch .LBB85_77
	.p2align	6
.LBB85_74:                              ;   in Loop: Header=BB85_77 Depth=2
	s_or_b32 exec_lo, exec_lo, s28
	s_waitcnt lgkmcnt(0)
	s_barrier
	buffer_gl0_inv
	ds_read_b64 v[1:2], v9 offset:3072
	s_waitcnt lgkmcnt(0)
	s_barrier
	buffer_gl0_inv
	v_cmp_neq_f32_e32 vcc_lo, 0, v1
	s_cbranch_vccnz .LBB85_80
; %bb.75:                               ;   in Loop: Header=BB85_77 Depth=2
	v_add_nc_u32_e32 v8, s46, v8
	v_add_nc_u32_e32 v3, s55, v3
	s_mov_b32 s28, 0
	v_cmp_le_u32_e32 vcc_lo, s26, v8
	s_orn2_b32 s29, vcc_lo, exec_lo
.LBB85_76:                              ;   in Loop: Header=BB85_77 Depth=2
	s_and_b32 s29, exec_lo, s29
	s_or_b32 s19, s29, s19
	s_andn2_b32 s27, s27, exec_lo
	s_and_b32 s28, s28, exec_lo
	s_or_b32 s27, s27, s28
	s_andn2_b32 exec_lo, exec_lo, s19
	s_cbranch_execz .LBB85_84
.LBB85_77:                              ;   Parent Loop BB85_6 Depth=1
                                        ; =>  This Inner Loop Header: Depth=2
	s_mov_b32 s28, exec_lo
	v_cmpx_gt_u32_e64 s22, v8
	s_cbranch_execz .LBB85_74
; %bb.78:                               ;   in Loop: Header=BB85_77 Depth=2
	ds_read_b32 v14, v3
	s_waitcnt lgkmcnt(0)
	v_cmp_lt_i32_e32 vcc_lo, -1, v14
	v_cndmask_b32_e64 v1, -1, 0x80000000, vcc_lo
	v_cmp_o_f32_e32 vcc_lo, v14, v14
	v_xor_b32_e32 v1, v1, v14
	v_cndmask_b32_e32 v1, -1, v1, vcc_lo
	v_and_b32_e32 v1, v1, v31
	v_cmp_eq_u32_e32 vcc_lo, v1, v4
	s_and_b32 exec_lo, exec_lo, vcc_lo
	s_cbranch_execz .LBB85_74
; %bb.79:                               ;   in Loop: Header=BB85_77 Depth=2
	ds_write_b64 v9, v[13:14] offset:3072
	s_branch .LBB85_74
.LBB85_80:                              ;   in Loop: Header=BB85_77 Depth=2
	s_mov_b32 s29, -1
	s_mov_b32 s28, -1
                                        ; implicit-def: $vgpr8
                                        ; implicit-def: $vgpr3
	s_branch .LBB85_76
.LBB85_81:                              ;   in Loop: Header=BB85_6 Depth=1
	s_or_b32 exec_lo, exec_lo, s13
	s_waitcnt lgkmcnt(0)
	s_barrier
	buffer_gl0_inv
	s_and_saveexec_b32 s10, s3
	s_cbranch_execz .LBB85_83
; %bb.82:                               ;   in Loop: Header=BB85_6 Depth=1
	ds_read_b32 v1, v9 offset:4104
	s_waitcnt lgkmcnt(0)
	ds_write_b32 v9, v1 offset:4096
.LBB85_83:                              ;   in Loop: Header=BB85_6 Depth=1
	s_or_b32 exec_lo, exec_lo, s10
	s_waitcnt lgkmcnt(0)
	s_mov_b32 s10, -1
	s_barrier
	s_and_b32 vcc_lo, exec_lo, s12
	s_cbranch_vccnz .LBB85_22
	s_branch .LBB85_31
.LBB85_84:                              ;   in Loop: Header=BB85_6 Depth=1
	s_inst_prefetch 0x2
	s_or_b32 exec_lo, exec_lo, s19
	s_and_b32 s19, s27, exec_lo
.LBB85_85:                              ;   in Loop: Header=BB85_6 Depth=1
	s_or_b32 exec_lo, exec_lo, s25
.LBB85_86:                              ;   in Loop: Header=BB85_6 Depth=1
	s_and_b32 vcc_lo, exec_lo, s23
	s_cbranch_vccz .LBB85_98
; %bb.87:                               ;   in Loop: Header=BB85_6 Depth=1
                                        ; implicit-def: $vgpr2
	s_and_saveexec_b32 s20, s9
	s_cbranch_execz .LBB85_97
; %bb.88:                               ;   in Loop: Header=BB85_6 Depth=1
	v_mov_b32_e32 v8, v7
	v_mov_b32_e32 v3, v0
	s_mov_b32 s21, 0
                                        ; implicit-def: $sgpr22
	s_branch .LBB85_92
.LBB85_89:                              ;   in Loop: Header=BB85_92 Depth=2
	s_or_b32 exec_lo, exec_lo, s23
	s_waitcnt lgkmcnt(0)
	s_barrier
	buffer_gl0_inv
	ds_read_b64 v[1:2], v9 offset:3072
	s_waitcnt lgkmcnt(0)
	s_barrier
	buffer_gl0_inv
	v_cmp_neq_f32_e32 vcc_lo, 0, v1
	s_cbranch_vccnz .LBB85_95
; %bb.90:                               ;   in Loop: Header=BB85_92 Depth=2
	v_add_nc_u32_e32 v3, s46, v3
	v_add_nc_u32_e32 v8, s48, v8
	s_mov_b32 s23, 0
	v_cmp_le_u32_e32 vcc_lo, s67, v3
	s_orn2_b32 s25, vcc_lo, exec_lo
.LBB85_91:                              ;   in Loop: Header=BB85_92 Depth=2
	s_and_b32 s25, exec_lo, s25
	s_or_b32 s21, s25, s21
	s_andn2_b32 s22, s22, exec_lo
	s_and_b32 s23, s23, exec_lo
	s_or_b32 s22, s22, s23
	s_andn2_b32 exec_lo, exec_lo, s21
	s_cbranch_execz .LBB85_96
.LBB85_92:                              ;   Parent Loop BB85_6 Depth=1
                                        ; =>  This Inner Loop Header: Depth=2
	s_mov_b32 s23, exec_lo
	v_cmpx_gt_u32_e64 s36, v3
	s_cbranch_execz .LBB85_89
; %bb.93:                               ;   in Loop: Header=BB85_92 Depth=2
	v_lshlrev_b64 v[1:2], 2, v[8:9]
	v_add_co_u32 v1, vcc_lo, s31, v1
	v_add_co_ci_u32_e64 v2, null, s33, v2, vcc_lo
	global_load_dword v14, v[1:2], off
	s_waitcnt vmcnt(0)
	v_cmp_lt_i32_e32 vcc_lo, -1, v14
	v_cndmask_b32_e64 v1, -1, 0x80000000, vcc_lo
	v_cmp_o_f32_e32 vcc_lo, v14, v14
	v_xor_b32_e32 v1, v1, v14
	v_cndmask_b32_e32 v1, -1, v1, vcc_lo
	v_and_b32_e32 v1, v1, v31
	v_cmp_eq_u32_e32 vcc_lo, v1, v4
	s_and_b32 exec_lo, exec_lo, vcc_lo
	s_cbranch_execz .LBB85_89
; %bb.94:                               ;   in Loop: Header=BB85_92 Depth=2
	ds_write_b64 v9, v[13:14] offset:3072
	s_branch .LBB85_89
.LBB85_95:                              ;   in Loop: Header=BB85_92 Depth=2
	s_mov_b32 s25, -1
	s_mov_b32 s23, -1
                                        ; implicit-def: $vgpr3
	s_branch .LBB85_91
.LBB85_96:                              ;   in Loop: Header=BB85_6 Depth=1
	s_or_b32 exec_lo, exec_lo, s21
	s_andn2_b32 s19, s19, exec_lo
	s_and_b32 s21, s22, exec_lo
	s_or_b32 s19, s19, s21
.LBB85_97:                              ;   in Loop: Header=BB85_6 Depth=1
	s_or_b32 exec_lo, exec_lo, s20
	s_mov_b32 s20, 0
	s_mov_b32 s21, -1
.LBB85_98:                              ;   in Loop: Header=BB85_6 Depth=1
	s_orn2_b32 s25, s19, exec_lo
.LBB85_99:                              ;   in Loop: Header=BB85_6 Depth=1
	s_or_b32 exec_lo, exec_lo, s11
	s_mov_b32 s22, 0
	s_mov_b32 s19, 0
	;; [unrolled: 1-line block ×3, first 2 shown]
                                        ; implicit-def: $vgpr32
                                        ; implicit-def: $vgpr3
	s_and_saveexec_b32 s23, s25
	s_cbranch_execz .LBB85_235
; %bb.100:                              ;   in Loop: Header=BB85_6 Depth=1
	v_mov_b32_e32 v32, 1
	v_mov_b32_e32 v3, 1
	s_xor_b32 s19, s24, -1
	s_mov_b32 s26, 0
	s_and_saveexec_b32 s11, s19
	s_cbranch_execz .LBB85_109
; %bb.101:                              ;   in Loop: Header=BB85_6 Depth=1
	s_mov_b32 s19, exec_lo
	v_cmpx_ge_u32_e64 s13, v30
	s_xor_b32 s19, exec_lo, s19
	s_cbranch_execz .LBB85_106
; %bb.102:                              ;   in Loop: Header=BB85_6 Depth=1
	ds_read_b32 v1, v9 offset:4096
	v_and_b32_e32 v4, s15, v4
	v_or_b32_e32 v31, s14, v31
	s_waitcnt lgkmcnt(0)
	v_cmp_ne_u32_e32 vcc_lo, 0, v1
	s_cbranch_vccnz .LBB85_106
; %bb.103:                              ;   in Loop: Header=BB85_6 Depth=1
	s_and_saveexec_b32 s24, s3
; %bb.104:                              ;   in Loop: Header=BB85_6 Depth=1
	v_mov_b32_e32 v1, s13
	ds_write_b32 v9, v1 offset:4100
; %bb.105:                              ;   in Loop: Header=BB85_6 Depth=1
	s_or_b32 exec_lo, exec_lo, s24
	s_waitcnt lgkmcnt(0)
	s_barrier
	buffer_gl0_inv
.LBB85_106:                             ;   in Loop: Header=BB85_6 Depth=1
	s_or_saveexec_b32 s19, s19
	v_mov_b32_e32 v3, 8
	v_mov_b32_e32 v32, v30
	s_mov_b32 s24, 0
	s_xor_b32 exec_lo, exec_lo, s19
; %bb.107:                              ;   in Loop: Header=BB85_6 Depth=1
	v_subrev_nc_u32_e32 v32, s13, v30
	v_mov_b32_e32 v3, 0
	s_mov_b32 s24, exec_lo
; %bb.108:                              ;   in Loop: Header=BB85_6 Depth=1
	s_or_b32 exec_lo, exec_lo, s19
	s_and_b32 s26, s24, exec_lo
.LBB85_109:                             ;   in Loop: Header=BB85_6 Depth=1
	s_or_b32 exec_lo, exec_lo, s11
	s_mov_b32 s25, -1
                                        ; implicit-def: $sgpr19
                                        ; implicit-def: $sgpr24
	s_and_saveexec_b32 s11, s26
	s_xor_b32 s11, exec_lo, s11
	s_cbranch_execz .LBB85_232
; %bb.110:                              ;   in Loop: Header=BB85_6 Depth=1
	v_cmp_eq_u32_e32 vcc_lo, 1, v32
	s_cmp_eq_u32 s16, 1
	s_mov_b32 s27, -1
	s_cselect_b32 s19, -1, 0
                                        ; implicit-def: $sgpr24
	s_and_b32 s26, s19, vcc_lo
                                        ; implicit-def: $sgpr19
	s_and_saveexec_b32 s25, s26
	s_cbranch_execz .LBB85_138
; %bb.111:                              ;   in Loop: Header=BB85_6 Depth=1
	ds_read_b32 v1, v9 offset:4096
	s_waitcnt lgkmcnt(0)
	s_barrier
	buffer_gl0_inv
	v_readfirstlane_b32 s28, v1
	s_and_saveexec_b32 s19, s6
; %bb.112:                              ;   in Loop: Header=BB85_6 Depth=1
	ds_write_b32 v20, v9
; %bb.113:                              ;   in Loop: Header=BB85_6 Depth=1
	s_or_b32 exec_lo, exec_lo, s19
	s_lshl_b32 s19, 1, s75
	v_or_b32_e32 v31, s14, v31
	v_and_or_b32 v4, v4, s15, s19
	s_mov_b32 s19, -1
	s_mov_b32 s24, 0
	s_cmp_eq_u32 s28, 0
	s_mov_b32 s27, 0
	s_mov_b32 s29, -1
	s_waitcnt lgkmcnt(0)
	s_barrier
	buffer_gl0_inv
                                        ; implicit-def: $vgpr2
	s_cbranch_scc1 .LBB85_125
; %bb.114:                              ;   in Loop: Header=BB85_6 Depth=1
	s_add_i32 s27, s28, s60
                                        ; implicit-def: $vgpr2
	s_mul_hi_u32 s29, s27, s66
	s_mul_i32 s29, s29, s46
	s_sub_i32 s29, s27, s29
	s_sub_i32 s82, s29, s46
	s_cmp_ge_u32 s29, s46
	s_cselect_b32 s29, s82, s29
	s_sub_i32 s82, s29, s46
	s_cmp_ge_u32 s29, s46
	s_cselect_b32 s29, s82, s29
	s_mov_b32 s82, exec_lo
	s_sub_i32 s83, s27, s29
	s_mov_b32 s29, 0
	s_mov_b32 s27, 0
	v_cmpx_gt_u32_e64 s83, v0
	s_cbranch_execz .LBB85_124
; %bb.115:                              ;   in Loop: Header=BB85_6 Depth=1
	v_mov_b32_e32 v8, v18
	v_mov_b32_e32 v33, v0
                                        ; implicit-def: $sgpr84
	s_inst_prefetch 0x1
	s_branch .LBB85_119
	.p2align	6
.LBB85_116:                             ;   in Loop: Header=BB85_119 Depth=2
	s_or_b32 exec_lo, exec_lo, s85
	s_waitcnt lgkmcnt(0)
	s_barrier
	buffer_gl0_inv
	ds_read_b64 v[1:2], v9 offset:3072
	s_waitcnt lgkmcnt(0)
	s_barrier
	buffer_gl0_inv
	v_cmp_neq_f32_e32 vcc_lo, 0, v1
	s_cbranch_vccnz .LBB85_122
; %bb.117:                              ;   in Loop: Header=BB85_119 Depth=2
	v_add_nc_u32_e32 v33, s46, v33
	v_add_nc_u32_e32 v8, s55, v8
	s_mov_b32 s85, 0
	v_cmp_le_u32_e32 vcc_lo, s83, v33
	s_orn2_b32 s86, vcc_lo, exec_lo
.LBB85_118:                             ;   in Loop: Header=BB85_119 Depth=2
	s_and_b32 s86, exec_lo, s86
	s_or_b32 s27, s86, s27
	s_andn2_b32 s84, s84, exec_lo
	s_and_b32 s85, s85, exec_lo
	s_or_b32 s84, s84, s85
	s_andn2_b32 exec_lo, exec_lo, s27
	s_cbranch_execz .LBB85_123
.LBB85_119:                             ;   Parent Loop BB85_6 Depth=1
                                        ; =>  This Inner Loop Header: Depth=2
	s_mov_b32 s85, exec_lo
	v_cmpx_gt_u32_e64 s28, v33
	s_cbranch_execz .LBB85_116
; %bb.120:                              ;   in Loop: Header=BB85_119 Depth=2
	ds_read_b32 v14, v8
	s_waitcnt lgkmcnt(0)
	v_cmp_lt_i32_e32 vcc_lo, -1, v14
	v_cndmask_b32_e64 v1, -1, 0x80000000, vcc_lo
	v_cmp_o_f32_e32 vcc_lo, v14, v14
	v_xor_b32_e32 v1, v1, v14
	v_cndmask_b32_e32 v1, -1, v1, vcc_lo
	v_and_b32_e32 v1, v1, v31
	v_cmp_eq_u32_e32 vcc_lo, v1, v4
	s_and_b32 exec_lo, exec_lo, vcc_lo
	s_cbranch_execz .LBB85_116
; %bb.121:                              ;   in Loop: Header=BB85_119 Depth=2
	ds_write_b64 v9, v[13:14] offset:3072
	s_branch .LBB85_116
.LBB85_122:                             ;   in Loop: Header=BB85_119 Depth=2
	s_mov_b32 s86, -1
	s_mov_b32 s85, -1
                                        ; implicit-def: $vgpr33
                                        ; implicit-def: $vgpr8
	s_branch .LBB85_118
.LBB85_123:                             ;   in Loop: Header=BB85_6 Depth=1
	s_inst_prefetch 0x2
	s_or_b32 exec_lo, exec_lo, s27
	s_and_b32 s27, s84, exec_lo
.LBB85_124:                             ;   in Loop: Header=BB85_6 Depth=1
	s_or_b32 exec_lo, exec_lo, s82
.LBB85_125:                             ;   in Loop: Header=BB85_6 Depth=1
	s_and_b32 vcc_lo, exec_lo, s29
	s_cbranch_vccz .LBB85_137
; %bb.126:                              ;   in Loop: Header=BB85_6 Depth=1
                                        ; implicit-def: $vgpr2
	s_and_saveexec_b32 s19, s9
	s_cbranch_execz .LBB85_136
; %bb.127:                              ;   in Loop: Header=BB85_6 Depth=1
	v_mov_b32_e32 v8, v7
	v_mov_b32_e32 v33, v0
	s_mov_b32 s24, 0
                                        ; implicit-def: $sgpr28
	s_branch .LBB85_131
.LBB85_128:                             ;   in Loop: Header=BB85_131 Depth=2
	s_or_b32 exec_lo, exec_lo, s29
	s_waitcnt lgkmcnt(0)
	s_barrier
	buffer_gl0_inv
	ds_read_b64 v[1:2], v9 offset:3072
	s_waitcnt lgkmcnt(0)
	s_barrier
	buffer_gl0_inv
	v_cmp_eq_f32_e32 vcc_lo, 0, v1
	s_cbranch_vccz .LBB85_134
; %bb.129:                              ;   in Loop: Header=BB85_131 Depth=2
	v_add_nc_u32_e32 v33, s46, v33
	v_add_nc_u32_e32 v8, s48, v8
	s_mov_b32 s29, 0
	v_cmp_le_u32_e32 vcc_lo, s67, v33
	s_orn2_b32 s82, vcc_lo, exec_lo
.LBB85_130:                             ;   in Loop: Header=BB85_131 Depth=2
	s_and_b32 s82, exec_lo, s82
	s_or_b32 s24, s82, s24
	s_andn2_b32 s28, s28, exec_lo
	s_and_b32 s29, s29, exec_lo
	s_or_b32 s28, s28, s29
	s_andn2_b32 exec_lo, exec_lo, s24
	s_cbranch_execz .LBB85_135
.LBB85_131:                             ;   Parent Loop BB85_6 Depth=1
                                        ; =>  This Inner Loop Header: Depth=2
	s_mov_b32 s29, exec_lo
	v_cmpx_gt_u32_e64 s36, v33
	s_cbranch_execz .LBB85_128
; %bb.132:                              ;   in Loop: Header=BB85_131 Depth=2
	v_lshlrev_b64 v[1:2], 2, v[8:9]
	v_add_co_u32 v1, vcc_lo, s31, v1
	v_add_co_ci_u32_e64 v2, null, s33, v2, vcc_lo
	global_load_dword v14, v[1:2], off
	s_waitcnt vmcnt(0)
	v_cmp_lt_i32_e32 vcc_lo, -1, v14
	v_cndmask_b32_e64 v1, -1, 0x80000000, vcc_lo
	v_cmp_o_f32_e32 vcc_lo, v14, v14
	v_xor_b32_e32 v1, v1, v14
	v_cndmask_b32_e32 v1, -1, v1, vcc_lo
	v_and_b32_e32 v1, v1, v31
	v_cmp_eq_u32_e32 vcc_lo, v1, v4
	s_and_b32 exec_lo, exec_lo, vcc_lo
	s_cbranch_execz .LBB85_128
; %bb.133:                              ;   in Loop: Header=BB85_131 Depth=2
	ds_write_b64 v9, v[13:14] offset:3072
	s_branch .LBB85_128
.LBB85_134:                             ;   in Loop: Header=BB85_131 Depth=2
	s_mov_b32 s82, -1
	s_mov_b32 s29, -1
                                        ; implicit-def: $vgpr33
	s_branch .LBB85_130
.LBB85_135:                             ;   in Loop: Header=BB85_6 Depth=1
	s_or_b32 exec_lo, exec_lo, s24
	s_andn2_b32 s24, s27, exec_lo
	s_and_b32 s27, s28, exec_lo
	s_or_b32 s27, s24, s27
.LBB85_136:                             ;   in Loop: Header=BB85_6 Depth=1
	s_or_b32 exec_lo, exec_lo, s19
	s_mov_b32 s19, 0
	s_mov_b32 s24, -1
.LBB85_137:                             ;   in Loop: Header=BB85_6 Depth=1
	s_orn2_b32 s27, s27, exec_lo
.LBB85_138:                             ;   in Loop: Header=BB85_6 Depth=1
	s_or_b32 exec_lo, exec_lo, s25
	s_mov_b32 s28, 0
	s_and_saveexec_b32 s25, s27
	s_cbranch_execz .LBB85_231
; %bb.139:                              ;   in Loop: Header=BB85_6 Depth=1
	v_mov_b32_e32 v33, 1
	v_mov_b32_e32 v3, 1
	s_xor_b32 s27, s26, -1
	s_mov_b32 s82, 0
	s_and_saveexec_b32 s26, s27
	s_cbranch_execz .LBB85_148
; %bb.140:                              ;   in Loop: Header=BB85_6 Depth=1
	s_mov_b32 s27, exec_lo
	v_cmpx_ge_u32_e64 s16, v32
	s_xor_b32 s27, exec_lo, s27
	s_cbranch_execz .LBB85_145
; %bb.141:                              ;   in Loop: Header=BB85_6 Depth=1
	ds_read_b32 v1, v9 offset:4096
	s_lshl_b32 s28, 1, s75
	v_or_b32_e32 v31, s14, v31
	v_and_or_b32 v4, v4, s15, s28
	s_waitcnt lgkmcnt(0)
	v_cmp_ne_u32_e32 vcc_lo, 0, v1
	s_cbranch_vccnz .LBB85_145
; %bb.142:                              ;   in Loop: Header=BB85_6 Depth=1
	s_and_saveexec_b32 s28, s3
; %bb.143:                              ;   in Loop: Header=BB85_6 Depth=1
	v_mov_b32_e32 v1, s16
	ds_write_b32 v9, v1 offset:4100
; %bb.144:                              ;   in Loop: Header=BB85_6 Depth=1
	s_or_b32 exec_lo, exec_lo, s28
	s_waitcnt lgkmcnt(0)
	s_barrier
	buffer_gl0_inv
.LBB85_145:                             ;   in Loop: Header=BB85_6 Depth=1
	s_or_saveexec_b32 s27, s27
	v_mov_b32_e32 v3, 8
	s_mov_b32 s28, 0
	s_xor_b32 exec_lo, exec_lo, s27
; %bb.146:                              ;   in Loop: Header=BB85_6 Depth=1
	v_subrev_nc_u32_e32 v32, s16, v32
	v_mov_b32_e32 v3, 0
	s_mov_b32 s28, exec_lo
; %bb.147:                              ;   in Loop: Header=BB85_6 Depth=1
	s_or_b32 exec_lo, exec_lo, s27
	v_mov_b32_e32 v33, v32
	s_and_b32 s82, s28, exec_lo
.LBB85_148:                             ;   in Loop: Header=BB85_6 Depth=1
	s_or_b32 exec_lo, exec_lo, s26
	s_mov_b32 s29, -1
                                        ; implicit-def: $sgpr27
                                        ; implicit-def: $sgpr28
	s_and_saveexec_b32 s26, s82
	s_cbranch_execz .LBB85_230
; %bb.149:                              ;   in Loop: Header=BB85_6 Depth=1
	v_cmp_eq_u32_e32 vcc_lo, 1, v33
	s_cmp_eq_u32 s17, 1
	s_mov_b32 s83, -1
	s_cselect_b32 s27, -1, 0
                                        ; implicit-def: $sgpr28
	s_and_b32 s82, s27, vcc_lo
                                        ; implicit-def: $sgpr27
	s_and_saveexec_b32 s29, s82
	s_cbranch_execz .LBB85_177
; %bb.150:                              ;   in Loop: Header=BB85_6 Depth=1
	ds_read_b32 v1, v9 offset:4096
	s_waitcnt lgkmcnt(0)
	s_barrier
	buffer_gl0_inv
	v_readfirstlane_b32 s84, v1
	s_and_saveexec_b32 s27, s6
; %bb.151:                              ;   in Loop: Header=BB85_6 Depth=1
	ds_write_b32 v20, v9
; %bb.152:                              ;   in Loop: Header=BB85_6 Depth=1
	s_or_b32 exec_lo, exec_lo, s27
	s_lshl_b32 s27, 2, s75
	v_or_b32_e32 v31, s14, v31
	v_and_or_b32 v4, v4, s15, s27
	s_mov_b32 s27, -1
	s_mov_b32 s28, 0
	s_cmp_eq_u32 s84, 0
	s_mov_b32 s83, 0
	s_mov_b32 s85, -1
	s_waitcnt lgkmcnt(0)
	s_barrier
	buffer_gl0_inv
                                        ; implicit-def: $vgpr2
	s_cbranch_scc1 .LBB85_164
; %bb.153:                              ;   in Loop: Header=BB85_6 Depth=1
	s_add_i32 s83, s84, s60
                                        ; implicit-def: $vgpr2
	s_mul_hi_u32 s85, s83, s66
	s_mul_i32 s85, s85, s46
	s_sub_i32 s85, s83, s85
	s_sub_i32 s86, s85, s46
	s_cmp_ge_u32 s85, s46
	s_cselect_b32 s85, s86, s85
	s_sub_i32 s86, s85, s46
	s_cmp_ge_u32 s85, s46
	s_cselect_b32 s85, s86, s85
	s_mov_b32 s86, exec_lo
	s_sub_i32 s87, s83, s85
	s_mov_b32 s85, 0
	s_mov_b32 s83, 0
	v_cmpx_gt_u32_e64 s87, v0
	s_cbranch_execz .LBB85_163
; %bb.154:                              ;   in Loop: Header=BB85_6 Depth=1
	v_mov_b32_e32 v8, v18
	v_mov_b32_e32 v32, v0
                                        ; implicit-def: $sgpr88
	s_inst_prefetch 0x1
	s_branch .LBB85_158
	.p2align	6
.LBB85_155:                             ;   in Loop: Header=BB85_158 Depth=2
	s_or_b32 exec_lo, exec_lo, s89
	s_waitcnt lgkmcnt(0)
	s_barrier
	buffer_gl0_inv
	ds_read_b64 v[1:2], v9 offset:3072
	s_waitcnt lgkmcnt(0)
	s_barrier
	buffer_gl0_inv
	v_cmp_neq_f32_e32 vcc_lo, 0, v1
	s_cbranch_vccnz .LBB85_161
; %bb.156:                              ;   in Loop: Header=BB85_158 Depth=2
	v_add_nc_u32_e32 v32, s46, v32
	v_add_nc_u32_e32 v8, s55, v8
	s_mov_b32 s89, 0
	v_cmp_le_u32_e32 vcc_lo, s87, v32
	s_orn2_b32 s90, vcc_lo, exec_lo
.LBB85_157:                             ;   in Loop: Header=BB85_158 Depth=2
	s_and_b32 s90, exec_lo, s90
	s_or_b32 s83, s90, s83
	s_andn2_b32 s88, s88, exec_lo
	s_and_b32 s89, s89, exec_lo
	s_or_b32 s88, s88, s89
	s_andn2_b32 exec_lo, exec_lo, s83
	s_cbranch_execz .LBB85_162
.LBB85_158:                             ;   Parent Loop BB85_6 Depth=1
                                        ; =>  This Inner Loop Header: Depth=2
	s_mov_b32 s89, exec_lo
	v_cmpx_gt_u32_e64 s84, v32
	s_cbranch_execz .LBB85_155
; %bb.159:                              ;   in Loop: Header=BB85_158 Depth=2
	ds_read_b32 v14, v8
	s_waitcnt lgkmcnt(0)
	v_cmp_lt_i32_e32 vcc_lo, -1, v14
	v_cndmask_b32_e64 v1, -1, 0x80000000, vcc_lo
	v_cmp_o_f32_e32 vcc_lo, v14, v14
	v_xor_b32_e32 v1, v1, v14
	v_cndmask_b32_e32 v1, -1, v1, vcc_lo
	v_and_b32_e32 v1, v1, v31
	v_cmp_eq_u32_e32 vcc_lo, v1, v4
	s_and_b32 exec_lo, exec_lo, vcc_lo
	s_cbranch_execz .LBB85_155
; %bb.160:                              ;   in Loop: Header=BB85_158 Depth=2
	ds_write_b64 v9, v[13:14] offset:3072
	s_branch .LBB85_155
.LBB85_161:                             ;   in Loop: Header=BB85_158 Depth=2
	s_mov_b32 s90, -1
	s_mov_b32 s89, -1
                                        ; implicit-def: $vgpr32
                                        ; implicit-def: $vgpr8
	s_branch .LBB85_157
.LBB85_162:                             ;   in Loop: Header=BB85_6 Depth=1
	s_inst_prefetch 0x2
	s_or_b32 exec_lo, exec_lo, s83
	s_and_b32 s83, s88, exec_lo
.LBB85_163:                             ;   in Loop: Header=BB85_6 Depth=1
	s_or_b32 exec_lo, exec_lo, s86
.LBB85_164:                             ;   in Loop: Header=BB85_6 Depth=1
	s_and_b32 vcc_lo, exec_lo, s85
	s_cbranch_vccz .LBB85_176
; %bb.165:                              ;   in Loop: Header=BB85_6 Depth=1
                                        ; implicit-def: $vgpr2
	s_and_saveexec_b32 s27, s9
	s_cbranch_execz .LBB85_175
; %bb.166:                              ;   in Loop: Header=BB85_6 Depth=1
	v_mov_b32_e32 v8, v7
	v_mov_b32_e32 v32, v0
	s_mov_b32 s28, 0
                                        ; implicit-def: $sgpr84
	s_branch .LBB85_170
.LBB85_167:                             ;   in Loop: Header=BB85_170 Depth=2
	s_or_b32 exec_lo, exec_lo, s85
	s_waitcnt lgkmcnt(0)
	s_barrier
	buffer_gl0_inv
	ds_read_b64 v[1:2], v9 offset:3072
	s_waitcnt lgkmcnt(0)
	s_barrier
	buffer_gl0_inv
	v_cmp_eq_f32_e32 vcc_lo, 0, v1
	s_cbranch_vccz .LBB85_173
; %bb.168:                              ;   in Loop: Header=BB85_170 Depth=2
	v_add_nc_u32_e32 v32, s46, v32
	v_add_nc_u32_e32 v8, s48, v8
	s_mov_b32 s85, 0
	v_cmp_le_u32_e32 vcc_lo, s67, v32
	s_orn2_b32 s86, vcc_lo, exec_lo
.LBB85_169:                             ;   in Loop: Header=BB85_170 Depth=2
	s_and_b32 s86, exec_lo, s86
	s_or_b32 s28, s86, s28
	s_andn2_b32 s84, s84, exec_lo
	s_and_b32 s85, s85, exec_lo
	s_or_b32 s84, s84, s85
	s_andn2_b32 exec_lo, exec_lo, s28
	s_cbranch_execz .LBB85_174
.LBB85_170:                             ;   Parent Loop BB85_6 Depth=1
                                        ; =>  This Inner Loop Header: Depth=2
	s_mov_b32 s85, exec_lo
	v_cmpx_gt_u32_e64 s36, v32
	s_cbranch_execz .LBB85_167
; %bb.171:                              ;   in Loop: Header=BB85_170 Depth=2
	v_lshlrev_b64 v[1:2], 2, v[8:9]
	v_add_co_u32 v1, vcc_lo, s31, v1
	v_add_co_ci_u32_e64 v2, null, s33, v2, vcc_lo
	global_load_dword v14, v[1:2], off
	s_waitcnt vmcnt(0)
	v_cmp_lt_i32_e32 vcc_lo, -1, v14
	v_cndmask_b32_e64 v1, -1, 0x80000000, vcc_lo
	v_cmp_o_f32_e32 vcc_lo, v14, v14
	v_xor_b32_e32 v1, v1, v14
	v_cndmask_b32_e32 v1, -1, v1, vcc_lo
	v_and_b32_e32 v1, v1, v31
	v_cmp_eq_u32_e32 vcc_lo, v1, v4
	s_and_b32 exec_lo, exec_lo, vcc_lo
	s_cbranch_execz .LBB85_167
; %bb.172:                              ;   in Loop: Header=BB85_170 Depth=2
	ds_write_b64 v9, v[13:14] offset:3072
	s_branch .LBB85_167
.LBB85_173:                             ;   in Loop: Header=BB85_170 Depth=2
	s_mov_b32 s86, -1
	s_mov_b32 s85, -1
                                        ; implicit-def: $vgpr32
	s_branch .LBB85_169
.LBB85_174:                             ;   in Loop: Header=BB85_6 Depth=1
	s_or_b32 exec_lo, exec_lo, s28
	s_andn2_b32 s28, s83, exec_lo
	s_and_b32 s83, s84, exec_lo
	s_or_b32 s83, s28, s83
.LBB85_175:                             ;   in Loop: Header=BB85_6 Depth=1
	s_or_b32 exec_lo, exec_lo, s27
	s_mov_b32 s27, 0
	s_mov_b32 s28, -1
.LBB85_176:                             ;   in Loop: Header=BB85_6 Depth=1
	s_orn2_b32 s83, s83, exec_lo
.LBB85_177:                             ;   in Loop: Header=BB85_6 Depth=1
	s_or_b32 exec_lo, exec_lo, s29
	s_mov_b32 s84, 0
	s_and_saveexec_b32 s29, s83
	s_cbranch_execz .LBB85_229
; %bb.178:                              ;   in Loop: Header=BB85_6 Depth=1
	v_mov_b32_e32 v32, 1
	v_mov_b32_e32 v3, 1
	s_xor_b32 s83, s82, -1
	s_mov_b32 s86, 0
	s_and_saveexec_b32 s82, s83
	s_cbranch_execz .LBB85_187
; %bb.179:                              ;   in Loop: Header=BB85_6 Depth=1
	s_mov_b32 s83, exec_lo
	v_cmpx_ge_u32_e64 s17, v33
	s_xor_b32 s83, exec_lo, s83
	s_cbranch_execz .LBB85_184
; %bb.180:                              ;   in Loop: Header=BB85_6 Depth=1
	ds_read_b32 v1, v9 offset:4096
	s_lshl_b32 s84, 2, s75
	v_or_b32_e32 v31, s14, v31
	v_and_or_b32 v4, v4, s15, s84
	s_waitcnt lgkmcnt(0)
	v_cmp_ne_u32_e32 vcc_lo, 0, v1
	s_cbranch_vccnz .LBB85_184
; %bb.181:                              ;   in Loop: Header=BB85_6 Depth=1
	s_and_saveexec_b32 s84, s3
; %bb.182:                              ;   in Loop: Header=BB85_6 Depth=1
	v_mov_b32_e32 v1, s17
	ds_write_b32 v9, v1 offset:4100
; %bb.183:                              ;   in Loop: Header=BB85_6 Depth=1
	s_or_b32 exec_lo, exec_lo, s84
	s_waitcnt lgkmcnt(0)
	s_barrier
	buffer_gl0_inv
.LBB85_184:                             ;   in Loop: Header=BB85_6 Depth=1
	s_or_saveexec_b32 s83, s83
	v_mov_b32_e32 v3, 8
	s_mov_b32 s84, 0
	s_xor_b32 exec_lo, exec_lo, s83
; %bb.185:                              ;   in Loop: Header=BB85_6 Depth=1
	v_subrev_nc_u32_e32 v33, s17, v33
	v_mov_b32_e32 v3, 0
	s_mov_b32 s84, exec_lo
; %bb.186:                              ;   in Loop: Header=BB85_6 Depth=1
	s_or_b32 exec_lo, exec_lo, s83
	v_mov_b32_e32 v32, v33
	s_and_b32 s86, s84, exec_lo
.LBB85_187:                             ;   in Loop: Header=BB85_6 Depth=1
	s_or_b32 exec_lo, exec_lo, s82
	s_mov_b32 s83, -1
                                        ; implicit-def: $sgpr85
                                        ; implicit-def: $sgpr84
	s_and_saveexec_b32 s82, s86
	s_cbranch_execz .LBB85_228
; %bb.188:                              ;   in Loop: Header=BB85_6 Depth=1
	v_cmp_eq_u32_e32 vcc_lo, 1, v32
	s_cmp_eq_u32 s18, 1
	s_mov_b32 s87, -1
	s_cselect_b32 s83, -1, 0
                                        ; implicit-def: $sgpr85
                                        ; implicit-def: $sgpr84
	s_and_b32 s83, s83, vcc_lo
	s_and_saveexec_b32 s86, s83
	s_cbranch_execz .LBB85_216
; %bb.189:                              ;   in Loop: Header=BB85_6 Depth=1
	ds_read_b32 v1, v9 offset:4096
	s_waitcnt lgkmcnt(0)
	s_barrier
	buffer_gl0_inv
	v_readfirstlane_b32 s88, v1
	s_and_saveexec_b32 s84, s6
; %bb.190:                              ;   in Loop: Header=BB85_6 Depth=1
	ds_write_b32 v20, v9
; %bb.191:                              ;   in Loop: Header=BB85_6 Depth=1
	s_or_b32 exec_lo, exec_lo, s84
	v_or_b32_e32 v4, s14, v4
	v_or_b32_e32 v31, s14, v31
	s_mov_b32 s84, -1
	s_mov_b32 s85, 0
	s_cmp_eq_u32 s88, 0
	s_mov_b32 s87, 0
	s_mov_b32 s89, -1
	s_waitcnt lgkmcnt(0)
	s_barrier
	buffer_gl0_inv
                                        ; implicit-def: $vgpr2
	s_cbranch_scc1 .LBB85_203
; %bb.192:                              ;   in Loop: Header=BB85_6 Depth=1
	s_add_i32 s87, s88, s60
                                        ; implicit-def: $vgpr2
	s_mul_hi_u32 s89, s87, s66
	s_mul_i32 s89, s89, s46
	s_sub_i32 s89, s87, s89
	s_sub_i32 s90, s89, s46
	s_cmp_ge_u32 s89, s46
	s_cselect_b32 s89, s90, s89
	s_sub_i32 s90, s89, s46
	s_cmp_ge_u32 s89, s46
	s_cselect_b32 s89, s90, s89
	s_mov_b32 s90, exec_lo
	s_sub_i32 s91, s87, s89
	s_mov_b32 s89, 0
	s_mov_b32 s87, 0
	v_cmpx_gt_u32_e64 s91, v0
	s_cbranch_execz .LBB85_202
; %bb.193:                              ;   in Loop: Header=BB85_6 Depth=1
	v_mov_b32_e32 v8, v18
	v_mov_b32_e32 v33, v0
                                        ; implicit-def: $sgpr92
	s_inst_prefetch 0x1
	s_branch .LBB85_197
	.p2align	6
.LBB85_194:                             ;   in Loop: Header=BB85_197 Depth=2
	s_or_b32 exec_lo, exec_lo, s93
	s_waitcnt lgkmcnt(0)
	s_barrier
	buffer_gl0_inv
	ds_read_b64 v[1:2], v9 offset:3072
	s_waitcnt lgkmcnt(0)
	s_barrier
	buffer_gl0_inv
	v_cmp_neq_f32_e32 vcc_lo, 0, v1
	s_cbranch_vccnz .LBB85_200
; %bb.195:                              ;   in Loop: Header=BB85_197 Depth=2
	v_add_nc_u32_e32 v33, s46, v33
	v_add_nc_u32_e32 v8, s55, v8
	s_mov_b32 s93, 0
	v_cmp_le_u32_e32 vcc_lo, s91, v33
	s_orn2_b32 s94, vcc_lo, exec_lo
.LBB85_196:                             ;   in Loop: Header=BB85_197 Depth=2
	s_and_b32 s94, exec_lo, s94
	s_or_b32 s87, s94, s87
	s_andn2_b32 s92, s92, exec_lo
	s_and_b32 s93, s93, exec_lo
	s_or_b32 s92, s92, s93
	s_andn2_b32 exec_lo, exec_lo, s87
	s_cbranch_execz .LBB85_201
.LBB85_197:                             ;   Parent Loop BB85_6 Depth=1
                                        ; =>  This Inner Loop Header: Depth=2
	s_mov_b32 s93, exec_lo
	v_cmpx_gt_u32_e64 s88, v33
	s_cbranch_execz .LBB85_194
; %bb.198:                              ;   in Loop: Header=BB85_197 Depth=2
	ds_read_b32 v14, v8
	s_waitcnt lgkmcnt(0)
	v_cmp_lt_i32_e32 vcc_lo, -1, v14
	v_cndmask_b32_e64 v1, -1, 0x80000000, vcc_lo
	v_cmp_o_f32_e32 vcc_lo, v14, v14
	v_xor_b32_e32 v1, v1, v14
	v_cndmask_b32_e32 v1, -1, v1, vcc_lo
	v_and_b32_e32 v1, v1, v31
	v_cmp_eq_u32_e32 vcc_lo, v1, v4
	s_and_b32 exec_lo, exec_lo, vcc_lo
	s_cbranch_execz .LBB85_194
; %bb.199:                              ;   in Loop: Header=BB85_197 Depth=2
	ds_write_b64 v9, v[13:14] offset:3072
	s_branch .LBB85_194
.LBB85_200:                             ;   in Loop: Header=BB85_197 Depth=2
	s_mov_b32 s94, -1
	s_mov_b32 s93, -1
                                        ; implicit-def: $vgpr33
                                        ; implicit-def: $vgpr8
	s_branch .LBB85_196
.LBB85_201:                             ;   in Loop: Header=BB85_6 Depth=1
	s_inst_prefetch 0x2
	s_or_b32 exec_lo, exec_lo, s87
	s_and_b32 s87, s92, exec_lo
.LBB85_202:                             ;   in Loop: Header=BB85_6 Depth=1
	s_or_b32 exec_lo, exec_lo, s90
.LBB85_203:                             ;   in Loop: Header=BB85_6 Depth=1
	s_and_b32 vcc_lo, exec_lo, s89
	s_cbranch_vccz .LBB85_215
; %bb.204:                              ;   in Loop: Header=BB85_6 Depth=1
                                        ; implicit-def: $vgpr2
	s_and_saveexec_b32 s84, s9
	s_cbranch_execz .LBB85_214
; %bb.205:                              ;   in Loop: Header=BB85_6 Depth=1
	v_mov_b32_e32 v8, v7
	v_mov_b32_e32 v33, v0
	s_mov_b32 s85, 0
                                        ; implicit-def: $sgpr88
	s_branch .LBB85_209
.LBB85_206:                             ;   in Loop: Header=BB85_209 Depth=2
	s_or_b32 exec_lo, exec_lo, s89
	s_waitcnt lgkmcnt(0)
	s_barrier
	buffer_gl0_inv
	ds_read_b64 v[1:2], v9 offset:3072
	s_waitcnt lgkmcnt(0)
	s_barrier
	buffer_gl0_inv
	v_cmp_eq_f32_e32 vcc_lo, 0, v1
	s_cbranch_vccz .LBB85_212
; %bb.207:                              ;   in Loop: Header=BB85_209 Depth=2
	v_add_nc_u32_e32 v33, s46, v33
	v_add_nc_u32_e32 v8, s48, v8
	s_mov_b32 s89, 0
	v_cmp_le_u32_e32 vcc_lo, s67, v33
	s_orn2_b32 s90, vcc_lo, exec_lo
.LBB85_208:                             ;   in Loop: Header=BB85_209 Depth=2
	s_and_b32 s90, exec_lo, s90
	s_or_b32 s85, s90, s85
	s_andn2_b32 s88, s88, exec_lo
	s_and_b32 s89, s89, exec_lo
	s_or_b32 s88, s88, s89
	s_andn2_b32 exec_lo, exec_lo, s85
	s_cbranch_execz .LBB85_213
.LBB85_209:                             ;   Parent Loop BB85_6 Depth=1
                                        ; =>  This Inner Loop Header: Depth=2
	s_mov_b32 s89, exec_lo
	v_cmpx_gt_u32_e64 s36, v33
	s_cbranch_execz .LBB85_206
; %bb.210:                              ;   in Loop: Header=BB85_209 Depth=2
	v_lshlrev_b64 v[1:2], 2, v[8:9]
	v_add_co_u32 v1, vcc_lo, s31, v1
	v_add_co_ci_u32_e64 v2, null, s33, v2, vcc_lo
	global_load_dword v14, v[1:2], off
	s_waitcnt vmcnt(0)
	v_cmp_lt_i32_e32 vcc_lo, -1, v14
	v_cndmask_b32_e64 v1, -1, 0x80000000, vcc_lo
	v_cmp_o_f32_e32 vcc_lo, v14, v14
	v_xor_b32_e32 v1, v1, v14
	v_cndmask_b32_e32 v1, -1, v1, vcc_lo
	v_and_b32_e32 v1, v1, v31
	v_cmp_eq_u32_e32 vcc_lo, v1, v4
	s_and_b32 exec_lo, exec_lo, vcc_lo
	s_cbranch_execz .LBB85_206
; %bb.211:                              ;   in Loop: Header=BB85_209 Depth=2
	ds_write_b64 v9, v[13:14] offset:3072
	s_branch .LBB85_206
.LBB85_212:                             ;   in Loop: Header=BB85_209 Depth=2
	s_mov_b32 s90, -1
	s_mov_b32 s89, -1
                                        ; implicit-def: $vgpr33
	s_branch .LBB85_208
.LBB85_213:                             ;   in Loop: Header=BB85_6 Depth=1
	s_or_b32 exec_lo, exec_lo, s85
	s_andn2_b32 s85, s87, exec_lo
	s_and_b32 s87, s88, exec_lo
	s_or_b32 s87, s85, s87
.LBB85_214:                             ;   in Loop: Header=BB85_6 Depth=1
	s_or_b32 exec_lo, exec_lo, s84
	s_mov_b32 s84, 0
	s_mov_b32 s85, -1
.LBB85_215:                             ;   in Loop: Header=BB85_6 Depth=1
	s_orn2_b32 s87, s87, exec_lo
.LBB85_216:                             ;   in Loop: Header=BB85_6 Depth=1
	s_or_b32 exec_lo, exec_lo, s86
	s_mov_b32 s88, 0
	s_and_saveexec_b32 s86, s87
	s_cbranch_execz .LBB85_227
; %bb.217:                              ;   in Loop: Header=BB85_6 Depth=1
	v_mov_b32_e32 v3, 1
	v_mov_b32_e32 v1, 1
	s_xor_b32 s87, s83, -1
	s_and_saveexec_b32 s83, s87
	s_cbranch_execz .LBB85_226
; %bb.218:                              ;   in Loop: Header=BB85_6 Depth=1
	s_mov_b32 s87, exec_lo
	v_cmpx_ge_u32_e64 s18, v32
	s_xor_b32 s87, exec_lo, s87
	s_cbranch_execz .LBB85_223
; %bb.219:                              ;   in Loop: Header=BB85_6 Depth=1
	ds_read_b32 v1, v9 offset:4096
	v_or_b32_e32 v4, s14, v4
	v_or_b32_e32 v31, s14, v31
	s_waitcnt lgkmcnt(0)
	v_cmp_ne_u32_e32 vcc_lo, 0, v1
	s_cbranch_vccnz .LBB85_223
; %bb.220:                              ;   in Loop: Header=BB85_6 Depth=1
	s_and_saveexec_b32 s88, s3
; %bb.221:                              ;   in Loop: Header=BB85_6 Depth=1
	v_mov_b32_e32 v1, s18
	ds_write_b32 v9, v1 offset:4100
; %bb.222:                              ;   in Loop: Header=BB85_6 Depth=1
	s_or_b32 exec_lo, exec_lo, s88
	s_waitcnt lgkmcnt(0)
	s_barrier
	buffer_gl0_inv
.LBB85_223:                             ;   in Loop: Header=BB85_6 Depth=1
	s_andn2_saveexec_b32 s87, s87
; %bb.224:                              ;   in Loop: Header=BB85_6 Depth=1
	v_subrev_nc_u32_e32 v32, s18, v32
; %bb.225:                              ;   in Loop: Header=BB85_6 Depth=1
	s_or_b32 exec_lo, exec_lo, s87
	v_mov_b32_e32 v3, 8
	v_mov_b32_e32 v1, v32
.LBB85_226:                             ;   in Loop: Header=BB85_6 Depth=1
	s_or_b32 exec_lo, exec_lo, s83
	v_mov_b32_e32 v32, v1
	s_mov_b32 s88, exec_lo
.LBB85_227:                             ;   in Loop: Header=BB85_6 Depth=1
	s_or_b32 exec_lo, exec_lo, s86
	s_orn2_b32 s83, s88, exec_lo
.LBB85_228:                             ;   in Loop: Header=BB85_6 Depth=1
	s_or_b32 exec_lo, exec_lo, s82
	v_mov_b32_e32 v33, v32
	s_andn2_b32 s28, s28, exec_lo
	s_and_b32 s82, s85, exec_lo
	s_andn2_b32 s27, s27, exec_lo
	s_and_b32 s84, s84, exec_lo
	s_or_b32 s28, s28, s82
	s_or_b32 s27, s27, s84
	s_and_b32 s84, s83, exec_lo
.LBB85_229:                             ;   in Loop: Header=BB85_6 Depth=1
	s_or_b32 exec_lo, exec_lo, s29
	s_orn2_b32 s29, s84, exec_lo
.LBB85_230:                             ;   in Loop: Header=BB85_6 Depth=1
	s_or_b32 exec_lo, exec_lo, s26
	v_mov_b32_e32 v32, v33
	s_andn2_b32 s24, s24, exec_lo
	s_and_b32 s26, s28, exec_lo
	s_andn2_b32 s19, s19, exec_lo
	s_and_b32 s27, s27, exec_lo
	s_or_b32 s24, s24, s26
	s_or_b32 s19, s19, s27
	s_and_b32 s28, s29, exec_lo
.LBB85_231:                             ;   in Loop: Header=BB85_6 Depth=1
	s_or_b32 exec_lo, exec_lo, s25
	s_orn2_b32 s25, s28, exec_lo
.LBB85_232:                             ;   in Loop: Header=BB85_6 Depth=1
	s_or_b32 exec_lo, exec_lo, s11
	s_mov_b32 s26, 0
	s_mov_b32 s27, 0
	s_and_saveexec_b32 s11, s25
	s_xor_b32 s25, exec_lo, s11
; %bb.233:                              ;   in Loop: Header=BB85_6 Depth=1
	v_cmp_ne_u32_e32 vcc_lo, 8, v3
	v_cmp_eq_u32_e64 s11, 8, v3
	s_and_b32 s27, vcc_lo, exec_lo
	s_and_b32 s26, s11, exec_lo
; %bb.234:                              ;   in Loop: Header=BB85_6 Depth=1
	s_or_b32 exec_lo, exec_lo, s25
	s_andn2_b32 s11, s21, exec_lo
	s_and_b32 s21, s24, exec_lo
	s_andn2_b32 s20, s20, exec_lo
	s_and_b32 s19, s19, exec_lo
	s_or_b32 s21, s11, s21
	s_or_b32 s20, s20, s19
	s_and_b32 s11, s27, exec_lo
	s_and_b32 s19, s26, exec_lo
.LBB85_235:                             ;   in Loop: Header=BB85_6 Depth=1
	s_or_b32 exec_lo, exec_lo, s23
.LBB85_236:                             ;   in Loop: Header=BB85_6 Depth=1
	s_and_b32 vcc_lo, exec_lo, s22
	s_cbranch_vccz .LBB85_250
; %bb.237:                              ;   in Loop: Header=BB85_6 Depth=1
	s_cmp_eq_u32 s18, 1
	s_mov_b32 s21, -1
	s_cselect_b32 s12, -1, 0
                                        ; implicit-def: $sgpr22
	s_and_b32 s10, s12, s10
                                        ; implicit-def: $sgpr12
	s_and_saveexec_b32 s20, s10
	s_cbranch_execz .LBB85_266
; %bb.238:                              ;   in Loop: Header=BB85_6 Depth=1
	ds_read_b32 v1, v9 offset:4096
	s_waitcnt lgkmcnt(0)
	s_barrier
	buffer_gl0_inv
	v_readfirstlane_b32 s23, v1
	s_and_saveexec_b32 s12, s6
; %bb.239:                              ;   in Loop: Header=BB85_6 Depth=1
	ds_write_b32 v20, v9
; %bb.240:                              ;   in Loop: Header=BB85_6 Depth=1
	s_or_b32 exec_lo, exec_lo, s12
	v_or_b32_e32 v22, s14, v22
	v_or_b32_e32 v29, s14, v29
	s_mov_b32 s12, -1
	s_mov_b32 s22, 0
	s_cmp_eq_u32 s23, 0
	s_mov_b32 s21, 0
	s_mov_b32 s24, -1
	s_waitcnt lgkmcnt(0)
	s_barrier
	buffer_gl0_inv
                                        ; implicit-def: $vgpr15
	s_cbranch_scc1 .LBB85_253
; %bb.241:                              ;   in Loop: Header=BB85_6 Depth=1
	s_add_i32 s21, s23, s60
                                        ; implicit-def: $vgpr15
	s_mul_hi_u32 s24, s21, s66
	s_mul_i32 s24, s24, s46
	s_sub_i32 s24, s21, s24
	s_sub_i32 s25, s24, s46
	s_cmp_ge_u32 s24, s46
	s_cselect_b32 s24, s25, s24
	s_sub_i32 s25, s24, s46
	s_cmp_ge_u32 s24, s46
	s_cselect_b32 s24, s25, s24
	s_mov_b32 s25, exec_lo
	s_sub_i32 s26, s21, s24
	s_mov_b32 s24, 0
	s_mov_b32 s21, 0
	v_cmpx_gt_u32_e64 s26, v0
	s_cbranch_execz .LBB85_252
; %bb.242:                              ;   in Loop: Header=BB85_6 Depth=1
	v_mov_b32_e32 v1, v18
	v_mov_b32_e32 v2, v0
                                        ; implicit-def: $sgpr27
	s_inst_prefetch 0x1
	s_branch .LBB85_246
	.p2align	6
.LBB85_243:                             ;   in Loop: Header=BB85_246 Depth=2
	s_or_b32 exec_lo, exec_lo, s28
	s_waitcnt lgkmcnt(0)
	s_barrier
	buffer_gl0_inv
	ds_read_b64 v[14:15], v9 offset:3072
	s_waitcnt lgkmcnt(0)
	s_barrier
	buffer_gl0_inv
	v_cmp_neq_f32_e32 vcc_lo, 0, v14
	s_cbranch_vccnz .LBB85_249
; %bb.244:                              ;   in Loop: Header=BB85_246 Depth=2
	v_add_nc_u32_e32 v2, s46, v2
	v_add_nc_u32_e32 v1, s55, v1
	s_mov_b32 s28, 0
	v_cmp_le_u32_e32 vcc_lo, s26, v2
	s_orn2_b32 s29, vcc_lo, exec_lo
.LBB85_245:                             ;   in Loop: Header=BB85_246 Depth=2
	s_and_b32 s29, exec_lo, s29
	s_or_b32 s21, s29, s21
	s_andn2_b32 s27, s27, exec_lo
	s_and_b32 s28, s28, exec_lo
	s_or_b32 s27, s27, s28
	s_andn2_b32 exec_lo, exec_lo, s21
	s_cbranch_execz .LBB85_251
.LBB85_246:                             ;   Parent Loop BB85_6 Depth=1
                                        ; =>  This Inner Loop Header: Depth=2
	s_mov_b32 s28, exec_lo
	v_cmpx_gt_u32_e64 s23, v2
	s_cbranch_execz .LBB85_243
; %bb.247:                              ;   in Loop: Header=BB85_246 Depth=2
	ds_read_b32 v14, v1
	s_waitcnt lgkmcnt(0)
	v_cmp_lt_i32_e32 vcc_lo, -1, v14
	v_cndmask_b32_e64 v3, -1, 0x80000000, vcc_lo
	v_cmp_o_f32_e32 vcc_lo, v14, v14
	v_xor_b32_e32 v3, v3, v14
	v_cndmask_b32_e32 v3, -1, v3, vcc_lo
	v_and_b32_e32 v3, v3, v29
	v_cmp_eq_u32_e32 vcc_lo, v3, v22
	s_and_b32 exec_lo, exec_lo, vcc_lo
	s_cbranch_execz .LBB85_243
; %bb.248:                              ;   in Loop: Header=BB85_246 Depth=2
	ds_write_b64 v9, v[13:14] offset:3072
	s_branch .LBB85_243
.LBB85_249:                             ;   in Loop: Header=BB85_246 Depth=2
	s_mov_b32 s29, -1
	s_mov_b32 s28, -1
                                        ; implicit-def: $vgpr2
                                        ; implicit-def: $vgpr1
	s_branch .LBB85_245
.LBB85_250:                             ;   in Loop: Header=BB85_6 Depth=1
	v_mov_b32_e32 v22, v4
	v_mov_b32_e32 v29, v31
	;; [unrolled: 1-line block ×3, first 2 shown]
	s_mov_b32 s22, 0
	s_and_saveexec_b32 s10, s19
	s_cbranch_execnz .LBB85_403
	s_branch .LBB85_404
.LBB85_251:                             ;   in Loop: Header=BB85_6 Depth=1
	s_inst_prefetch 0x2
	s_or_b32 exec_lo, exec_lo, s21
	s_and_b32 s21, s27, exec_lo
.LBB85_252:                             ;   in Loop: Header=BB85_6 Depth=1
	s_or_b32 exec_lo, exec_lo, s25
.LBB85_253:                             ;   in Loop: Header=BB85_6 Depth=1
	s_and_b32 vcc_lo, exec_lo, s24
	s_cbranch_vccz .LBB85_265
; %bb.254:                              ;   in Loop: Header=BB85_6 Depth=1
                                        ; implicit-def: $vgpr15
	s_and_saveexec_b32 s12, s9
	s_cbranch_execz .LBB85_264
; %bb.255:                              ;   in Loop: Header=BB85_6 Depth=1
	v_mov_b32_e32 v8, v7
	v_mov_b32_e32 v1, v0
	s_mov_b32 s22, 0
                                        ; implicit-def: $sgpr23
	s_branch .LBB85_259
.LBB85_256:                             ;   in Loop: Header=BB85_259 Depth=2
	s_or_b32 exec_lo, exec_lo, s24
	s_waitcnt lgkmcnt(0)
	s_barrier
	buffer_gl0_inv
	ds_read_b64 v[14:15], v9 offset:3072
	s_waitcnt lgkmcnt(0)
	s_barrier
	buffer_gl0_inv
	v_cmp_neq_f32_e32 vcc_lo, 0, v14
	s_cbranch_vccnz .LBB85_262
; %bb.257:                              ;   in Loop: Header=BB85_259 Depth=2
	v_add_nc_u32_e32 v1, s46, v1
	v_add_nc_u32_e32 v8, s48, v8
	s_mov_b32 s24, 0
	v_cmp_le_u32_e32 vcc_lo, s67, v1
	s_orn2_b32 s25, vcc_lo, exec_lo
.LBB85_258:                             ;   in Loop: Header=BB85_259 Depth=2
	s_and_b32 s25, exec_lo, s25
	s_or_b32 s22, s25, s22
	s_andn2_b32 s23, s23, exec_lo
	s_and_b32 s24, s24, exec_lo
	s_or_b32 s23, s23, s24
	s_andn2_b32 exec_lo, exec_lo, s22
	s_cbranch_execz .LBB85_263
.LBB85_259:                             ;   Parent Loop BB85_6 Depth=1
                                        ; =>  This Inner Loop Header: Depth=2
	s_mov_b32 s24, exec_lo
	v_cmpx_gt_u32_e64 s36, v1
	s_cbranch_execz .LBB85_256
; %bb.260:                              ;   in Loop: Header=BB85_259 Depth=2
	v_lshlrev_b64 v[2:3], 2, v[8:9]
	v_add_co_u32 v2, vcc_lo, s31, v2
	v_add_co_ci_u32_e64 v3, null, s33, v3, vcc_lo
	global_load_dword v14, v[2:3], off
	s_waitcnt vmcnt(0)
	v_cmp_lt_i32_e32 vcc_lo, -1, v14
	v_cndmask_b32_e64 v2, -1, 0x80000000, vcc_lo
	v_cmp_o_f32_e32 vcc_lo, v14, v14
	v_xor_b32_e32 v2, v2, v14
	v_cndmask_b32_e32 v2, -1, v2, vcc_lo
	v_and_b32_e32 v2, v2, v29
	v_cmp_eq_u32_e32 vcc_lo, v2, v22
	s_and_b32 exec_lo, exec_lo, vcc_lo
	s_cbranch_execz .LBB85_256
; %bb.261:                              ;   in Loop: Header=BB85_259 Depth=2
	ds_write_b64 v9, v[13:14] offset:3072
	s_branch .LBB85_256
.LBB85_262:                             ;   in Loop: Header=BB85_259 Depth=2
	s_mov_b32 s25, -1
	s_mov_b32 s24, -1
                                        ; implicit-def: $vgpr1
	s_branch .LBB85_258
.LBB85_263:                             ;   in Loop: Header=BB85_6 Depth=1
	s_or_b32 exec_lo, exec_lo, s22
	s_andn2_b32 s21, s21, exec_lo
	s_and_b32 s22, s23, exec_lo
	s_or_b32 s21, s21, s22
.LBB85_264:                             ;   in Loop: Header=BB85_6 Depth=1
	s_or_b32 exec_lo, exec_lo, s12
	s_mov_b32 s12, 0
	s_mov_b32 s22, -1
.LBB85_265:                             ;   in Loop: Header=BB85_6 Depth=1
	s_orn2_b32 s21, s21, exec_lo
.LBB85_266:                             ;   in Loop: Header=BB85_6 Depth=1
	s_or_b32 exec_lo, exec_lo, s20
                                        ; implicit-def: $vgpr32
                                        ; implicit-def: $vgpr3
	s_and_saveexec_b32 s20, s21
	s_cbranch_execz .LBB85_402
; %bb.267:                              ;   in Loop: Header=BB85_6 Depth=1
	v_mov_b32_e32 v32, 1
	v_mov_b32_e32 v3, 1
	s_xor_b32 s21, s10, -1
	s_mov_b32 s24, 0
	s_and_saveexec_b32 s10, s21
	s_cbranch_execz .LBB85_276
; %bb.268:                              ;   in Loop: Header=BB85_6 Depth=1
	s_mov_b32 s21, exec_lo
	v_cmpx_ge_u32_e64 s18, v30
	s_xor_b32 s21, exec_lo, s21
	s_cbranch_execz .LBB85_273
; %bb.269:                              ;   in Loop: Header=BB85_6 Depth=1
	ds_read_b32 v1, v9 offset:4096
	v_or_b32_e32 v22, s14, v22
	v_or_b32_e32 v29, s14, v29
	s_waitcnt lgkmcnt(0)
	v_cmp_ne_u32_e32 vcc_lo, 0, v1
	s_cbranch_vccnz .LBB85_273
; %bb.270:                              ;   in Loop: Header=BB85_6 Depth=1
	s_and_saveexec_b32 s23, s3
; %bb.271:                              ;   in Loop: Header=BB85_6 Depth=1
	v_mov_b32_e32 v1, s18
	ds_write_b32 v9, v1 offset:4100
; %bb.272:                              ;   in Loop: Header=BB85_6 Depth=1
	s_or_b32 exec_lo, exec_lo, s23
	s_waitcnt lgkmcnt(0)
	s_barrier
	buffer_gl0_inv
.LBB85_273:                             ;   in Loop: Header=BB85_6 Depth=1
	s_or_saveexec_b32 s21, s21
	v_mov_b32_e32 v3, 5
	s_mov_b32 s23, 0
	s_xor_b32 exec_lo, exec_lo, s21
; %bb.274:                              ;   in Loop: Header=BB85_6 Depth=1
	v_subrev_nc_u32_e32 v30, s18, v30
	v_mov_b32_e32 v3, 0
	s_mov_b32 s23, exec_lo
; %bb.275:                              ;   in Loop: Header=BB85_6 Depth=1
	s_or_b32 exec_lo, exec_lo, s21
	v_mov_b32_e32 v32, v30
	s_and_b32 s24, s23, exec_lo
.LBB85_276:                             ;   in Loop: Header=BB85_6 Depth=1
	s_or_b32 exec_lo, exec_lo, s10
	s_mov_b32 s23, -1
                                        ; implicit-def: $sgpr18
                                        ; implicit-def: $sgpr21
	s_and_saveexec_b32 s10, s24
	s_xor_b32 s10, exec_lo, s10
	s_cbranch_execz .LBB85_399
; %bb.277:                              ;   in Loop: Header=BB85_6 Depth=1
	v_cmp_eq_u32_e32 vcc_lo, 1, v32
	s_cmp_eq_u32 s17, 1
	s_mov_b32 s25, -1
	s_cselect_b32 s18, -1, 0
                                        ; implicit-def: $sgpr21
	s_and_b32 s24, s18, vcc_lo
                                        ; implicit-def: $sgpr18
	s_and_saveexec_b32 s23, s24
	s_cbranch_execz .LBB85_305
; %bb.278:                              ;   in Loop: Header=BB85_6 Depth=1
	ds_read_b32 v1, v9 offset:4096
	s_waitcnt lgkmcnt(0)
	s_barrier
	buffer_gl0_inv
	v_readfirstlane_b32 s26, v1
	s_and_saveexec_b32 s18, s6
; %bb.279:                              ;   in Loop: Header=BB85_6 Depth=1
	ds_write_b32 v20, v9
; %bb.280:                              ;   in Loop: Header=BB85_6 Depth=1
	s_or_b32 exec_lo, exec_lo, s18
	s_lshl_b32 s18, 2, s75
	v_or_b32_e32 v29, s14, v29
	v_and_or_b32 v22, v22, s15, s18
	s_mov_b32 s18, -1
	s_mov_b32 s21, 0
	s_cmp_eq_u32 s26, 0
	s_mov_b32 s25, 0
	s_mov_b32 s27, -1
	s_waitcnt lgkmcnt(0)
	s_barrier
	buffer_gl0_inv
                                        ; implicit-def: $vgpr15
	s_cbranch_scc1 .LBB85_292
; %bb.281:                              ;   in Loop: Header=BB85_6 Depth=1
	s_add_i32 s25, s26, s60
                                        ; implicit-def: $vgpr15
	s_mul_hi_u32 s27, s25, s66
	s_mul_i32 s27, s27, s46
	s_sub_i32 s27, s25, s27
	s_sub_i32 s28, s27, s46
	s_cmp_ge_u32 s27, s46
	s_cselect_b32 s27, s28, s27
	s_sub_i32 s28, s27, s46
	s_cmp_ge_u32 s27, s46
	s_cselect_b32 s27, s28, s27
	s_mov_b32 s28, exec_lo
	s_sub_i32 s29, s25, s27
	s_mov_b32 s27, 0
	s_mov_b32 s25, 0
	v_cmpx_gt_u32_e64 s29, v0
	s_cbranch_execz .LBB85_291
; %bb.282:                              ;   in Loop: Header=BB85_6 Depth=1
	v_mov_b32_e32 v1, v18
	v_mov_b32_e32 v2, v0
                                        ; implicit-def: $sgpr82
	s_inst_prefetch 0x1
	s_branch .LBB85_286
	.p2align	6
.LBB85_283:                             ;   in Loop: Header=BB85_286 Depth=2
	s_or_b32 exec_lo, exec_lo, s83
	s_waitcnt lgkmcnt(0)
	s_barrier
	buffer_gl0_inv
	ds_read_b64 v[14:15], v9 offset:3072
	s_waitcnt lgkmcnt(0)
	s_barrier
	buffer_gl0_inv
	v_cmp_neq_f32_e32 vcc_lo, 0, v14
	s_cbranch_vccnz .LBB85_289
; %bb.284:                              ;   in Loop: Header=BB85_286 Depth=2
	v_add_nc_u32_e32 v2, s46, v2
	v_add_nc_u32_e32 v1, s55, v1
	s_mov_b32 s83, 0
	v_cmp_le_u32_e32 vcc_lo, s29, v2
	s_orn2_b32 s84, vcc_lo, exec_lo
.LBB85_285:                             ;   in Loop: Header=BB85_286 Depth=2
	s_and_b32 s84, exec_lo, s84
	s_or_b32 s25, s84, s25
	s_andn2_b32 s82, s82, exec_lo
	s_and_b32 s83, s83, exec_lo
	s_or_b32 s82, s82, s83
	s_andn2_b32 exec_lo, exec_lo, s25
	s_cbranch_execz .LBB85_290
.LBB85_286:                             ;   Parent Loop BB85_6 Depth=1
                                        ; =>  This Inner Loop Header: Depth=2
	s_mov_b32 s83, exec_lo
	v_cmpx_gt_u32_e64 s26, v2
	s_cbranch_execz .LBB85_283
; %bb.287:                              ;   in Loop: Header=BB85_286 Depth=2
	ds_read_b32 v14, v1
	s_waitcnt lgkmcnt(0)
	v_cmp_lt_i32_e32 vcc_lo, -1, v14
	v_cndmask_b32_e64 v4, -1, 0x80000000, vcc_lo
	v_cmp_o_f32_e32 vcc_lo, v14, v14
	v_xor_b32_e32 v4, v4, v14
	v_cndmask_b32_e32 v4, -1, v4, vcc_lo
	v_and_b32_e32 v4, v4, v29
	v_cmp_eq_u32_e32 vcc_lo, v4, v22
	s_and_b32 exec_lo, exec_lo, vcc_lo
	s_cbranch_execz .LBB85_283
; %bb.288:                              ;   in Loop: Header=BB85_286 Depth=2
	ds_write_b64 v9, v[13:14] offset:3072
	s_branch .LBB85_283
.LBB85_289:                             ;   in Loop: Header=BB85_286 Depth=2
	s_mov_b32 s84, -1
	s_mov_b32 s83, -1
                                        ; implicit-def: $vgpr2
                                        ; implicit-def: $vgpr1
	s_branch .LBB85_285
.LBB85_290:                             ;   in Loop: Header=BB85_6 Depth=1
	s_inst_prefetch 0x2
	s_or_b32 exec_lo, exec_lo, s25
	s_and_b32 s25, s82, exec_lo
.LBB85_291:                             ;   in Loop: Header=BB85_6 Depth=1
	s_or_b32 exec_lo, exec_lo, s28
.LBB85_292:                             ;   in Loop: Header=BB85_6 Depth=1
	s_and_b32 vcc_lo, exec_lo, s27
	s_cbranch_vccz .LBB85_304
; %bb.293:                              ;   in Loop: Header=BB85_6 Depth=1
                                        ; implicit-def: $vgpr15
	s_and_saveexec_b32 s18, s9
	s_cbranch_execz .LBB85_303
; %bb.294:                              ;   in Loop: Header=BB85_6 Depth=1
	v_mov_b32_e32 v8, v7
	v_mov_b32_e32 v1, v0
	s_mov_b32 s21, 0
                                        ; implicit-def: $sgpr26
	s_branch .LBB85_298
.LBB85_295:                             ;   in Loop: Header=BB85_298 Depth=2
	s_or_b32 exec_lo, exec_lo, s27
	s_waitcnt lgkmcnt(0)
	s_barrier
	buffer_gl0_inv
	ds_read_b64 v[14:15], v9 offset:3072
	s_waitcnt lgkmcnt(0)
	s_barrier
	buffer_gl0_inv
	v_cmp_eq_f32_e32 vcc_lo, 0, v14
	s_cbranch_vccz .LBB85_301
; %bb.296:                              ;   in Loop: Header=BB85_298 Depth=2
	v_add_nc_u32_e32 v1, s46, v1
	v_add_nc_u32_e32 v8, s48, v8
	s_mov_b32 s27, 0
	v_cmp_le_u32_e32 vcc_lo, s67, v1
	s_orn2_b32 s28, vcc_lo, exec_lo
.LBB85_297:                             ;   in Loop: Header=BB85_298 Depth=2
	s_and_b32 s28, exec_lo, s28
	s_or_b32 s21, s28, s21
	s_andn2_b32 s26, s26, exec_lo
	s_and_b32 s27, s27, exec_lo
	s_or_b32 s26, s26, s27
	s_andn2_b32 exec_lo, exec_lo, s21
	s_cbranch_execz .LBB85_302
.LBB85_298:                             ;   Parent Loop BB85_6 Depth=1
                                        ; =>  This Inner Loop Header: Depth=2
	s_mov_b32 s27, exec_lo
	v_cmpx_gt_u32_e64 s36, v1
	s_cbranch_execz .LBB85_295
; %bb.299:                              ;   in Loop: Header=BB85_298 Depth=2
	v_lshlrev_b64 v[14:15], 2, v[8:9]
	v_add_co_u32 v14, vcc_lo, s31, v14
	v_add_co_ci_u32_e64 v15, null, s33, v15, vcc_lo
	global_load_dword v14, v[14:15], off
	s_waitcnt vmcnt(0)
	v_cmp_lt_i32_e32 vcc_lo, -1, v14
	v_cndmask_b32_e64 v2, -1, 0x80000000, vcc_lo
	v_cmp_o_f32_e32 vcc_lo, v14, v14
	v_xor_b32_e32 v2, v2, v14
	v_cndmask_b32_e32 v2, -1, v2, vcc_lo
	v_and_b32_e32 v2, v2, v29
	v_cmp_eq_u32_e32 vcc_lo, v2, v22
	s_and_b32 exec_lo, exec_lo, vcc_lo
	s_cbranch_execz .LBB85_295
; %bb.300:                              ;   in Loop: Header=BB85_298 Depth=2
	ds_write_b64 v9, v[13:14] offset:3072
	s_branch .LBB85_295
.LBB85_301:                             ;   in Loop: Header=BB85_298 Depth=2
	s_mov_b32 s28, -1
	s_mov_b32 s27, -1
                                        ; implicit-def: $vgpr1
	s_branch .LBB85_297
.LBB85_302:                             ;   in Loop: Header=BB85_6 Depth=1
	s_or_b32 exec_lo, exec_lo, s21
	s_andn2_b32 s21, s25, exec_lo
	s_and_b32 s25, s26, exec_lo
	s_or_b32 s25, s21, s25
.LBB85_303:                             ;   in Loop: Header=BB85_6 Depth=1
	s_or_b32 exec_lo, exec_lo, s18
	s_mov_b32 s18, 0
	s_mov_b32 s21, -1
.LBB85_304:                             ;   in Loop: Header=BB85_6 Depth=1
	s_orn2_b32 s25, s25, exec_lo
.LBB85_305:                             ;   in Loop: Header=BB85_6 Depth=1
	s_or_b32 exec_lo, exec_lo, s23
	s_mov_b32 s26, 0
	s_and_saveexec_b32 s23, s25
	s_cbranch_execz .LBB85_398
; %bb.306:                              ;   in Loop: Header=BB85_6 Depth=1
	v_mov_b32_e32 v1, 1
	v_mov_b32_e32 v3, 1
	s_xor_b32 s25, s24, -1
	s_mov_b32 s27, 0
	s_and_saveexec_b32 s24, s25
	s_cbranch_execz .LBB85_315
; %bb.307:                              ;   in Loop: Header=BB85_6 Depth=1
	s_mov_b32 s25, exec_lo
	v_cmpx_ge_u32_e64 s17, v32
	s_xor_b32 s25, exec_lo, s25
	s_cbranch_execz .LBB85_312
; %bb.308:                              ;   in Loop: Header=BB85_6 Depth=1
	ds_read_b32 v1, v9 offset:4096
	s_lshl_b32 s26, 2, s75
	v_or_b32_e32 v29, s14, v29
	v_and_or_b32 v22, v22, s15, s26
	s_waitcnt lgkmcnt(0)
	v_cmp_ne_u32_e32 vcc_lo, 0, v1
	s_cbranch_vccnz .LBB85_312
; %bb.309:                              ;   in Loop: Header=BB85_6 Depth=1
	s_and_saveexec_b32 s26, s3
; %bb.310:                              ;   in Loop: Header=BB85_6 Depth=1
	v_mov_b32_e32 v1, s17
	ds_write_b32 v9, v1 offset:4100
; %bb.311:                              ;   in Loop: Header=BB85_6 Depth=1
	s_or_b32 exec_lo, exec_lo, s26
	s_waitcnt lgkmcnt(0)
	s_barrier
	buffer_gl0_inv
.LBB85_312:                             ;   in Loop: Header=BB85_6 Depth=1
	s_or_saveexec_b32 s25, s25
	v_mov_b32_e32 v3, 5
	s_mov_b32 s26, 0
	s_xor_b32 exec_lo, exec_lo, s25
; %bb.313:                              ;   in Loop: Header=BB85_6 Depth=1
	v_subrev_nc_u32_e32 v32, s17, v32
	v_mov_b32_e32 v3, 0
	s_mov_b32 s26, exec_lo
; %bb.314:                              ;   in Loop: Header=BB85_6 Depth=1
	s_or_b32 exec_lo, exec_lo, s25
	v_mov_b32_e32 v1, v32
	s_and_b32 s27, s26, exec_lo
.LBB85_315:                             ;   in Loop: Header=BB85_6 Depth=1
	s_or_b32 exec_lo, exec_lo, s24
	s_mov_b32 s26, -1
                                        ; implicit-def: $sgpr24
                                        ; implicit-def: $sgpr25
	s_and_saveexec_b32 s17, s27
	s_cbranch_execz .LBB85_397
; %bb.316:                              ;   in Loop: Header=BB85_6 Depth=1
	v_cmp_eq_u32_e32 vcc_lo, 1, v1
	s_cmp_eq_u32 s16, 1
	s_mov_b32 s28, -1
	s_cselect_b32 s24, -1, 0
                                        ; implicit-def: $sgpr25
	s_and_b32 s27, s24, vcc_lo
                                        ; implicit-def: $sgpr24
	s_and_saveexec_b32 s26, s27
	s_cbranch_execz .LBB85_344
; %bb.317:                              ;   in Loop: Header=BB85_6 Depth=1
	ds_read_b32 v2, v9 offset:4096
	s_waitcnt lgkmcnt(0)
	s_barrier
	buffer_gl0_inv
	v_readfirstlane_b32 s29, v2
	s_and_saveexec_b32 s24, s6
; %bb.318:                              ;   in Loop: Header=BB85_6 Depth=1
	ds_write_b32 v20, v9
; %bb.319:                              ;   in Loop: Header=BB85_6 Depth=1
	s_or_b32 exec_lo, exec_lo, s24
	s_lshl_b32 s24, 1, s75
	v_or_b32_e32 v29, s14, v29
	v_and_or_b32 v22, v22, s15, s24
	s_mov_b32 s24, -1
	s_mov_b32 s25, 0
	s_cmp_eq_u32 s29, 0
	s_mov_b32 s28, 0
	s_mov_b32 s82, -1
	s_waitcnt lgkmcnt(0)
	s_barrier
	buffer_gl0_inv
                                        ; implicit-def: $vgpr15
	s_cbranch_scc1 .LBB85_331
; %bb.320:                              ;   in Loop: Header=BB85_6 Depth=1
	s_add_i32 s28, s29, s60
                                        ; implicit-def: $vgpr15
	s_mul_hi_u32 s82, s28, s66
	s_mul_i32 s82, s82, s46
	s_sub_i32 s82, s28, s82
	s_sub_i32 s83, s82, s46
	s_cmp_ge_u32 s82, s46
	s_cselect_b32 s82, s83, s82
	s_sub_i32 s83, s82, s46
	s_cmp_ge_u32 s82, s46
	s_cselect_b32 s82, s83, s82
	s_mov_b32 s83, exec_lo
	s_sub_i32 s84, s28, s82
	s_mov_b32 s82, 0
	s_mov_b32 s28, 0
	v_cmpx_gt_u32_e64 s84, v0
	s_cbranch_execz .LBB85_330
; %bb.321:                              ;   in Loop: Header=BB85_6 Depth=1
	v_mov_b32_e32 v2, v18
	v_mov_b32_e32 v4, v0
                                        ; implicit-def: $sgpr85
	s_inst_prefetch 0x1
	s_branch .LBB85_325
	.p2align	6
.LBB85_322:                             ;   in Loop: Header=BB85_325 Depth=2
	s_or_b32 exec_lo, exec_lo, s86
	s_waitcnt lgkmcnt(0)
	s_barrier
	buffer_gl0_inv
	ds_read_b64 v[14:15], v9 offset:3072
	s_waitcnt lgkmcnt(0)
	s_barrier
	buffer_gl0_inv
	v_cmp_neq_f32_e32 vcc_lo, 0, v14
	s_cbranch_vccnz .LBB85_328
; %bb.323:                              ;   in Loop: Header=BB85_325 Depth=2
	v_add_nc_u32_e32 v4, s46, v4
	v_add_nc_u32_e32 v2, s55, v2
	s_mov_b32 s86, 0
	v_cmp_le_u32_e32 vcc_lo, s84, v4
	s_orn2_b32 s87, vcc_lo, exec_lo
.LBB85_324:                             ;   in Loop: Header=BB85_325 Depth=2
	s_and_b32 s87, exec_lo, s87
	s_or_b32 s28, s87, s28
	s_andn2_b32 s85, s85, exec_lo
	s_and_b32 s86, s86, exec_lo
	s_or_b32 s85, s85, s86
	s_andn2_b32 exec_lo, exec_lo, s28
	s_cbranch_execz .LBB85_329
.LBB85_325:                             ;   Parent Loop BB85_6 Depth=1
                                        ; =>  This Inner Loop Header: Depth=2
	s_mov_b32 s86, exec_lo
	v_cmpx_gt_u32_e64 s29, v4
	s_cbranch_execz .LBB85_322
; %bb.326:                              ;   in Loop: Header=BB85_325 Depth=2
	ds_read_b32 v14, v2
	s_waitcnt lgkmcnt(0)
	v_cmp_lt_i32_e32 vcc_lo, -1, v14
	v_cndmask_b32_e64 v8, -1, 0x80000000, vcc_lo
	v_cmp_o_f32_e32 vcc_lo, v14, v14
	v_xor_b32_e32 v8, v8, v14
	v_cndmask_b32_e32 v8, -1, v8, vcc_lo
	v_and_b32_e32 v8, v8, v29
	v_cmp_eq_u32_e32 vcc_lo, v8, v22
	s_and_b32 exec_lo, exec_lo, vcc_lo
	s_cbranch_execz .LBB85_322
; %bb.327:                              ;   in Loop: Header=BB85_325 Depth=2
	ds_write_b64 v9, v[13:14] offset:3072
	s_branch .LBB85_322
.LBB85_328:                             ;   in Loop: Header=BB85_325 Depth=2
	s_mov_b32 s87, -1
	s_mov_b32 s86, -1
                                        ; implicit-def: $vgpr4
                                        ; implicit-def: $vgpr2
	s_branch .LBB85_324
.LBB85_329:                             ;   in Loop: Header=BB85_6 Depth=1
	s_inst_prefetch 0x2
	s_or_b32 exec_lo, exec_lo, s28
	s_and_b32 s28, s85, exec_lo
.LBB85_330:                             ;   in Loop: Header=BB85_6 Depth=1
	s_or_b32 exec_lo, exec_lo, s83
.LBB85_331:                             ;   in Loop: Header=BB85_6 Depth=1
	s_and_b32 vcc_lo, exec_lo, s82
	s_cbranch_vccz .LBB85_343
; %bb.332:                              ;   in Loop: Header=BB85_6 Depth=1
                                        ; implicit-def: $vgpr15
	s_and_saveexec_b32 s24, s9
	s_cbranch_execz .LBB85_342
; %bb.333:                              ;   in Loop: Header=BB85_6 Depth=1
	v_mov_b32_e32 v8, v7
	v_mov_b32_e32 v2, v0
	s_mov_b32 s25, 0
                                        ; implicit-def: $sgpr29
	s_branch .LBB85_337
.LBB85_334:                             ;   in Loop: Header=BB85_337 Depth=2
	s_or_b32 exec_lo, exec_lo, s82
	s_waitcnt lgkmcnt(0)
	s_barrier
	buffer_gl0_inv
	ds_read_b64 v[14:15], v9 offset:3072
	s_waitcnt lgkmcnt(0)
	s_barrier
	buffer_gl0_inv
	v_cmp_eq_f32_e32 vcc_lo, 0, v14
	s_cbranch_vccz .LBB85_340
; %bb.335:                              ;   in Loop: Header=BB85_337 Depth=2
	v_add_nc_u32_e32 v2, s46, v2
	v_add_nc_u32_e32 v8, s48, v8
	s_mov_b32 s82, 0
	v_cmp_le_u32_e32 vcc_lo, s67, v2
	s_orn2_b32 s83, vcc_lo, exec_lo
.LBB85_336:                             ;   in Loop: Header=BB85_337 Depth=2
	s_and_b32 s83, exec_lo, s83
	s_or_b32 s25, s83, s25
	s_andn2_b32 s29, s29, exec_lo
	s_and_b32 s82, s82, exec_lo
	s_or_b32 s29, s29, s82
	s_andn2_b32 exec_lo, exec_lo, s25
	s_cbranch_execz .LBB85_341
.LBB85_337:                             ;   Parent Loop BB85_6 Depth=1
                                        ; =>  This Inner Loop Header: Depth=2
	s_mov_b32 s82, exec_lo
	v_cmpx_gt_u32_e64 s36, v2
	s_cbranch_execz .LBB85_334
; %bb.338:                              ;   in Loop: Header=BB85_337 Depth=2
	v_lshlrev_b64 v[14:15], 2, v[8:9]
	v_add_co_u32 v14, vcc_lo, s31, v14
	v_add_co_ci_u32_e64 v15, null, s33, v15, vcc_lo
	global_load_dword v14, v[14:15], off
	s_waitcnt vmcnt(0)
	v_cmp_lt_i32_e32 vcc_lo, -1, v14
	v_cndmask_b32_e64 v4, -1, 0x80000000, vcc_lo
	v_cmp_o_f32_e32 vcc_lo, v14, v14
	v_xor_b32_e32 v4, v4, v14
	v_cndmask_b32_e32 v4, -1, v4, vcc_lo
	v_and_b32_e32 v4, v4, v29
	v_cmp_eq_u32_e32 vcc_lo, v4, v22
	s_and_b32 exec_lo, exec_lo, vcc_lo
	s_cbranch_execz .LBB85_334
; %bb.339:                              ;   in Loop: Header=BB85_337 Depth=2
	ds_write_b64 v9, v[13:14] offset:3072
	s_branch .LBB85_334
.LBB85_340:                             ;   in Loop: Header=BB85_337 Depth=2
	s_mov_b32 s83, -1
	s_mov_b32 s82, -1
                                        ; implicit-def: $vgpr2
	s_branch .LBB85_336
.LBB85_341:                             ;   in Loop: Header=BB85_6 Depth=1
	s_or_b32 exec_lo, exec_lo, s25
	s_andn2_b32 s25, s28, exec_lo
	s_and_b32 s28, s29, exec_lo
	s_or_b32 s28, s25, s28
.LBB85_342:                             ;   in Loop: Header=BB85_6 Depth=1
	s_or_b32 exec_lo, exec_lo, s24
	s_mov_b32 s24, 0
	s_mov_b32 s25, -1
.LBB85_343:                             ;   in Loop: Header=BB85_6 Depth=1
	s_orn2_b32 s28, s28, exec_lo
.LBB85_344:                             ;   in Loop: Header=BB85_6 Depth=1
	s_or_b32 exec_lo, exec_lo, s26
	s_mov_b32 s29, 0
	s_and_saveexec_b32 s26, s28
	s_cbranch_execz .LBB85_396
; %bb.345:                              ;   in Loop: Header=BB85_6 Depth=1
	v_mov_b32_e32 v2, 1
	v_mov_b32_e32 v3, 1
	s_xor_b32 s28, s27, -1
	s_mov_b32 s82, 0
	s_and_saveexec_b32 s27, s28
	s_cbranch_execz .LBB85_354
; %bb.346:                              ;   in Loop: Header=BB85_6 Depth=1
	s_mov_b32 s28, exec_lo
	v_cmpx_ge_u32_e64 s16, v1
	s_xor_b32 s28, exec_lo, s28
	s_cbranch_execz .LBB85_351
; %bb.347:                              ;   in Loop: Header=BB85_6 Depth=1
	ds_read_b32 v2, v9 offset:4096
	s_lshl_b32 s29, 1, s75
	v_or_b32_e32 v29, s14, v29
	v_and_or_b32 v22, v22, s15, s29
	s_waitcnt lgkmcnt(0)
	v_cmp_ne_u32_e32 vcc_lo, 0, v2
	s_cbranch_vccnz .LBB85_351
; %bb.348:                              ;   in Loop: Header=BB85_6 Depth=1
	s_and_saveexec_b32 s29, s3
; %bb.349:                              ;   in Loop: Header=BB85_6 Depth=1
	v_mov_b32_e32 v2, s16
	ds_write_b32 v9, v2 offset:4100
; %bb.350:                              ;   in Loop: Header=BB85_6 Depth=1
	s_or_b32 exec_lo, exec_lo, s29
	s_waitcnt lgkmcnt(0)
	s_barrier
	buffer_gl0_inv
.LBB85_351:                             ;   in Loop: Header=BB85_6 Depth=1
	s_or_saveexec_b32 s28, s28
	v_mov_b32_e32 v3, 5
	s_mov_b32 s29, 0
	s_xor_b32 exec_lo, exec_lo, s28
; %bb.352:                              ;   in Loop: Header=BB85_6 Depth=1
	v_subrev_nc_u32_e32 v1, s16, v1
	v_mov_b32_e32 v3, 0
	s_mov_b32 s29, exec_lo
; %bb.353:                              ;   in Loop: Header=BB85_6 Depth=1
	s_or_b32 exec_lo, exec_lo, s28
	v_mov_b32_e32 v2, v1
	s_and_b32 s82, s29, exec_lo
.LBB85_354:                             ;   in Loop: Header=BB85_6 Depth=1
	s_or_b32 exec_lo, exec_lo, s27
	s_mov_b32 s27, -1
                                        ; implicit-def: $sgpr29
                                        ; implicit-def: $sgpr28
	s_and_saveexec_b32 s16, s82
	s_cbranch_execz .LBB85_395
; %bb.355:                              ;   in Loop: Header=BB85_6 Depth=1
	v_cmp_eq_u32_e32 vcc_lo, 1, v2
	s_cmp_eq_u32 s13, 1
	s_mov_b32 s83, -1
	s_cselect_b32 s27, -1, 0
                                        ; implicit-def: $sgpr29
                                        ; implicit-def: $sgpr28
	s_and_b32 s27, s27, vcc_lo
	s_and_saveexec_b32 s82, s27
	s_cbranch_execz .LBB85_383
; %bb.356:                              ;   in Loop: Header=BB85_6 Depth=1
	ds_read_b32 v1, v9 offset:4096
	s_waitcnt lgkmcnt(0)
	s_barrier
	buffer_gl0_inv
	v_readfirstlane_b32 s84, v1
	s_and_saveexec_b32 s28, s6
; %bb.357:                              ;   in Loop: Header=BB85_6 Depth=1
	ds_write_b32 v20, v9
; %bb.358:                              ;   in Loop: Header=BB85_6 Depth=1
	s_or_b32 exec_lo, exec_lo, s28
	v_and_b32_e32 v22, s15, v22
	v_or_b32_e32 v29, s14, v29
	s_mov_b32 s28, -1
	s_mov_b32 s29, 0
	s_cmp_eq_u32 s84, 0
	s_mov_b32 s83, 0
	s_mov_b32 s85, -1
	s_waitcnt lgkmcnt(0)
	s_barrier
	buffer_gl0_inv
                                        ; implicit-def: $vgpr15
	s_cbranch_scc1 .LBB85_370
; %bb.359:                              ;   in Loop: Header=BB85_6 Depth=1
	s_add_i32 s83, s84, s60
                                        ; implicit-def: $vgpr15
	s_mul_hi_u32 s85, s83, s66
	s_mul_i32 s85, s85, s46
	s_sub_i32 s85, s83, s85
	s_sub_i32 s86, s85, s46
	s_cmp_ge_u32 s85, s46
	s_cselect_b32 s85, s86, s85
	s_sub_i32 s86, s85, s46
	s_cmp_ge_u32 s85, s46
	s_cselect_b32 s85, s86, s85
	s_mov_b32 s86, exec_lo
	s_sub_i32 s87, s83, s85
	s_mov_b32 s85, 0
	s_mov_b32 s83, 0
	v_cmpx_gt_u32_e64 s87, v0
	s_cbranch_execz .LBB85_369
; %bb.360:                              ;   in Loop: Header=BB85_6 Depth=1
	v_mov_b32_e32 v1, v18
	v_mov_b32_e32 v4, v0
                                        ; implicit-def: $sgpr88
	s_inst_prefetch 0x1
	s_branch .LBB85_364
	.p2align	6
.LBB85_361:                             ;   in Loop: Header=BB85_364 Depth=2
	s_or_b32 exec_lo, exec_lo, s89
	s_waitcnt lgkmcnt(0)
	s_barrier
	buffer_gl0_inv
	ds_read_b64 v[14:15], v9 offset:3072
	s_waitcnt lgkmcnt(0)
	s_barrier
	buffer_gl0_inv
	v_cmp_neq_f32_e32 vcc_lo, 0, v14
	s_cbranch_vccnz .LBB85_367
; %bb.362:                              ;   in Loop: Header=BB85_364 Depth=2
	v_add_nc_u32_e32 v4, s46, v4
	v_add_nc_u32_e32 v1, s55, v1
	s_mov_b32 s89, 0
	v_cmp_le_u32_e32 vcc_lo, s87, v4
	s_orn2_b32 s90, vcc_lo, exec_lo
.LBB85_363:                             ;   in Loop: Header=BB85_364 Depth=2
	s_and_b32 s90, exec_lo, s90
	s_or_b32 s83, s90, s83
	s_andn2_b32 s88, s88, exec_lo
	s_and_b32 s89, s89, exec_lo
	s_or_b32 s88, s88, s89
	s_andn2_b32 exec_lo, exec_lo, s83
	s_cbranch_execz .LBB85_368
.LBB85_364:                             ;   Parent Loop BB85_6 Depth=1
                                        ; =>  This Inner Loop Header: Depth=2
	s_mov_b32 s89, exec_lo
	v_cmpx_gt_u32_e64 s84, v4
	s_cbranch_execz .LBB85_361
; %bb.365:                              ;   in Loop: Header=BB85_364 Depth=2
	ds_read_b32 v14, v1
	s_waitcnt lgkmcnt(0)
	v_cmp_lt_i32_e32 vcc_lo, -1, v14
	v_cndmask_b32_e64 v8, -1, 0x80000000, vcc_lo
	v_cmp_o_f32_e32 vcc_lo, v14, v14
	v_xor_b32_e32 v8, v8, v14
	v_cndmask_b32_e32 v8, -1, v8, vcc_lo
	v_and_b32_e32 v8, v8, v29
	v_cmp_eq_u32_e32 vcc_lo, v8, v22
	s_and_b32 exec_lo, exec_lo, vcc_lo
	s_cbranch_execz .LBB85_361
; %bb.366:                              ;   in Loop: Header=BB85_364 Depth=2
	ds_write_b64 v9, v[13:14] offset:3072
	s_branch .LBB85_361
.LBB85_367:                             ;   in Loop: Header=BB85_364 Depth=2
	s_mov_b32 s90, -1
	s_mov_b32 s89, -1
                                        ; implicit-def: $vgpr4
                                        ; implicit-def: $vgpr1
	s_branch .LBB85_363
.LBB85_368:                             ;   in Loop: Header=BB85_6 Depth=1
	s_inst_prefetch 0x2
	s_or_b32 exec_lo, exec_lo, s83
	s_and_b32 s83, s88, exec_lo
.LBB85_369:                             ;   in Loop: Header=BB85_6 Depth=1
	s_or_b32 exec_lo, exec_lo, s86
.LBB85_370:                             ;   in Loop: Header=BB85_6 Depth=1
	s_and_b32 vcc_lo, exec_lo, s85
	s_cbranch_vccz .LBB85_382
; %bb.371:                              ;   in Loop: Header=BB85_6 Depth=1
                                        ; implicit-def: $vgpr15
	s_and_saveexec_b32 s28, s9
	s_cbranch_execz .LBB85_381
; %bb.372:                              ;   in Loop: Header=BB85_6 Depth=1
	v_mov_b32_e32 v8, v7
	v_mov_b32_e32 v1, v0
	s_mov_b32 s29, 0
                                        ; implicit-def: $sgpr84
	s_branch .LBB85_376
.LBB85_373:                             ;   in Loop: Header=BB85_376 Depth=2
	s_or_b32 exec_lo, exec_lo, s85
	s_waitcnt lgkmcnt(0)
	s_barrier
	buffer_gl0_inv
	ds_read_b64 v[14:15], v9 offset:3072
	s_waitcnt lgkmcnt(0)
	s_barrier
	buffer_gl0_inv
	v_cmp_eq_f32_e32 vcc_lo, 0, v14
	s_cbranch_vccz .LBB85_379
; %bb.374:                              ;   in Loop: Header=BB85_376 Depth=2
	v_add_nc_u32_e32 v1, s46, v1
	v_add_nc_u32_e32 v8, s48, v8
	s_mov_b32 s85, 0
	v_cmp_le_u32_e32 vcc_lo, s67, v1
	s_orn2_b32 s86, vcc_lo, exec_lo
.LBB85_375:                             ;   in Loop: Header=BB85_376 Depth=2
	s_and_b32 s86, exec_lo, s86
	s_or_b32 s29, s86, s29
	s_andn2_b32 s84, s84, exec_lo
	s_and_b32 s85, s85, exec_lo
	s_or_b32 s84, s84, s85
	s_andn2_b32 exec_lo, exec_lo, s29
	s_cbranch_execz .LBB85_380
.LBB85_376:                             ;   Parent Loop BB85_6 Depth=1
                                        ; =>  This Inner Loop Header: Depth=2
	s_mov_b32 s85, exec_lo
	v_cmpx_gt_u32_e64 s36, v1
	s_cbranch_execz .LBB85_373
; %bb.377:                              ;   in Loop: Header=BB85_376 Depth=2
	v_lshlrev_b64 v[14:15], 2, v[8:9]
	v_add_co_u32 v14, vcc_lo, s31, v14
	v_add_co_ci_u32_e64 v15, null, s33, v15, vcc_lo
	global_load_dword v14, v[14:15], off
	s_waitcnt vmcnt(0)
	v_cmp_lt_i32_e32 vcc_lo, -1, v14
	v_cndmask_b32_e64 v4, -1, 0x80000000, vcc_lo
	v_cmp_o_f32_e32 vcc_lo, v14, v14
	v_xor_b32_e32 v4, v4, v14
	v_cndmask_b32_e32 v4, -1, v4, vcc_lo
	v_and_b32_e32 v4, v4, v29
	v_cmp_eq_u32_e32 vcc_lo, v4, v22
	s_and_b32 exec_lo, exec_lo, vcc_lo
	s_cbranch_execz .LBB85_373
; %bb.378:                              ;   in Loop: Header=BB85_376 Depth=2
	ds_write_b64 v9, v[13:14] offset:3072
	s_branch .LBB85_373
.LBB85_379:                             ;   in Loop: Header=BB85_376 Depth=2
	s_mov_b32 s86, -1
	s_mov_b32 s85, -1
                                        ; implicit-def: $vgpr1
	s_branch .LBB85_375
.LBB85_380:                             ;   in Loop: Header=BB85_6 Depth=1
	s_or_b32 exec_lo, exec_lo, s29
	s_andn2_b32 s29, s83, exec_lo
	s_and_b32 s83, s84, exec_lo
	s_or_b32 s83, s29, s83
.LBB85_381:                             ;   in Loop: Header=BB85_6 Depth=1
	s_or_b32 exec_lo, exec_lo, s28
	s_mov_b32 s28, 0
	s_mov_b32 s29, -1
.LBB85_382:                             ;   in Loop: Header=BB85_6 Depth=1
	s_orn2_b32 s83, s83, exec_lo
.LBB85_383:                             ;   in Loop: Header=BB85_6 Depth=1
	s_or_b32 exec_lo, exec_lo, s82
	s_mov_b32 s84, 0
	s_and_saveexec_b32 s82, s83
	s_cbranch_execz .LBB85_394
; %bb.384:                              ;   in Loop: Header=BB85_6 Depth=1
	v_mov_b32_e32 v3, 1
	v_mov_b32_e32 v1, 1
	s_xor_b32 s83, s27, -1
	s_and_saveexec_b32 s27, s83
	s_cbranch_execz .LBB85_393
; %bb.385:                              ;   in Loop: Header=BB85_6 Depth=1
	s_mov_b32 s83, exec_lo
	v_cmpx_ge_u32_e64 s13, v2
	s_xor_b32 s83, exec_lo, s83
	s_cbranch_execz .LBB85_390
; %bb.386:                              ;   in Loop: Header=BB85_6 Depth=1
	ds_read_b32 v1, v9 offset:4096
	v_and_b32_e32 v22, s15, v22
	v_or_b32_e32 v29, s14, v29
	s_waitcnt lgkmcnt(0)
	v_cmp_ne_u32_e32 vcc_lo, 0, v1
	s_cbranch_vccnz .LBB85_390
; %bb.387:                              ;   in Loop: Header=BB85_6 Depth=1
	s_and_saveexec_b32 s14, s3
; %bb.388:                              ;   in Loop: Header=BB85_6 Depth=1
	v_mov_b32_e32 v1, s13
	ds_write_b32 v9, v1 offset:4100
; %bb.389:                              ;   in Loop: Header=BB85_6 Depth=1
	s_or_b32 exec_lo, exec_lo, s14
	s_waitcnt lgkmcnt(0)
	s_barrier
	buffer_gl0_inv
.LBB85_390:                             ;   in Loop: Header=BB85_6 Depth=1
	s_andn2_saveexec_b32 s14, s83
; %bb.391:                              ;   in Loop: Header=BB85_6 Depth=1
	v_subrev_nc_u32_e32 v2, s13, v2
; %bb.392:                              ;   in Loop: Header=BB85_6 Depth=1
	s_or_b32 exec_lo, exec_lo, s14
	v_mov_b32_e32 v3, 5
	v_mov_b32_e32 v1, v2
.LBB85_393:                             ;   in Loop: Header=BB85_6 Depth=1
	s_or_b32 exec_lo, exec_lo, s27
	v_mov_b32_e32 v2, v1
	s_mov_b32 s84, exec_lo
.LBB85_394:                             ;   in Loop: Header=BB85_6 Depth=1
	s_or_b32 exec_lo, exec_lo, s82
	s_orn2_b32 s27, s84, exec_lo
.LBB85_395:                             ;   in Loop: Header=BB85_6 Depth=1
	s_or_b32 exec_lo, exec_lo, s16
	s_andn2_b32 s13, s25, exec_lo
	s_and_b32 s14, s29, exec_lo
	s_andn2_b32 s15, s24, exec_lo
	s_and_b32 s16, s28, exec_lo
	v_mov_b32_e32 v1, v2
	s_or_b32 s25, s13, s14
	s_or_b32 s24, s15, s16
	s_and_b32 s29, s27, exec_lo
.LBB85_396:                             ;   in Loop: Header=BB85_6 Depth=1
	s_or_b32 exec_lo, exec_lo, s26
	s_orn2_b32 s26, s29, exec_lo
.LBB85_397:                             ;   in Loop: Header=BB85_6 Depth=1
	s_or_b32 exec_lo, exec_lo, s17
	s_andn2_b32 s13, s21, exec_lo
	s_and_b32 s14, s25, exec_lo
	s_andn2_b32 s15, s18, exec_lo
	s_and_b32 s16, s24, exec_lo
	v_mov_b32_e32 v32, v1
	s_or_b32 s21, s13, s14
	s_or_b32 s18, s15, s16
	s_and_b32 s26, s26, exec_lo
.LBB85_398:                             ;   in Loop: Header=BB85_6 Depth=1
	s_or_b32 exec_lo, exec_lo, s23
	s_orn2_b32 s23, s26, exec_lo
.LBB85_399:                             ;   in Loop: Header=BB85_6 Depth=1
	s_or_b32 exec_lo, exec_lo, s10
	s_mov_b32 s10, s19
	s_mov_b32 s13, s11
	s_and_saveexec_b32 s14, s23
; %bb.400:                              ;   in Loop: Header=BB85_6 Depth=1
	v_cmp_ne_u32_e32 vcc_lo, 5, v3
	v_cmp_eq_u32_e64 s10, 5, v3
	s_andn2_b32 s13, s11, exec_lo
	s_andn2_b32 s15, s19, exec_lo
	s_and_b32 s16, vcc_lo, exec_lo
	s_and_b32 s10, s10, exec_lo
	s_or_b32 s13, s13, s16
	s_or_b32 s10, s15, s10
; %bb.401:                              ;   in Loop: Header=BB85_6 Depth=1
	s_or_b32 exec_lo, exec_lo, s14
	s_andn2_b32 s14, s22, exec_lo
	s_and_b32 s15, s21, exec_lo
	s_andn2_b32 s12, s12, exec_lo
	s_and_b32 s16, s18, exec_lo
	s_or_b32 s22, s14, s15
	s_andn2_b32 s11, s11, exec_lo
	s_and_b32 s13, s13, exec_lo
	s_andn2_b32 s14, s19, exec_lo
	s_and_b32 s10, s10, exec_lo
	s_or_b32 s12, s12, s16
	s_or_b32 s11, s11, s13
	;; [unrolled: 1-line block ×3, first 2 shown]
.LBB85_402:                             ;   in Loop: Header=BB85_6 Depth=1
	s_or_b32 exec_lo, exec_lo, s20
	s_mov_b32 s20, 0
	s_mov_b32 s21, 0
	s_and_saveexec_b32 s10, s19
.LBB85_403:                             ;   in Loop: Header=BB85_6 Depth=1
	v_mov_b32_e32 v3, 0
	s_or_b32 s11, s11, exec_lo
.LBB85_404:                             ;   in Loop: Header=BB85_6 Depth=1
	s_or_b32 exec_lo, exec_lo, s10
	s_andn2_b32 s10, s79, exec_lo
	s_and_b32 s14, s22, exec_lo
	s_andn2_b32 s15, s77, exec_lo
	s_and_b32 s12, s12, exec_lo
	v_mov_b32_e32 v30, v32
	s_or_b32 s79, s10, s14
	s_or_b32 s77, s15, s12
	s_andn2_b32 s10, s81, exec_lo
	s_and_b32 s12, s21, exec_lo
	s_andn2_b32 s14, s80, exec_lo
	s_and_b32 s15, s20, exec_lo
	s_mov_b32 s13, -1
	s_andn2_b32 s78, s78, exec_lo
	s_or_b32 s81, s10, s12
	s_or_b32 s80, s14, s15
	s_and_saveexec_b32 s10, s11
	s_xor_b32 s10, exec_lo, s10
	s_cbranch_execz .LBB85_5
; %bb.405:                              ;   in Loop: Header=BB85_6 Depth=1
	s_mov_b32 s11, -1
	s_mov_b32 s12, -1
	s_mov_b32 s13, exec_lo
	v_cmpx_eq_u32_e32 0, v3
	s_cbranch_execz .LBB85_4
; %bb.406:                              ;   in Loop: Header=BB85_6 Depth=1
	s_xor_b32 s71, s71, 1
	s_add_i32 s14, s75, -2
	s_cmp_eq_u32 s75, 0
	s_mov_b32 s75, s14
	s_cselect_b32 s11, -1, 0
	s_xor_b32 s12, exec_lo, -1
	s_orn2_b32 s11, s11, exec_lo
	s_branch .LBB85_4
.LBB85_407:
	s_or_b32 exec_lo, exec_lo, s47
	s_xor_b32 s7, s76, -1
	s_xor_b32 s12, s73, -1
	;; [unrolled: 1-line block ×5, first 2 shown]
	s_mov_b32 s9, 0
	s_and_saveexec_b32 s10, s8
	s_xor_b32 s8, exec_lo, s10
	s_cbranch_execnz .LBB85_412
; %bb.408:
	s_andn2_saveexec_b32 s0, s8
	s_cbranch_execnz .LBB85_431
.LBB85_409:
	s_or_b32 exec_lo, exec_lo, s0
	s_and_saveexec_b32 s0, s9
.LBB85_410:
	; divergent unreachable
.LBB85_411:
	s_endpgm
.LBB85_412:
	s_mov_b32 s10, 0
	s_and_saveexec_b32 s9, s11
	s_xor_b32 s9, exec_lo, s9
	s_cbranch_execz .LBB85_429
; %bb.413:
	s_mov_b32 s11, 0
	s_and_saveexec_b32 s10, s12
	s_xor_b32 s10, exec_lo, s10
	s_cbranch_execz .LBB85_427
; %bb.414:
	;; [unrolled: 5-line block ×3, first 2 shown]
	s_and_saveexec_b32 s7, s6
	s_xor_b32 s6, exec_lo, s7
; %bb.416:
	v_cmp_lt_i32_e32 vcc_lo, -1, v22
	v_cndmask_b32_e64 v1, 0x80000000, -1, vcc_lo
	v_xor_b32_e32 v15, v1, v22
; %bb.417:
	s_or_b32 exec_lo, exec_lo, s6
	s_and_saveexec_b32 s6, s3
; %bb.418:
	v_mov_b32_e32 v1, 0
	ds_write_b32 v1, v1 offset:4108
; %bb.419:
	s_or_b32 exec_lo, exec_lo, s6
	v_mov_b32_e32 v8, 0
	s_waitcnt lgkmcnt(0)
	s_barrier
	buffer_gl0_inv
	s_and_saveexec_b32 s3, s2
	s_cbranch_execz .LBB85_421
; %bb.420:
	global_load_dword v8, v[5:6], off
.LBB85_421:
	s_or_b32 exec_lo, exec_lo, s3
	s_mul_i32 s3, s53, s51
	s_add_i32 s12, s36, 31
	s_sub_i32 s3, s49, s3
	s_andn2_b32 s12, s12, 31
	s_add_i32 s6, s53, 1
	s_sub_i32 s7, s3, s51
	s_cmp_ge_u32 s3, s51
	v_cmp_lt_i32_e32 vcc_lo, -1, v15
	s_cselect_b32 s6, s6, s53
	s_cselect_b32 s3, s7, s3
	s_add_i32 s7, s6, 1
	s_cmp_ge_u32 s3, s51
	s_mul_i32 s3, s52, s50
	s_cselect_b32 s6, s7, s6
	s_sub_i32 s3, s49, s3
	s_mul_i32 s7, s6, s51
	s_mul_i32 s6, s6, s44
	s_sub_i32 s7, s49, s7
	s_add_i32 s13, s52, 1
	s_mul_i32 s7, s7, s45
	s_sub_i32 s14, s3, s50
	s_add_i32 s6, s6, s7
	s_cmp_ge_u32 s3, s50
	v_cndmask_b32_e64 v1, -1, 0x80000000, vcc_lo
	s_cselect_b32 s7, s13, s52
	s_cselect_b32 s3, s14, s3
	s_add_i32 s13, s7, 1
	s_cmp_ge_u32 s3, s50
	v_xor_b32_e32 v1, v1, v15
	s_cselect_b32 s3, s13, s7
	s_clause 0x1
	s_load_dword s13, s[4:5], 0x1c8
	s_load_dword s5, s[4:5], 0x2a8
	s_mul_i32 s4, s3, s50
	v_cmp_o_f32_e32 vcc_lo, v15, v15
	s_sub_i32 s4, s49, s4
	s_mov_b32 s7, 0
	s_mul_i32 s4, s4, s43
	s_mul_i32 s3, s3, s42
	s_lshl_b64 s[14:15], s[6:7], 2
	s_add_i32 s16, s3, s4
	s_mov_b32 s17, s7
	s_add_u32 s6, s34, s14
	v_cndmask_b32_e32 v7, -1, v1, vcc_lo
	s_addc_u32 s14, s35, s15
	s_lshl_b64 s[16:17], s[16:17], 3
	v_cmp_gt_u32_e32 vcc_lo, s12, v0
	s_add_u32 s15, s40, s16
	s_mov_b32 s18, -1
	s_addc_u32 s16, s41, s17
	s_mov_b32 s3, 0
	s_and_saveexec_b32 s17, vcc_lo
	s_cbranch_execnz .LBB85_432
; %bb.422:
	s_or_b32 exec_lo, exec_lo, s17
	s_and_saveexec_b32 s4, s18
	s_cbranch_execnz .LBB85_449
.LBB85_423:
	s_or_b32 exec_lo, exec_lo, s4
	s_and_saveexec_b32 s0, s3
	s_xor_b32 s0, exec_lo, s0
	s_cbranch_execnz .LBB85_472
.LBB85_424:
	s_or_b32 exec_lo, exec_lo, s0
	s_and_b32 s12, s7, exec_lo
.LBB85_425:
	s_andn2_saveexec_b32 s0, s11
	s_cbranch_execnz .LBB85_474
.LBB85_426:
	s_or_b32 exec_lo, exec_lo, s0
	s_and_b32 s11, s12, exec_lo
.LBB85_427:
	s_andn2_saveexec_b32 s0, s10
	s_cbranch_execnz .LBB85_473
.LBB85_428:
	s_or_b32 exec_lo, exec_lo, s0
	s_and_b32 s10, s11, exec_lo
.LBB85_429:
	s_andn2_saveexec_b32 s0, s9
	s_cbranch_execnz .LBB85_468
.LBB85_430:
	s_or_b32 exec_lo, exec_lo, s0
	s_and_b32 s9, s10, exec_lo
	s_andn2_saveexec_b32 s0, s8
	s_cbranch_execz .LBB85_409
.LBB85_431:
	s_or_b32 s9, s9, exec_lo
	s_trap 2
	s_or_b32 exec_lo, exec_lo, s0
	s_and_saveexec_b32 s0, s9
	s_cbranch_execnz .LBB85_410
	s_branch .LBB85_411
.LBB85_432:
	v_add_nc_u32_e32 v1, s46, v0
	v_mov_b32_e32 v2, 0
	v_mov_b32_e32 v3, v0
	s_mov_b32 s18, 0
                                        ; implicit-def: $sgpr19
                                        ; implicit-def: $vgpr10
	v_mul_lo_u32 v1, s30, v1
	s_branch .LBB85_434
.LBB85_433:                             ;   in Loop: Header=BB85_434 Depth=1
	s_or_b32 exec_lo, exec_lo, s21
	s_xor_b32 s3, s20, -1
	s_and_b32 s4, exec_lo, s4
	s_waitcnt vmcnt(0)
	v_mov_b32_e32 v8, v11
	s_or_b32 s18, s4, s18
	v_mov_b32_e32 v3, v9
	s_andn2_b32 s4, s19, exec_lo
	s_and_b32 s3, s3, exec_lo
	s_or_b32 s19, s4, s3
	s_andn2_b32 exec_lo, exec_lo, s18
	s_cbranch_execz .LBB85_448
.LBB85_434:                             ; =>This Inner Loop Header: Depth=1
	v_add_nc_u32_e32 v9, s46, v3
	v_mov_b32_e32 v11, 0
	s_mov_b32 s4, exec_lo
	v_cmpx_gt_u32_e64 s36, v9
	s_cbranch_execz .LBB85_436
; %bb.435:                              ;   in Loop: Header=BB85_434 Depth=1
	v_lshlrev_b64 v[11:12], 2, v[1:2]
	v_add_co_u32 v11, s3, s31, v11
	v_add_co_ci_u32_e64 v12, null, s33, v12, s3
	global_load_dword v11, v[11:12], off
.LBB85_436:                             ;   in Loop: Header=BB85_434 Depth=1
	s_or_b32 exec_lo, exec_lo, s4
	s_mov_b32 s20, 0
	s_mov_b32 s4, exec_lo
	v_cmpx_gt_u32_e64 s36, v3
	s_cbranch_execz .LBB85_438
; %bb.437:                              ;   in Loop: Header=BB85_434 Depth=1
	s_waitcnt vmcnt(0)
	v_cmp_lt_i32_e64 s3, -1, v8
	v_cndmask_b32_e64 v4, -1, 0x80000000, s3
	v_cmp_o_f32_e64 s3, v8, v8
	v_xor_b32_e32 v4, v4, v8
	v_cndmask_b32_e64 v4, -1, v4, s3
	v_cmp_gt_u32_e64 s3, v4, v7
	v_cndmask_b32_e64 v12, 0, 1, s3
	v_cmp_lt_u32_e64 s3, v4, v7
	v_cndmask_b32_e64 v4, 0, 1, s3
	v_cndmask_b32_e64 v4, v4, v12, s1
	v_and_b32_e32 v4, 1, v4
	v_cmp_eq_u32_e64 s3, 1, v4
	s_and_b32 s20, s3, exec_lo
.LBB85_438:                             ;   in Loop: Header=BB85_434 Depth=1
	s_or_b32 exec_lo, exec_lo, s4
	v_cndmask_b32_e64 v4, 0, 1, s20
	v_cmp_ne_u32_e64 s3, 0, v4
	s_cmp_lg_u32 s3, 0
	s_cselect_b32 s4, -1, 0
	s_and_b32 s4, s0, s4
	s_and_saveexec_b32 s21, s4
	s_cbranch_execz .LBB85_442
; %bb.439:                              ;   in Loop: Header=BB85_434 Depth=1
	s_mov_b32 s24, exec_lo
	s_bcnt1_i32_b32 s22, s3
	v_mbcnt_lo_u32_b32 v4, s24, 0
	s_mov_b32 s23, exec_lo
                                        ; implicit-def: $vgpr10
	v_cmpx_eq_u32_e32 0, v4
	s_cbranch_execz .LBB85_441
; %bb.440:                              ;   in Loop: Header=BB85_434 Depth=1
	s_bcnt1_i32_b32 s4, s24
	s_mul_i32 s4, s22, s4
	s_waitcnt lgkmcnt(0)
	v_mov_b32_e32 v10, s4
	ds_add_rtn_u32 v10, v2, v10 offset:4108
.LBB85_441:                             ;   in Loop: Header=BB85_434 Depth=1
	s_or_b32 exec_lo, exec_lo, s23
	s_waitcnt lgkmcnt(0)
	v_readfirstlane_b32 s4, v10
	v_mad_u32_u24 v10, s22, v4, s4
.LBB85_442:                             ;   in Loop: Header=BB85_434 Depth=1
	s_or_b32 exec_lo, exec_lo, s21
	s_waitcnt lgkmcnt(0)
	ds_bpermute_b32 v10, v2, v10
	s_mov_b32 s4, -1
	s_mov_b32 s22, -1
	s_and_saveexec_b32 s21, s20
	s_cbranch_execz .LBB85_446
; %bb.443:                              ;   in Loop: Header=BB85_434 Depth=1
	v_and_b32_e32 v4, s3, v16
	s_mov_b32 s20, 0
	s_mov_b32 s22, exec_lo
	s_waitcnt lgkmcnt(0)
	v_bcnt_u32_b32 v4, v4, v10
	v_cmpx_gt_u32_e64 s37, v4
	s_cbranch_execz .LBB85_445
; %bb.444:                              ;   in Loop: Header=BB85_434 Depth=1
	v_mul_lo_u32 v12, v4, s13
	v_mul_lo_u32 v14, v4, s5
	v_mov_b32_e32 v13, v2
	v_mov_b32_e32 v15, v2
	;; [unrolled: 1-line block ×3, first 2 shown]
	s_mov_b32 s20, exec_lo
	v_lshlrev_b64 v[12:13], 2, v[12:13]
	v_lshlrev_b64 v[14:15], 3, v[14:15]
	v_add_co_u32 v12, s3, s6, v12
	v_add_co_ci_u32_e64 v13, null, s14, v13, s3
	v_add_co_u32 v14, s3, s15, v14
	v_add_co_ci_u32_e64 v15, null, s16, v15, s3
	s_waitcnt vmcnt(0)
	global_store_dword v[12:13], v8, off
	global_store_dwordx2 v[14:15], v[3:4], off
.LBB85_445:                             ;   in Loop: Header=BB85_434 Depth=1
	s_or_b32 exec_lo, exec_lo, s22
	s_orn2_b32 s22, s20, exec_lo
.LBB85_446:                             ;   in Loop: Header=BB85_434 Depth=1
	s_or_b32 exec_lo, exec_lo, s21
	s_mov_b32 s20, -1
	s_and_saveexec_b32 s21, s22
	s_cbranch_execz .LBB85_433
; %bb.447:                              ;   in Loop: Header=BB85_434 Depth=1
	v_cmp_le_u32_e64 s3, s12, v9
	v_add_nc_u32_e32 v1, s48, v1
	s_xor_b32 s20, exec_lo, -1
	s_orn2_b32 s4, s3, exec_lo
	s_branch .LBB85_433
.LBB85_448:
	s_or_b32 exec_lo, exec_lo, s18
	s_mov_b32 s3, exec_lo
	s_orn2_b32 s18, s19, exec_lo
	s_or_b32 exec_lo, exec_lo, s17
	s_and_saveexec_b32 s4, s18
	s_cbranch_execz .LBB85_423
.LBB85_449:
	s_waitcnt vmcnt(0)
	v_mov_b32_e32 v8, 0
	s_waitcnt lgkmcnt(0)
	s_waitcnt_vscnt null, 0x0
	s_barrier
	buffer_gl0_inv
	s_and_saveexec_b32 s1, s2
	s_cbranch_execz .LBB85_451
; %bb.450:
	global_load_dword v8, v[5:6], off
.LBB85_451:
	s_or_b32 exec_lo, exec_lo, s1
	s_mov_b32 s1, 0
	s_and_saveexec_b32 s2, vcc_lo
	s_cbranch_execz .LBB85_471
; %bb.452:
	v_add_nc_u32_e32 v1, s46, v0
	v_mov_b32_e32 v3, 0
	s_mov_b32 s7, 0
                                        ; implicit-def: $sgpr17
                                        ; implicit-def: $vgpr5
	v_mul_lo_u32 v2, s30, v1
	s_branch .LBB85_455
.LBB85_453:                             ;   in Loop: Header=BB85_455 Depth=1
	s_or_b32 exec_lo, exec_lo, s19
	s_orn2_b32 s20, s21, exec_lo
	s_orn2_b32 s18, s18, exec_lo
.LBB85_454:                             ;   in Loop: Header=BB85_455 Depth=1
	s_or_b32 exec_lo, exec_lo, s1
	s_xor_b32 s1, s20, -1
	s_and_b32 s18, exec_lo, s18
	v_mov_b32_e32 v0, v4
	s_or_b32 s7, s18, s7
	v_mov_b32_e32 v8, v6
	s_andn2_b32 s17, s17, exec_lo
	s_and_b32 s1, s1, exec_lo
	s_or_b32 s17, s17, s1
	s_andn2_b32 exec_lo, exec_lo, s7
	s_cbranch_execz .LBB85_469
.LBB85_455:                             ; =>This Inner Loop Header: Depth=1
	v_add_nc_u32_e32 v4, s46, v0
	v_mov_b32_e32 v6, 0
	s_mov_b32 s1, exec_lo
	v_cmpx_gt_u32_e64 s36, v4
	s_cbranch_execz .LBB85_457
; %bb.456:                              ;   in Loop: Header=BB85_455 Depth=1
	v_lshlrev_b64 v[9:10], 2, v[2:3]
	v_add_co_u32 v9, vcc_lo, s31, v9
	v_add_co_ci_u32_e64 v10, null, s33, v10, vcc_lo
	global_load_dword v6, v[9:10], off
.LBB85_457:                             ;   in Loop: Header=BB85_455 Depth=1
	s_or_b32 exec_lo, exec_lo, s1
	s_waitcnt vmcnt(0)
	v_cmp_lt_i32_e32 vcc_lo, -1, v8
	v_cndmask_b32_e64 v1, -1, 0x80000000, vcc_lo
	v_cmp_o_f32_e32 vcc_lo, v8, v8
	v_xor_b32_e32 v1, v1, v8
	v_cndmask_b32_e32 v1, -1, v1, vcc_lo
	v_cmp_gt_u32_e32 vcc_lo, s36, v0
	v_cmp_eq_u32_e64 s1, v1, v7
	s_and_b32 s19, vcc_lo, s1
	v_cndmask_b32_e64 v1, 0, 1, s19
	v_cmp_ne_u32_e32 vcc_lo, 0, v1
	s_cmp_lg_u32 vcc_lo, 0
	s_cselect_b32 s1, -1, 0
	s_and_b32 s1, s0, s1
	s_and_saveexec_b32 s18, s1
	s_cbranch_execz .LBB85_461
; %bb.458:                              ;   in Loop: Header=BB85_455 Depth=1
	s_mov_b32 s22, exec_lo
	s_bcnt1_i32_b32 s20, vcc_lo
	v_mbcnt_lo_u32_b32 v1, s22, 0
	s_mov_b32 s21, exec_lo
                                        ; implicit-def: $vgpr5
	v_cmpx_eq_u32_e32 0, v1
; %bb.459:                              ;   in Loop: Header=BB85_455 Depth=1
	s_bcnt1_i32_b32 s1, s22
	s_mul_i32 s1, s20, s1
	v_mov_b32_e32 v5, s1
	ds_add_rtn_u32 v5, v3, v5 offset:4108
; %bb.460:                              ;   in Loop: Header=BB85_455 Depth=1
	s_or_b32 exec_lo, exec_lo, s21
	s_waitcnt lgkmcnt(0)
	v_readfirstlane_b32 s1, v5
	v_mad_u32_u24 v5, s20, v1, s1
.LBB85_461:                             ;   in Loop: Header=BB85_455 Depth=1
	s_or_b32 exec_lo, exec_lo, s18
	ds_bpermute_b32 v5, v3, v5
	s_cmp_eq_u32 vcc_lo, 0
	s_mov_b32 s18, -1
	s_cselect_b32 s20, -1, 0
	s_waitcnt lgkmcnt(0)
	v_cmp_gt_u32_e64 s1, s37, v5
	s_or_b32 s21, s20, s1
	s_mov_b32 s20, -1
	s_and_saveexec_b32 s1, s21
	s_cbranch_execz .LBB85_454
; %bb.462:                              ;   in Loop: Header=BB85_455 Depth=1
	v_and_b32_e32 v1, vcc_lo, v16
	v_sub_nc_u32_e32 v9, s37, v5
	s_mov_b32 s21, -1
	v_bcnt_u32_b32 v1, v1, 0
	v_bcnt_u32_b32 v1, 0, v1
	v_cmp_gt_u32_e32 vcc_lo, v9, v1
	s_and_b32 s22, s19, vcc_lo
	s_and_saveexec_b32 s19, s22
	s_cbranch_execz .LBB85_466
; %bb.463:                              ;   in Loop: Header=BB85_455 Depth=1
	v_add_nc_u32_e32 v1, v5, v1
	s_mov_b32 s20, 0
	s_mov_b32 s21, exec_lo
	v_cmpx_gt_u32_e64 s37, v1
; %bb.464:                              ;   in Loop: Header=BB85_455 Depth=1
	v_mul_lo_u32 v9, v1, s13
	v_mul_lo_u32 v11, v1, s5
	v_mov_b32_e32 v10, v3
	v_mov_b32_e32 v12, v3
	;; [unrolled: 1-line block ×3, first 2 shown]
	s_mov_b32 s20, exec_lo
	v_lshlrev_b64 v[9:10], 2, v[9:10]
	v_lshlrev_b64 v[11:12], 3, v[11:12]
	v_add_co_u32 v9, vcc_lo, s6, v9
	v_add_co_ci_u32_e64 v10, null, s14, v10, vcc_lo
	v_add_co_u32 v11, vcc_lo, s15, v11
	v_add_co_ci_u32_e64 v12, null, s16, v12, vcc_lo
	global_store_dword v[9:10], v8, off
	global_store_dwordx2 v[11:12], v[0:1], off
; %bb.465:                              ;   in Loop: Header=BB85_455 Depth=1
	s_or_b32 exec_lo, exec_lo, s21
	s_xor_b32 s21, exec_lo, -1
	s_orn2_b32 s20, s20, exec_lo
.LBB85_466:                             ;   in Loop: Header=BB85_455 Depth=1
	s_or_b32 exec_lo, exec_lo, s19
	s_and_saveexec_b32 s19, s20
	s_cbranch_execz .LBB85_453
; %bb.467:                              ;   in Loop: Header=BB85_455 Depth=1
	v_cmp_le_u32_e32 vcc_lo, s12, v4
	v_add_nc_u32_e32 v2, s48, v2
	s_or_b32 s21, s21, exec_lo
	s_orn2_b32 s18, vcc_lo, exec_lo
	s_branch .LBB85_453
.LBB85_468:
	s_or_b32 s10, s10, exec_lo
	s_trap 2
	s_branch .LBB85_430
.LBB85_469:
	s_or_b32 exec_lo, exec_lo, s7
	s_mov_b32 s0, 0
	s_and_saveexec_b32 s1, s17
	s_xor_b32 s1, exec_lo, s1
	s_cbranch_execnz .LBB85_475
.LBB85_470:
	s_or_b32 exec_lo, exec_lo, s1
	s_and_b32 s1, s0, exec_lo
.LBB85_471:
	s_or_b32 exec_lo, exec_lo, s2
	s_and_b32 s7, s1, exec_lo
	s_andn2_b32 s3, s3, exec_lo
	s_or_b32 exec_lo, exec_lo, s4
	s_and_saveexec_b32 s0, s3
	s_xor_b32 s0, exec_lo, s0
	s_cbranch_execz .LBB85_424
.LBB85_472:
	s_or_b32 s7, s7, exec_lo
	s_trap 2
	s_branch .LBB85_424
.LBB85_473:
	s_or_b32 s11, s11, exec_lo
	s_trap 2
	s_branch .LBB85_428
.LBB85_474:
	s_or_b32 s12, s12, exec_lo
	s_trap 2
	s_branch .LBB85_426
.LBB85_475:
	s_mov_b32 s0, exec_lo
	s_trap 2
	s_branch .LBB85_470
	.section	.rodata,"a",@progbits
	.p2align	6, 0x0
	.amdhsa_kernel _ZN2at6native6sbtopk10gatherTopKIfjLi2ELb0EEEvNS_4cuda6detail10TensorInfoIKT_T0_EES8_S8_bS8_S8_NS5_IS6_S8_EES8_NS5_IlS8_EES8_PS6_
		.amdhsa_group_segment_fixed_size 4112
		.amdhsa_private_segment_fixed_size 0
		.amdhsa_kernarg_size 952
		.amdhsa_user_sgpr_count 6
		.amdhsa_user_sgpr_private_segment_buffer 1
		.amdhsa_user_sgpr_dispatch_ptr 0
		.amdhsa_user_sgpr_queue_ptr 0
		.amdhsa_user_sgpr_kernarg_segment_ptr 1
		.amdhsa_user_sgpr_dispatch_id 0
		.amdhsa_user_sgpr_flat_scratch_init 0
		.amdhsa_user_sgpr_private_segment_size 0
		.amdhsa_wavefront_size32 1
		.amdhsa_uses_dynamic_stack 0
		.amdhsa_system_sgpr_private_segment_wavefront_offset 0
		.amdhsa_system_sgpr_workgroup_id_x 1
		.amdhsa_system_sgpr_workgroup_id_y 1
		.amdhsa_system_sgpr_workgroup_id_z 1
		.amdhsa_system_sgpr_workgroup_info 0
		.amdhsa_system_vgpr_workitem_id 0
		.amdhsa_next_free_vgpr 43
		.amdhsa_next_free_sgpr 95
		.amdhsa_reserve_vcc 1
		.amdhsa_reserve_flat_scratch 0
		.amdhsa_float_round_mode_32 0
		.amdhsa_float_round_mode_16_64 0
		.amdhsa_float_denorm_mode_32 3
		.amdhsa_float_denorm_mode_16_64 3
		.amdhsa_dx10_clamp 1
		.amdhsa_ieee_mode 1
		.amdhsa_fp16_overflow 0
		.amdhsa_workgroup_processor_mode 1
		.amdhsa_memory_ordered 1
		.amdhsa_forward_progress 1
		.amdhsa_shared_vgpr_count 0
		.amdhsa_exception_fp_ieee_invalid_op 0
		.amdhsa_exception_fp_denorm_src 0
		.amdhsa_exception_fp_ieee_div_zero 0
		.amdhsa_exception_fp_ieee_overflow 0
		.amdhsa_exception_fp_ieee_underflow 0
		.amdhsa_exception_fp_ieee_inexact 0
		.amdhsa_exception_int_div_zero 0
	.end_amdhsa_kernel
	.section	.text._ZN2at6native6sbtopk10gatherTopKIfjLi2ELb0EEEvNS_4cuda6detail10TensorInfoIKT_T0_EES8_S8_bS8_S8_NS5_IS6_S8_EES8_NS5_IlS8_EES8_PS6_,"axG",@progbits,_ZN2at6native6sbtopk10gatherTopKIfjLi2ELb0EEEvNS_4cuda6detail10TensorInfoIKT_T0_EES8_S8_bS8_S8_NS5_IS6_S8_EES8_NS5_IlS8_EES8_PS6_,comdat
.Lfunc_end85:
	.size	_ZN2at6native6sbtopk10gatherTopKIfjLi2ELb0EEEvNS_4cuda6detail10TensorInfoIKT_T0_EES8_S8_bS8_S8_NS5_IS6_S8_EES8_NS5_IlS8_EES8_PS6_, .Lfunc_end85-_ZN2at6native6sbtopk10gatherTopKIfjLi2ELb0EEEvNS_4cuda6detail10TensorInfoIKT_T0_EES8_S8_bS8_S8_NS5_IS6_S8_EES8_NS5_IlS8_EES8_PS6_
                                        ; -- End function
	.set _ZN2at6native6sbtopk10gatherTopKIfjLi2ELb0EEEvNS_4cuda6detail10TensorInfoIKT_T0_EES8_S8_bS8_S8_NS5_IS6_S8_EES8_NS5_IlS8_EES8_PS6_.num_vgpr, 43
	.set _ZN2at6native6sbtopk10gatherTopKIfjLi2ELb0EEEvNS_4cuda6detail10TensorInfoIKT_T0_EES8_S8_bS8_S8_NS5_IS6_S8_EES8_NS5_IlS8_EES8_PS6_.num_agpr, 0
	.set _ZN2at6native6sbtopk10gatherTopKIfjLi2ELb0EEEvNS_4cuda6detail10TensorInfoIKT_T0_EES8_S8_bS8_S8_NS5_IS6_S8_EES8_NS5_IlS8_EES8_PS6_.numbered_sgpr, 95
	.set _ZN2at6native6sbtopk10gatherTopKIfjLi2ELb0EEEvNS_4cuda6detail10TensorInfoIKT_T0_EES8_S8_bS8_S8_NS5_IS6_S8_EES8_NS5_IlS8_EES8_PS6_.num_named_barrier, 0
	.set _ZN2at6native6sbtopk10gatherTopKIfjLi2ELb0EEEvNS_4cuda6detail10TensorInfoIKT_T0_EES8_S8_bS8_S8_NS5_IS6_S8_EES8_NS5_IlS8_EES8_PS6_.private_seg_size, 0
	.set _ZN2at6native6sbtopk10gatherTopKIfjLi2ELb0EEEvNS_4cuda6detail10TensorInfoIKT_T0_EES8_S8_bS8_S8_NS5_IS6_S8_EES8_NS5_IlS8_EES8_PS6_.uses_vcc, 1
	.set _ZN2at6native6sbtopk10gatherTopKIfjLi2ELb0EEEvNS_4cuda6detail10TensorInfoIKT_T0_EES8_S8_bS8_S8_NS5_IS6_S8_EES8_NS5_IlS8_EES8_PS6_.uses_flat_scratch, 0
	.set _ZN2at6native6sbtopk10gatherTopKIfjLi2ELb0EEEvNS_4cuda6detail10TensorInfoIKT_T0_EES8_S8_bS8_S8_NS5_IS6_S8_EES8_NS5_IlS8_EES8_PS6_.has_dyn_sized_stack, 0
	.set _ZN2at6native6sbtopk10gatherTopKIfjLi2ELb0EEEvNS_4cuda6detail10TensorInfoIKT_T0_EES8_S8_bS8_S8_NS5_IS6_S8_EES8_NS5_IlS8_EES8_PS6_.has_recursion, 0
	.set _ZN2at6native6sbtopk10gatherTopKIfjLi2ELb0EEEvNS_4cuda6detail10TensorInfoIKT_T0_EES8_S8_bS8_S8_NS5_IS6_S8_EES8_NS5_IlS8_EES8_PS6_.has_indirect_call, 0
	.section	.AMDGPU.csdata,"",@progbits
; Kernel info:
; codeLenInByte = 14708
; TotalNumSgprs: 97
; NumVgprs: 43
; ScratchSize: 0
; MemoryBound: 0
; FloatMode: 240
; IeeeMode: 1
; LDSByteSize: 4112 bytes/workgroup (compile time only)
; SGPRBlocks: 0
; VGPRBlocks: 5
; NumSGPRsForWavesPerEU: 97
; NumVGPRsForWavesPerEU: 43
; Occupancy: 16
; WaveLimiterHint : 1
; COMPUTE_PGM_RSRC2:SCRATCH_EN: 0
; COMPUTE_PGM_RSRC2:USER_SGPR: 6
; COMPUTE_PGM_RSRC2:TRAP_HANDLER: 0
; COMPUTE_PGM_RSRC2:TGID_X_EN: 1
; COMPUTE_PGM_RSRC2:TGID_Y_EN: 1
; COMPUTE_PGM_RSRC2:TGID_Z_EN: 1
; COMPUTE_PGM_RSRC2:TIDIG_COMP_CNT: 0
	.section	.text._ZN2at6native6mbtopk23computeBlockDigitCountsIfjjLi3EEEvNS_4cuda6detail10TensorInfoIKT_T0_EEjPjjS8_iijT1_PSB_Ps,"axG",@progbits,_ZN2at6native6mbtopk23computeBlockDigitCountsIfjjLi3EEEvNS_4cuda6detail10TensorInfoIKT_T0_EEjPjjS8_iijT1_PSB_Ps,comdat
	.protected	_ZN2at6native6mbtopk23computeBlockDigitCountsIfjjLi3EEEvNS_4cuda6detail10TensorInfoIKT_T0_EEjPjjS8_iijT1_PSB_Ps ; -- Begin function _ZN2at6native6mbtopk23computeBlockDigitCountsIfjjLi3EEEvNS_4cuda6detail10TensorInfoIKT_T0_EEjPjjS8_iijT1_PSB_Ps
	.globl	_ZN2at6native6mbtopk23computeBlockDigitCountsIfjjLi3EEEvNS_4cuda6detail10TensorInfoIKT_T0_EEjPjjS8_iijT1_PSB_Ps
	.p2align	8
	.type	_ZN2at6native6mbtopk23computeBlockDigitCountsIfjjLi3EEEvNS_4cuda6detail10TensorInfoIKT_T0_EEjPjjS8_iijT1_PSB_Ps,@function
_ZN2at6native6mbtopk23computeBlockDigitCountsIfjjLi3EEEvNS_4cuda6detail10TensorInfoIKT_T0_EEjPjjS8_iijT1_PSB_Ps: ; @_ZN2at6native6mbtopk23computeBlockDigitCountsIfjjLi3EEEvNS_4cuda6detail10TensorInfoIKT_T0_EEjPjjS8_iijT1_PSB_Ps
; %bb.0:
	s_clause 0x2
	s_load_dwordx2 s[10:11], s[4:5], 0xf8
	s_load_dwordx4 s[12:15], s[4:5], 0xe8
	s_load_dwordx2 s[0:1], s[4:5], 0x110
	s_mov_b32 s9, 0
	s_waitcnt lgkmcnt(0)
	v_cvt_f32_u32_e32 v1, s10
	s_sub_i32 s3, 0, s10
	s_mul_i32 s1, s1, s8
	s_add_i32 s1, s1, s7
	v_rcp_iflag_f32_e32 v1, v1
	s_mul_i32 s18, s1, s0
	s_add_i32 s18, s18, s6
	v_mul_f32_e32 v1, 0x4f7ffffe, v1
	v_cvt_u32_f32_e32 v1, v1
	v_readfirstlane_b32 s2, v1
	s_mul_i32 s3, s3, s2
	s_mul_hi_u32 s0, s2, s3
	s_add_i32 s2, s2, s0
	s_mul_hi_u32 s0, s18, s2
	s_mul_i32 s1, s0, s10
	s_add_i32 s2, s0, 1
	s_sub_i32 s1, s18, s1
	s_sub_i32 s3, s1, s10
	s_cmp_ge_u32 s1, s10
	s_cselect_b32 s0, s2, s0
	s_cselect_b32 s1, s3, s1
	s_add_i32 s2, s0, 1
	s_cmp_ge_u32 s1, s10
	s_cselect_b32 s8, s2, s0
	s_cmp_ge_u32 s8, s12
	s_cbranch_scc1 .LBB86_27
; %bb.1:
	s_clause 0x1
	s_load_dwordx2 s[6:7], s[4:5], 0xc
	s_load_dwordx4 s[0:3], s[4:5], 0x100
	s_lshl_b64 s[16:17], s[8:9], 2
	v_cmp_gt_u32_e32 vcc_lo, 0x100, v0
	v_lshlrev_b32_e32 v3, 2, v0
	s_waitcnt lgkmcnt(0)
	v_cvt_f32_u32_e32 v1, s7
	v_cvt_f32_u32_e32 v2, s6
	s_add_u32 s16, s0, s16
	s_addc_u32 s17, s1, s17
	s_sub_i32 s0, 0, s7
	v_rcp_iflag_f32_e32 v1, v1
	v_rcp_iflag_f32_e32 v2, v2
	v_mul_f32_e32 v1, 0x4f7ffffe, v1
	v_cvt_u32_f32_e32 v1, v1
	v_readfirstlane_b32 s9, v1
	v_mul_f32_e32 v1, 0x4f7ffffe, v2
	s_mul_i32 s0, s0, s9
	v_cvt_u32_f32_e32 v1, v1
	s_mul_hi_u32 s0, s9, s0
	s_add_i32 s9, s9, s0
	v_readfirstlane_b32 s19, v1
	s_mul_hi_u32 s0, s8, s9
	s_mul_i32 s1, s0, s7
	s_add_i32 s9, s0, 1
	s_sub_i32 s1, s8, s1
	s_sub_i32 s12, s1, s7
	s_cmp_ge_u32 s1, s7
	s_cselect_b32 s0, s9, s0
	s_cselect_b32 s1, s12, s1
	s_add_i32 s9, s0, 1
	s_cmp_ge_u32 s1, s7
	s_cselect_b32 s0, s9, s0
	s_and_saveexec_b32 s1, vcc_lo
; %bb.2:
	v_mov_b32_e32 v1, 0
	ds_write_b32 v3, v1
; %bb.3:
	s_or_b32 exec_lo, exec_lo, s1
	s_load_dword s9, s[4:5], 0xd8
	s_mul_i32 s1, s8, s10
	s_waitcnt lgkmcnt(0)
	s_sub_i32 s1, s18, s1
	s_barrier
	s_mul_i32 s12, s15, s1
	s_add_i32 s1, s1, 1
	s_lshl_b32 s12, s12, 8
	buffer_gl0_inv
	s_sub_i32 s20, s9, s12
	s_add_u32 s20, s20, 0xff
	s_addc_u32 s21, 0, 0
	s_lshr_b64 s[20:21], s[20:21], 8
	s_cmp_lt_u32 s1, s10
	s_mov_b32 s1, 0
	s_cselect_b32 s10, s15, s20
	s_cmp_lt_i32 s10, 1
	s_cbranch_scc1 .LBB86_25
; %bb.4:
	s_sub_i32 s15, 0, s6
	s_clause 0x1
	s_load_dwordx4 s[20:23], s[4:5], 0x6c
	s_load_dwordx2 s[24:25], s[4:5], 0x0
	s_mul_i32 s15, s15, s19
	s_mul_i32 s7, s0, s7
	s_mul_hi_u32 s15, s19, s15
	s_sub_i32 s7, s8, s7
	s_add_i32 s19, s19, s15
	s_mul_hi_u32 s15, s0, s19
	s_mul_i32 s19, s15, s6
	s_sub_i32 s8, s0, s19
	s_add_i32 s19, s15, 1
	s_waitcnt lgkmcnt(0)
	s_sub_i32 s23, s8, s6
	s_cmp_ge_u32 s8, s6
	s_cselect_b32 s5, s19, s15
	s_cselect_b32 s4, s23, s8
	s_add_i32 s8, s5, 1
	s_cmp_ge_u32 s4, s6
	s_load_dword s4, s[16:17], 0x0
	s_cselect_b32 s5, s8, s5
	s_mul_i32 s7, s7, s22
	s_mul_i32 s6, s5, s6
	;; [unrolled: 1-line block ×3, first 2 shown]
	s_sub_i32 s0, s0, s6
	s_mul_i32 s0, s0, s21
	s_add_i32 s0, s0, s7
	s_add_i32 s0, s0, s5
	s_lshl_b64 s[6:7], s[0:1], 2
	s_add_u32 s5, s24, s6
	s_addc_u32 s6, s25, s7
	s_and_b32 s7, s14, 0xff
	s_cmp_lt_u32 s10, 4
	s_cbranch_scc1 .LBB86_19
; %bb.5:
	v_add_nc_u32_e32 v1, s12, v0
	v_mov_b32_e32 v9, 1
	s_and_b32 s1, s10, 0x7ffffffc
	s_lshl_b32 s8, s13, 10
	s_mov_b32 s14, 0
	v_add_nc_u32_e32 v4, 0x300, v1
	v_add_nc_u32_e32 v2, 0x200, v1
	;; [unrolled: 1-line block ×3, first 2 shown]
	v_mul_lo_u32 v8, s13, v1
	s_mov_b32 s15, 0
	v_mul_lo_u32 v5, s13, v4
	v_mul_lo_u32 v6, s13, v2
	;; [unrolled: 1-line block ×3, first 2 shown]
	v_mov_b32_e32 v2, 0
	s_branch .LBB86_7
.LBB86_6:                               ;   in Loop: Header=BB86_7 Depth=1
	s_or_b32 exec_lo, exec_lo, s16
	v_add_nc_u32_e32 v4, 0x400, v4
	s_add_i32 s15, s15, 4
	s_add_i32 s14, s14, s8
	s_cmp_eq_u32 s1, s15
	s_cbranch_scc1 .LBB86_19
.LBB86_7:                               ; =>This Inner Loop Header: Depth=1
	v_add_nc_u32_e32 v1, 0xfffffd00, v4
	s_mov_b32 s16, exec_lo
	v_cmpx_gt_u32_e64 s9, v1
	s_cbranch_execz .LBB86_10
; %bb.8:                                ;   in Loop: Header=BB86_7 Depth=1
	v_add_nc_u32_e32 v1, s14, v8
	v_lshlrev_b64 v[10:11], 2, v[1:2]
	v_add_co_u32 v10, s0, s5, v10
	v_add_co_ci_u32_e64 v11, null, s6, v11, s0
	global_load_dword v1, v[10:11], off
	s_waitcnt vmcnt(0)
	v_cmp_lt_i32_e64 s0, -1, v1
	v_cndmask_b32_e64 v10, -1, 0x80000000, s0
	v_cmp_o_f32_e64 s0, v1, v1
	v_xor_b32_e32 v10, v10, v1
	v_cndmask_b32_e64 v1, -1, v10, s0
	s_waitcnt lgkmcnt(0)
	v_xor_b32_e32 v10, s4, v1
	v_and_b32_e32 v10, s11, v10
	v_cmp_eq_u32_e64 s0, 0, v10
	s_and_b32 exec_lo, exec_lo, s0
; %bb.9:                                ;   in Loop: Header=BB86_7 Depth=1
	v_bfe_u32 v1, v1, s7, 8
	v_lshlrev_b32_e32 v1, 2, v1
	ds_add_u32 v1, v9
.LBB86_10:                              ;   in Loop: Header=BB86_7 Depth=1
	s_or_b32 exec_lo, exec_lo, s16
	v_add_nc_u32_e32 v1, 0xfffffe00, v4
	s_mov_b32 s16, exec_lo
	v_cmpx_gt_u32_e64 s9, v1
	s_cbranch_execz .LBB86_13
; %bb.11:                               ;   in Loop: Header=BB86_7 Depth=1
	v_add_nc_u32_e32 v1, s14, v7
	v_lshlrev_b64 v[10:11], 2, v[1:2]
	v_add_co_u32 v10, s0, s5, v10
	v_add_co_ci_u32_e64 v11, null, s6, v11, s0
	global_load_dword v1, v[10:11], off
	s_waitcnt vmcnt(0)
	v_cmp_lt_i32_e64 s0, -1, v1
	v_cndmask_b32_e64 v10, -1, 0x80000000, s0
	v_cmp_o_f32_e64 s0, v1, v1
	v_xor_b32_e32 v10, v10, v1
	v_cndmask_b32_e64 v1, -1, v10, s0
	s_waitcnt lgkmcnt(0)
	v_xor_b32_e32 v10, s4, v1
	v_and_b32_e32 v10, s11, v10
	v_cmp_eq_u32_e64 s0, 0, v10
	s_and_b32 exec_lo, exec_lo, s0
; %bb.12:                               ;   in Loop: Header=BB86_7 Depth=1
	v_bfe_u32 v1, v1, s7, 8
	v_lshlrev_b32_e32 v1, 2, v1
	ds_add_u32 v1, v9
.LBB86_13:                              ;   in Loop: Header=BB86_7 Depth=1
	s_or_b32 exec_lo, exec_lo, s16
	v_add_nc_u32_e32 v1, 0xffffff00, v4
	s_mov_b32 s16, exec_lo
	v_cmpx_gt_u32_e64 s9, v1
	s_cbranch_execz .LBB86_16
; %bb.14:                               ;   in Loop: Header=BB86_7 Depth=1
	v_add_nc_u32_e32 v1, s14, v6
	v_lshlrev_b64 v[10:11], 2, v[1:2]
	v_add_co_u32 v10, s0, s5, v10
	v_add_co_ci_u32_e64 v11, null, s6, v11, s0
	global_load_dword v1, v[10:11], off
	s_waitcnt vmcnt(0)
	v_cmp_lt_i32_e64 s0, -1, v1
	v_cndmask_b32_e64 v10, -1, 0x80000000, s0
	v_cmp_o_f32_e64 s0, v1, v1
	v_xor_b32_e32 v10, v10, v1
	v_cndmask_b32_e64 v1, -1, v10, s0
	s_waitcnt lgkmcnt(0)
	v_xor_b32_e32 v10, s4, v1
	v_and_b32_e32 v10, s11, v10
	v_cmp_eq_u32_e64 s0, 0, v10
	s_and_b32 exec_lo, exec_lo, s0
; %bb.15:                               ;   in Loop: Header=BB86_7 Depth=1
	v_bfe_u32 v1, v1, s7, 8
	v_lshlrev_b32_e32 v1, 2, v1
	ds_add_u32 v1, v9
.LBB86_16:                              ;   in Loop: Header=BB86_7 Depth=1
	s_or_b32 exec_lo, exec_lo, s16
	s_mov_b32 s16, exec_lo
	v_cmpx_gt_u32_e64 s9, v4
	s_cbranch_execz .LBB86_6
; %bb.17:                               ;   in Loop: Header=BB86_7 Depth=1
	v_add_nc_u32_e32 v1, s14, v5
	v_lshlrev_b64 v[10:11], 2, v[1:2]
	v_add_co_u32 v10, s0, s5, v10
	v_add_co_ci_u32_e64 v11, null, s6, v11, s0
	global_load_dword v1, v[10:11], off
	s_waitcnt vmcnt(0)
	v_cmp_lt_i32_e64 s0, -1, v1
	v_cndmask_b32_e64 v10, -1, 0x80000000, s0
	v_cmp_o_f32_e64 s0, v1, v1
	v_xor_b32_e32 v10, v10, v1
	v_cndmask_b32_e64 v1, -1, v10, s0
	s_waitcnt lgkmcnt(0)
	v_xor_b32_e32 v10, s4, v1
	v_and_b32_e32 v10, s11, v10
	v_cmp_eq_u32_e64 s0, 0, v10
	s_and_b32 exec_lo, exec_lo, s0
	s_cbranch_execz .LBB86_6
; %bb.18:                               ;   in Loop: Header=BB86_7 Depth=1
	v_bfe_u32 v1, v1, s7, 8
	v_lshlrev_b32_e32 v1, 2, v1
	ds_add_u32 v1, v9
	s_branch .LBB86_6
.LBB86_19:
	s_and_b32 s8, s10, 3
	s_cmp_eq_u32 s8, 0
	s_cbranch_scc1 .LBB86_25
; %bb.20:
	s_lshl_b32 s0, s1, 8
	v_mov_b32_e32 v2, 0
	v_add3_u32 v4, s0, s12, v0
	v_mov_b32_e32 v5, 1
	s_lshl_b32 s1, s13, 8
	v_mul_lo_u32 v1, s13, v4
	s_inst_prefetch 0x1
	s_branch .LBB86_22
	.p2align	6
.LBB86_21:                              ;   in Loop: Header=BB86_22 Depth=1
	s_or_b32 exec_lo, exec_lo, s10
	v_add_nc_u32_e32 v1, s1, v1
	v_add_nc_u32_e32 v4, 0x100, v4
	s_add_i32 s8, s8, -1
	s_cmp_lg_u32 s8, 0
	s_cbranch_scc0 .LBB86_25
.LBB86_22:                              ; =>This Inner Loop Header: Depth=1
	s_mov_b32 s10, exec_lo
	v_cmpx_gt_u32_e64 s9, v4
	s_cbranch_execz .LBB86_21
; %bb.23:                               ;   in Loop: Header=BB86_22 Depth=1
	v_lshlrev_b64 v[6:7], 2, v[1:2]
	v_add_co_u32 v6, s0, s5, v6
	v_add_co_ci_u32_e64 v7, null, s6, v7, s0
	global_load_dword v6, v[6:7], off
	s_waitcnt vmcnt(0)
	v_cmp_lt_i32_e64 s0, -1, v6
	v_cndmask_b32_e64 v7, -1, 0x80000000, s0
	v_cmp_o_f32_e64 s0, v6, v6
	v_xor_b32_e32 v7, v7, v6
	v_cndmask_b32_e64 v6, -1, v7, s0
	s_waitcnt lgkmcnt(0)
	v_xor_b32_e32 v7, s4, v6
	v_and_b32_e32 v7, s11, v7
	v_cmp_eq_u32_e64 s0, 0, v7
	s_and_b32 exec_lo, exec_lo, s0
	s_cbranch_execz .LBB86_21
; %bb.24:                               ;   in Loop: Header=BB86_22 Depth=1
	v_bfe_u32 v6, v6, s7, 8
	v_lshlrev_b32_e32 v6, 2, v6
	ds_add_u32 v6, v5
	s_branch .LBB86_21
.LBB86_25:
	s_inst_prefetch 0x2
	s_waitcnt lgkmcnt(0)
	s_barrier
	buffer_gl0_inv
	s_and_saveexec_b32 s0, vcc_lo
	s_cbranch_execz .LBB86_27
; %bb.26:
	ds_read_b32 v2, v3
	v_lshl_or_b32 v0, s18, 8, v0
	v_mov_b32_e32 v1, 0
	v_lshlrev_b64 v[0:1], 1, v[0:1]
	v_add_co_u32 v0, vcc_lo, s2, v0
	v_add_co_ci_u32_e64 v1, null, s3, v1, vcc_lo
	s_waitcnt lgkmcnt(0)
	global_store_short v[0:1], v2, off
.LBB86_27:
	s_endpgm
	.section	.rodata,"a",@progbits
	.p2align	6, 0x0
	.amdhsa_kernel _ZN2at6native6mbtopk23computeBlockDigitCountsIfjjLi3EEEvNS_4cuda6detail10TensorInfoIKT_T0_EEjPjjS8_iijT1_PSB_Ps
		.amdhsa_group_segment_fixed_size 1024
		.amdhsa_private_segment_fixed_size 0
		.amdhsa_kernarg_size 528
		.amdhsa_user_sgpr_count 6
		.amdhsa_user_sgpr_private_segment_buffer 1
		.amdhsa_user_sgpr_dispatch_ptr 0
		.amdhsa_user_sgpr_queue_ptr 0
		.amdhsa_user_sgpr_kernarg_segment_ptr 1
		.amdhsa_user_sgpr_dispatch_id 0
		.amdhsa_user_sgpr_flat_scratch_init 0
		.amdhsa_user_sgpr_private_segment_size 0
		.amdhsa_wavefront_size32 1
		.amdhsa_uses_dynamic_stack 0
		.amdhsa_system_sgpr_private_segment_wavefront_offset 0
		.amdhsa_system_sgpr_workgroup_id_x 1
		.amdhsa_system_sgpr_workgroup_id_y 1
		.amdhsa_system_sgpr_workgroup_id_z 1
		.amdhsa_system_sgpr_workgroup_info 0
		.amdhsa_system_vgpr_workitem_id 0
		.amdhsa_next_free_vgpr 12
		.amdhsa_next_free_sgpr 26
		.amdhsa_reserve_vcc 1
		.amdhsa_reserve_flat_scratch 0
		.amdhsa_float_round_mode_32 0
		.amdhsa_float_round_mode_16_64 0
		.amdhsa_float_denorm_mode_32 3
		.amdhsa_float_denorm_mode_16_64 3
		.amdhsa_dx10_clamp 1
		.amdhsa_ieee_mode 1
		.amdhsa_fp16_overflow 0
		.amdhsa_workgroup_processor_mode 1
		.amdhsa_memory_ordered 1
		.amdhsa_forward_progress 1
		.amdhsa_shared_vgpr_count 0
		.amdhsa_exception_fp_ieee_invalid_op 0
		.amdhsa_exception_fp_denorm_src 0
		.amdhsa_exception_fp_ieee_div_zero 0
		.amdhsa_exception_fp_ieee_overflow 0
		.amdhsa_exception_fp_ieee_underflow 0
		.amdhsa_exception_fp_ieee_inexact 0
		.amdhsa_exception_int_div_zero 0
	.end_amdhsa_kernel
	.section	.text._ZN2at6native6mbtopk23computeBlockDigitCountsIfjjLi3EEEvNS_4cuda6detail10TensorInfoIKT_T0_EEjPjjS8_iijT1_PSB_Ps,"axG",@progbits,_ZN2at6native6mbtopk23computeBlockDigitCountsIfjjLi3EEEvNS_4cuda6detail10TensorInfoIKT_T0_EEjPjjS8_iijT1_PSB_Ps,comdat
.Lfunc_end86:
	.size	_ZN2at6native6mbtopk23computeBlockDigitCountsIfjjLi3EEEvNS_4cuda6detail10TensorInfoIKT_T0_EEjPjjS8_iijT1_PSB_Ps, .Lfunc_end86-_ZN2at6native6mbtopk23computeBlockDigitCountsIfjjLi3EEEvNS_4cuda6detail10TensorInfoIKT_T0_EEjPjjS8_iijT1_PSB_Ps
                                        ; -- End function
	.set _ZN2at6native6mbtopk23computeBlockDigitCountsIfjjLi3EEEvNS_4cuda6detail10TensorInfoIKT_T0_EEjPjjS8_iijT1_PSB_Ps.num_vgpr, 12
	.set _ZN2at6native6mbtopk23computeBlockDigitCountsIfjjLi3EEEvNS_4cuda6detail10TensorInfoIKT_T0_EEjPjjS8_iijT1_PSB_Ps.num_agpr, 0
	.set _ZN2at6native6mbtopk23computeBlockDigitCountsIfjjLi3EEEvNS_4cuda6detail10TensorInfoIKT_T0_EEjPjjS8_iijT1_PSB_Ps.numbered_sgpr, 26
	.set _ZN2at6native6mbtopk23computeBlockDigitCountsIfjjLi3EEEvNS_4cuda6detail10TensorInfoIKT_T0_EEjPjjS8_iijT1_PSB_Ps.num_named_barrier, 0
	.set _ZN2at6native6mbtopk23computeBlockDigitCountsIfjjLi3EEEvNS_4cuda6detail10TensorInfoIKT_T0_EEjPjjS8_iijT1_PSB_Ps.private_seg_size, 0
	.set _ZN2at6native6mbtopk23computeBlockDigitCountsIfjjLi3EEEvNS_4cuda6detail10TensorInfoIKT_T0_EEjPjjS8_iijT1_PSB_Ps.uses_vcc, 1
	.set _ZN2at6native6mbtopk23computeBlockDigitCountsIfjjLi3EEEvNS_4cuda6detail10TensorInfoIKT_T0_EEjPjjS8_iijT1_PSB_Ps.uses_flat_scratch, 0
	.set _ZN2at6native6mbtopk23computeBlockDigitCountsIfjjLi3EEEvNS_4cuda6detail10TensorInfoIKT_T0_EEjPjjS8_iijT1_PSB_Ps.has_dyn_sized_stack, 0
	.set _ZN2at6native6mbtopk23computeBlockDigitCountsIfjjLi3EEEvNS_4cuda6detail10TensorInfoIKT_T0_EEjPjjS8_iijT1_PSB_Ps.has_recursion, 0
	.set _ZN2at6native6mbtopk23computeBlockDigitCountsIfjjLi3EEEvNS_4cuda6detail10TensorInfoIKT_T0_EEjPjjS8_iijT1_PSB_Ps.has_indirect_call, 0
	.section	.AMDGPU.csdata,"",@progbits
; Kernel info:
; codeLenInByte = 1604
; TotalNumSgprs: 28
; NumVgprs: 12
; ScratchSize: 0
; MemoryBound: 0
; FloatMode: 240
; IeeeMode: 1
; LDSByteSize: 1024 bytes/workgroup (compile time only)
; SGPRBlocks: 0
; VGPRBlocks: 1
; NumSGPRsForWavesPerEU: 28
; NumVGPRsForWavesPerEU: 12
; Occupancy: 16
; WaveLimiterHint : 1
; COMPUTE_PGM_RSRC2:SCRATCH_EN: 0
; COMPUTE_PGM_RSRC2:USER_SGPR: 6
; COMPUTE_PGM_RSRC2:TRAP_HANDLER: 0
; COMPUTE_PGM_RSRC2:TGID_X_EN: 1
; COMPUTE_PGM_RSRC2:TGID_Y_EN: 1
; COMPUTE_PGM_RSRC2:TGID_Z_EN: 1
; COMPUTE_PGM_RSRC2:TIDIG_COMP_CNT: 0
	.section	.text._ZN2at6native6mbtopk10gatherTopKIfjLi3EEEvNS_4cuda6detail10TensorInfoIKT_T0_EES8_S8_bjS8_NS5_IS6_S8_EES8_NS5_IlS8_EES8_jjPS6_PjSD_j,"axG",@progbits,_ZN2at6native6mbtopk10gatherTopKIfjLi3EEEvNS_4cuda6detail10TensorInfoIKT_T0_EES8_S8_bjS8_NS5_IS6_S8_EES8_NS5_IlS8_EES8_jjPS6_PjSD_j,comdat
	.protected	_ZN2at6native6mbtopk10gatherTopKIfjLi3EEEvNS_4cuda6detail10TensorInfoIKT_T0_EES8_S8_bjS8_NS5_IS6_S8_EES8_NS5_IlS8_EES8_jjPS6_PjSD_j ; -- Begin function _ZN2at6native6mbtopk10gatherTopKIfjLi3EEEvNS_4cuda6detail10TensorInfoIKT_T0_EES8_S8_bjS8_NS5_IS6_S8_EES8_NS5_IlS8_EES8_jjPS6_PjSD_j
	.globl	_ZN2at6native6mbtopk10gatherTopKIfjLi3EEEvNS_4cuda6detail10TensorInfoIKT_T0_EES8_S8_bjS8_NS5_IS6_S8_EES8_NS5_IlS8_EES8_jjPS6_PjSD_j
	.p2align	8
	.type	_ZN2at6native6mbtopk10gatherTopKIfjLi3EEEvNS_4cuda6detail10TensorInfoIKT_T0_EES8_S8_bjS8_NS5_IS6_S8_EES8_NS5_IlS8_EES8_jjPS6_PjSD_j,@function
_ZN2at6native6mbtopk10gatherTopKIfjLi3EEEvNS_4cuda6detail10TensorInfoIKT_T0_EES8_S8_bjS8_NS5_IS6_S8_EES8_NS5_IlS8_EES8_jjPS6_PjSD_j: ; @_ZN2at6native6mbtopk10gatherTopKIfjLi3EEEvNS_4cuda6detail10TensorInfoIKT_T0_EES8_S8_bjS8_NS5_IS6_S8_EES8_NS5_IlS8_EES8_jjPS6_PjSD_j
; %bb.0:
	s_clause 0x1
	s_load_dwordx2 s[0:1], s[4:5], 0x2d8
	s_load_dword s2, s[4:5], 0x2d0
	s_waitcnt lgkmcnt(0)
	s_mul_i32 s1, s1, s8
	s_add_i32 s1, s1, s7
	s_mul_i32 s0, s1, s0
	s_add_i32 s0, s0, s6
	s_cmp_ge_u32 s0, s2
	s_cbranch_scc1 .LBB87_40
; %bb.1:
	s_clause 0x6
	s_load_dwordx8 s[8:15], s[4:5], 0x2a8
	s_load_dwordx2 s[38:39], s[4:5], 0xc
	s_load_dwordx2 s[36:37], s[4:5], 0xfc
	;; [unrolled: 1-line block ×4, first 2 shown]
	s_load_dwordx4 s[20:23], s[4:5], 0x15c
	s_load_dwordx2 s[2:3], s[4:5], 0x1d0
	s_mov_b32 s41, 0
	s_waitcnt lgkmcnt(0)
	v_cvt_f32_u32_e32 v1, s10
	v_cvt_f32_u32_e32 v2, s39
	s_sub_i32 s1, 0, s10
	v_cvt_f32_u32_e32 v4, s37
	v_cvt_f32_u32_e32 v3, s38
	v_rcp_iflag_f32_e32 v1, v1
	v_rcp_iflag_f32_e32 v2, v2
	v_cvt_f32_u32_e32 v5, s36
	v_rcp_iflag_f32_e32 v4, v4
	v_rcp_iflag_f32_e32 v3, v3
	;; [unrolled: 3-line block ×3, first 2 shown]
	v_mul_f32_e32 v1, 0x4f7ffffe, v1
	v_mul_f32_e32 v2, 0x4f7ffffe, v2
	;; [unrolled: 1-line block ×3, first 2 shown]
	v_cvt_u32_f32_e32 v1, v1
	v_cvt_u32_f32_e32 v2, v2
	;; [unrolled: 1-line block ×3, first 2 shown]
	v_readfirstlane_b32 s11, v1
	v_readfirstlane_b32 s18, v2
	v_mul_f32_e32 v2, 0x4f7ffffe, v4
	v_mul_f32_e32 v4, 0x4f7ffffe, v5
	;; [unrolled: 1-line block ×3, first 2 shown]
	s_mul_i32 s1, s1, s11
	v_cvt_f32_u32_e32 v1, s34
	s_mul_hi_u32 s1, s11, s1
	v_cvt_u32_f32_e32 v2, v2
	s_add_i32 s11, s11, s1
	s_mul_hi_u32 s1, s0, s11
	v_rcp_iflag_f32_e32 v1, v1
	s_mul_i32 s11, s1, s10
	s_add_i32 s16, s1, 1
	s_sub_i32 s11, s0, s11
	s_sub_i32 s17, s11, s10
	s_cmp_ge_u32 s11, s10
	s_cselect_b32 s1, s16, s1
	s_cselect_b32 s11, s17, s11
	s_add_i32 s16, s1, 1
	s_cmp_ge_u32 s11, s10
	v_mul_f32_e32 v1, 0x4f7ffffe, v1
	s_cselect_b32 s40, s16, s1
	s_sub_i32 s1, 0, s39
	s_mul_i32 s28, s40, s10
	s_mul_i32 s1, s1, s18
	s_sub_i32 s11, s0, s28
	s_mul_hi_u32 s1, s18, s1
	v_cvt_u32_f32_e32 v1, v1
	s_add_i32 s18, s18, s1
	s_mul_hi_u32 s1, s40, s18
	v_readfirstlane_b32 s18, v2
	s_mul_i32 s16, s1, s39
	v_cvt_u32_f32_e32 v2, v4
	s_sub_i32 s0, s40, s16
	s_add_i32 s16, s1, 1
	s_sub_i32 s17, s0, s39
	s_cmp_ge_u32 s0, s39
	v_readfirstlane_b32 s24, v1
	s_cselect_b32 s1, s16, s1
	s_cselect_b32 s0, s17, s0
	s_add_i32 s16, s1, 1
	s_cmp_ge_u32 s0, s39
	s_cselect_b32 s48, s16, s1
	s_sub_i32 s0, 0, s37
	v_readfirstlane_b32 s1, v3
	s_mul_i32 s0, s0, s18
	s_sub_i32 s16, 0, s38
	s_mul_hi_u32 s0, s18, s0
	v_cvt_u32_f32_e32 v3, v5
	s_add_i32 s18, s18, s0
	s_mul_i32 s16, s16, s1
	s_mul_hi_u32 s0, s40, s18
	s_mul_hi_u32 s16, s1, s16
	s_mul_i32 s17, s0, s37
	s_add_i32 s29, s1, s16
	s_sub_i32 s1, s40, s17
	s_add_i32 s16, s0, 1
	s_sub_i32 s17, s1, s37
	s_cmp_ge_u32 s1, s37
	v_readfirstlane_b32 s18, v3
	s_cselect_b32 s0, s16, s0
	s_cselect_b32 s1, s17, s1
	s_add_i32 s16, s0, 1
	s_cmp_ge_u32 s1, s37
	v_readfirstlane_b32 s1, v2
	s_cselect_b32 s33, s16, s0
	s_sub_i32 s0, 0, s35
	s_sub_i32 s16, 0, s36
	s_mul_i32 s0, s0, s18
	s_mul_i32 s16, s16, s1
	s_mul_hi_u32 s0, s18, s0
	s_mul_hi_u32 s16, s1, s16
	s_add_i32 s18, s18, s0
	s_add_i32 s30, s1, s16
	s_mul_hi_u32 s0, s40, s18
	s_mul_hi_u32 s50, s48, s29
	s_mul_i32 s17, s0, s35
	s_add_i32 s16, s0, 1
	s_sub_i32 s1, s40, s17
	s_mul_hi_u32 s49, s33, s30
	s_sub_i32 s17, s1, s35
	s_cmp_ge_u32 s1, s35
	s_cselect_b32 s0, s16, s0
	s_cselect_b32 s1, s17, s1
	s_add_i32 s16, s0, 1
	s_cmp_ge_u32 s1, s35
	s_cselect_b32 s23, s16, s0
	s_sub_i32 s0, 0, s34
	s_load_dwordx4 s[16:19], s[4:5], 0x23c
	s_mul_i32 s0, s0, s24
	s_waitcnt lgkmcnt(0)
	s_mul_hi_u32 s19, s24, s0
	s_lshl_b64 s[0:1], s[40:41], 2
	s_add_i32 s31, s24, s19
	s_add_u32 s0, s12, s0
	s_addc_u32 s1, s13, s1
	s_clause 0x1
	s_load_dwordx2 s[42:43], s[4:5], 0xf0
	s_load_dwordx4 s[24:27], s[4:5], 0x6c
	s_load_dword s19, s[0:1], 0x0
	v_cmp_ne_u32_e64 s0, 0, v0
	v_cmp_eq_u32_e64 s1, 0, v0
	s_waitcnt lgkmcnt(0)
	s_mul_hi_u32 s27, s23, s31
	s_and_saveexec_b32 s51, s1
	s_cbranch_execz .LBB87_17
; %bb.2:
	s_load_dwordx2 s[12:13], s[4:5], 0x2c8
	s_mov_b32 s29, s41
	s_lshl_b64 s[44:45], s[28:29], 2
	s_add_u32 s28, s14, s44
	s_addc_u32 s29, s15, s45
	s_waitcnt lgkmcnt(0)
	s_add_u32 s30, s12, s44
	s_addc_u32 s31, s13, s45
	s_cmp_lt_u32 s10, 4
	s_cbranch_scc1 .LBB87_14
; %bb.3:
	s_mov_b32 s52, s41
	s_mov_b32 s53, s41
	;; [unrolled: 1-line block ×3, first 2 shown]
.LBB87_4:                               ; =>This Inner Loop Header: Depth=1
	s_add_u32 s28, s14, s44
	s_addc_u32 s29, s15, s45
	s_add_u32 s46, s12, s44
	s_load_dwordx4 s[28:31], s[28:29], 0x0
	s_addc_u32 s47, s13, s45
	s_cmp_ge_u32 s54, s11
	s_cbranch_scc0 .LBB87_11
; %bb.5:                                ;   in Loop: Header=BB87_4 Depth=1
	s_add_i32 s55, s54, 1
	s_cmp_ge_u32 s55, s11
	s_cbranch_scc0 .LBB87_12
.LBB87_6:                               ;   in Loop: Header=BB87_4 Depth=1
	s_add_i32 s55, s55, 1
	s_cmp_ge_u32 s55, s11
	s_cbranch_scc0 .LBB87_13
.LBB87_7:                               ;   in Loop: Header=BB87_4 Depth=1
	s_add_i32 s55, s55, 1
	s_cmp_ge_u32 s55, s11
	s_cbranch_scc1 .LBB87_9
.LBB87_8:                               ;   in Loop: Header=BB87_4 Depth=1
	s_load_dword s46, s[46:47], 0xc
	s_waitcnt lgkmcnt(0)
	s_add_i32 s41, s41, s31
	s_add_i32 s52, s46, s52
.LBB87_9:                               ;   in Loop: Header=BB87_4 Depth=1
	s_waitcnt lgkmcnt(0)
	s_add_i32 s28, s28, s53
	s_add_i32 s28, s28, s29
	;; [unrolled: 1-line block ×4, first 2 shown]
	s_add_u32 s14, s14, 16
	s_addc_u32 s15, s15, 0
	s_add_u32 s12, s12, 16
	s_addc_u32 s13, s13, 0
	s_add_i32 s47, s55, 4
	s_add_u32 s30, s12, s44
	s_addc_u32 s31, s13, s45
	s_add_u32 s28, s14, s44
	s_addc_u32 s29, s15, s45
	s_add_i32 s46, s55, 1
	s_cmp_ge_u32 s47, s10
	s_cbranch_scc1 .LBB87_15
; %bb.10:                               ;   in Loop: Header=BB87_4 Depth=1
	s_mov_b32 s54, s46
	s_branch .LBB87_4
.LBB87_11:                              ;   in Loop: Header=BB87_4 Depth=1
	s_load_dword s55, s[46:47], 0x0
	s_waitcnt lgkmcnt(0)
	s_add_i32 s41, s28, s41
	s_add_i32 s52, s55, s52
	;; [unrolled: 1-line block ×3, first 2 shown]
	s_cmp_ge_u32 s55, s11
	s_cbranch_scc1 .LBB87_6
.LBB87_12:                              ;   in Loop: Header=BB87_4 Depth=1
	s_load_dword s56, s[46:47], 0x4
	s_waitcnt lgkmcnt(0)
	s_add_i32 s41, s41, s29
	s_add_i32 s52, s56, s52
	;; [unrolled: 1-line block ×3, first 2 shown]
	s_cmp_ge_u32 s55, s11
	s_cbranch_scc1 .LBB87_7
.LBB87_13:                              ;   in Loop: Header=BB87_4 Depth=1
	s_load_dword s56, s[46:47], 0x8
	s_waitcnt lgkmcnt(0)
	s_add_i32 s41, s41, s30
	s_add_i32 s52, s56, s52
	;; [unrolled: 1-line block ×3, first 2 shown]
	s_cmp_ge_u32 s55, s11
	s_cbranch_scc0 .LBB87_8
	s_branch .LBB87_9
.LBB87_14:
	s_mov_b32 s52, 0
	s_mov_b32 s53, 0
	;; [unrolled: 1-line block ×3, first 2 shown]
	s_cmp_ge_u32 s12, s10
	s_cbranch_scc0 .LBB87_38
	s_branch .LBB87_16
.LBB87_15:
	s_add_i32 s12, s54, 4
	s_cmp_ge_u32 s12, s10
	s_cbranch_scc0 .LBB87_38
.LBB87_16:
	v_mov_b32_e32 v1, s52
	v_mov_b32_e32 v2, s53
	;; [unrolled: 1-line block ×4, first 2 shown]
	ds_write_b96 v4, v[1:3] offset:1056
.LBB87_17:
	s_or_b32 exec_lo, exec_lo, s51
	s_load_dwordx4 s[12:15], s[4:5], 0xd8
	s_waitcnt lgkmcnt(0)
	s_mul_i32 s15, s9, s11
	s_add_i32 s11, s11, 1
	s_lshl_b32 s28, s15, 8
	s_barrier
	buffer_gl0_inv
	s_sub_i32 s15, s12, s28
	s_add_u32 s30, s15, 0xff
	s_addc_u32 s31, 0, 0
	s_lshr_b64 s[30:31], s[30:31], 8
	s_cmp_lt_u32 s11, s10
	s_mov_b32 s11, 0
	s_cselect_b32 s9, s9, s30
	s_cmp_eq_u32 s9, 0
	s_cbranch_scc1 .LBB87_40
; %bb.18:
	s_mul_i32 s15, s50, s38
	s_mul_i32 s10, s48, s39
	s_sub_i32 s15, s48, s15
	s_sub_i32 s10, s40, s10
	s_add_i32 s29, s50, 1
	s_sub_i32 s30, s15, s38
	s_cmp_ge_u32 s15, s38
	s_mul_i32 s10, s10, s26
	s_cselect_b32 s29, s29, s50
	s_cselect_b32 s15, s30, s15
	s_add_i32 s30, s29, 1
	s_cmp_ge_u32 s15, s38
	s_mul_i32 s15, s33, s37
	s_cselect_b32 s29, s30, s29
	s_mul_i32 s30, s49, s36
	s_mul_i32 s31, s29, s38
	;; [unrolled: 1-line block ×3, first 2 shown]
	s_sub_i32 s26, s48, s31
	s_sub_i32 s24, s33, s30
	s_mul_i32 s25, s26, s25
	s_sub_i32 s15, s40, s15
	s_add_i32 s10, s25, s10
	s_add_i32 s25, s49, 1
	;; [unrolled: 1-line block ×3, first 2 shown]
	s_sub_i32 s26, s24, s36
	s_cmp_ge_u32 s24, s36
	s_mul_i32 s15, s15, s22
	s_cselect_b32 s25, s25, s49
	s_cselect_b32 s24, s26, s24
	s_add_i32 s26, s25, 1
	s_cmp_ge_u32 s24, s36
	s_mul_i32 s29, s27, s34
	s_cselect_b32 s24, s26, s25
	s_mul_i32 s25, s23, s35
	s_mul_i32 s26, s24, s36
	;; [unrolled: 1-line block ×3, first 2 shown]
	s_sub_i32 s26, s33, s26
	s_sub_i32 s22, s40, s25
	s_mul_i32 s21, s26, s21
	v_mov_b32_e32 v5, 0
	s_add_i32 s15, s21, s15
	s_add_i32 s21, s27, 1
	;; [unrolled: 1-line block ×3, first 2 shown]
	s_sub_i32 s15, s23, s29
	ds_read_b96 v[1:3], v5 offset:1056
	s_sub_i32 s24, s15, s34
	s_cmp_ge_u32 s15, s34
	s_mul_i32 s22, s22, s18
	s_cselect_b32 s21, s21, s27
	s_cselect_b32 s15, s24, s15
	s_add_i32 s24, s21, 1
	s_cmp_ge_u32 s15, s34
	v_lshrrev_b32_e32 v4, 3, v0
	s_cselect_b32 s15, s24, s21
	s_mov_b32 s21, s11
	s_mul_i32 s24, s15, s34
	s_mul_i32 s15, s15, s16
	s_sub_i32 s23, s23, s24
	v_add_nc_u32_e32 v9, -1, v0
	s_mul_i32 s17, s23, s17
	s_mov_b32 s23, s11
	s_add_i32 s18, s17, s22
	s_lshl_b64 s[16:17], s[10:11], 2
	s_add_i32 s22, s18, s15
	s_load_dword s18, s[4:5], 0xe8
	s_add_u32 s6, s6, s16
	s_addc_u32 s7, s7, s17
	s_lshl_b64 s[16:17], s[20:21], 2
	s_load_dword s4, s[4:5], 0x1c8
	s_add_u32 s10, s42, s16
	s_addc_u32 s11, s43, s17
	s_lshl_b64 s[16:17], s[22:23], 3
	v_and_b32_e32 v4, 28, v4
	v_lshrrev_b32_e32 v8, 3, v9
	s_add_u32 s15, s2, s16
	s_addc_u32 s16, s3, s17
	s_cmp_gt_i32 s19, -1
	v_cmp_o_f32_e64 s2, s19, s19
	s_waitcnt lgkmcnt(0)
	v_add_nc_u32_e32 v6, v1, v2
	v_lshl_add_u32 v7, v0, 2, v4
	v_and_b32_e32 v4, 0x1ffffffc, v8
	v_add_nc_u32_e32 v1, s28, v0
	s_cselect_b32 s3, 0x80000000, -1
	v_and_b32_e32 v2, 0xfc, v0
	s_xor_b32 s3, s3, s19
	v_lshlrev_b32_e32 v10, 5, v0
	v_mbcnt_lo_u32_b32 v8, -1, 0
	s_and_b32 s2, s2, exec_lo
	v_cmp_gt_u32_e64 s2, 32, v0
	v_lshl_add_u32 v0, v9, 2, v4
	v_mul_lo_u32 v4, s18, v1
	v_add_nc_u32_e32 v9, v2, v10
	v_and_b32_e32 v10, 15, v8
	v_bfe_i32 v11, v8, 4, 1
	v_add_nc_u32_e32 v12, -1, v8
	s_cselect_b32 s17, s3, -1
	s_bitcmp1_b32 s14, 0
                                        ; implicit-def: $vgpr13
	s_cselect_b32 s3, -1, 0
	s_lshl_b32 s5, s18, 8
	s_branch .LBB87_21
.LBB87_19:                              ;   in Loop: Header=BB87_21 Depth=1
	s_or_b32 exec_lo, exec_lo, s14
	v_add_nc_u32_e32 v6, v16, v6
.LBB87_20:                              ;   in Loop: Header=BB87_21 Depth=1
	v_add_nc_u32_e32 v3, v15, v3
	v_add_nc_u32_e32 v4, s5, v4
	;; [unrolled: 1-line block ×3, first 2 shown]
	s_add_i32 s9, s9, -1
	s_cmp_lg_u32 s9, 0
	s_cbranch_scc0 .LBB87_40
.LBB87_21:                              ; =>This Inner Loop Header: Depth=1
	v_mov_b32_e32 v2, 0
	v_mov_b32_e32 v14, 0
	s_mov_b32 s14, exec_lo
	v_cmpx_gt_u32_e64 s12, v1
	s_cbranch_execz .LBB87_23
; %bb.22:                               ;   in Loop: Header=BB87_21 Depth=1
	v_lshlrev_b64 v[13:14], 2, v[4:5]
	v_add_co_u32 v13, vcc_lo, s6, v13
	v_add_co_ci_u32_e64 v14, null, s7, v14, vcc_lo
	global_load_dword v13, v[13:14], off
	s_waitcnt vmcnt(0)
	v_cmp_lt_i32_e32 vcc_lo, -1, v13
	v_cndmask_b32_e64 v2, -1, 0x80000000, vcc_lo
	v_cmp_o_f32_e32 vcc_lo, v13, v13
	v_xor_b32_e32 v2, v2, v13
	v_cndmask_b32_e32 v14, -1, v2, vcc_lo
	v_cmp_lt_u32_e32 vcc_lo, s17, v14
	v_cndmask_b32_e64 v2, 0, 1, vcc_lo
	v_cmp_gt_u32_e32 vcc_lo, s17, v14
	v_cndmask_b32_e64 v15, 0, 1, vcc_lo
	v_cmp_eq_u32_e32 vcc_lo, s17, v14
	v_cndmask_b32_e64 v2, v15, v2, s3
	v_cndmask_b32_e64 v14, 0, 1, vcc_lo
	v_and_b32_e32 v2, 1, v2
.LBB87_23:                              ;   in Loop: Header=BB87_21 Depth=1
	s_or_b32 exec_lo, exec_lo, s14
	ds_write_b32 v7, v2
	s_waitcnt lgkmcnt(0)
	s_barrier
	buffer_gl0_inv
	s_and_saveexec_b32 s14, s2
	s_cbranch_execz .LBB87_25
; %bb.24:                               ;   in Loop: Header=BB87_21 Depth=1
	ds_read2_b32 v[15:16], v9 offset1:1
	ds_read2_b32 v[17:18], v9 offset0:2 offset1:3
	ds_read2_b32 v[19:20], v9 offset0:4 offset1:5
	;; [unrolled: 1-line block ×3, first 2 shown]
	v_cmp_ne_u32_e32 vcc_lo, 0, v10
	; wave barrier
	s_waitcnt lgkmcnt(3)
	v_add_nc_u32_e32 v16, v16, v15
	s_waitcnt lgkmcnt(2)
	v_add3_u32 v16, v16, v17, v18
	s_waitcnt lgkmcnt(1)
	v_add3_u32 v16, v16, v19, v20
	;; [unrolled: 2-line block ×3, first 2 shown]
	v_mov_b32_dpp v17, v16 row_shr:1 row_mask:0xf bank_mask:0xf
	v_cndmask_b32_e32 v17, 0, v17, vcc_lo
	v_cmp_lt_u32_e32 vcc_lo, 1, v10
	v_add_nc_u32_e32 v16, v17, v16
	v_mov_b32_dpp v17, v16 row_shr:2 row_mask:0xf bank_mask:0xf
	v_cndmask_b32_e32 v17, 0, v17, vcc_lo
	v_cmp_lt_u32_e32 vcc_lo, 3, v10
	v_add_nc_u32_e32 v16, v16, v17
	;; [unrolled: 4-line block ×3, first 2 shown]
	v_mov_b32_dpp v17, v16 row_shr:8 row_mask:0xf bank_mask:0xf
	v_cndmask_b32_e32 v17, 0, v17, vcc_lo
	v_cmp_gt_i32_e32 vcc_lo, 0, v12
	v_add_nc_u32_e32 v16, v16, v17
	v_cndmask_b32_e32 v18, v12, v8, vcc_lo
	ds_swizzle_b32 v17, v16 offset:swizzle(BROADCAST,32,15)
	v_lshlrev_b32_e32 v18, 2, v18
	s_waitcnt lgkmcnt(0)
	v_and_b32_e32 v17, v11, v17
	v_add_nc_u32_e32 v16, v16, v17
	ds_bpermute_b32 v16, v18, v16
	s_waitcnt lgkmcnt(0)
	v_add_nc_u32_e32 v15, v16, v15
	v_cndmask_b32_e64 v21, v15, v2, s1
	ds_write_b32 v9, v21
	; wave barrier
	ds_read2_b32 v[15:16], v9 offset0:1 offset1:2
	ds_read2_b32 v[17:18], v9 offset0:3 offset1:4
	;; [unrolled: 1-line block ×3, first 2 shown]
	ds_read_b32 v22, v9 offset:28
	s_waitcnt lgkmcnt(3)
	v_add_nc_u32_e32 v15, v15, v21
	v_add_nc_u32_e32 v16, v16, v15
	s_waitcnt lgkmcnt(2)
	v_add_nc_u32_e32 v17, v17, v16
	v_add_nc_u32_e32 v18, v18, v17
	;; [unrolled: 3-line block ×3, first 2 shown]
	s_waitcnt lgkmcnt(0)
	v_add_nc_u32_e32 v21, v22, v20
	ds_write2_b32 v9, v15, v16 offset0:1 offset1:2
	ds_write2_b32 v9, v17, v18 offset0:3 offset1:4
	;; [unrolled: 1-line block ×3, first 2 shown]
	ds_write_b32 v9, v21 offset:28
.LBB87_25:                              ;   in Loop: Header=BB87_21 Depth=1
	s_or_b32 exec_lo, exec_lo, s14
	v_mov_b32_e32 v16, 0
	s_waitcnt lgkmcnt(0)
	s_barrier
	buffer_gl0_inv
	s_and_saveexec_b32 s14, s0
; %bb.26:                               ;   in Loop: Header=BB87_21 Depth=1
	ds_read_b32 v16, v0
; %bb.27:                               ;   in Loop: Header=BB87_21 Depth=1
	s_or_b32 exec_lo, exec_lo, s14
	ds_read_b32 v15, v5 offset:1048
	s_mov_b32 s14, exec_lo
	s_waitcnt lgkmcnt(0)
	s_barrier
	buffer_gl0_inv
	v_cmpx_ne_u32_e32 0, v2
	s_cbranch_execz .LBB87_29
; %bb.28:                               ;   in Loop: Header=BB87_21 Depth=1
	v_add_nc_u32_e32 v2, v16, v3
	v_mov_b32_e32 v17, v5
	v_mov_b32_e32 v19, v5
	v_mul_lo_u32 v16, v2, s4
	v_mul_lo_u32 v18, v2, s8
	v_mov_b32_e32 v2, v5
	v_lshlrev_b64 v[16:17], 2, v[16:17]
	v_lshlrev_b64 v[18:19], 3, v[18:19]
	v_add_co_u32 v16, vcc_lo, s10, v16
	v_add_co_ci_u32_e64 v17, null, s11, v17, vcc_lo
	v_add_co_u32 v18, vcc_lo, s15, v18
	v_add_co_ci_u32_e64 v19, null, s16, v19, vcc_lo
	global_store_dword v[16:17], v13, off
	global_store_dwordx2 v[18:19], v[1:2], off
.LBB87_29:                              ;   in Loop: Header=BB87_21 Depth=1
	s_or_b32 exec_lo, exec_lo, s14
	v_cmp_le_u32_e32 vcc_lo, s13, v6
	s_cbranch_vccnz .LBB87_20
; %bb.30:                               ;   in Loop: Header=BB87_21 Depth=1
	ds_write_b32 v7, v14
	s_waitcnt lgkmcnt(0)
	s_waitcnt_vscnt null, 0x0
	s_barrier
	buffer_gl0_inv
	s_and_saveexec_b32 s14, s2
	s_cbranch_execz .LBB87_32
; %bb.31:                               ;   in Loop: Header=BB87_21 Depth=1
	ds_read2_b32 v[16:17], v9 offset1:1
	ds_read2_b32 v[18:19], v9 offset0:2 offset1:3
	ds_read2_b32 v[20:21], v9 offset0:4 offset1:5
	;; [unrolled: 1-line block ×3, first 2 shown]
	v_cmp_ne_u32_e32 vcc_lo, 0, v10
	; wave barrier
	s_waitcnt lgkmcnt(3)
	v_add_nc_u32_e32 v2, v17, v16
	s_waitcnt lgkmcnt(2)
	v_add3_u32 v2, v2, v18, v19
	s_waitcnt lgkmcnt(1)
	v_add3_u32 v2, v2, v20, v21
	;; [unrolled: 2-line block ×3, first 2 shown]
	v_mov_b32_dpp v17, v2 row_shr:1 row_mask:0xf bank_mask:0xf
	v_cndmask_b32_e32 v17, 0, v17, vcc_lo
	v_cmp_lt_u32_e32 vcc_lo, 1, v10
	v_add_nc_u32_e32 v2, v17, v2
	v_mov_b32_dpp v17, v2 row_shr:2 row_mask:0xf bank_mask:0xf
	v_cndmask_b32_e32 v17, 0, v17, vcc_lo
	v_cmp_lt_u32_e32 vcc_lo, 3, v10
	v_add_nc_u32_e32 v2, v2, v17
	;; [unrolled: 4-line block ×3, first 2 shown]
	v_mov_b32_dpp v17, v2 row_shr:8 row_mask:0xf bank_mask:0xf
	v_cndmask_b32_e32 v17, 0, v17, vcc_lo
	v_cmp_gt_i32_e32 vcc_lo, 0, v12
	v_add_nc_u32_e32 v2, v2, v17
	v_cndmask_b32_e32 v18, v12, v8, vcc_lo
	ds_swizzle_b32 v17, v2 offset:swizzle(BROADCAST,32,15)
	v_lshlrev_b32_e32 v18, 2, v18
	s_waitcnt lgkmcnt(0)
	v_and_b32_e32 v17, v11, v17
	v_add_nc_u32_e32 v2, v2, v17
	ds_bpermute_b32 v2, v18, v2
	s_waitcnt lgkmcnt(0)
	v_add_nc_u32_e32 v2, v2, v16
	v_cndmask_b32_e64 v2, v2, v14, s1
	ds_write_b32 v9, v2
	; wave barrier
	ds_read2_b32 v[16:17], v9 offset0:1 offset1:2
	ds_read2_b32 v[18:19], v9 offset0:3 offset1:4
	;; [unrolled: 1-line block ×3, first 2 shown]
	ds_read_b32 v22, v9 offset:28
	s_waitcnt lgkmcnt(3)
	v_add_nc_u32_e32 v2, v16, v2
	v_add_nc_u32_e32 v16, v17, v2
	s_waitcnt lgkmcnt(2)
	v_add_nc_u32_e32 v17, v18, v16
	v_add_nc_u32_e32 v18, v19, v17
	;; [unrolled: 3-line block ×3, first 2 shown]
	s_waitcnt lgkmcnt(0)
	v_add_nc_u32_e32 v21, v22, v20
	ds_write2_b32 v9, v2, v16 offset0:1 offset1:2
	ds_write2_b32 v9, v17, v18 offset0:3 offset1:4
	;; [unrolled: 1-line block ×3, first 2 shown]
	ds_write_b32 v9, v21 offset:28
.LBB87_32:                              ;   in Loop: Header=BB87_21 Depth=1
	s_or_b32 exec_lo, exec_lo, s14
	v_mov_b32_e32 v2, 0
	s_waitcnt lgkmcnt(0)
	s_barrier
	buffer_gl0_inv
	s_and_saveexec_b32 s14, s0
; %bb.33:                               ;   in Loop: Header=BB87_21 Depth=1
	ds_read_b32 v2, v0
; %bb.34:                               ;   in Loop: Header=BB87_21 Depth=1
	s_or_b32 exec_lo, exec_lo, s14
	ds_read_b32 v16, v5 offset:1048
	s_mov_b32 s14, exec_lo
	s_waitcnt lgkmcnt(0)
	s_barrier
	buffer_gl0_inv
	v_cmpx_ne_u32_e32 0, v14
	s_cbranch_execz .LBB87_19
; %bb.35:                               ;   in Loop: Header=BB87_21 Depth=1
	v_add_nc_u32_e32 v2, v2, v6
	v_cmp_gt_u32_e32 vcc_lo, s13, v2
	s_and_b32 exec_lo, exec_lo, vcc_lo
	s_cbranch_execz .LBB87_19
; %bb.36:                               ;   in Loop: Header=BB87_21 Depth=1
	v_mul_lo_u32 v17, v2, s4
	v_mul_lo_u32 v19, v2, s8
	v_mov_b32_e32 v18, v5
	v_mov_b32_e32 v20, v5
	;; [unrolled: 1-line block ×3, first 2 shown]
	v_lshlrev_b64 v[17:18], 2, v[17:18]
	v_lshlrev_b64 v[19:20], 3, v[19:20]
	v_add_co_u32 v17, vcc_lo, s10, v17
	v_add_co_ci_u32_e64 v18, null, s11, v18, vcc_lo
	v_add_co_u32 v19, vcc_lo, s15, v19
	v_add_co_ci_u32_e64 v20, null, s16, v20, vcc_lo
	global_store_dword v[17:18], v13, off
	global_store_dwordx2 v[19:20], v[1:2], off
	s_branch .LBB87_19
	.p2align	6
.LBB87_37:                              ;   in Loop: Header=BB87_38 Depth=1
	s_add_u32 s28, s28, 4
	s_addc_u32 s29, s29, 0
	s_waitcnt lgkmcnt(0)
	s_add_i32 s53, s13, s53
	s_add_u32 s30, s30, 4
	s_addc_u32 s31, s31, 0
	s_add_i32 s12, s12, 1
	s_cmp_lt_u32 s12, s10
	s_cbranch_scc0 .LBB87_16
.LBB87_38:                              ; =>This Inner Loop Header: Depth=1
	s_load_dword s13, s[28:29], 0x0
	s_cmp_ge_u32 s12, s11
	s_cbranch_scc1 .LBB87_37
; %bb.39:                               ;   in Loop: Header=BB87_38 Depth=1
	s_load_dword s14, s[30:31], 0x0
	s_waitcnt lgkmcnt(0)
	s_add_i32 s41, s13, s41
	s_add_i32 s52, s14, s52
	s_branch .LBB87_37
.LBB87_40:
	s_endpgm
	.section	.rodata,"a",@progbits
	.p2align	6, 0x0
	.amdhsa_kernel _ZN2at6native6mbtopk10gatherTopKIfjLi3EEEvNS_4cuda6detail10TensorInfoIKT_T0_EES8_S8_bjS8_NS5_IS6_S8_EES8_NS5_IlS8_EES8_jjPS6_PjSD_j
		.amdhsa_group_segment_fixed_size 1068
		.amdhsa_private_segment_fixed_size 0
		.amdhsa_kernarg_size 984
		.amdhsa_user_sgpr_count 6
		.amdhsa_user_sgpr_private_segment_buffer 1
		.amdhsa_user_sgpr_dispatch_ptr 0
		.amdhsa_user_sgpr_queue_ptr 0
		.amdhsa_user_sgpr_kernarg_segment_ptr 1
		.amdhsa_user_sgpr_dispatch_id 0
		.amdhsa_user_sgpr_flat_scratch_init 0
		.amdhsa_user_sgpr_private_segment_size 0
		.amdhsa_wavefront_size32 1
		.amdhsa_uses_dynamic_stack 0
		.amdhsa_system_sgpr_private_segment_wavefront_offset 0
		.amdhsa_system_sgpr_workgroup_id_x 1
		.amdhsa_system_sgpr_workgroup_id_y 1
		.amdhsa_system_sgpr_workgroup_id_z 1
		.amdhsa_system_sgpr_workgroup_info 0
		.amdhsa_system_vgpr_workitem_id 0
		.amdhsa_next_free_vgpr 24
		.amdhsa_next_free_sgpr 57
		.amdhsa_reserve_vcc 1
		.amdhsa_reserve_flat_scratch 0
		.amdhsa_float_round_mode_32 0
		.amdhsa_float_round_mode_16_64 0
		.amdhsa_float_denorm_mode_32 3
		.amdhsa_float_denorm_mode_16_64 3
		.amdhsa_dx10_clamp 1
		.amdhsa_ieee_mode 1
		.amdhsa_fp16_overflow 0
		.amdhsa_workgroup_processor_mode 1
		.amdhsa_memory_ordered 1
		.amdhsa_forward_progress 1
		.amdhsa_shared_vgpr_count 0
		.amdhsa_exception_fp_ieee_invalid_op 0
		.amdhsa_exception_fp_denorm_src 0
		.amdhsa_exception_fp_ieee_div_zero 0
		.amdhsa_exception_fp_ieee_overflow 0
		.amdhsa_exception_fp_ieee_underflow 0
		.amdhsa_exception_fp_ieee_inexact 0
		.amdhsa_exception_int_div_zero 0
	.end_amdhsa_kernel
	.section	.text._ZN2at6native6mbtopk10gatherTopKIfjLi3EEEvNS_4cuda6detail10TensorInfoIKT_T0_EES8_S8_bjS8_NS5_IS6_S8_EES8_NS5_IlS8_EES8_jjPS6_PjSD_j,"axG",@progbits,_ZN2at6native6mbtopk10gatherTopKIfjLi3EEEvNS_4cuda6detail10TensorInfoIKT_T0_EES8_S8_bjS8_NS5_IS6_S8_EES8_NS5_IlS8_EES8_jjPS6_PjSD_j,comdat
.Lfunc_end87:
	.size	_ZN2at6native6mbtopk10gatherTopKIfjLi3EEEvNS_4cuda6detail10TensorInfoIKT_T0_EES8_S8_bjS8_NS5_IS6_S8_EES8_NS5_IlS8_EES8_jjPS6_PjSD_j, .Lfunc_end87-_ZN2at6native6mbtopk10gatherTopKIfjLi3EEEvNS_4cuda6detail10TensorInfoIKT_T0_EES8_S8_bjS8_NS5_IS6_S8_EES8_NS5_IlS8_EES8_jjPS6_PjSD_j
                                        ; -- End function
	.set _ZN2at6native6mbtopk10gatherTopKIfjLi3EEEvNS_4cuda6detail10TensorInfoIKT_T0_EES8_S8_bjS8_NS5_IS6_S8_EES8_NS5_IlS8_EES8_jjPS6_PjSD_j.num_vgpr, 24
	.set _ZN2at6native6mbtopk10gatherTopKIfjLi3EEEvNS_4cuda6detail10TensorInfoIKT_T0_EES8_S8_bjS8_NS5_IS6_S8_EES8_NS5_IlS8_EES8_jjPS6_PjSD_j.num_agpr, 0
	.set _ZN2at6native6mbtopk10gatherTopKIfjLi3EEEvNS_4cuda6detail10TensorInfoIKT_T0_EES8_S8_bjS8_NS5_IS6_S8_EES8_NS5_IlS8_EES8_jjPS6_PjSD_j.numbered_sgpr, 57
	.set _ZN2at6native6mbtopk10gatherTopKIfjLi3EEEvNS_4cuda6detail10TensorInfoIKT_T0_EES8_S8_bjS8_NS5_IS6_S8_EES8_NS5_IlS8_EES8_jjPS6_PjSD_j.num_named_barrier, 0
	.set _ZN2at6native6mbtopk10gatherTopKIfjLi3EEEvNS_4cuda6detail10TensorInfoIKT_T0_EES8_S8_bjS8_NS5_IS6_S8_EES8_NS5_IlS8_EES8_jjPS6_PjSD_j.private_seg_size, 0
	.set _ZN2at6native6mbtopk10gatherTopKIfjLi3EEEvNS_4cuda6detail10TensorInfoIKT_T0_EES8_S8_bjS8_NS5_IS6_S8_EES8_NS5_IlS8_EES8_jjPS6_PjSD_j.uses_vcc, 1
	.set _ZN2at6native6mbtopk10gatherTopKIfjLi3EEEvNS_4cuda6detail10TensorInfoIKT_T0_EES8_S8_bjS8_NS5_IS6_S8_EES8_NS5_IlS8_EES8_jjPS6_PjSD_j.uses_flat_scratch, 0
	.set _ZN2at6native6mbtopk10gatherTopKIfjLi3EEEvNS_4cuda6detail10TensorInfoIKT_T0_EES8_S8_bjS8_NS5_IS6_S8_EES8_NS5_IlS8_EES8_jjPS6_PjSD_j.has_dyn_sized_stack, 0
	.set _ZN2at6native6mbtopk10gatherTopKIfjLi3EEEvNS_4cuda6detail10TensorInfoIKT_T0_EES8_S8_bjS8_NS5_IS6_S8_EES8_NS5_IlS8_EES8_jjPS6_PjSD_j.has_recursion, 0
	.set _ZN2at6native6mbtopk10gatherTopKIfjLi3EEEvNS_4cuda6detail10TensorInfoIKT_T0_EES8_S8_bjS8_NS5_IS6_S8_EES8_NS5_IlS8_EES8_jjPS6_PjSD_j.has_indirect_call, 0
	.section	.AMDGPU.csdata,"",@progbits
; Kernel info:
; codeLenInByte = 2960
; TotalNumSgprs: 59
; NumVgprs: 24
; ScratchSize: 0
; MemoryBound: 0
; FloatMode: 240
; IeeeMode: 1
; LDSByteSize: 1068 bytes/workgroup (compile time only)
; SGPRBlocks: 0
; VGPRBlocks: 2
; NumSGPRsForWavesPerEU: 59
; NumVGPRsForWavesPerEU: 24
; Occupancy: 16
; WaveLimiterHint : 1
; COMPUTE_PGM_RSRC2:SCRATCH_EN: 0
; COMPUTE_PGM_RSRC2:USER_SGPR: 6
; COMPUTE_PGM_RSRC2:TRAP_HANDLER: 0
; COMPUTE_PGM_RSRC2:TGID_X_EN: 1
; COMPUTE_PGM_RSRC2:TGID_Y_EN: 1
; COMPUTE_PGM_RSRC2:TGID_Z_EN: 1
; COMPUTE_PGM_RSRC2:TIDIG_COMP_CNT: 0
	.section	.text._ZN2at6native6sbtopk10gatherTopKIfjLi3ELb0EEEvNS_4cuda6detail10TensorInfoIKT_T0_EES8_S8_bS8_S8_NS5_IS6_S8_EES8_NS5_IlS8_EES8_PS6_,"axG",@progbits,_ZN2at6native6sbtopk10gatherTopKIfjLi3ELb0EEEvNS_4cuda6detail10TensorInfoIKT_T0_EES8_S8_bS8_S8_NS5_IS6_S8_EES8_NS5_IlS8_EES8_PS6_,comdat
	.protected	_ZN2at6native6sbtopk10gatherTopKIfjLi3ELb0EEEvNS_4cuda6detail10TensorInfoIKT_T0_EES8_S8_bS8_S8_NS5_IS6_S8_EES8_NS5_IlS8_EES8_PS6_ ; -- Begin function _ZN2at6native6sbtopk10gatherTopKIfjLi3ELb0EEEvNS_4cuda6detail10TensorInfoIKT_T0_EES8_S8_bS8_S8_NS5_IS6_S8_EES8_NS5_IlS8_EES8_PS6_
	.globl	_ZN2at6native6sbtopk10gatherTopKIfjLi3ELb0EEEvNS_4cuda6detail10TensorInfoIKT_T0_EES8_S8_bS8_S8_NS5_IS6_S8_EES8_NS5_IlS8_EES8_PS6_
	.p2align	8
	.type	_ZN2at6native6sbtopk10gatherTopKIfjLi3ELb0EEEvNS_4cuda6detail10TensorInfoIKT_T0_EES8_S8_bS8_S8_NS5_IS6_S8_EES8_NS5_IlS8_EES8_PS6_,@function
_ZN2at6native6sbtopk10gatherTopKIfjLi3ELb0EEEvNS_4cuda6detail10TensorInfoIKT_T0_EES8_S8_bS8_S8_NS5_IS6_S8_EES8_NS5_IlS8_EES8_PS6_: ; @_ZN2at6native6sbtopk10gatherTopKIfjLi3ELb0EEEvNS_4cuda6detail10TensorInfoIKT_T0_EES8_S8_bS8_S8_NS5_IS6_S8_EES8_NS5_IlS8_EES8_PS6_
; %bb.0:
	s_clause 0x1
	s_load_dwordx2 s[12:13], s[4:5], 0x2b8
	s_load_dwordx4 s[36:39], s[4:5], 0xd8
	s_add_u32 s10, s4, 0x2b8
	s_addc_u32 s11, s5, 0
	s_waitcnt lgkmcnt(0)
	s_mul_i32 s0, s13, s8
	s_add_i32 s0, s0, s7
	s_mul_i32 s56, s0, s12
	s_add_i32 s56, s56, s6
	s_cmp_ge_u32 s56, s39
	s_cbranch_scc1 .LBB88_411
; %bb.1:
	s_clause 0x9
	s_load_dwordx2 s[14:15], s[4:5], 0xc
	s_load_dwordx2 s[52:53], s[4:5], 0xfc
	;; [unrolled: 1-line block ×4, first 2 shown]
	s_load_dwordx4 s[40:43], s[4:5], 0x23c
	s_load_dwordx2 s[34:35], s[4:5], 0x1d0
	s_load_dwordx4 s[44:47], s[4:5], 0x15c
	s_load_dwordx2 s[48:49], s[4:5], 0xf0
	s_load_dword s30, s[4:5], 0xe8
	s_load_dwordx4 s[0:3], s[4:5], 0x6c
	s_mov_b32 s55, 0
	s_waitcnt lgkmcnt(0)
	v_cvt_f32_u32_e32 v1, s15
	v_cvt_f32_u32_e32 v3, s53
	;; [unrolled: 1-line block ×3, first 2 shown]
	s_sub_i32 s3, 0, s15
	v_cvt_f32_u32_e32 v5, s51
	v_rcp_iflag_f32_e32 v1, v1
	v_rcp_iflag_f32_e32 v3, v3
	;; [unrolled: 1-line block ×3, first 2 shown]
	v_cvt_f32_u32_e32 v4, s52
	v_rcp_iflag_f32_e32 v5, v5
	v_cvt_f32_u32_e32 v6, s50
	v_rcp_iflag_f32_e32 v4, v4
	v_mul_f32_e32 v1, 0x4f7ffffe, v1
	v_mul_f32_e32 v3, 0x4f7ffffe, v3
	;; [unrolled: 1-line block ×4, first 2 shown]
	v_cvt_u32_f32_e32 v1, v1
	v_cvt_u32_f32_e32 v3, v3
	v_cvt_u32_f32_e32 v2, v2
	v_mul_f32_e32 v4, 0x4f7ffffe, v4
	v_readfirstlane_b32 s7, v1
	v_readfirstlane_b32 s17, v3
	v_rcp_iflag_f32_e32 v1, v6
	v_cvt_u32_f32_e32 v3, v4
	s_mul_i32 s3, s3, s7
	s_mul_hi_u32 s3, s7, s3
	s_add_i32 s7, s7, s3
	s_mul_hi_u32 s3, s56, s7
	v_mul_f32_e32 v1, 0x4f7ffffe, v1
	s_mul_i32 s7, s3, s15
	s_add_i32 s13, s3, 1
	s_sub_i32 s7, s56, s7
	v_cvt_u32_f32_e32 v1, v1
	s_sub_i32 s16, s7, s15
	s_cmp_ge_u32 s7, s15
	s_cselect_b32 s3, s13, s3
	s_cselect_b32 s7, s16, s7
	s_add_i32 s13, s3, 1
	s_cmp_ge_u32 s7, s15
	v_readfirstlane_b32 s20, v1
	s_cselect_b32 s7, s13, s3
	s_sub_i32 s3, 0, s53
	v_readfirstlane_b32 s13, v2
	s_mul_i32 s3, s3, s17
	s_sub_i32 s16, 0, s14
	s_mul_hi_u32 s3, s17, s3
	v_cvt_u32_f32_e32 v2, v5
	s_add_i32 s17, s17, s3
	s_mul_i32 s16, s16, s13
	s_mul_hi_u32 s3, s56, s17
	s_mul_hi_u32 s16, s13, s16
	s_mul_i32 s17, s3, s53
	s_add_i32 s13, s13, s16
	s_sub_i32 s16, s56, s17
	s_add_i32 s17, s3, 1
	s_sub_i32 s18, s16, s53
	s_cmp_ge_u32 s16, s53
	v_readfirstlane_b32 s19, v2
	s_cselect_b32 s3, s17, s3
	s_cselect_b32 s16, s18, s16
	s_add_i32 s17, s3, 1
	s_cmp_ge_u32 s16, s53
	v_readfirstlane_b32 s16, v3
	s_cselect_b32 s58, s17, s3
	s_sub_i32 s3, 0, s51
	s_sub_i32 s17, 0, s52
	s_mul_i32 s3, s3, s19
	s_mul_i32 s17, s17, s16
	s_mul_hi_u32 s3, s19, s3
	s_mul_hi_u32 s17, s16, s17
	s_add_i32 s19, s19, s3
	s_add_i32 s16, s16, s17
	s_mul_hi_u32 s3, s56, s19
	s_mul_hi_u32 s13, s7, s13
	s_mul_i32 s18, s3, s51
	s_mul_hi_u32 s60, s58, s16
	s_sub_i32 s17, s56, s18
	s_add_i32 s18, s3, 1
	s_sub_i32 s19, s17, s51
	s_cmp_ge_u32 s17, s51
	s_cselect_b32 s3, s18, s3
	s_cselect_b32 s17, s19, s17
	s_add_i32 s18, s3, 1
	s_cmp_ge_u32 s17, s51
	s_cselect_b32 s57, s18, s3
	s_sub_i32 s3, 0, s50
	s_mul_i32 s3, s3, s20
	s_mul_hi_u32 s17, s20, s3
	v_cmp_eq_u32_e64 s3, 0, v0
	s_add_i32 s20, s20, s17
	s_mul_hi_u32 s59, s57, s20
	s_and_saveexec_b32 s16, s3
	s_cbranch_execz .LBB88_3
; %bb.2:
	v_mov_b32_e32 v1, 0
	v_mov_b32_e32 v2, s36
	;; [unrolled: 1-line block ×3, first 2 shown]
	ds_write_b96 v1, v[1:3] offset:4096
.LBB88_3:
	s_or_b32 exec_lo, exec_lo, s16
	s_mul_i32 s16, s13, s14
	s_mul_i32 s15, s7, s15
	s_sub_i32 s16, s7, s16
	s_sub_i32 s15, s56, s15
	s_add_i32 s17, s13, 1
	s_sub_i32 s18, s16, s14
	s_cmp_ge_u32 s16, s14
	s_waitcnt lgkmcnt(0)
	s_cselect_b32 s13, s17, s13
	s_cselect_b32 s16, s18, s16
	s_add_i32 s17, s13, 1
	s_cmp_ge_u32 s16, s14
	s_barrier
	buffer_gl0_inv
	s_load_dword s16, s[10:11], 0xc
	s_cselect_b32 s13, s17, s13
	s_mul_i32 s15, s15, s2
	s_mul_i32 s14, s13, s14
	;; [unrolled: 1-line block ×3, first 2 shown]
	s_sub_i32 s7, s7, s14
	v_mbcnt_lo_u32_b32 v17, -1, 0
	s_mul_i32 s1, s7, s1
	v_cmp_gt_u32_e32 vcc_lo, 32, v0
	s_add_i32 s0, s1, s15
	v_mov_b32_e32 v9, 0
	s_add_i32 s54, s0, s13
	v_mul_lo_u32 v7, s30, v0
	s_lshl_b64 s[0:1], s[54:55], 2
	v_lshlrev_b32_e32 v18, 2, v0
	s_add_u32 s31, s8, s0
	s_addc_u32 s33, s9, s1
	s_bitcmp1_b32 s38, 0
	v_cmp_gt_i32_e64 s0, 4, v17
	s_cselect_b32 s1, -1, 0
	s_waitcnt lgkmcnt(0)
	s_and_b32 s43, s16, 0xffff
	s_xor_b32 s54, s1, -1
	s_lshl_b32 s61, s43, 2
	s_bfe_u32 s2, s43, 0x80008
	v_cvt_f32_u32_e32 v1, s61
	s_lshl_b32 s62, s2, 3
	s_bfe_u32 s2, s16, 0xb0005
	s_and_b32 s63, vcc_lo, s0
	s_cmpk_gt_u32 s36, 0x300
	v_rcp_iflag_f32_e32 v1, v1
	s_cselect_b32 s64, -1, 0
	s_cmp_gt_u32 s43, 31
	v_mov_b32_e32 v8, v9
	s_cselect_b32 s65, -1, 0
	s_add_i32 s66, s43, -1
	v_mad_u64_u32 v[12:13], null, s30, v18, s[30:31]
	s_add_i32 s9, s66, s36
	s_cmp_lt_u32 s6, s12
	v_mul_f32_e32 v1, 0x4f7ffffe, v1
	s_cselect_b32 s0, 12, 18
	v_add_nc_u32_e32 v20, 0xc00, v18
	s_add_u32 s38, s10, s0
	s_addc_u32 s39, s11, 0
	s_add_i32 s2, s2, -1
	v_cvt_u32_f32_e32 v1, v1
	s_and_b32 s0, s2, 0xffff
	s_bfe_u32 s67, s43, 0x30005
	s_cmp_gt_u32 s0, 6
	v_lshlrev_b32_e32 v25, 2, v7
	v_readfirstlane_b32 s0, v1
	s_cselect_b32 s68, -1, 0
	s_cmp_lg_u32 s67, 0
	v_cvt_f32_u32_e32 v1, s43
	s_cselect_b32 s69, -1, 0
	s_sub_i32 s2, 0, s61
	v_lshlrev_b32_e32 v27, 4, v0
	s_mul_i32 s2, s2, s0
	v_rcp_iflag_f32_e32 v3, v1
	s_mul_hi_u32 s2, s0, s2
	v_lshlrev_b64 v[1:2], 2, v[7:8]
	s_add_i32 s70, s0, s2
	v_cmp_eq_u32_e64 s0, 0, v17
	s_mul_hi_u32 s2, s36, s70
	v_lshl_or_b32 v28, v17, 2, 0xc00
	s_mul_i32 s6, s2, s61
	v_add_co_u32 v5, vcc_lo, s31, v1
	s_sub_i32 s6, s36, s6
	v_mul_f32_e32 v3, 0x4f7ffffe, v3
	s_sub_i32 s7, s6, s61
	s_cmp_ge_u32 s6, s61
	v_add_co_ci_u32_e64 v6, null, s33, v2, vcc_lo
	s_cselect_b32 s7, s7, s6
	v_cvt_u32_f32_e32 v1, v3
	s_sub_i32 s8, s7, s61
	s_cmp_ge_u32 s7, s61
	v_or_b32_e32 v3, 3, v18
	s_cselect_b32 s11, s8, s7
	v_readfirstlane_b32 s10, v1
	s_sub_i32 s71, s36, s11
	v_lshlrev_b64 v[1:2], v17, -1
	v_add_nc_u32_e32 v19, s71, v0
	s_sub_i32 s7, 0, s43
	s_movk_i32 s8, 0x1f0
	s_mul_i32 s7, s7, s10
	v_mul_lo_u32 v24, s30, v3
	v_mul_lo_u32 v8, v19, s30
	v_not_b32_e32 v16, v1
	v_lshrrev_b32_e32 v1, 1, v0
	s_mul_hi_u32 s7, s10, s7
	v_cmp_gt_u32_e64 s2, s36, v0
	s_add_i32 s72, s10, s7
	v_cmp_gt_u32_e64 s6, 2, v0
	v_and_or_b32 v21, v1, s8, 0xc00
	v_lshlrev_b64 v[1:2], 2, v[8:9]
	s_mul_hi_u32 s7, s9, s72
	v_mov_b32_e32 v30, s37
	s_mul_i32 s7, s7, s43
	v_mov_b32_e32 v13, 1.0
	s_sub_i32 s7, s9, s7
	v_add_co_u32 v10, vcc_lo, s31, v1
	v_add3_u32 v1, s43, s36, v0
	s_sub_i32 s10, s7, s43
	s_cmp_ge_u32 s7, s43
	v_add_co_ci_u32_e64 v11, null, s33, v2, vcc_lo
	s_cselect_b32 s8, s10, s7
	v_or_b32_e32 v2, 2, v18
	v_subrev_nc_u32_e32 v1, s11, v1
	s_sub_i32 s10, s8, s43
	s_cmp_ge_u32 s8, s43
	v_cmp_gt_u32_e64 s7, s71, v18
	s_cselect_b32 s10, s10, s8
	v_mul_lo_u32 v23, s30, v2
	v_mul_lo_u32 v26, s30, v1
	s_sub_i32 s73, s9, s10
	v_cmp_gt_u32_e64 s8, s36, v19
	v_cmp_gt_u32_e64 s9, s73, v0
	v_mov_b32_e32 v15, 0
	v_mov_b32_e32 v22, 0
	;; [unrolled: 1-line block ×3, first 2 shown]
	s_mul_i32 s47, s30, s43
	s_lshl_b32 s75, s43, 4
	s_lshl_b32 s74, s47, 2
	s_mov_b32 s81, 30
	s_mov_b32 s77, 0
                                        ; implicit-def: $sgpr76
                                        ; implicit-def: $sgpr80
                                        ; implicit-def: $sgpr79
                                        ; implicit-def: $sgpr82
                                        ; implicit-def: $sgpr78
                                        ; implicit-def: $sgpr86
                                        ; implicit-def: $sgpr87
                                        ; implicit-def: $sgpr83
                                        ; implicit-def: $sgpr85
                                        ; implicit-def: $sgpr84
	s_branch .LBB88_6
.LBB88_4:                               ;   in Loop: Header=BB88_6 Depth=1
	s_or_b32 exec_lo, exec_lo, s13
	v_mov_b32_e32 v30, v32
	s_andn2_b32 s13, s84, exec_lo
	s_and_b32 s12, s12, exec_lo
	s_andn2_b32 s85, s85, exec_lo
	s_or_b32 s84, s13, s12
	s_andn2_b32 s83, s83, exec_lo
	s_andn2_b32 s87, s87, exec_lo
	;; [unrolled: 1-line block ×3, first 2 shown]
	s_orn2_b32 s13, s11, exec_lo
.LBB88_5:                               ;   in Loop: Header=BB88_6 Depth=1
	s_or_b32 exec_lo, exec_lo, s10
	s_and_b32 s10, exec_lo, s13
	s_or_b32 s55, s10, s55
	s_andn2_b32 s10, s78, exec_lo
	s_and_b32 s11, s84, exec_lo
	s_andn2_b32 s12, s82, exec_lo
	s_or_b32 s78, s10, s11
	s_and_b32 s10, s85, exec_lo
	s_andn2_b32 s11, s79, exec_lo
	s_and_b32 s13, s83, exec_lo
	s_or_b32 s82, s12, s10
	s_or_b32 s79, s11, s13
	s_andn2_b32 s10, s80, exec_lo
	s_and_b32 s11, s87, exec_lo
	s_andn2_b32 s12, s76, exec_lo
	s_and_b32 s13, s86, exec_lo
	s_or_b32 s80, s10, s11
	s_or_b32 s76, s12, s13
	s_andn2_b32 exec_lo, exec_lo, s55
	s_cbranch_execz .LBB88_407
.LBB88_6:                               ; =>This Loop Header: Depth=1
                                        ;     Child Loop BB88_12 Depth 2
                                        ;     Child Loop BB88_25 Depth 2
	;; [unrolled: 1-line block ×24, first 2 shown]
	ds_read_b64 v[1:2], v9 offset:4096
	s_waitcnt lgkmcnt(0)
	v_readfirstlane_b32 s88, v1
	s_cmp_lg_u32 s88, 0
	s_cbranch_scc1 .LBB88_33
; %bb.7:                                ;   in Loop: Header=BB88_6 Depth=1
	s_and_b32 vcc_lo, exec_lo, s64
	s_cbranch_vccz .LBB88_20
; %bb.8:                                ;   in Loop: Header=BB88_6 Depth=1
	v_cmp_gt_u32_e32 vcc_lo, 0x301, v2
	s_mov_b32 s12, 0
	s_mov_b32 s10, 0
	s_cbranch_vccz .LBB88_21
; %bb.9:                                ;   in Loop: Header=BB88_6 Depth=1
	s_and_saveexec_b32 s13, s2
	s_cbranch_execz .LBB88_81
; %bb.10:                               ;   in Loop: Header=BB88_6 Depth=1
	global_load_ushort v1, v9, s[38:39]
	global_load_dword v3, v[5:6], off
	v_mov_b32_e32 v4, v0
	s_mov_b32 s14, 0
	s_waitcnt vmcnt(1)
	v_add_nc_u32_e32 v2, v0, v1
	v_mul_lo_u32 v8, s30, v2
	v_mul_lo_u32 v2, s30, v1
	s_branch .LBB88_12
.LBB88_11:                              ;   in Loop: Header=BB88_12 Depth=2
	s_or_b32 exec_lo, exec_lo, s11
	v_add_nc_u32_e32 v8, v8, v2
	v_mov_b32_e32 v3, v14
	s_andn2_b32 exec_lo, exec_lo, s14
	s_cbranch_execz .LBB88_81
.LBB88_12:                              ;   Parent Loop BB88_6 Depth=1
                                        ; =>  This Inner Loop Header: Depth=2
	v_add_nc_u32_e32 v4, v4, v1
	s_waitcnt lgkmcnt(0)
	v_mov_b32_e32 v31, 0
	v_mov_b32_e32 v14, 0
	s_mov_b32 s11, exec_lo
	v_cmp_le_u32_e32 vcc_lo, s36, v4
	v_cmpx_gt_u32_e64 s36, v4
	s_cbranch_execz .LBB88_14
; %bb.13:                               ;   in Loop: Header=BB88_12 Depth=2
	v_lshlrev_b64 v[32:33], 2, v[8:9]
	v_add_co_u32 v32, s10, s31, v32
	v_add_co_ci_u32_e64 v33, null, s33, v33, s10
	global_load_dword v14, v[32:33], off
.LBB88_14:                              ;   in Loop: Header=BB88_12 Depth=2
	s_or_b32 exec_lo, exec_lo, s11
	s_waitcnt vmcnt(0)
	v_cmp_lt_i32_e64 s10, -1, v3
	v_cndmask_b32_e64 v32, -1, 0x80000000, s10
	v_cmp_o_f32_e64 s10, v3, v3
	v_xor_b32_e32 v32, v32, v3
	v_cndmask_b32_e64 v32, -1, v32, s10
	v_and_b32_e32 v32, v32, v29
	v_cmp_eq_u32_e64 s10, v32, v22
	s_cmp_lg_u32 s10, 0
	s_cselect_b32 s11, -1, 0
	s_and_b32 s11, s0, s11
	s_and_saveexec_b32 s15, s11
	s_cbranch_execz .LBB88_18
; %bb.15:                               ;   in Loop: Header=BB88_12 Depth=2
	s_mov_b32 s18, exec_lo
	s_bcnt1_i32_b32 s16, s10
	v_mbcnt_lo_u32_b32 v31, s18, 0
	s_mov_b32 s17, exec_lo
                                        ; implicit-def: $vgpr32
	v_cmpx_eq_u32_e32 0, v31
; %bb.16:                               ;   in Loop: Header=BB88_12 Depth=2
	s_bcnt1_i32_b32 s11, s18
	s_mul_i32 s11, s16, s11
	v_mov_b32_e32 v32, s11
	ds_add_rtn_u32 v32, v9, v32 offset:4104
; %bb.17:                               ;   in Loop: Header=BB88_12 Depth=2
	s_or_b32 exec_lo, exec_lo, s17
	s_waitcnt lgkmcnt(0)
	v_readfirstlane_b32 s11, v32
	v_mad_u32_u24 v31, s16, v31, s11
.LBB88_18:                              ;   in Loop: Header=BB88_12 Depth=2
	s_or_b32 exec_lo, exec_lo, s15
	ds_bpermute_b32 v31, v9, v31
	s_and_b32 s11, exec_lo, vcc_lo
	s_or_b32 s14, s11, s14
	s_and_saveexec_b32 s11, s10
	s_cbranch_execz .LBB88_11
; %bb.19:                               ;   in Loop: Header=BB88_12 Depth=2
	v_and_b32_e32 v32, s10, v16
	v_bcnt_u32_b32 v32, v32, 0
	v_lshlrev_b32_e32 v32, 2, v32
	s_waitcnt lgkmcnt(0)
	v_lshl_add_u32 v31, v31, 2, v32
	ds_write_b32 v31, v3
	s_branch .LBB88_11
.LBB88_20:                              ;   in Loop: Header=BB88_6 Depth=1
	s_mov_b32 s12, -1
	s_mov_b32 s10, 0
.LBB88_21:                              ;   in Loop: Header=BB88_6 Depth=1
	s_and_b32 vcc_lo, exec_lo, s12
	s_cbranch_vccz .LBB88_31
.LBB88_22:                              ;   in Loop: Header=BB88_6 Depth=1
	s_and_saveexec_b32 s10, s2
	s_cbranch_execz .LBB88_28
; %bb.23:                               ;   in Loop: Header=BB88_6 Depth=1
	global_load_ushort v1, v9, s[38:39]
	global_load_dword v3, v[5:6], off
	v_mov_b32_e32 v2, v0
	s_mov_b32 s11, exec_lo
	s_waitcnt vmcnt(1)
	v_add_nc_u32_e32 v4, v0, v1
	v_cmpx_gt_u32_e64 s36, v4
	s_cbranch_execz .LBB88_27
; %bb.24:                               ;   in Loop: Header=BB88_6 Depth=1
	v_mul_lo_u32 v8, s30, v4
	v_mul_lo_u32 v4, s30, v1
	v_lshlrev_b32_e32 v14, 2, v1
	v_mov_b32_e32 v31, v18
	v_mov_b32_e32 v2, v0
	s_mov_b32 s12, 0
	.p2align	6
.LBB88_25:                              ;   Parent Loop BB88_6 Depth=1
                                        ; =>  This Inner Loop Header: Depth=2
	v_lshlrev_b64 v[32:33], 2, v[8:9]
	v_add_nc_u32_e32 v2, v2, v1
	s_waitcnt vmcnt(0)
	ds_write_b32 v31, v3
	v_add_nc_u32_e32 v31, v31, v14
	v_add_nc_u32_e32 v8, v8, v4
	v_add_co_u32 v32, vcc_lo, s31, v32
	v_add_co_ci_u32_e64 v33, null, s33, v33, vcc_lo
	global_load_dword v32, v[32:33], off
	v_add_nc_u32_e32 v33, v1, v2
	v_cmp_le_u32_e32 vcc_lo, s36, v33
	s_or_b32 s12, vcc_lo, s12
	s_waitcnt vmcnt(0)
	v_mov_b32_e32 v3, v32
	s_andn2_b32 exec_lo, exec_lo, s12
	s_cbranch_execnz .LBB88_25
; %bb.26:                               ;   in Loop: Header=BB88_6 Depth=1
	s_or_b32 exec_lo, exec_lo, s12
	v_mov_b32_e32 v3, v32
.LBB88_27:                              ;   in Loop: Header=BB88_6 Depth=1
	s_or_b32 exec_lo, exec_lo, s11
	v_lshlrev_b32_e32 v1, 2, v2
	s_waitcnt vmcnt(0)
	ds_write_b32 v1, v3
.LBB88_28:                              ;   in Loop: Header=BB88_6 Depth=1
	s_or_b32 exec_lo, exec_lo, s10
	s_waitcnt lgkmcnt(0)
	s_barrier
	buffer_gl0_inv
	s_and_saveexec_b32 s10, s3
; %bb.29:                               ;   in Loop: Header=BB88_6 Depth=1
	v_mov_b32_e32 v1, s36
	ds_write_b32 v9, v1 offset:4096
; %bb.30:                               ;   in Loop: Header=BB88_6 Depth=1
	s_or_b32 exec_lo, exec_lo, s10
	s_mov_b32 s10, -1
	s_waitcnt lgkmcnt(0)
	s_barrier
.LBB88_31:                              ;   in Loop: Header=BB88_6 Depth=1
	s_and_b32 vcc_lo, exec_lo, s10
	s_mov_b32 s88, 0
	s_cbranch_vccz .LBB88_33
; %bb.32:                               ;   in Loop: Header=BB88_6 Depth=1
	buffer_gl0_inv
	ds_read_b32 v1, v9 offset:4096
	s_waitcnt lgkmcnt(0)
	v_readfirstlane_b32 s88, v1
.LBB88_33:                              ;   in Loop: Header=BB88_6 Depth=1
	s_cmp_lt_i32 s88, 1
	s_mov_b32 s10, -1
                                        ; implicit-def: $vgpr1
	s_cbranch_scc1 .LBB88_43
; %bb.34:                               ;   in Loop: Header=BB88_6 Depth=1
	s_and_b32 vcc_lo, exec_lo, s10
	s_cbranch_vccnz .LBB88_54
.LBB88_35:                              ;   in Loop: Header=BB88_6 Depth=1
	s_lshl_b32 s10, s77, 7
	s_and_saveexec_b32 s11, s0
.LBB88_36:                              ;   in Loop: Header=BB88_6 Depth=1
	v_lshl_add_u32 v8, s10, 2, v21
	ds_write_b128 v8, v[1:4]
.LBB88_37:                              ;   in Loop: Header=BB88_6 Depth=1
	s_or_b32 exec_lo, exec_lo, s11
	s_waitcnt lgkmcnt(0)
	s_barrier
	buffer_gl0_inv
	s_and_saveexec_b32 s11, s63
	s_cbranch_execz .LBB88_67
; %bb.38:                               ;   in Loop: Header=BB88_6 Depth=1
	v_mov_b32_e32 v1, 0
	s_andn2_b32 vcc_lo, exec_lo, s65
	s_cbranch_vccnz .LBB88_66
; %bb.39:                               ;   in Loop: Header=BB88_6 Depth=1
	s_andn2_b32 vcc_lo, exec_lo, s68
	s_cbranch_vccnz .LBB88_63
; %bb.40:                               ;   in Loop: Header=BB88_6 Depth=1
	v_lshl_add_u32 v2, s77, 9, v28
	v_mov_b32_e32 v1, 0
	s_mov_b32 s12, 0
	.p2align	6
.LBB88_41:                              ;   Parent Loop BB88_6 Depth=1
                                        ; =>  This Inner Loop Header: Depth=2
	ds_read2_b32 v[3:4], v2 offset1:4
	ds_read2_b32 v[31:32], v2 offset0:8 offset1:12
	ds_read2_b32 v[33:34], v2 offset0:16 offset1:20
	;; [unrolled: 1-line block ×3, first 2 shown]
	v_add_nc_u32_e32 v2, 0x80, v2
	s_add_i32 s12, s12, 8
	s_cmp_eq_u32 s62, s12
	s_waitcnt lgkmcnt(3)
	v_add3_u32 v1, v3, v1, v4
	s_waitcnt lgkmcnt(2)
	v_add3_u32 v1, v31, v1, v32
	;; [unrolled: 2-line block ×4, first 2 shown]
	s_cbranch_scc0 .LBB88_41
; %bb.42:                               ;   in Loop: Header=BB88_6 Depth=1
	s_mov_b32 s12, s62
	s_andn2_b32 vcc_lo, exec_lo, s69
	s_cbranch_vccz .LBB88_64
	s_branch .LBB88_66
.LBB88_43:                              ;   in Loop: Header=BB88_6 Depth=1
	v_mov_b32_e32 v1, 0
	v_mov_b32_e32 v2, 0
	;; [unrolled: 1-line block ×4, first 2 shown]
	s_and_saveexec_b32 s21, s7
	s_cbranch_execz .LBB88_47
; %bb.44:                               ;   in Loop: Header=BB88_6 Depth=1
	v_mov_b32_e32 v14, v18
	s_mov_b32 s22, 0
	s_mov_b32 s23, 0
	;; [unrolled: 1-line block ×6, first 2 shown]
.LBB88_45:                              ;   Parent Loop BB88_6 Depth=1
                                        ; =>  This Inner Loop Header: Depth=2
	v_add_nc_u32_e32 v8, s23, v25
	v_add_nc_u32_e32 v14, s61, v14
	v_lshlrev_b64 v[1:2], 2, v[8:9]
	v_add_nc_u32_e32 v8, s23, v12
	v_lshlrev_b64 v[3:4], 2, v[8:9]
	v_add_nc_u32_e32 v8, s23, v23
	v_add_co_u32 v1, vcc_lo, s31, v1
	v_add_co_ci_u32_e64 v2, null, s33, v2, vcc_lo
	v_lshlrev_b64 v[31:32], 2, v[8:9]
	v_add_nc_u32_e32 v8, s23, v24
	s_add_i32 s23, s23, s74
	global_load_dword v33, v[1:2], off
	v_add_co_u32 v1, vcc_lo, s31, v3
	v_add_co_ci_u32_e64 v2, null, s33, v4, vcc_lo
	v_add_co_u32 v31, vcc_lo, s31, v31
	v_add_co_ci_u32_e64 v32, null, s33, v32, vcc_lo
	v_lshlrev_b64 v[3:4], 2, v[8:9]
	s_clause 0x1
	global_load_dword v8, v[1:2], off
	global_load_dword v31, v[31:32], off
	v_add_co_u32 v1, vcc_lo, s31, v3
	v_add_co_ci_u32_e64 v2, null, s33, v4, vcc_lo
	v_cmp_le_u32_e32 vcc_lo, s71, v14
	global_load_dword v1, v[1:2], off
	s_waitcnt vmcnt(3)
	v_cmp_lt_i32_e64 s10, -1, v33
	v_cndmask_b32_e64 v2, -1, 0x80000000, s10
	s_waitcnt vmcnt(2)
	v_cmp_lt_i32_e64 s10, -1, v8
	v_xor_b32_e32 v2, v2, v33
	s_waitcnt vmcnt(1)
	v_cmp_lt_i32_e64 s11, -1, v31
	v_cndmask_b32_e64 v3, -1, 0x80000000, s10
	v_cmp_o_f32_e64 s10, v33, v33
	v_cndmask_b32_e64 v4, -1, 0x80000000, s11
	v_xor_b32_e32 v3, v3, v8
	v_cndmask_b32_e64 v2, -1, v2, s10
	v_cmp_o_f32_e64 s10, v8, v8
	v_xor_b32_e32 v4, v4, v31
	s_waitcnt vmcnt(0)
	v_cmp_o_f32_e64 s15, v1, v1
	v_and_b32_e32 v32, v2, v29
	v_cndmask_b32_e64 v3, -1, v3, s10
	v_cmp_lt_i32_e64 s10, -1, v1
	v_bfe_u32 v2, v2, s81, 2
	v_cndmask_b32_e64 v8, -1, 0x80000000, s10
	v_cmp_o_f32_e64 s10, v31, v31
	v_cmp_eq_u32_e64 s11, 0, v2
	v_and_b32_e32 v31, v3, v29
	v_bfe_u32 v3, v3, s81, 2
	v_xor_b32_e32 v8, v8, v1
	v_cndmask_b32_e64 v4, -1, v4, s10
	v_cmp_eq_u32_e64 s10, v32, v22
	v_cmp_eq_u32_e64 s12, 1, v2
	;; [unrolled: 1-line block ×4, first 2 shown]
	v_cndmask_b32_e64 v1, -1, v8, s15
	s_and_b32 s11, s10, s11
	v_cmp_eq_u32_e64 s15, v31, v22
	v_cmp_eq_u32_e64 s16, 0, v3
	v_cndmask_b32_e64 v8, 0, 1, s11
	v_cmp_eq_u32_e64 s11, 1, v3
	s_and_b32 s12, s10, s12
	v_and_b32_e32 v2, v4, v29
	v_bfe_u32 v4, v4, s81, 2
	v_cndmask_b32_e64 v31, 0, 1, s12
	v_cmp_eq_u32_e64 s12, 2, v3
	s_and_b32 s13, s10, s13
	s_and_b32 s10, s10, s14
	v_cndmask_b32_e64 v32, 0, 1, s13
	s_and_b32 s16, s15, s16
	s_and_b32 s11, s15, s11
	v_cmp_eq_u32_e64 s13, 3, v3
	v_cndmask_b32_e64 v3, 0, 1, s10
	v_cmp_eq_u32_e64 s10, v2, v22
	v_cmp_eq_u32_e64 s14, 0, v4
	v_cmp_ne_u32_e64 s17, 0, v8
	v_cndmask_b32_e64 v8, 0, 1, s16
	v_cmp_eq_u32_e64 s16, 1, v4
	v_cmp_ne_u32_e64 s18, 0, v31
	v_cndmask_b32_e64 v31, 0, 1, s11
	v_cmp_eq_u32_e64 s11, 2, v4
	s_and_b32 s12, s15, s12
	v_and_b32_e32 v2, v1, v29
	v_bfe_u32 v1, v1, s81, 2
	v_cmp_ne_u32_e64 s19, 0, v32
	v_cndmask_b32_e64 v32, 0, 1, s12
	v_cmp_eq_u32_e64 s12, 3, v4
	s_and_b32 s13, s15, s13
	s_and_b32 s14, s10, s14
	;; [unrolled: 1-line block ×4, first 2 shown]
	v_cmp_ne_u32_e64 s20, 0, v3
	v_cndmask_b32_e64 v3, 0, 1, s13
	v_cmp_eq_u32_e64 s13, v2, v22
	v_cmp_eq_u32_e64 s15, 0, v1
	s_bcnt1_i32_b32 s28, s17
	v_cmp_ne_u32_e64 s17, 0, v8
	v_cndmask_b32_e64 v2, 0, 1, s14
	v_cmp_eq_u32_e64 s14, 1, v1
	v_cndmask_b32_e64 v4, 0, 1, s16
	v_cmp_eq_u32_e64 s16, 2, v1
	;; [unrolled: 2-line block ×3, first 2 shown]
	s_and_b32 s10, s10, s12
	s_bcnt1_i32_b32 s90, s20
	v_cndmask_b32_e64 v1, 0, 1, s10
	v_cmp_ne_u32_e64 s20, 0, v3
	s_and_b32 s12, s13, s15
	s_and_b32 s14, s13, s14
	;; [unrolled: 1-line block ×4, first 2 shown]
	v_cmp_ne_u32_e64 s10, 0, v2
	v_cndmask_b32_e64 v2, 0, 1, s12
	v_cmp_ne_u32_e64 s12, 0, v4
	v_cndmask_b32_e64 v3, 0, 1, s14
	v_cndmask_b32_e64 v4, 0, 1, s15
	v_cmp_ne_u32_e64 s15, 0, v1
	v_cndmask_b32_e64 v1, 0, 1, s11
	s_bcnt1_i32_b32 s29, s18
	v_cmp_ne_u32_e64 s18, 0, v31
	s_bcnt1_i32_b32 s89, s19
	v_cmp_ne_u32_e64 s19, 0, v32
	s_add_i32 s24, s90, s24
	v_cmp_ne_u32_e64 s14, 0, v8
	s_bcnt1_i32_b32 s16, s20
	s_bcnt1_i32_b32 s20, s10
	s_add_i32 s16, s24, s16
	v_cmp_ne_u32_e64 s10, 0, v2
	s_bcnt1_i32_b32 s24, s12
	v_cmp_ne_u32_e64 s11, 0, v3
	v_cmp_ne_u32_e64 s12, 0, v4
	;; [unrolled: 1-line block ×3, first 2 shown]
	s_add_i32 s27, s28, s27
	s_add_i32 s26, s29, s26
	;; [unrolled: 1-line block ×3, first 2 shown]
	s_bcnt1_i32_b32 s17, s17
	s_bcnt1_i32_b32 s18, s18
	;; [unrolled: 1-line block ×3, first 2 shown]
	s_add_i32 s17, s27, s17
	s_add_i32 s18, s26, s18
	;; [unrolled: 1-line block ×3, first 2 shown]
	s_bcnt1_i32_b32 s14, s14
	s_bcnt1_i32_b32 s15, s15
	s_add_i32 s17, s17, s20
	s_add_i32 s18, s18, s24
	s_add_i32 s14, s19, s14
	s_add_i32 s15, s16, s15
	s_bcnt1_i32_b32 s10, s10
	s_bcnt1_i32_b32 s11, s11
	;; [unrolled: 1-line block ×4, first 2 shown]
	s_add_i32 s27, s17, s10
	s_add_i32 s26, s18, s11
	;; [unrolled: 1-line block ×4, first 2 shown]
	v_mov_b32_e32 v1, s27
	v_mov_b32_e32 v2, s26
	v_mov_b32_e32 v3, s25
	v_mov_b32_e32 v4, s24
	s_or_b32 s22, vcc_lo, s22
	s_andn2_b32 exec_lo, exec_lo, s22
	s_cbranch_execnz .LBB88_45
; %bb.46:                               ;   in Loop: Header=BB88_6 Depth=1
	s_or_b32 exec_lo, exec_lo, s22
.LBB88_47:                              ;   in Loop: Header=BB88_6 Depth=1
	s_or_b32 exec_lo, exec_lo, s21
	s_and_saveexec_b32 s14, s8
	s_cbranch_execz .LBB88_53
; %bb.48:                               ;   in Loop: Header=BB88_6 Depth=1
	global_load_dword v32, v[10:11], off
	v_mov_b32_e32 v8, v26
	v_mov_b32_e32 v14, v19
	s_mov_b32 s15, 0
	s_branch .LBB88_50
.LBB88_49:                              ;   in Loop: Header=BB88_50 Depth=2
	s_or_b32 exec_lo, exec_lo, s11
	s_waitcnt vmcnt(0)
	v_cmp_lt_i32_e64 s10, -1, v32
	s_and_b32 s11, exec_lo, vcc_lo
	v_add_nc_u32_e32 v8, s47, v8
	s_or_b32 s15, s11, s15
	v_cndmask_b32_e64 v33, -1, 0x80000000, s10
	v_cmp_o_f32_e64 s10, v32, v32
	v_xor_b32_e32 v33, v33, v32
	v_cndmask_b32_e64 v32, -1, v33, s10
	v_and_b32_e32 v33, v32, v29
	v_bfe_u32 v32, v32, s81, 2
	v_cmp_eq_u32_e32 vcc_lo, v33, v22
	v_cmp_eq_u32_e64 s10, 0, v32
	v_cmp_eq_u32_e64 s11, 1, v32
	;; [unrolled: 1-line block ×4, first 2 shown]
	s_and_b32 s10, vcc_lo, s10
	v_cndmask_b32_e64 v32, 0, 1, s10
	s_and_b32 s10, vcc_lo, s11
	v_cndmask_b32_e64 v33, 0, 1, s10
	;; [unrolled: 2-line block ×3, first 2 shown]
	s_and_b32 s10, vcc_lo, s13
	v_cmp_ne_u32_e32 vcc_lo, 0, v32
	v_cndmask_b32_e64 v35, 0, 1, s10
	v_cmp_ne_u32_e64 s10, 0, v33
	v_cmp_ne_u32_e64 s11, 0, v34
	v_mov_b32_e32 v32, v31
	s_bcnt1_i32_b32 s13, vcc_lo
	v_cmp_ne_u32_e64 s12, 0, v35
	s_bcnt1_i32_b32 s10, s10
	s_bcnt1_i32_b32 s11, s11
	v_add_nc_u32_e32 v1, s13, v1
	v_add_nc_u32_e32 v2, s10, v2
	s_bcnt1_i32_b32 s12, s12
	v_add_nc_u32_e32 v3, s11, v3
	v_add_nc_u32_e32 v4, s12, v4
	s_andn2_b32 exec_lo, exec_lo, s15
	s_cbranch_execz .LBB88_52
.LBB88_50:                              ;   Parent Loop BB88_6 Depth=1
                                        ; =>  This Inner Loop Header: Depth=2
	v_add_nc_u32_e32 v14, s43, v14
	v_mov_b32_e32 v31, 0
	s_mov_b32 s11, exec_lo
	v_cmp_le_u32_e32 vcc_lo, s36, v14
	v_cmpx_gt_u32_e64 s36, v14
	s_cbranch_execz .LBB88_49
; %bb.51:                               ;   in Loop: Header=BB88_50 Depth=2
	v_lshlrev_b64 v[33:34], 2, v[8:9]
	v_add_co_u32 v33, s10, s31, v33
	v_add_co_ci_u32_e64 v34, null, s33, v34, s10
	global_load_dword v31, v[33:34], off
	s_branch .LBB88_49
.LBB88_52:                              ;   in Loop: Header=BB88_6 Depth=1
	s_or_b32 exec_lo, exec_lo, s15
.LBB88_53:                              ;   in Loop: Header=BB88_6 Depth=1
	s_or_b32 exec_lo, exec_lo, s14
	s_branch .LBB88_35
.LBB88_54:                              ;   in Loop: Header=BB88_6 Depth=1
	s_mul_hi_u32 s10, s88, s70
	v_mov_b32_e32 v1, 0
	s_mul_i32 s10, s10, s61
	v_mov_b32_e32 v2, 0
	s_sub_i32 s10, s88, s10
	v_mov_b32_e32 v3, 0
	s_sub_i32 s11, s10, s61
	s_cmp_ge_u32 s10, s61
	v_mov_b32_e32 v4, 0
	s_cselect_b32 s10, s11, s10
	s_mov_b32 s90, exec_lo
	s_sub_i32 s11, s10, s61
	s_cmp_ge_u32 s10, s61
	s_cselect_b32 s10, s11, s10
	s_sub_i32 s89, s88, s10
	v_cmpx_gt_u32_e64 s89, v18
	s_cbranch_execz .LBB88_58
; %bb.55:                               ;   in Loop: Header=BB88_6 Depth=1
	v_mov_b32_e32 v8, v27
	v_mov_b32_e32 v14, v18
	s_mov_b32 s91, 0
	s_mov_b32 s92, 0
	;; [unrolled: 1-line block ×5, first 2 shown]
.LBB88_56:                              ;   Parent Loop BB88_6 Depth=1
                                        ; =>  This Inner Loop Header: Depth=2
	ds_read_b128 v[1:4], v8
	v_add_nc_u32_e32 v14, s61, v14
	v_add_nc_u32_e32 v8, s75, v8
	v_cmp_le_u32_e32 vcc_lo, s89, v14
	s_waitcnt lgkmcnt(0)
	v_cmp_lt_i32_e64 s10, -1, v1
	v_cmp_o_f32_e64 s13, v1, v1
	v_cmp_o_f32_e64 s11, v3, v3
	;; [unrolled: 1-line block ×3, first 2 shown]
	v_cndmask_b32_e64 v31, -1, 0x80000000, s10
	v_cmp_lt_i32_e64 s10, -1, v2
	v_xor_b32_e32 v31, v31, v1
	v_cndmask_b32_e64 v32, -1, 0x80000000, s10
	v_cmp_lt_i32_e64 s10, -1, v3
	v_cndmask_b32_e64 v1, -1, v31, s13
	v_xor_b32_e32 v32, v32, v2
	v_cndmask_b32_e64 v33, -1, 0x80000000, s10
	v_cmp_lt_i32_e64 s10, -1, v4
	v_and_b32_e32 v31, v1, v29
	v_bfe_u32 v1, v1, s81, 2
	v_cndmask_b32_e64 v34, -1, 0x80000000, s10
	v_cmp_o_f32_e64 s10, v2, v2
	v_xor_b32_e32 v2, v33, v3
	v_cmp_eq_u32_e64 s14, 0, v1
	v_cmp_eq_u32_e64 s18, 1, v1
	v_xor_b32_e32 v3, v34, v4
	v_cndmask_b32_e64 v4, -1, v32, s10
	v_cndmask_b32_e64 v2, -1, v2, s11
	v_cmp_eq_u32_e64 s10, v31, v22
	v_cmp_eq_u32_e64 s22, 2, v1
	v_cndmask_b32_e64 v3, -1, v3, s12
	v_and_b32_e32 v32, v4, v29
	v_bfe_u32 v4, v4, s81, 2
	v_and_b32_e32 v33, v2, v29
	v_bfe_u32 v2, v2, s81, 2
	;; [unrolled: 2-line block ×3, first 2 shown]
	v_cmp_eq_u32_e64 s11, v32, v22
	v_cmp_eq_u32_e64 s15, 0, v4
	;; [unrolled: 1-line block ×4, first 2 shown]
	s_and_b32 s14, s10, s14
	v_cmp_eq_u32_e64 s13, v34, v22
	v_cmp_eq_u32_e64 s17, 0, v3
	;; [unrolled: 1-line block ×3, first 2 shown]
	v_cndmask_b32_e64 v1, 0, 1, s14
	s_and_b32 s14, s11, s15
	v_cmp_eq_u32_e64 s20, 1, v2
	v_cmp_eq_u32_e64 s24, 2, v2
	v_cmp_eq_u32_e64 s28, 3, v2
	v_cndmask_b32_e64 v2, 0, 1, s14
	s_and_b32 s14, s12, s16
	v_cmp_eq_u32_e64 s19, 1, v4
	v_cmp_eq_u32_e64 s21, 1, v3
	;; [unrolled: 1-line block ×4, first 2 shown]
	v_cndmask_b32_e64 v3, 0, 1, s14
	s_and_b32 s14, s13, s17
	v_cmp_eq_u32_e64 s23, 2, v4
	v_cmp_eq_u32_e64 s27, 3, v4
	v_cndmask_b32_e64 v4, 0, 1, s14
	s_and_b32 s14, s10, s18
	v_cndmask_b32_e64 v31, 0, 1, s14
	s_and_b32 s14, s11, s19
	;; [unrolled: 2-line block ×4, first 2 shown]
	v_cmp_ne_u32_e64 s15, 0, v32
	v_cndmask_b32_e64 v34, 0, 1, s14
	s_and_b32 s14, s10, s22
	s_and_b32 s10, s10, s26
	v_cndmask_b32_e64 v35, 0, 1, s14
	s_and_b32 s14, s11, s23
	v_cndmask_b32_e64 v39, 0, 1, s10
	s_and_b32 s10, s11, s27
	v_cndmask_b32_e64 v36, 0, 1, s14
	s_and_b32 s14, s12, s24
	v_cndmask_b32_e64 v40, 0, 1, s10
	s_and_b32 s10, s12, s28
	v_cndmask_b32_e64 v37, 0, 1, s14
	s_and_b32 s14, s13, s25
	v_cndmask_b32_e64 v41, 0, 1, s10
	s_and_b32 s10, s13, s29
	v_cndmask_b32_e64 v38, 0, 1, s14
	v_cndmask_b32_e64 v42, 0, 1, s10
	v_cmp_ne_u32_e64 s10, 0, v1
	v_cmp_ne_u32_e64 s14, 0, v31
	;; [unrolled: 1-line block ×11, first 2 shown]
	s_bcnt1_i32_b32 s10, s10
	s_bcnt1_i32_b32 s14, s14
	;; [unrolled: 1-line block ×4, first 2 shown]
	v_cmp_ne_u32_e64 s13, 0, v4
	v_cmp_ne_u32_e64 s17, 0, v34
	;; [unrolled: 1-line block ×4, first 2 shown]
	s_bcnt1_i32_b32 s11, s11
	s_bcnt1_i32_b32 s15, s15
	s_bcnt1_i32_b32 s19, s19
	s_bcnt1_i32_b32 s23, s23
	s_add_i32 s10, s10, s95
	s_add_i32 s14, s14, s94
	s_add_i32 s18, s18, s93
	s_add_i32 s22, s22, s92
	s_bcnt1_i32_b32 s12, s12
	s_bcnt1_i32_b32 s16, s16
	s_bcnt1_i32_b32 s20, s20
	s_bcnt1_i32_b32 s24, s24
	s_add_i32 s10, s10, s11
	s_add_i32 s11, s14, s15
	s_add_i32 s14, s18, s19
	s_add_i32 s15, s22, s23
	;; [unrolled: 8-line block ×3, first 2 shown]
	s_add_i32 s95, s10, s13
	s_add_i32 s94, s11, s17
	;; [unrolled: 1-line block ×4, first 2 shown]
	v_mov_b32_e32 v1, s95
	v_mov_b32_e32 v2, s94
	;; [unrolled: 1-line block ×4, first 2 shown]
	s_or_b32 s91, vcc_lo, s91
	s_andn2_b32 exec_lo, exec_lo, s91
	s_cbranch_execnz .LBB88_56
; %bb.57:                               ;   in Loop: Header=BB88_6 Depth=1
	s_or_b32 exec_lo, exec_lo, s91
.LBB88_58:                              ;   in Loop: Header=BB88_6 Depth=1
	s_or_b32 exec_lo, exec_lo, s90
	v_add_nc_u32_e32 v8, s89, v0
	s_mov_b32 s15, exec_lo
	v_cmpx_gt_u32_e64 s88, v8
	s_cbranch_execz .LBB88_62
; %bb.59:                               ;   in Loop: Header=BB88_6 Depth=1
	v_lshlrev_b32_e32 v14, 2, v8
	s_mov_b32 s16, 0
.LBB88_60:                              ;   Parent Loop BB88_6 Depth=1
                                        ; =>  This Inner Loop Header: Depth=2
	ds_read_b32 v31, v14
	v_add_nc_u32_e32 v8, s43, v8
	v_add_nc_u32_e32 v14, s61, v14
	v_cmp_le_u32_e32 vcc_lo, s88, v8
	s_waitcnt lgkmcnt(0)
	v_cmp_lt_i32_e64 s10, -1, v31
	v_cndmask_b32_e64 v32, -1, 0x80000000, s10
	v_cmp_o_f32_e64 s10, v31, v31
	v_xor_b32_e32 v32, v32, v31
	v_cndmask_b32_e64 v31, -1, v32, s10
	v_and_b32_e32 v32, v31, v29
	v_bfe_u32 v31, v31, s81, 2
	v_cmp_eq_u32_e64 s10, v32, v22
	v_cmp_eq_u32_e64 s11, 0, v31
	;; [unrolled: 1-line block ×5, first 2 shown]
	s_and_b32 s11, s10, s11
	v_cndmask_b32_e64 v31, 0, 1, s11
	s_and_b32 s11, s10, s12
	v_cndmask_b32_e64 v32, 0, 1, s11
	s_and_b32 s11, s10, s13
	s_and_b32 s10, s10, s14
	v_cndmask_b32_e64 v33, 0, 1, s11
	v_cndmask_b32_e64 v34, 0, 1, s10
	v_cmp_ne_u32_e64 s10, 0, v31
	v_cmp_ne_u32_e64 s11, 0, v32
	;; [unrolled: 1-line block ×4, first 2 shown]
	s_bcnt1_i32_b32 s10, s10
	s_bcnt1_i32_b32 s11, s11
	v_add_nc_u32_e32 v1, s10, v1
	s_bcnt1_i32_b32 s12, s12
	s_bcnt1_i32_b32 s13, s13
	v_add_nc_u32_e32 v2, s11, v2
	v_add_nc_u32_e32 v3, s12, v3
	v_add_nc_u32_e32 v4, s13, v4
	s_or_b32 s16, vcc_lo, s16
	s_andn2_b32 exec_lo, exec_lo, s16
	s_cbranch_execnz .LBB88_60
; %bb.61:                               ;   in Loop: Header=BB88_6 Depth=1
	s_or_b32 exec_lo, exec_lo, s16
.LBB88_62:                              ;   in Loop: Header=BB88_6 Depth=1
	s_or_b32 exec_lo, exec_lo, s15
	s_lshl_b32 s10, s77, 7
	s_and_saveexec_b32 s11, s0
	s_cbranch_execnz .LBB88_36
	s_branch .LBB88_37
.LBB88_63:                              ;   in Loop: Header=BB88_6 Depth=1
	v_mov_b32_e32 v1, 0
	s_mov_b32 s12, 0
	s_andn2_b32 vcc_lo, exec_lo, s69
	s_cbranch_vccnz .LBB88_66
.LBB88_64:                              ;   in Loop: Header=BB88_6 Depth=1
	s_lshl_b32 s13, s77, 9
	s_lshl_b32 s12, s12, 4
	v_add3_u32 v2, s13, s12, v28
	s_mov_b32 s12, s67
.LBB88_65:                              ;   Parent Loop BB88_6 Depth=1
                                        ; =>  This Inner Loop Header: Depth=2
	ds_read_b32 v3, v2
	v_add_nc_u32_e32 v2, 16, v2
	s_add_i32 s12, s12, -1
	s_cmp_lg_u32 s12, 0
	s_waitcnt lgkmcnt(0)
	v_add_nc_u32_e32 v1, v3, v1
	s_cbranch_scc1 .LBB88_65
.LBB88_66:                              ;   in Loop: Header=BB88_6 Depth=1
	v_add_lshl_u32 v2, s10, v17, 2
	ds_write_b32 v2, v1 offset:3072
.LBB88_67:                              ;   in Loop: Header=BB88_6 Depth=1
	s_or_b32 exec_lo, exec_lo, s11
	s_lshl_b32 s10, s10, 2
	s_waitcnt lgkmcnt(0)
	v_mov_b32_e32 v1, s10
	s_barrier
	buffer_gl0_inv
	v_cmp_eq_u32_e64 s10, 1, v30
	s_lshl_b32 s14, 3, s81
	ds_read_b128 v[1:4], v1 offset:3072
	s_mov_b32 s22, -1
	s_not_b32 s15, s14
	s_mov_b32 s12, 0
	s_andn2_b32 vcc_lo, exec_lo, s54
	s_mov_b32 s19, 0
	s_mov_b32 s11, 0
                                        ; implicit-def: $sgpr20
                                        ; implicit-def: $sgpr21
                                        ; implicit-def: $vgpr32
                                        ; implicit-def: $vgpr31
	s_waitcnt lgkmcnt(0)
	v_readfirstlane_b32 s13, v1
	v_readfirstlane_b32 s16, v2
	;; [unrolled: 1-line block ×4, first 2 shown]
                                        ; implicit-def: $vgpr3
                                        ; implicit-def: $vgpr4
                                        ; implicit-def: $vgpr2
	s_cbranch_vccnz .LBB88_236
; %bb.68:                               ;   in Loop: Header=BB88_6 Depth=1
	s_cmp_eq_u32 s13, 1
	v_mov_b32_e32 v4, v22
	v_mov_b32_e32 v31, v29
	v_mov_b32_e32 v2, v15
	s_cselect_b32 s11, -1, 0
	s_mov_b32 s25, -1
	s_and_b32 s24, s11, s10
                                        ; implicit-def: $sgpr21
                                        ; implicit-def: $sgpr20
	s_and_saveexec_b32 s11, s24
	s_cbranch_execz .LBB88_99
; %bb.69:                               ;   in Loop: Header=BB88_6 Depth=1
	ds_read_b32 v1, v9 offset:4096
	s_waitcnt lgkmcnt(0)
	s_barrier
	buffer_gl0_inv
	v_readfirstlane_b32 s22, v1
	s_and_saveexec_b32 s19, s6
; %bb.70:                               ;   in Loop: Header=BB88_6 Depth=1
	ds_write_b32 v20, v9
; %bb.71:                               ;   in Loop: Header=BB88_6 Depth=1
	s_or_b32 exec_lo, exec_lo, s19
	v_and_b32_e32 v4, s15, v22
	v_or_b32_e32 v31, s14, v29
	s_mov_b32 s20, -1
	s_mov_b32 s21, 0
	s_cmp_eq_u32 s22, 0
	s_mov_b32 s19, 0
	s_mov_b32 s23, -1
	s_waitcnt lgkmcnt(0)
	s_barrier
	buffer_gl0_inv
                                        ; implicit-def: $vgpr2
	s_cbranch_scc1 .LBB88_86
; %bb.72:                               ;   in Loop: Header=BB88_6 Depth=1
	s_add_i32 s19, s22, s66
                                        ; implicit-def: $vgpr2
	s_mul_hi_u32 s23, s19, s72
	s_mul_i32 s23, s23, s43
	s_sub_i32 s23, s19, s23
	s_sub_i32 s25, s23, s43
	s_cmp_ge_u32 s23, s43
	s_cselect_b32 s23, s25, s23
	s_sub_i32 s25, s23, s43
	s_cmp_ge_u32 s23, s43
	s_cselect_b32 s23, s25, s23
	s_mov_b32 s25, exec_lo
	s_sub_i32 s26, s19, s23
	s_mov_b32 s23, 0
	s_mov_b32 s19, 0
	v_cmpx_gt_u32_e64 s26, v0
	s_cbranch_execz .LBB88_85
; %bb.73:                               ;   in Loop: Header=BB88_6 Depth=1
	v_mov_b32_e32 v3, v18
	v_mov_b32_e32 v8, v0
                                        ; implicit-def: $sgpr27
	s_inst_prefetch 0x1
	s_branch .LBB88_77
	.p2align	6
.LBB88_74:                              ;   in Loop: Header=BB88_77 Depth=2
	s_or_b32 exec_lo, exec_lo, s28
	s_waitcnt lgkmcnt(0)
	s_barrier
	buffer_gl0_inv
	ds_read_b64 v[1:2], v9 offset:3072
	s_waitcnt lgkmcnt(0)
	s_barrier
	buffer_gl0_inv
	v_cmp_neq_f32_e32 vcc_lo, 0, v1
	s_cbranch_vccnz .LBB88_80
; %bb.75:                               ;   in Loop: Header=BB88_77 Depth=2
	v_add_nc_u32_e32 v8, s43, v8
	v_add_nc_u32_e32 v3, s61, v3
	s_mov_b32 s28, 0
	v_cmp_le_u32_e32 vcc_lo, s26, v8
	s_orn2_b32 s29, vcc_lo, exec_lo
.LBB88_76:                              ;   in Loop: Header=BB88_77 Depth=2
	s_and_b32 s29, exec_lo, s29
	s_or_b32 s19, s29, s19
	s_andn2_b32 s27, s27, exec_lo
	s_and_b32 s28, s28, exec_lo
	s_or_b32 s27, s27, s28
	s_andn2_b32 exec_lo, exec_lo, s19
	s_cbranch_execz .LBB88_84
.LBB88_77:                              ;   Parent Loop BB88_6 Depth=1
                                        ; =>  This Inner Loop Header: Depth=2
	s_mov_b32 s28, exec_lo
	v_cmpx_gt_u32_e64 s22, v8
	s_cbranch_execz .LBB88_74
; %bb.78:                               ;   in Loop: Header=BB88_77 Depth=2
	ds_read_b32 v14, v3
	s_waitcnt lgkmcnt(0)
	v_cmp_lt_i32_e32 vcc_lo, -1, v14
	v_cndmask_b32_e64 v1, -1, 0x80000000, vcc_lo
	v_cmp_o_f32_e32 vcc_lo, v14, v14
	v_xor_b32_e32 v1, v1, v14
	v_cndmask_b32_e32 v1, -1, v1, vcc_lo
	v_and_b32_e32 v1, v1, v31
	v_cmp_eq_u32_e32 vcc_lo, v1, v4
	s_and_b32 exec_lo, exec_lo, vcc_lo
	s_cbranch_execz .LBB88_74
; %bb.79:                               ;   in Loop: Header=BB88_77 Depth=2
	ds_write_b64 v9, v[13:14] offset:3072
	s_branch .LBB88_74
.LBB88_80:                              ;   in Loop: Header=BB88_77 Depth=2
	s_mov_b32 s29, -1
	s_mov_b32 s28, -1
                                        ; implicit-def: $vgpr8
                                        ; implicit-def: $vgpr3
	s_branch .LBB88_76
.LBB88_81:                              ;   in Loop: Header=BB88_6 Depth=1
	s_or_b32 exec_lo, exec_lo, s13
	s_waitcnt lgkmcnt(0)
	s_barrier
	buffer_gl0_inv
	s_and_saveexec_b32 s10, s3
	s_cbranch_execz .LBB88_83
; %bb.82:                               ;   in Loop: Header=BB88_6 Depth=1
	ds_read_b32 v1, v9 offset:4104
	s_waitcnt lgkmcnt(0)
	ds_write_b32 v9, v1 offset:4096
.LBB88_83:                              ;   in Loop: Header=BB88_6 Depth=1
	s_or_b32 exec_lo, exec_lo, s10
	s_waitcnt lgkmcnt(0)
	s_mov_b32 s10, -1
	s_barrier
	s_and_b32 vcc_lo, exec_lo, s12
	s_cbranch_vccnz .LBB88_22
	s_branch .LBB88_31
.LBB88_84:                              ;   in Loop: Header=BB88_6 Depth=1
	s_inst_prefetch 0x2
	s_or_b32 exec_lo, exec_lo, s19
	s_and_b32 s19, s27, exec_lo
.LBB88_85:                              ;   in Loop: Header=BB88_6 Depth=1
	s_or_b32 exec_lo, exec_lo, s25
.LBB88_86:                              ;   in Loop: Header=BB88_6 Depth=1
	s_and_b32 vcc_lo, exec_lo, s23
	s_cbranch_vccz .LBB88_98
; %bb.87:                               ;   in Loop: Header=BB88_6 Depth=1
                                        ; implicit-def: $vgpr2
	s_and_saveexec_b32 s20, s9
	s_cbranch_execz .LBB88_97
; %bb.88:                               ;   in Loop: Header=BB88_6 Depth=1
	v_mov_b32_e32 v8, v7
	v_mov_b32_e32 v3, v0
	s_mov_b32 s21, 0
                                        ; implicit-def: $sgpr22
	s_branch .LBB88_92
.LBB88_89:                              ;   in Loop: Header=BB88_92 Depth=2
	s_or_b32 exec_lo, exec_lo, s23
	s_waitcnt lgkmcnt(0)
	s_barrier
	buffer_gl0_inv
	ds_read_b64 v[1:2], v9 offset:3072
	s_waitcnt lgkmcnt(0)
	s_barrier
	buffer_gl0_inv
	v_cmp_neq_f32_e32 vcc_lo, 0, v1
	s_cbranch_vccnz .LBB88_95
; %bb.90:                               ;   in Loop: Header=BB88_92 Depth=2
	v_add_nc_u32_e32 v3, s43, v3
	v_add_nc_u32_e32 v8, s47, v8
	s_mov_b32 s23, 0
	v_cmp_le_u32_e32 vcc_lo, s73, v3
	s_orn2_b32 s25, vcc_lo, exec_lo
.LBB88_91:                              ;   in Loop: Header=BB88_92 Depth=2
	s_and_b32 s25, exec_lo, s25
	s_or_b32 s21, s25, s21
	s_andn2_b32 s22, s22, exec_lo
	s_and_b32 s23, s23, exec_lo
	s_or_b32 s22, s22, s23
	s_andn2_b32 exec_lo, exec_lo, s21
	s_cbranch_execz .LBB88_96
.LBB88_92:                              ;   Parent Loop BB88_6 Depth=1
                                        ; =>  This Inner Loop Header: Depth=2
	s_mov_b32 s23, exec_lo
	v_cmpx_gt_u32_e64 s36, v3
	s_cbranch_execz .LBB88_89
; %bb.93:                               ;   in Loop: Header=BB88_92 Depth=2
	v_lshlrev_b64 v[1:2], 2, v[8:9]
	v_add_co_u32 v1, vcc_lo, s31, v1
	v_add_co_ci_u32_e64 v2, null, s33, v2, vcc_lo
	global_load_dword v14, v[1:2], off
	s_waitcnt vmcnt(0)
	v_cmp_lt_i32_e32 vcc_lo, -1, v14
	v_cndmask_b32_e64 v1, -1, 0x80000000, vcc_lo
	v_cmp_o_f32_e32 vcc_lo, v14, v14
	v_xor_b32_e32 v1, v1, v14
	v_cndmask_b32_e32 v1, -1, v1, vcc_lo
	v_and_b32_e32 v1, v1, v31
	v_cmp_eq_u32_e32 vcc_lo, v1, v4
	s_and_b32 exec_lo, exec_lo, vcc_lo
	s_cbranch_execz .LBB88_89
; %bb.94:                               ;   in Loop: Header=BB88_92 Depth=2
	ds_write_b64 v9, v[13:14] offset:3072
	s_branch .LBB88_89
.LBB88_95:                              ;   in Loop: Header=BB88_92 Depth=2
	s_mov_b32 s25, -1
	s_mov_b32 s23, -1
                                        ; implicit-def: $vgpr3
	s_branch .LBB88_91
.LBB88_96:                              ;   in Loop: Header=BB88_6 Depth=1
	s_or_b32 exec_lo, exec_lo, s21
	s_andn2_b32 s19, s19, exec_lo
	s_and_b32 s21, s22, exec_lo
	s_or_b32 s19, s19, s21
.LBB88_97:                              ;   in Loop: Header=BB88_6 Depth=1
	s_or_b32 exec_lo, exec_lo, s20
	s_mov_b32 s20, 0
	s_mov_b32 s21, -1
.LBB88_98:                              ;   in Loop: Header=BB88_6 Depth=1
	s_orn2_b32 s25, s19, exec_lo
.LBB88_99:                              ;   in Loop: Header=BB88_6 Depth=1
	s_or_b32 exec_lo, exec_lo, s11
	s_mov_b32 s22, 0
	s_mov_b32 s19, 0
	s_mov_b32 s11, 0
                                        ; implicit-def: $vgpr32
                                        ; implicit-def: $vgpr3
	s_and_saveexec_b32 s23, s25
	s_cbranch_execz .LBB88_235
; %bb.100:                              ;   in Loop: Header=BB88_6 Depth=1
	v_mov_b32_e32 v32, 1
	v_mov_b32_e32 v3, 1
	s_xor_b32 s19, s24, -1
	s_mov_b32 s26, 0
	s_and_saveexec_b32 s11, s19
	s_cbranch_execz .LBB88_109
; %bb.101:                              ;   in Loop: Header=BB88_6 Depth=1
	s_mov_b32 s19, exec_lo
	v_cmpx_ge_u32_e64 s13, v30
	s_xor_b32 s19, exec_lo, s19
	s_cbranch_execz .LBB88_106
; %bb.102:                              ;   in Loop: Header=BB88_6 Depth=1
	ds_read_b32 v1, v9 offset:4096
	v_and_b32_e32 v4, s15, v4
	v_or_b32_e32 v31, s14, v31
	s_waitcnt lgkmcnt(0)
	v_cmp_ne_u32_e32 vcc_lo, 0, v1
	s_cbranch_vccnz .LBB88_106
; %bb.103:                              ;   in Loop: Header=BB88_6 Depth=1
	s_and_saveexec_b32 s24, s3
; %bb.104:                              ;   in Loop: Header=BB88_6 Depth=1
	v_mov_b32_e32 v1, s13
	ds_write_b32 v9, v1 offset:4100
; %bb.105:                              ;   in Loop: Header=BB88_6 Depth=1
	s_or_b32 exec_lo, exec_lo, s24
	s_waitcnt lgkmcnt(0)
	s_barrier
	buffer_gl0_inv
.LBB88_106:                             ;   in Loop: Header=BB88_6 Depth=1
	s_or_saveexec_b32 s19, s19
	v_mov_b32_e32 v3, 8
	v_mov_b32_e32 v32, v30
	s_mov_b32 s24, 0
	s_xor_b32 exec_lo, exec_lo, s19
; %bb.107:                              ;   in Loop: Header=BB88_6 Depth=1
	v_subrev_nc_u32_e32 v32, s13, v30
	v_mov_b32_e32 v3, 0
	s_mov_b32 s24, exec_lo
; %bb.108:                              ;   in Loop: Header=BB88_6 Depth=1
	s_or_b32 exec_lo, exec_lo, s19
	s_and_b32 s26, s24, exec_lo
.LBB88_109:                             ;   in Loop: Header=BB88_6 Depth=1
	s_or_b32 exec_lo, exec_lo, s11
	s_mov_b32 s25, -1
                                        ; implicit-def: $sgpr19
                                        ; implicit-def: $sgpr24
	s_and_saveexec_b32 s11, s26
	s_xor_b32 s11, exec_lo, s11
	s_cbranch_execz .LBB88_232
; %bb.110:                              ;   in Loop: Header=BB88_6 Depth=1
	v_cmp_eq_u32_e32 vcc_lo, 1, v32
	s_cmp_eq_u32 s16, 1
	s_mov_b32 s27, -1
	s_cselect_b32 s19, -1, 0
                                        ; implicit-def: $sgpr24
	s_and_b32 s26, s19, vcc_lo
                                        ; implicit-def: $sgpr19
	s_and_saveexec_b32 s25, s26
	s_cbranch_execz .LBB88_138
; %bb.111:                              ;   in Loop: Header=BB88_6 Depth=1
	ds_read_b32 v1, v9 offset:4096
	s_waitcnt lgkmcnt(0)
	s_barrier
	buffer_gl0_inv
	v_readfirstlane_b32 s28, v1
	s_and_saveexec_b32 s19, s6
; %bb.112:                              ;   in Loop: Header=BB88_6 Depth=1
	ds_write_b32 v20, v9
; %bb.113:                              ;   in Loop: Header=BB88_6 Depth=1
	s_or_b32 exec_lo, exec_lo, s19
	s_lshl_b32 s19, 1, s81
	v_or_b32_e32 v31, s14, v31
	v_and_or_b32 v4, v4, s15, s19
	s_mov_b32 s19, -1
	s_mov_b32 s24, 0
	s_cmp_eq_u32 s28, 0
	s_mov_b32 s27, 0
	s_mov_b32 s29, -1
	s_waitcnt lgkmcnt(0)
	s_barrier
	buffer_gl0_inv
                                        ; implicit-def: $vgpr2
	s_cbranch_scc1 .LBB88_125
; %bb.114:                              ;   in Loop: Header=BB88_6 Depth=1
	s_add_i32 s27, s28, s66
                                        ; implicit-def: $vgpr2
	s_mul_hi_u32 s29, s27, s72
	s_mul_i32 s29, s29, s43
	s_sub_i32 s29, s27, s29
	s_sub_i32 s88, s29, s43
	s_cmp_ge_u32 s29, s43
	s_cselect_b32 s29, s88, s29
	s_sub_i32 s88, s29, s43
	s_cmp_ge_u32 s29, s43
	s_cselect_b32 s29, s88, s29
	s_mov_b32 s88, exec_lo
	s_sub_i32 s89, s27, s29
	s_mov_b32 s29, 0
	s_mov_b32 s27, 0
	v_cmpx_gt_u32_e64 s89, v0
	s_cbranch_execz .LBB88_124
; %bb.115:                              ;   in Loop: Header=BB88_6 Depth=1
	v_mov_b32_e32 v8, v18
	v_mov_b32_e32 v33, v0
                                        ; implicit-def: $sgpr90
	s_inst_prefetch 0x1
	s_branch .LBB88_119
	.p2align	6
.LBB88_116:                             ;   in Loop: Header=BB88_119 Depth=2
	s_or_b32 exec_lo, exec_lo, s91
	s_waitcnt lgkmcnt(0)
	s_barrier
	buffer_gl0_inv
	ds_read_b64 v[1:2], v9 offset:3072
	s_waitcnt lgkmcnt(0)
	s_barrier
	buffer_gl0_inv
	v_cmp_neq_f32_e32 vcc_lo, 0, v1
	s_cbranch_vccnz .LBB88_122
; %bb.117:                              ;   in Loop: Header=BB88_119 Depth=2
	v_add_nc_u32_e32 v33, s43, v33
	v_add_nc_u32_e32 v8, s61, v8
	s_mov_b32 s91, 0
	v_cmp_le_u32_e32 vcc_lo, s89, v33
	s_orn2_b32 s92, vcc_lo, exec_lo
.LBB88_118:                             ;   in Loop: Header=BB88_119 Depth=2
	s_and_b32 s92, exec_lo, s92
	s_or_b32 s27, s92, s27
	s_andn2_b32 s90, s90, exec_lo
	s_and_b32 s91, s91, exec_lo
	s_or_b32 s90, s90, s91
	s_andn2_b32 exec_lo, exec_lo, s27
	s_cbranch_execz .LBB88_123
.LBB88_119:                             ;   Parent Loop BB88_6 Depth=1
                                        ; =>  This Inner Loop Header: Depth=2
	s_mov_b32 s91, exec_lo
	v_cmpx_gt_u32_e64 s28, v33
	s_cbranch_execz .LBB88_116
; %bb.120:                              ;   in Loop: Header=BB88_119 Depth=2
	ds_read_b32 v14, v8
	s_waitcnt lgkmcnt(0)
	v_cmp_lt_i32_e32 vcc_lo, -1, v14
	v_cndmask_b32_e64 v1, -1, 0x80000000, vcc_lo
	v_cmp_o_f32_e32 vcc_lo, v14, v14
	v_xor_b32_e32 v1, v1, v14
	v_cndmask_b32_e32 v1, -1, v1, vcc_lo
	v_and_b32_e32 v1, v1, v31
	v_cmp_eq_u32_e32 vcc_lo, v1, v4
	s_and_b32 exec_lo, exec_lo, vcc_lo
	s_cbranch_execz .LBB88_116
; %bb.121:                              ;   in Loop: Header=BB88_119 Depth=2
	ds_write_b64 v9, v[13:14] offset:3072
	s_branch .LBB88_116
.LBB88_122:                             ;   in Loop: Header=BB88_119 Depth=2
	s_mov_b32 s92, -1
	s_mov_b32 s91, -1
                                        ; implicit-def: $vgpr33
                                        ; implicit-def: $vgpr8
	s_branch .LBB88_118
.LBB88_123:                             ;   in Loop: Header=BB88_6 Depth=1
	s_inst_prefetch 0x2
	s_or_b32 exec_lo, exec_lo, s27
	s_and_b32 s27, s90, exec_lo
.LBB88_124:                             ;   in Loop: Header=BB88_6 Depth=1
	s_or_b32 exec_lo, exec_lo, s88
.LBB88_125:                             ;   in Loop: Header=BB88_6 Depth=1
	s_and_b32 vcc_lo, exec_lo, s29
	s_cbranch_vccz .LBB88_137
; %bb.126:                              ;   in Loop: Header=BB88_6 Depth=1
                                        ; implicit-def: $vgpr2
	s_and_saveexec_b32 s19, s9
	s_cbranch_execz .LBB88_136
; %bb.127:                              ;   in Loop: Header=BB88_6 Depth=1
	v_mov_b32_e32 v8, v7
	v_mov_b32_e32 v33, v0
	s_mov_b32 s24, 0
                                        ; implicit-def: $sgpr28
	s_branch .LBB88_131
.LBB88_128:                             ;   in Loop: Header=BB88_131 Depth=2
	s_or_b32 exec_lo, exec_lo, s29
	s_waitcnt lgkmcnt(0)
	s_barrier
	buffer_gl0_inv
	ds_read_b64 v[1:2], v9 offset:3072
	s_waitcnt lgkmcnt(0)
	s_barrier
	buffer_gl0_inv
	v_cmp_eq_f32_e32 vcc_lo, 0, v1
	s_cbranch_vccz .LBB88_134
; %bb.129:                              ;   in Loop: Header=BB88_131 Depth=2
	v_add_nc_u32_e32 v33, s43, v33
	v_add_nc_u32_e32 v8, s47, v8
	s_mov_b32 s29, 0
	v_cmp_le_u32_e32 vcc_lo, s73, v33
	s_orn2_b32 s88, vcc_lo, exec_lo
.LBB88_130:                             ;   in Loop: Header=BB88_131 Depth=2
	s_and_b32 s88, exec_lo, s88
	s_or_b32 s24, s88, s24
	s_andn2_b32 s28, s28, exec_lo
	s_and_b32 s29, s29, exec_lo
	s_or_b32 s28, s28, s29
	s_andn2_b32 exec_lo, exec_lo, s24
	s_cbranch_execz .LBB88_135
.LBB88_131:                             ;   Parent Loop BB88_6 Depth=1
                                        ; =>  This Inner Loop Header: Depth=2
	s_mov_b32 s29, exec_lo
	v_cmpx_gt_u32_e64 s36, v33
	s_cbranch_execz .LBB88_128
; %bb.132:                              ;   in Loop: Header=BB88_131 Depth=2
	v_lshlrev_b64 v[1:2], 2, v[8:9]
	v_add_co_u32 v1, vcc_lo, s31, v1
	v_add_co_ci_u32_e64 v2, null, s33, v2, vcc_lo
	global_load_dword v14, v[1:2], off
	s_waitcnt vmcnt(0)
	v_cmp_lt_i32_e32 vcc_lo, -1, v14
	v_cndmask_b32_e64 v1, -1, 0x80000000, vcc_lo
	v_cmp_o_f32_e32 vcc_lo, v14, v14
	v_xor_b32_e32 v1, v1, v14
	v_cndmask_b32_e32 v1, -1, v1, vcc_lo
	v_and_b32_e32 v1, v1, v31
	v_cmp_eq_u32_e32 vcc_lo, v1, v4
	s_and_b32 exec_lo, exec_lo, vcc_lo
	s_cbranch_execz .LBB88_128
; %bb.133:                              ;   in Loop: Header=BB88_131 Depth=2
	ds_write_b64 v9, v[13:14] offset:3072
	s_branch .LBB88_128
.LBB88_134:                             ;   in Loop: Header=BB88_131 Depth=2
	s_mov_b32 s88, -1
	s_mov_b32 s29, -1
                                        ; implicit-def: $vgpr33
	s_branch .LBB88_130
.LBB88_135:                             ;   in Loop: Header=BB88_6 Depth=1
	s_or_b32 exec_lo, exec_lo, s24
	s_andn2_b32 s24, s27, exec_lo
	s_and_b32 s27, s28, exec_lo
	s_or_b32 s27, s24, s27
.LBB88_136:                             ;   in Loop: Header=BB88_6 Depth=1
	s_or_b32 exec_lo, exec_lo, s19
	s_mov_b32 s19, 0
	s_mov_b32 s24, -1
.LBB88_137:                             ;   in Loop: Header=BB88_6 Depth=1
	s_orn2_b32 s27, s27, exec_lo
.LBB88_138:                             ;   in Loop: Header=BB88_6 Depth=1
	s_or_b32 exec_lo, exec_lo, s25
	s_mov_b32 s28, 0
	s_and_saveexec_b32 s25, s27
	s_cbranch_execz .LBB88_231
; %bb.139:                              ;   in Loop: Header=BB88_6 Depth=1
	v_mov_b32_e32 v33, 1
	v_mov_b32_e32 v3, 1
	s_xor_b32 s27, s26, -1
	s_mov_b32 s88, 0
	s_and_saveexec_b32 s26, s27
	s_cbranch_execz .LBB88_148
; %bb.140:                              ;   in Loop: Header=BB88_6 Depth=1
	s_mov_b32 s27, exec_lo
	v_cmpx_ge_u32_e64 s16, v32
	s_xor_b32 s27, exec_lo, s27
	s_cbranch_execz .LBB88_145
; %bb.141:                              ;   in Loop: Header=BB88_6 Depth=1
	ds_read_b32 v1, v9 offset:4096
	s_lshl_b32 s28, 1, s81
	v_or_b32_e32 v31, s14, v31
	v_and_or_b32 v4, v4, s15, s28
	s_waitcnt lgkmcnt(0)
	v_cmp_ne_u32_e32 vcc_lo, 0, v1
	s_cbranch_vccnz .LBB88_145
; %bb.142:                              ;   in Loop: Header=BB88_6 Depth=1
	s_and_saveexec_b32 s28, s3
; %bb.143:                              ;   in Loop: Header=BB88_6 Depth=1
	v_mov_b32_e32 v1, s16
	ds_write_b32 v9, v1 offset:4100
; %bb.144:                              ;   in Loop: Header=BB88_6 Depth=1
	s_or_b32 exec_lo, exec_lo, s28
	s_waitcnt lgkmcnt(0)
	s_barrier
	buffer_gl0_inv
.LBB88_145:                             ;   in Loop: Header=BB88_6 Depth=1
	s_or_saveexec_b32 s27, s27
	v_mov_b32_e32 v3, 8
	s_mov_b32 s28, 0
	s_xor_b32 exec_lo, exec_lo, s27
; %bb.146:                              ;   in Loop: Header=BB88_6 Depth=1
	v_subrev_nc_u32_e32 v32, s16, v32
	v_mov_b32_e32 v3, 0
	s_mov_b32 s28, exec_lo
; %bb.147:                              ;   in Loop: Header=BB88_6 Depth=1
	s_or_b32 exec_lo, exec_lo, s27
	v_mov_b32_e32 v33, v32
	s_and_b32 s88, s28, exec_lo
.LBB88_148:                             ;   in Loop: Header=BB88_6 Depth=1
	s_or_b32 exec_lo, exec_lo, s26
	s_mov_b32 s29, -1
                                        ; implicit-def: $sgpr27
                                        ; implicit-def: $sgpr28
	s_and_saveexec_b32 s26, s88
	s_cbranch_execz .LBB88_230
; %bb.149:                              ;   in Loop: Header=BB88_6 Depth=1
	v_cmp_eq_u32_e32 vcc_lo, 1, v33
	s_cmp_eq_u32 s17, 1
	s_mov_b32 s89, -1
	s_cselect_b32 s27, -1, 0
                                        ; implicit-def: $sgpr28
	s_and_b32 s88, s27, vcc_lo
                                        ; implicit-def: $sgpr27
	s_and_saveexec_b32 s29, s88
	s_cbranch_execz .LBB88_177
; %bb.150:                              ;   in Loop: Header=BB88_6 Depth=1
	ds_read_b32 v1, v9 offset:4096
	s_waitcnt lgkmcnt(0)
	s_barrier
	buffer_gl0_inv
	v_readfirstlane_b32 s90, v1
	s_and_saveexec_b32 s27, s6
; %bb.151:                              ;   in Loop: Header=BB88_6 Depth=1
	ds_write_b32 v20, v9
; %bb.152:                              ;   in Loop: Header=BB88_6 Depth=1
	s_or_b32 exec_lo, exec_lo, s27
	s_lshl_b32 s27, 2, s81
	v_or_b32_e32 v31, s14, v31
	v_and_or_b32 v4, v4, s15, s27
	s_mov_b32 s27, -1
	s_mov_b32 s28, 0
	s_cmp_eq_u32 s90, 0
	s_mov_b32 s89, 0
	s_mov_b32 s91, -1
	s_waitcnt lgkmcnt(0)
	s_barrier
	buffer_gl0_inv
                                        ; implicit-def: $vgpr2
	s_cbranch_scc1 .LBB88_164
; %bb.153:                              ;   in Loop: Header=BB88_6 Depth=1
	s_add_i32 s89, s90, s66
                                        ; implicit-def: $vgpr2
	s_mul_hi_u32 s91, s89, s72
	s_mul_i32 s91, s91, s43
	s_sub_i32 s91, s89, s91
	s_sub_i32 s92, s91, s43
	s_cmp_ge_u32 s91, s43
	s_cselect_b32 s91, s92, s91
	s_sub_i32 s92, s91, s43
	s_cmp_ge_u32 s91, s43
	s_cselect_b32 s91, s92, s91
	s_mov_b32 s92, exec_lo
	s_sub_i32 s93, s89, s91
	s_mov_b32 s91, 0
	s_mov_b32 s89, 0
	v_cmpx_gt_u32_e64 s93, v0
	s_cbranch_execz .LBB88_163
; %bb.154:                              ;   in Loop: Header=BB88_6 Depth=1
	v_mov_b32_e32 v8, v18
	v_mov_b32_e32 v32, v0
                                        ; implicit-def: $sgpr94
	s_inst_prefetch 0x1
	s_branch .LBB88_158
	.p2align	6
.LBB88_155:                             ;   in Loop: Header=BB88_158 Depth=2
	s_or_b32 exec_lo, exec_lo, s95
	s_waitcnt lgkmcnt(0)
	s_barrier
	buffer_gl0_inv
	ds_read_b64 v[1:2], v9 offset:3072
	s_waitcnt lgkmcnt(0)
	s_barrier
	buffer_gl0_inv
	v_cmp_neq_f32_e32 vcc_lo, 0, v1
	s_cbranch_vccnz .LBB88_161
; %bb.156:                              ;   in Loop: Header=BB88_158 Depth=2
	v_add_nc_u32_e32 v32, s43, v32
	v_add_nc_u32_e32 v8, s61, v8
	s_mov_b32 s95, 0
	v_cmp_le_u32_e32 vcc_lo, s93, v32
	s_orn2_b32 s96, vcc_lo, exec_lo
.LBB88_157:                             ;   in Loop: Header=BB88_158 Depth=2
	s_and_b32 s96, exec_lo, s96
	s_or_b32 s89, s96, s89
	s_andn2_b32 s94, s94, exec_lo
	s_and_b32 s95, s95, exec_lo
	s_or_b32 s94, s94, s95
	s_andn2_b32 exec_lo, exec_lo, s89
	s_cbranch_execz .LBB88_162
.LBB88_158:                             ;   Parent Loop BB88_6 Depth=1
                                        ; =>  This Inner Loop Header: Depth=2
	s_mov_b32 s95, exec_lo
	v_cmpx_gt_u32_e64 s90, v32
	s_cbranch_execz .LBB88_155
; %bb.159:                              ;   in Loop: Header=BB88_158 Depth=2
	ds_read_b32 v14, v8
	s_waitcnt lgkmcnt(0)
	v_cmp_lt_i32_e32 vcc_lo, -1, v14
	v_cndmask_b32_e64 v1, -1, 0x80000000, vcc_lo
	v_cmp_o_f32_e32 vcc_lo, v14, v14
	v_xor_b32_e32 v1, v1, v14
	v_cndmask_b32_e32 v1, -1, v1, vcc_lo
	v_and_b32_e32 v1, v1, v31
	v_cmp_eq_u32_e32 vcc_lo, v1, v4
	s_and_b32 exec_lo, exec_lo, vcc_lo
	s_cbranch_execz .LBB88_155
; %bb.160:                              ;   in Loop: Header=BB88_158 Depth=2
	ds_write_b64 v9, v[13:14] offset:3072
	s_branch .LBB88_155
.LBB88_161:                             ;   in Loop: Header=BB88_158 Depth=2
	s_mov_b32 s96, -1
	s_mov_b32 s95, -1
                                        ; implicit-def: $vgpr32
                                        ; implicit-def: $vgpr8
	s_branch .LBB88_157
.LBB88_162:                             ;   in Loop: Header=BB88_6 Depth=1
	s_inst_prefetch 0x2
	s_or_b32 exec_lo, exec_lo, s89
	s_and_b32 s89, s94, exec_lo
.LBB88_163:                             ;   in Loop: Header=BB88_6 Depth=1
	s_or_b32 exec_lo, exec_lo, s92
.LBB88_164:                             ;   in Loop: Header=BB88_6 Depth=1
	s_and_b32 vcc_lo, exec_lo, s91
	s_cbranch_vccz .LBB88_176
; %bb.165:                              ;   in Loop: Header=BB88_6 Depth=1
                                        ; implicit-def: $vgpr2
	s_and_saveexec_b32 s27, s9
	s_cbranch_execz .LBB88_175
; %bb.166:                              ;   in Loop: Header=BB88_6 Depth=1
	v_mov_b32_e32 v8, v7
	v_mov_b32_e32 v32, v0
	s_mov_b32 s28, 0
                                        ; implicit-def: $sgpr90
	s_branch .LBB88_170
.LBB88_167:                             ;   in Loop: Header=BB88_170 Depth=2
	s_or_b32 exec_lo, exec_lo, s91
	s_waitcnt lgkmcnt(0)
	s_barrier
	buffer_gl0_inv
	ds_read_b64 v[1:2], v9 offset:3072
	s_waitcnt lgkmcnt(0)
	s_barrier
	buffer_gl0_inv
	v_cmp_eq_f32_e32 vcc_lo, 0, v1
	s_cbranch_vccz .LBB88_173
; %bb.168:                              ;   in Loop: Header=BB88_170 Depth=2
	v_add_nc_u32_e32 v32, s43, v32
	v_add_nc_u32_e32 v8, s47, v8
	s_mov_b32 s91, 0
	v_cmp_le_u32_e32 vcc_lo, s73, v32
	s_orn2_b32 s92, vcc_lo, exec_lo
.LBB88_169:                             ;   in Loop: Header=BB88_170 Depth=2
	s_and_b32 s92, exec_lo, s92
	s_or_b32 s28, s92, s28
	s_andn2_b32 s90, s90, exec_lo
	s_and_b32 s91, s91, exec_lo
	s_or_b32 s90, s90, s91
	s_andn2_b32 exec_lo, exec_lo, s28
	s_cbranch_execz .LBB88_174
.LBB88_170:                             ;   Parent Loop BB88_6 Depth=1
                                        ; =>  This Inner Loop Header: Depth=2
	s_mov_b32 s91, exec_lo
	v_cmpx_gt_u32_e64 s36, v32
	s_cbranch_execz .LBB88_167
; %bb.171:                              ;   in Loop: Header=BB88_170 Depth=2
	v_lshlrev_b64 v[1:2], 2, v[8:9]
	v_add_co_u32 v1, vcc_lo, s31, v1
	v_add_co_ci_u32_e64 v2, null, s33, v2, vcc_lo
	global_load_dword v14, v[1:2], off
	s_waitcnt vmcnt(0)
	v_cmp_lt_i32_e32 vcc_lo, -1, v14
	v_cndmask_b32_e64 v1, -1, 0x80000000, vcc_lo
	v_cmp_o_f32_e32 vcc_lo, v14, v14
	v_xor_b32_e32 v1, v1, v14
	v_cndmask_b32_e32 v1, -1, v1, vcc_lo
	v_and_b32_e32 v1, v1, v31
	v_cmp_eq_u32_e32 vcc_lo, v1, v4
	s_and_b32 exec_lo, exec_lo, vcc_lo
	s_cbranch_execz .LBB88_167
; %bb.172:                              ;   in Loop: Header=BB88_170 Depth=2
	ds_write_b64 v9, v[13:14] offset:3072
	s_branch .LBB88_167
.LBB88_173:                             ;   in Loop: Header=BB88_170 Depth=2
	s_mov_b32 s92, -1
	s_mov_b32 s91, -1
                                        ; implicit-def: $vgpr32
	s_branch .LBB88_169
.LBB88_174:                             ;   in Loop: Header=BB88_6 Depth=1
	s_or_b32 exec_lo, exec_lo, s28
	s_andn2_b32 s28, s89, exec_lo
	s_and_b32 s89, s90, exec_lo
	s_or_b32 s89, s28, s89
.LBB88_175:                             ;   in Loop: Header=BB88_6 Depth=1
	s_or_b32 exec_lo, exec_lo, s27
	s_mov_b32 s27, 0
	s_mov_b32 s28, -1
.LBB88_176:                             ;   in Loop: Header=BB88_6 Depth=1
	s_orn2_b32 s89, s89, exec_lo
.LBB88_177:                             ;   in Loop: Header=BB88_6 Depth=1
	s_or_b32 exec_lo, exec_lo, s29
	s_mov_b32 s90, 0
	s_and_saveexec_b32 s29, s89
	s_cbranch_execz .LBB88_229
; %bb.178:                              ;   in Loop: Header=BB88_6 Depth=1
	v_mov_b32_e32 v32, 1
	v_mov_b32_e32 v3, 1
	s_xor_b32 s89, s88, -1
	s_mov_b32 s92, 0
	s_and_saveexec_b32 s88, s89
	s_cbranch_execz .LBB88_187
; %bb.179:                              ;   in Loop: Header=BB88_6 Depth=1
	s_mov_b32 s89, exec_lo
	v_cmpx_ge_u32_e64 s17, v33
	s_xor_b32 s89, exec_lo, s89
	s_cbranch_execz .LBB88_184
; %bb.180:                              ;   in Loop: Header=BB88_6 Depth=1
	ds_read_b32 v1, v9 offset:4096
	s_lshl_b32 s90, 2, s81
	v_or_b32_e32 v31, s14, v31
	v_and_or_b32 v4, v4, s15, s90
	s_waitcnt lgkmcnt(0)
	v_cmp_ne_u32_e32 vcc_lo, 0, v1
	s_cbranch_vccnz .LBB88_184
; %bb.181:                              ;   in Loop: Header=BB88_6 Depth=1
	s_and_saveexec_b32 s90, s3
; %bb.182:                              ;   in Loop: Header=BB88_6 Depth=1
	v_mov_b32_e32 v1, s17
	ds_write_b32 v9, v1 offset:4100
; %bb.183:                              ;   in Loop: Header=BB88_6 Depth=1
	s_or_b32 exec_lo, exec_lo, s90
	s_waitcnt lgkmcnt(0)
	s_barrier
	buffer_gl0_inv
.LBB88_184:                             ;   in Loop: Header=BB88_6 Depth=1
	s_or_saveexec_b32 s89, s89
	v_mov_b32_e32 v3, 8
	s_mov_b32 s90, 0
	s_xor_b32 exec_lo, exec_lo, s89
; %bb.185:                              ;   in Loop: Header=BB88_6 Depth=1
	v_subrev_nc_u32_e32 v33, s17, v33
	v_mov_b32_e32 v3, 0
	s_mov_b32 s90, exec_lo
; %bb.186:                              ;   in Loop: Header=BB88_6 Depth=1
	s_or_b32 exec_lo, exec_lo, s89
	v_mov_b32_e32 v32, v33
	s_and_b32 s92, s90, exec_lo
.LBB88_187:                             ;   in Loop: Header=BB88_6 Depth=1
	s_or_b32 exec_lo, exec_lo, s88
	s_mov_b32 s89, -1
                                        ; implicit-def: $sgpr91
                                        ; implicit-def: $sgpr90
	s_and_saveexec_b32 s88, s92
	s_cbranch_execz .LBB88_228
; %bb.188:                              ;   in Loop: Header=BB88_6 Depth=1
	v_cmp_eq_u32_e32 vcc_lo, 1, v32
	s_cmp_eq_u32 s18, 1
	s_mov_b32 s93, -1
	s_cselect_b32 s89, -1, 0
                                        ; implicit-def: $sgpr91
                                        ; implicit-def: $sgpr90
	s_and_b32 s89, s89, vcc_lo
	s_and_saveexec_b32 s92, s89
	s_cbranch_execz .LBB88_216
; %bb.189:                              ;   in Loop: Header=BB88_6 Depth=1
	ds_read_b32 v1, v9 offset:4096
	s_waitcnt lgkmcnt(0)
	s_barrier
	buffer_gl0_inv
	v_readfirstlane_b32 s94, v1
	s_and_saveexec_b32 s90, s6
; %bb.190:                              ;   in Loop: Header=BB88_6 Depth=1
	ds_write_b32 v20, v9
; %bb.191:                              ;   in Loop: Header=BB88_6 Depth=1
	s_or_b32 exec_lo, exec_lo, s90
	v_or_b32_e32 v4, s14, v4
	v_or_b32_e32 v31, s14, v31
	s_mov_b32 s90, -1
	s_mov_b32 s91, 0
	s_cmp_eq_u32 s94, 0
	s_mov_b32 s93, 0
	s_mov_b32 s95, -1
	s_waitcnt lgkmcnt(0)
	s_barrier
	buffer_gl0_inv
                                        ; implicit-def: $vgpr2
	s_cbranch_scc1 .LBB88_203
; %bb.192:                              ;   in Loop: Header=BB88_6 Depth=1
	s_add_i32 s93, s94, s66
                                        ; implicit-def: $vgpr2
	s_mul_hi_u32 s95, s93, s72
	s_mul_i32 s95, s95, s43
	s_sub_i32 s95, s93, s95
	s_sub_i32 s96, s95, s43
	s_cmp_ge_u32 s95, s43
	s_cselect_b32 s95, s96, s95
	s_sub_i32 s96, s95, s43
	s_cmp_ge_u32 s95, s43
	s_cselect_b32 s95, s96, s95
	s_mov_b32 s96, exec_lo
	s_sub_i32 s97, s93, s95
	s_mov_b32 s95, 0
	s_mov_b32 s93, 0
	v_cmpx_gt_u32_e64 s97, v0
	s_cbranch_execz .LBB88_202
; %bb.193:                              ;   in Loop: Header=BB88_6 Depth=1
	v_mov_b32_e32 v8, v18
	v_mov_b32_e32 v33, v0
                                        ; implicit-def: $sgpr98
	s_inst_prefetch 0x1
	s_branch .LBB88_197
	.p2align	6
.LBB88_194:                             ;   in Loop: Header=BB88_197 Depth=2
	s_or_b32 exec_lo, exec_lo, s99
	s_waitcnt lgkmcnt(0)
	s_barrier
	buffer_gl0_inv
	ds_read_b64 v[1:2], v9 offset:3072
	s_waitcnt lgkmcnt(0)
	s_barrier
	buffer_gl0_inv
	v_cmp_neq_f32_e32 vcc_lo, 0, v1
	s_cbranch_vccnz .LBB88_200
; %bb.195:                              ;   in Loop: Header=BB88_197 Depth=2
	v_add_nc_u32_e32 v33, s43, v33
	v_add_nc_u32_e32 v8, s61, v8
	s_mov_b32 s99, 0
	v_cmp_le_u32_e32 vcc_lo, s97, v33
	s_orn2_b32 s104, vcc_lo, exec_lo
.LBB88_196:                             ;   in Loop: Header=BB88_197 Depth=2
	s_and_b32 s104, exec_lo, s104
	s_or_b32 s93, s104, s93
	s_andn2_b32 s98, s98, exec_lo
	s_and_b32 s99, s99, exec_lo
	s_or_b32 s98, s98, s99
	s_andn2_b32 exec_lo, exec_lo, s93
	s_cbranch_execz .LBB88_201
.LBB88_197:                             ;   Parent Loop BB88_6 Depth=1
                                        ; =>  This Inner Loop Header: Depth=2
	s_mov_b32 s99, exec_lo
	v_cmpx_gt_u32_e64 s94, v33
	s_cbranch_execz .LBB88_194
; %bb.198:                              ;   in Loop: Header=BB88_197 Depth=2
	ds_read_b32 v14, v8
	s_waitcnt lgkmcnt(0)
	v_cmp_lt_i32_e32 vcc_lo, -1, v14
	v_cndmask_b32_e64 v1, -1, 0x80000000, vcc_lo
	v_cmp_o_f32_e32 vcc_lo, v14, v14
	v_xor_b32_e32 v1, v1, v14
	v_cndmask_b32_e32 v1, -1, v1, vcc_lo
	v_and_b32_e32 v1, v1, v31
	v_cmp_eq_u32_e32 vcc_lo, v1, v4
	s_and_b32 exec_lo, exec_lo, vcc_lo
	s_cbranch_execz .LBB88_194
; %bb.199:                              ;   in Loop: Header=BB88_197 Depth=2
	ds_write_b64 v9, v[13:14] offset:3072
	s_branch .LBB88_194
.LBB88_200:                             ;   in Loop: Header=BB88_197 Depth=2
	s_mov_b32 s104, -1
	s_mov_b32 s99, -1
                                        ; implicit-def: $vgpr33
                                        ; implicit-def: $vgpr8
	s_branch .LBB88_196
.LBB88_201:                             ;   in Loop: Header=BB88_6 Depth=1
	s_inst_prefetch 0x2
	s_or_b32 exec_lo, exec_lo, s93
	s_and_b32 s93, s98, exec_lo
.LBB88_202:                             ;   in Loop: Header=BB88_6 Depth=1
	s_or_b32 exec_lo, exec_lo, s96
.LBB88_203:                             ;   in Loop: Header=BB88_6 Depth=1
	s_and_b32 vcc_lo, exec_lo, s95
	s_cbranch_vccz .LBB88_215
; %bb.204:                              ;   in Loop: Header=BB88_6 Depth=1
                                        ; implicit-def: $vgpr2
	s_and_saveexec_b32 s90, s9
	s_cbranch_execz .LBB88_214
; %bb.205:                              ;   in Loop: Header=BB88_6 Depth=1
	v_mov_b32_e32 v8, v7
	v_mov_b32_e32 v33, v0
	s_mov_b32 s91, 0
                                        ; implicit-def: $sgpr94
	s_branch .LBB88_209
.LBB88_206:                             ;   in Loop: Header=BB88_209 Depth=2
	s_or_b32 exec_lo, exec_lo, s95
	s_waitcnt lgkmcnt(0)
	s_barrier
	buffer_gl0_inv
	ds_read_b64 v[1:2], v9 offset:3072
	s_waitcnt lgkmcnt(0)
	s_barrier
	buffer_gl0_inv
	v_cmp_eq_f32_e32 vcc_lo, 0, v1
	s_cbranch_vccz .LBB88_212
; %bb.207:                              ;   in Loop: Header=BB88_209 Depth=2
	v_add_nc_u32_e32 v33, s43, v33
	v_add_nc_u32_e32 v8, s47, v8
	s_mov_b32 s95, 0
	v_cmp_le_u32_e32 vcc_lo, s73, v33
	s_orn2_b32 s96, vcc_lo, exec_lo
.LBB88_208:                             ;   in Loop: Header=BB88_209 Depth=2
	s_and_b32 s96, exec_lo, s96
	s_or_b32 s91, s96, s91
	s_andn2_b32 s94, s94, exec_lo
	s_and_b32 s95, s95, exec_lo
	s_or_b32 s94, s94, s95
	s_andn2_b32 exec_lo, exec_lo, s91
	s_cbranch_execz .LBB88_213
.LBB88_209:                             ;   Parent Loop BB88_6 Depth=1
                                        ; =>  This Inner Loop Header: Depth=2
	s_mov_b32 s95, exec_lo
	v_cmpx_gt_u32_e64 s36, v33
	s_cbranch_execz .LBB88_206
; %bb.210:                              ;   in Loop: Header=BB88_209 Depth=2
	v_lshlrev_b64 v[1:2], 2, v[8:9]
	v_add_co_u32 v1, vcc_lo, s31, v1
	v_add_co_ci_u32_e64 v2, null, s33, v2, vcc_lo
	global_load_dword v14, v[1:2], off
	s_waitcnt vmcnt(0)
	v_cmp_lt_i32_e32 vcc_lo, -1, v14
	v_cndmask_b32_e64 v1, -1, 0x80000000, vcc_lo
	v_cmp_o_f32_e32 vcc_lo, v14, v14
	v_xor_b32_e32 v1, v1, v14
	v_cndmask_b32_e32 v1, -1, v1, vcc_lo
	v_and_b32_e32 v1, v1, v31
	v_cmp_eq_u32_e32 vcc_lo, v1, v4
	s_and_b32 exec_lo, exec_lo, vcc_lo
	s_cbranch_execz .LBB88_206
; %bb.211:                              ;   in Loop: Header=BB88_209 Depth=2
	ds_write_b64 v9, v[13:14] offset:3072
	s_branch .LBB88_206
.LBB88_212:                             ;   in Loop: Header=BB88_209 Depth=2
	s_mov_b32 s96, -1
	s_mov_b32 s95, -1
                                        ; implicit-def: $vgpr33
	s_branch .LBB88_208
.LBB88_213:                             ;   in Loop: Header=BB88_6 Depth=1
	s_or_b32 exec_lo, exec_lo, s91
	s_andn2_b32 s91, s93, exec_lo
	s_and_b32 s93, s94, exec_lo
	s_or_b32 s93, s91, s93
.LBB88_214:                             ;   in Loop: Header=BB88_6 Depth=1
	s_or_b32 exec_lo, exec_lo, s90
	s_mov_b32 s90, 0
	s_mov_b32 s91, -1
.LBB88_215:                             ;   in Loop: Header=BB88_6 Depth=1
	s_orn2_b32 s93, s93, exec_lo
.LBB88_216:                             ;   in Loop: Header=BB88_6 Depth=1
	s_or_b32 exec_lo, exec_lo, s92
	s_mov_b32 s94, 0
	s_and_saveexec_b32 s92, s93
	s_cbranch_execz .LBB88_227
; %bb.217:                              ;   in Loop: Header=BB88_6 Depth=1
	v_mov_b32_e32 v3, 1
	v_mov_b32_e32 v1, 1
	s_xor_b32 s93, s89, -1
	s_and_saveexec_b32 s89, s93
	s_cbranch_execz .LBB88_226
; %bb.218:                              ;   in Loop: Header=BB88_6 Depth=1
	s_mov_b32 s93, exec_lo
	v_cmpx_ge_u32_e64 s18, v32
	s_xor_b32 s93, exec_lo, s93
	s_cbranch_execz .LBB88_223
; %bb.219:                              ;   in Loop: Header=BB88_6 Depth=1
	ds_read_b32 v1, v9 offset:4096
	v_or_b32_e32 v4, s14, v4
	v_or_b32_e32 v31, s14, v31
	s_waitcnt lgkmcnt(0)
	v_cmp_ne_u32_e32 vcc_lo, 0, v1
	s_cbranch_vccnz .LBB88_223
; %bb.220:                              ;   in Loop: Header=BB88_6 Depth=1
	s_and_saveexec_b32 s94, s3
; %bb.221:                              ;   in Loop: Header=BB88_6 Depth=1
	v_mov_b32_e32 v1, s18
	ds_write_b32 v9, v1 offset:4100
; %bb.222:                              ;   in Loop: Header=BB88_6 Depth=1
	s_or_b32 exec_lo, exec_lo, s94
	s_waitcnt lgkmcnt(0)
	s_barrier
	buffer_gl0_inv
.LBB88_223:                             ;   in Loop: Header=BB88_6 Depth=1
	s_andn2_saveexec_b32 s93, s93
; %bb.224:                              ;   in Loop: Header=BB88_6 Depth=1
	v_subrev_nc_u32_e32 v32, s18, v32
; %bb.225:                              ;   in Loop: Header=BB88_6 Depth=1
	s_or_b32 exec_lo, exec_lo, s93
	v_mov_b32_e32 v3, 8
	v_mov_b32_e32 v1, v32
.LBB88_226:                             ;   in Loop: Header=BB88_6 Depth=1
	s_or_b32 exec_lo, exec_lo, s89
	v_mov_b32_e32 v32, v1
	s_mov_b32 s94, exec_lo
.LBB88_227:                             ;   in Loop: Header=BB88_6 Depth=1
	s_or_b32 exec_lo, exec_lo, s92
	s_orn2_b32 s89, s94, exec_lo
.LBB88_228:                             ;   in Loop: Header=BB88_6 Depth=1
	s_or_b32 exec_lo, exec_lo, s88
	v_mov_b32_e32 v33, v32
	s_andn2_b32 s28, s28, exec_lo
	s_and_b32 s88, s91, exec_lo
	s_andn2_b32 s27, s27, exec_lo
	s_and_b32 s90, s90, exec_lo
	s_or_b32 s28, s28, s88
	s_or_b32 s27, s27, s90
	s_and_b32 s90, s89, exec_lo
.LBB88_229:                             ;   in Loop: Header=BB88_6 Depth=1
	s_or_b32 exec_lo, exec_lo, s29
	s_orn2_b32 s29, s90, exec_lo
.LBB88_230:                             ;   in Loop: Header=BB88_6 Depth=1
	s_or_b32 exec_lo, exec_lo, s26
	v_mov_b32_e32 v32, v33
	s_andn2_b32 s24, s24, exec_lo
	s_and_b32 s26, s28, exec_lo
	s_andn2_b32 s19, s19, exec_lo
	s_and_b32 s27, s27, exec_lo
	s_or_b32 s24, s24, s26
	s_or_b32 s19, s19, s27
	s_and_b32 s28, s29, exec_lo
.LBB88_231:                             ;   in Loop: Header=BB88_6 Depth=1
	s_or_b32 exec_lo, exec_lo, s25
	s_orn2_b32 s25, s28, exec_lo
.LBB88_232:                             ;   in Loop: Header=BB88_6 Depth=1
	s_or_b32 exec_lo, exec_lo, s11
	s_mov_b32 s26, 0
	s_mov_b32 s27, 0
	s_and_saveexec_b32 s11, s25
	s_xor_b32 s25, exec_lo, s11
; %bb.233:                              ;   in Loop: Header=BB88_6 Depth=1
	v_cmp_ne_u32_e32 vcc_lo, 8, v3
	v_cmp_eq_u32_e64 s11, 8, v3
	s_and_b32 s27, vcc_lo, exec_lo
	s_and_b32 s26, s11, exec_lo
; %bb.234:                              ;   in Loop: Header=BB88_6 Depth=1
	s_or_b32 exec_lo, exec_lo, s25
	s_andn2_b32 s11, s21, exec_lo
	s_and_b32 s21, s24, exec_lo
	s_andn2_b32 s20, s20, exec_lo
	s_and_b32 s19, s19, exec_lo
	s_or_b32 s21, s11, s21
	s_or_b32 s20, s20, s19
	s_and_b32 s11, s27, exec_lo
	s_and_b32 s19, s26, exec_lo
.LBB88_235:                             ;   in Loop: Header=BB88_6 Depth=1
	s_or_b32 exec_lo, exec_lo, s23
.LBB88_236:                             ;   in Loop: Header=BB88_6 Depth=1
	s_and_b32 vcc_lo, exec_lo, s22
	s_cbranch_vccz .LBB88_250
; %bb.237:                              ;   in Loop: Header=BB88_6 Depth=1
	s_cmp_eq_u32 s18, 1
	s_mov_b32 s21, -1
	s_cselect_b32 s12, -1, 0
                                        ; implicit-def: $sgpr22
	s_and_b32 s10, s12, s10
                                        ; implicit-def: $sgpr12
	s_and_saveexec_b32 s20, s10
	s_cbranch_execz .LBB88_266
; %bb.238:                              ;   in Loop: Header=BB88_6 Depth=1
	ds_read_b32 v1, v9 offset:4096
	s_waitcnt lgkmcnt(0)
	s_barrier
	buffer_gl0_inv
	v_readfirstlane_b32 s23, v1
	s_and_saveexec_b32 s12, s6
; %bb.239:                              ;   in Loop: Header=BB88_6 Depth=1
	ds_write_b32 v20, v9
; %bb.240:                              ;   in Loop: Header=BB88_6 Depth=1
	s_or_b32 exec_lo, exec_lo, s12
	v_or_b32_e32 v22, s14, v22
	v_or_b32_e32 v29, s14, v29
	s_mov_b32 s12, -1
	s_mov_b32 s22, 0
	s_cmp_eq_u32 s23, 0
	s_mov_b32 s21, 0
	s_mov_b32 s24, -1
	s_waitcnt lgkmcnt(0)
	s_barrier
	buffer_gl0_inv
                                        ; implicit-def: $vgpr15
	s_cbranch_scc1 .LBB88_253
; %bb.241:                              ;   in Loop: Header=BB88_6 Depth=1
	s_add_i32 s21, s23, s66
                                        ; implicit-def: $vgpr15
	s_mul_hi_u32 s24, s21, s72
	s_mul_i32 s24, s24, s43
	s_sub_i32 s24, s21, s24
	s_sub_i32 s25, s24, s43
	s_cmp_ge_u32 s24, s43
	s_cselect_b32 s24, s25, s24
	s_sub_i32 s25, s24, s43
	s_cmp_ge_u32 s24, s43
	s_cselect_b32 s24, s25, s24
	s_mov_b32 s25, exec_lo
	s_sub_i32 s26, s21, s24
	s_mov_b32 s24, 0
	s_mov_b32 s21, 0
	v_cmpx_gt_u32_e64 s26, v0
	s_cbranch_execz .LBB88_252
; %bb.242:                              ;   in Loop: Header=BB88_6 Depth=1
	v_mov_b32_e32 v1, v18
	v_mov_b32_e32 v2, v0
                                        ; implicit-def: $sgpr27
	s_inst_prefetch 0x1
	s_branch .LBB88_246
	.p2align	6
.LBB88_243:                             ;   in Loop: Header=BB88_246 Depth=2
	s_or_b32 exec_lo, exec_lo, s28
	s_waitcnt lgkmcnt(0)
	s_barrier
	buffer_gl0_inv
	ds_read_b64 v[14:15], v9 offset:3072
	s_waitcnt lgkmcnt(0)
	s_barrier
	buffer_gl0_inv
	v_cmp_neq_f32_e32 vcc_lo, 0, v14
	s_cbranch_vccnz .LBB88_249
; %bb.244:                              ;   in Loop: Header=BB88_246 Depth=2
	v_add_nc_u32_e32 v2, s43, v2
	v_add_nc_u32_e32 v1, s61, v1
	s_mov_b32 s28, 0
	v_cmp_le_u32_e32 vcc_lo, s26, v2
	s_orn2_b32 s29, vcc_lo, exec_lo
.LBB88_245:                             ;   in Loop: Header=BB88_246 Depth=2
	s_and_b32 s29, exec_lo, s29
	s_or_b32 s21, s29, s21
	s_andn2_b32 s27, s27, exec_lo
	s_and_b32 s28, s28, exec_lo
	s_or_b32 s27, s27, s28
	s_andn2_b32 exec_lo, exec_lo, s21
	s_cbranch_execz .LBB88_251
.LBB88_246:                             ;   Parent Loop BB88_6 Depth=1
                                        ; =>  This Inner Loop Header: Depth=2
	s_mov_b32 s28, exec_lo
	v_cmpx_gt_u32_e64 s23, v2
	s_cbranch_execz .LBB88_243
; %bb.247:                              ;   in Loop: Header=BB88_246 Depth=2
	ds_read_b32 v14, v1
	s_waitcnt lgkmcnt(0)
	v_cmp_lt_i32_e32 vcc_lo, -1, v14
	v_cndmask_b32_e64 v3, -1, 0x80000000, vcc_lo
	v_cmp_o_f32_e32 vcc_lo, v14, v14
	v_xor_b32_e32 v3, v3, v14
	v_cndmask_b32_e32 v3, -1, v3, vcc_lo
	v_and_b32_e32 v3, v3, v29
	v_cmp_eq_u32_e32 vcc_lo, v3, v22
	s_and_b32 exec_lo, exec_lo, vcc_lo
	s_cbranch_execz .LBB88_243
; %bb.248:                              ;   in Loop: Header=BB88_246 Depth=2
	ds_write_b64 v9, v[13:14] offset:3072
	s_branch .LBB88_243
.LBB88_249:                             ;   in Loop: Header=BB88_246 Depth=2
	s_mov_b32 s29, -1
	s_mov_b32 s28, -1
                                        ; implicit-def: $vgpr2
                                        ; implicit-def: $vgpr1
	s_branch .LBB88_245
.LBB88_250:                             ;   in Loop: Header=BB88_6 Depth=1
	v_mov_b32_e32 v22, v4
	v_mov_b32_e32 v29, v31
	;; [unrolled: 1-line block ×3, first 2 shown]
	s_mov_b32 s22, 0
	s_and_saveexec_b32 s10, s19
	s_cbranch_execnz .LBB88_403
	s_branch .LBB88_404
.LBB88_251:                             ;   in Loop: Header=BB88_6 Depth=1
	s_inst_prefetch 0x2
	s_or_b32 exec_lo, exec_lo, s21
	s_and_b32 s21, s27, exec_lo
.LBB88_252:                             ;   in Loop: Header=BB88_6 Depth=1
	s_or_b32 exec_lo, exec_lo, s25
.LBB88_253:                             ;   in Loop: Header=BB88_6 Depth=1
	s_and_b32 vcc_lo, exec_lo, s24
	s_cbranch_vccz .LBB88_265
; %bb.254:                              ;   in Loop: Header=BB88_6 Depth=1
                                        ; implicit-def: $vgpr15
	s_and_saveexec_b32 s12, s9
	s_cbranch_execz .LBB88_264
; %bb.255:                              ;   in Loop: Header=BB88_6 Depth=1
	v_mov_b32_e32 v8, v7
	v_mov_b32_e32 v1, v0
	s_mov_b32 s22, 0
                                        ; implicit-def: $sgpr23
	s_branch .LBB88_259
.LBB88_256:                             ;   in Loop: Header=BB88_259 Depth=2
	s_or_b32 exec_lo, exec_lo, s24
	s_waitcnt lgkmcnt(0)
	s_barrier
	buffer_gl0_inv
	ds_read_b64 v[14:15], v9 offset:3072
	s_waitcnt lgkmcnt(0)
	s_barrier
	buffer_gl0_inv
	v_cmp_neq_f32_e32 vcc_lo, 0, v14
	s_cbranch_vccnz .LBB88_262
; %bb.257:                              ;   in Loop: Header=BB88_259 Depth=2
	v_add_nc_u32_e32 v1, s43, v1
	v_add_nc_u32_e32 v8, s47, v8
	s_mov_b32 s24, 0
	v_cmp_le_u32_e32 vcc_lo, s73, v1
	s_orn2_b32 s25, vcc_lo, exec_lo
.LBB88_258:                             ;   in Loop: Header=BB88_259 Depth=2
	s_and_b32 s25, exec_lo, s25
	s_or_b32 s22, s25, s22
	s_andn2_b32 s23, s23, exec_lo
	s_and_b32 s24, s24, exec_lo
	s_or_b32 s23, s23, s24
	s_andn2_b32 exec_lo, exec_lo, s22
	s_cbranch_execz .LBB88_263
.LBB88_259:                             ;   Parent Loop BB88_6 Depth=1
                                        ; =>  This Inner Loop Header: Depth=2
	s_mov_b32 s24, exec_lo
	v_cmpx_gt_u32_e64 s36, v1
	s_cbranch_execz .LBB88_256
; %bb.260:                              ;   in Loop: Header=BB88_259 Depth=2
	v_lshlrev_b64 v[2:3], 2, v[8:9]
	v_add_co_u32 v2, vcc_lo, s31, v2
	v_add_co_ci_u32_e64 v3, null, s33, v3, vcc_lo
	global_load_dword v14, v[2:3], off
	s_waitcnt vmcnt(0)
	v_cmp_lt_i32_e32 vcc_lo, -1, v14
	v_cndmask_b32_e64 v2, -1, 0x80000000, vcc_lo
	v_cmp_o_f32_e32 vcc_lo, v14, v14
	v_xor_b32_e32 v2, v2, v14
	v_cndmask_b32_e32 v2, -1, v2, vcc_lo
	v_and_b32_e32 v2, v2, v29
	v_cmp_eq_u32_e32 vcc_lo, v2, v22
	s_and_b32 exec_lo, exec_lo, vcc_lo
	s_cbranch_execz .LBB88_256
; %bb.261:                              ;   in Loop: Header=BB88_259 Depth=2
	ds_write_b64 v9, v[13:14] offset:3072
	s_branch .LBB88_256
.LBB88_262:                             ;   in Loop: Header=BB88_259 Depth=2
	s_mov_b32 s25, -1
	s_mov_b32 s24, -1
                                        ; implicit-def: $vgpr1
	s_branch .LBB88_258
.LBB88_263:                             ;   in Loop: Header=BB88_6 Depth=1
	s_or_b32 exec_lo, exec_lo, s22
	s_andn2_b32 s21, s21, exec_lo
	s_and_b32 s22, s23, exec_lo
	s_or_b32 s21, s21, s22
.LBB88_264:                             ;   in Loop: Header=BB88_6 Depth=1
	s_or_b32 exec_lo, exec_lo, s12
	s_mov_b32 s12, 0
	s_mov_b32 s22, -1
.LBB88_265:                             ;   in Loop: Header=BB88_6 Depth=1
	s_orn2_b32 s21, s21, exec_lo
.LBB88_266:                             ;   in Loop: Header=BB88_6 Depth=1
	s_or_b32 exec_lo, exec_lo, s20
                                        ; implicit-def: $vgpr32
                                        ; implicit-def: $vgpr3
	s_and_saveexec_b32 s20, s21
	s_cbranch_execz .LBB88_402
; %bb.267:                              ;   in Loop: Header=BB88_6 Depth=1
	v_mov_b32_e32 v32, 1
	v_mov_b32_e32 v3, 1
	s_xor_b32 s21, s10, -1
	s_mov_b32 s24, 0
	s_and_saveexec_b32 s10, s21
	s_cbranch_execz .LBB88_276
; %bb.268:                              ;   in Loop: Header=BB88_6 Depth=1
	s_mov_b32 s21, exec_lo
	v_cmpx_ge_u32_e64 s18, v30
	s_xor_b32 s21, exec_lo, s21
	s_cbranch_execz .LBB88_273
; %bb.269:                              ;   in Loop: Header=BB88_6 Depth=1
	ds_read_b32 v1, v9 offset:4096
	v_or_b32_e32 v22, s14, v22
	v_or_b32_e32 v29, s14, v29
	s_waitcnt lgkmcnt(0)
	v_cmp_ne_u32_e32 vcc_lo, 0, v1
	s_cbranch_vccnz .LBB88_273
; %bb.270:                              ;   in Loop: Header=BB88_6 Depth=1
	s_and_saveexec_b32 s23, s3
; %bb.271:                              ;   in Loop: Header=BB88_6 Depth=1
	v_mov_b32_e32 v1, s18
	ds_write_b32 v9, v1 offset:4100
; %bb.272:                              ;   in Loop: Header=BB88_6 Depth=1
	s_or_b32 exec_lo, exec_lo, s23
	s_waitcnt lgkmcnt(0)
	s_barrier
	buffer_gl0_inv
.LBB88_273:                             ;   in Loop: Header=BB88_6 Depth=1
	s_or_saveexec_b32 s21, s21
	v_mov_b32_e32 v3, 5
	s_mov_b32 s23, 0
	s_xor_b32 exec_lo, exec_lo, s21
; %bb.274:                              ;   in Loop: Header=BB88_6 Depth=1
	v_subrev_nc_u32_e32 v30, s18, v30
	v_mov_b32_e32 v3, 0
	s_mov_b32 s23, exec_lo
; %bb.275:                              ;   in Loop: Header=BB88_6 Depth=1
	s_or_b32 exec_lo, exec_lo, s21
	v_mov_b32_e32 v32, v30
	s_and_b32 s24, s23, exec_lo
.LBB88_276:                             ;   in Loop: Header=BB88_6 Depth=1
	s_or_b32 exec_lo, exec_lo, s10
	s_mov_b32 s23, -1
                                        ; implicit-def: $sgpr18
                                        ; implicit-def: $sgpr21
	s_and_saveexec_b32 s10, s24
	s_xor_b32 s10, exec_lo, s10
	s_cbranch_execz .LBB88_399
; %bb.277:                              ;   in Loop: Header=BB88_6 Depth=1
	v_cmp_eq_u32_e32 vcc_lo, 1, v32
	s_cmp_eq_u32 s17, 1
	s_mov_b32 s25, -1
	s_cselect_b32 s18, -1, 0
                                        ; implicit-def: $sgpr21
	s_and_b32 s24, s18, vcc_lo
                                        ; implicit-def: $sgpr18
	s_and_saveexec_b32 s23, s24
	s_cbranch_execz .LBB88_305
; %bb.278:                              ;   in Loop: Header=BB88_6 Depth=1
	ds_read_b32 v1, v9 offset:4096
	s_waitcnt lgkmcnt(0)
	s_barrier
	buffer_gl0_inv
	v_readfirstlane_b32 s26, v1
	s_and_saveexec_b32 s18, s6
; %bb.279:                              ;   in Loop: Header=BB88_6 Depth=1
	ds_write_b32 v20, v9
; %bb.280:                              ;   in Loop: Header=BB88_6 Depth=1
	s_or_b32 exec_lo, exec_lo, s18
	s_lshl_b32 s18, 2, s81
	v_or_b32_e32 v29, s14, v29
	v_and_or_b32 v22, v22, s15, s18
	s_mov_b32 s18, -1
	s_mov_b32 s21, 0
	s_cmp_eq_u32 s26, 0
	s_mov_b32 s25, 0
	s_mov_b32 s27, -1
	s_waitcnt lgkmcnt(0)
	s_barrier
	buffer_gl0_inv
                                        ; implicit-def: $vgpr15
	s_cbranch_scc1 .LBB88_292
; %bb.281:                              ;   in Loop: Header=BB88_6 Depth=1
	s_add_i32 s25, s26, s66
                                        ; implicit-def: $vgpr15
	s_mul_hi_u32 s27, s25, s72
	s_mul_i32 s27, s27, s43
	s_sub_i32 s27, s25, s27
	s_sub_i32 s28, s27, s43
	s_cmp_ge_u32 s27, s43
	s_cselect_b32 s27, s28, s27
	s_sub_i32 s28, s27, s43
	s_cmp_ge_u32 s27, s43
	s_cselect_b32 s27, s28, s27
	s_mov_b32 s28, exec_lo
	s_sub_i32 s29, s25, s27
	s_mov_b32 s27, 0
	s_mov_b32 s25, 0
	v_cmpx_gt_u32_e64 s29, v0
	s_cbranch_execz .LBB88_291
; %bb.282:                              ;   in Loop: Header=BB88_6 Depth=1
	v_mov_b32_e32 v1, v18
	v_mov_b32_e32 v2, v0
                                        ; implicit-def: $sgpr88
	s_inst_prefetch 0x1
	s_branch .LBB88_286
	.p2align	6
.LBB88_283:                             ;   in Loop: Header=BB88_286 Depth=2
	s_or_b32 exec_lo, exec_lo, s89
	s_waitcnt lgkmcnt(0)
	s_barrier
	buffer_gl0_inv
	ds_read_b64 v[14:15], v9 offset:3072
	s_waitcnt lgkmcnt(0)
	s_barrier
	buffer_gl0_inv
	v_cmp_neq_f32_e32 vcc_lo, 0, v14
	s_cbranch_vccnz .LBB88_289
; %bb.284:                              ;   in Loop: Header=BB88_286 Depth=2
	v_add_nc_u32_e32 v2, s43, v2
	v_add_nc_u32_e32 v1, s61, v1
	s_mov_b32 s89, 0
	v_cmp_le_u32_e32 vcc_lo, s29, v2
	s_orn2_b32 s90, vcc_lo, exec_lo
.LBB88_285:                             ;   in Loop: Header=BB88_286 Depth=2
	s_and_b32 s90, exec_lo, s90
	s_or_b32 s25, s90, s25
	s_andn2_b32 s88, s88, exec_lo
	s_and_b32 s89, s89, exec_lo
	s_or_b32 s88, s88, s89
	s_andn2_b32 exec_lo, exec_lo, s25
	s_cbranch_execz .LBB88_290
.LBB88_286:                             ;   Parent Loop BB88_6 Depth=1
                                        ; =>  This Inner Loop Header: Depth=2
	s_mov_b32 s89, exec_lo
	v_cmpx_gt_u32_e64 s26, v2
	s_cbranch_execz .LBB88_283
; %bb.287:                              ;   in Loop: Header=BB88_286 Depth=2
	ds_read_b32 v14, v1
	s_waitcnt lgkmcnt(0)
	v_cmp_lt_i32_e32 vcc_lo, -1, v14
	v_cndmask_b32_e64 v4, -1, 0x80000000, vcc_lo
	v_cmp_o_f32_e32 vcc_lo, v14, v14
	v_xor_b32_e32 v4, v4, v14
	v_cndmask_b32_e32 v4, -1, v4, vcc_lo
	v_and_b32_e32 v4, v4, v29
	v_cmp_eq_u32_e32 vcc_lo, v4, v22
	s_and_b32 exec_lo, exec_lo, vcc_lo
	s_cbranch_execz .LBB88_283
; %bb.288:                              ;   in Loop: Header=BB88_286 Depth=2
	ds_write_b64 v9, v[13:14] offset:3072
	s_branch .LBB88_283
.LBB88_289:                             ;   in Loop: Header=BB88_286 Depth=2
	s_mov_b32 s90, -1
	s_mov_b32 s89, -1
                                        ; implicit-def: $vgpr2
                                        ; implicit-def: $vgpr1
	s_branch .LBB88_285
.LBB88_290:                             ;   in Loop: Header=BB88_6 Depth=1
	s_inst_prefetch 0x2
	s_or_b32 exec_lo, exec_lo, s25
	s_and_b32 s25, s88, exec_lo
.LBB88_291:                             ;   in Loop: Header=BB88_6 Depth=1
	s_or_b32 exec_lo, exec_lo, s28
.LBB88_292:                             ;   in Loop: Header=BB88_6 Depth=1
	s_and_b32 vcc_lo, exec_lo, s27
	s_cbranch_vccz .LBB88_304
; %bb.293:                              ;   in Loop: Header=BB88_6 Depth=1
                                        ; implicit-def: $vgpr15
	s_and_saveexec_b32 s18, s9
	s_cbranch_execz .LBB88_303
; %bb.294:                              ;   in Loop: Header=BB88_6 Depth=1
	v_mov_b32_e32 v8, v7
	v_mov_b32_e32 v1, v0
	s_mov_b32 s21, 0
                                        ; implicit-def: $sgpr26
	s_branch .LBB88_298
.LBB88_295:                             ;   in Loop: Header=BB88_298 Depth=2
	s_or_b32 exec_lo, exec_lo, s27
	s_waitcnt lgkmcnt(0)
	s_barrier
	buffer_gl0_inv
	ds_read_b64 v[14:15], v9 offset:3072
	s_waitcnt lgkmcnt(0)
	s_barrier
	buffer_gl0_inv
	v_cmp_eq_f32_e32 vcc_lo, 0, v14
	s_cbranch_vccz .LBB88_301
; %bb.296:                              ;   in Loop: Header=BB88_298 Depth=2
	v_add_nc_u32_e32 v1, s43, v1
	v_add_nc_u32_e32 v8, s47, v8
	s_mov_b32 s27, 0
	v_cmp_le_u32_e32 vcc_lo, s73, v1
	s_orn2_b32 s28, vcc_lo, exec_lo
.LBB88_297:                             ;   in Loop: Header=BB88_298 Depth=2
	s_and_b32 s28, exec_lo, s28
	s_or_b32 s21, s28, s21
	s_andn2_b32 s26, s26, exec_lo
	s_and_b32 s27, s27, exec_lo
	s_or_b32 s26, s26, s27
	s_andn2_b32 exec_lo, exec_lo, s21
	s_cbranch_execz .LBB88_302
.LBB88_298:                             ;   Parent Loop BB88_6 Depth=1
                                        ; =>  This Inner Loop Header: Depth=2
	s_mov_b32 s27, exec_lo
	v_cmpx_gt_u32_e64 s36, v1
	s_cbranch_execz .LBB88_295
; %bb.299:                              ;   in Loop: Header=BB88_298 Depth=2
	v_lshlrev_b64 v[14:15], 2, v[8:9]
	v_add_co_u32 v14, vcc_lo, s31, v14
	v_add_co_ci_u32_e64 v15, null, s33, v15, vcc_lo
	global_load_dword v14, v[14:15], off
	s_waitcnt vmcnt(0)
	v_cmp_lt_i32_e32 vcc_lo, -1, v14
	v_cndmask_b32_e64 v2, -1, 0x80000000, vcc_lo
	v_cmp_o_f32_e32 vcc_lo, v14, v14
	v_xor_b32_e32 v2, v2, v14
	v_cndmask_b32_e32 v2, -1, v2, vcc_lo
	v_and_b32_e32 v2, v2, v29
	v_cmp_eq_u32_e32 vcc_lo, v2, v22
	s_and_b32 exec_lo, exec_lo, vcc_lo
	s_cbranch_execz .LBB88_295
; %bb.300:                              ;   in Loop: Header=BB88_298 Depth=2
	ds_write_b64 v9, v[13:14] offset:3072
	s_branch .LBB88_295
.LBB88_301:                             ;   in Loop: Header=BB88_298 Depth=2
	s_mov_b32 s28, -1
	s_mov_b32 s27, -1
                                        ; implicit-def: $vgpr1
	s_branch .LBB88_297
.LBB88_302:                             ;   in Loop: Header=BB88_6 Depth=1
	s_or_b32 exec_lo, exec_lo, s21
	s_andn2_b32 s21, s25, exec_lo
	s_and_b32 s25, s26, exec_lo
	s_or_b32 s25, s21, s25
.LBB88_303:                             ;   in Loop: Header=BB88_6 Depth=1
	s_or_b32 exec_lo, exec_lo, s18
	s_mov_b32 s18, 0
	s_mov_b32 s21, -1
.LBB88_304:                             ;   in Loop: Header=BB88_6 Depth=1
	s_orn2_b32 s25, s25, exec_lo
.LBB88_305:                             ;   in Loop: Header=BB88_6 Depth=1
	s_or_b32 exec_lo, exec_lo, s23
	s_mov_b32 s26, 0
	s_and_saveexec_b32 s23, s25
	s_cbranch_execz .LBB88_398
; %bb.306:                              ;   in Loop: Header=BB88_6 Depth=1
	v_mov_b32_e32 v1, 1
	v_mov_b32_e32 v3, 1
	s_xor_b32 s25, s24, -1
	s_mov_b32 s27, 0
	s_and_saveexec_b32 s24, s25
	s_cbranch_execz .LBB88_315
; %bb.307:                              ;   in Loop: Header=BB88_6 Depth=1
	s_mov_b32 s25, exec_lo
	v_cmpx_ge_u32_e64 s17, v32
	s_xor_b32 s25, exec_lo, s25
	s_cbranch_execz .LBB88_312
; %bb.308:                              ;   in Loop: Header=BB88_6 Depth=1
	ds_read_b32 v1, v9 offset:4096
	s_lshl_b32 s26, 2, s81
	v_or_b32_e32 v29, s14, v29
	v_and_or_b32 v22, v22, s15, s26
	s_waitcnt lgkmcnt(0)
	v_cmp_ne_u32_e32 vcc_lo, 0, v1
	s_cbranch_vccnz .LBB88_312
; %bb.309:                              ;   in Loop: Header=BB88_6 Depth=1
	s_and_saveexec_b32 s26, s3
; %bb.310:                              ;   in Loop: Header=BB88_6 Depth=1
	v_mov_b32_e32 v1, s17
	ds_write_b32 v9, v1 offset:4100
; %bb.311:                              ;   in Loop: Header=BB88_6 Depth=1
	s_or_b32 exec_lo, exec_lo, s26
	s_waitcnt lgkmcnt(0)
	s_barrier
	buffer_gl0_inv
.LBB88_312:                             ;   in Loop: Header=BB88_6 Depth=1
	s_or_saveexec_b32 s25, s25
	v_mov_b32_e32 v3, 5
	s_mov_b32 s26, 0
	s_xor_b32 exec_lo, exec_lo, s25
; %bb.313:                              ;   in Loop: Header=BB88_6 Depth=1
	v_subrev_nc_u32_e32 v32, s17, v32
	v_mov_b32_e32 v3, 0
	s_mov_b32 s26, exec_lo
; %bb.314:                              ;   in Loop: Header=BB88_6 Depth=1
	s_or_b32 exec_lo, exec_lo, s25
	v_mov_b32_e32 v1, v32
	s_and_b32 s27, s26, exec_lo
.LBB88_315:                             ;   in Loop: Header=BB88_6 Depth=1
	s_or_b32 exec_lo, exec_lo, s24
	s_mov_b32 s26, -1
                                        ; implicit-def: $sgpr24
                                        ; implicit-def: $sgpr25
	s_and_saveexec_b32 s17, s27
	s_cbranch_execz .LBB88_397
; %bb.316:                              ;   in Loop: Header=BB88_6 Depth=1
	v_cmp_eq_u32_e32 vcc_lo, 1, v1
	s_cmp_eq_u32 s16, 1
	s_mov_b32 s28, -1
	s_cselect_b32 s24, -1, 0
                                        ; implicit-def: $sgpr25
	s_and_b32 s27, s24, vcc_lo
                                        ; implicit-def: $sgpr24
	s_and_saveexec_b32 s26, s27
	s_cbranch_execz .LBB88_344
; %bb.317:                              ;   in Loop: Header=BB88_6 Depth=1
	ds_read_b32 v2, v9 offset:4096
	s_waitcnt lgkmcnt(0)
	s_barrier
	buffer_gl0_inv
	v_readfirstlane_b32 s29, v2
	s_and_saveexec_b32 s24, s6
; %bb.318:                              ;   in Loop: Header=BB88_6 Depth=1
	ds_write_b32 v20, v9
; %bb.319:                              ;   in Loop: Header=BB88_6 Depth=1
	s_or_b32 exec_lo, exec_lo, s24
	s_lshl_b32 s24, 1, s81
	v_or_b32_e32 v29, s14, v29
	v_and_or_b32 v22, v22, s15, s24
	s_mov_b32 s24, -1
	s_mov_b32 s25, 0
	s_cmp_eq_u32 s29, 0
	s_mov_b32 s28, 0
	s_mov_b32 s88, -1
	s_waitcnt lgkmcnt(0)
	s_barrier
	buffer_gl0_inv
                                        ; implicit-def: $vgpr15
	s_cbranch_scc1 .LBB88_331
; %bb.320:                              ;   in Loop: Header=BB88_6 Depth=1
	s_add_i32 s28, s29, s66
                                        ; implicit-def: $vgpr15
	s_mul_hi_u32 s88, s28, s72
	s_mul_i32 s88, s88, s43
	s_sub_i32 s88, s28, s88
	s_sub_i32 s89, s88, s43
	s_cmp_ge_u32 s88, s43
	s_cselect_b32 s88, s89, s88
	s_sub_i32 s89, s88, s43
	s_cmp_ge_u32 s88, s43
	s_cselect_b32 s88, s89, s88
	s_mov_b32 s89, exec_lo
	s_sub_i32 s90, s28, s88
	s_mov_b32 s88, 0
	s_mov_b32 s28, 0
	v_cmpx_gt_u32_e64 s90, v0
	s_cbranch_execz .LBB88_330
; %bb.321:                              ;   in Loop: Header=BB88_6 Depth=1
	v_mov_b32_e32 v2, v18
	v_mov_b32_e32 v4, v0
                                        ; implicit-def: $sgpr91
	s_inst_prefetch 0x1
	s_branch .LBB88_325
	.p2align	6
.LBB88_322:                             ;   in Loop: Header=BB88_325 Depth=2
	s_or_b32 exec_lo, exec_lo, s92
	s_waitcnt lgkmcnt(0)
	s_barrier
	buffer_gl0_inv
	ds_read_b64 v[14:15], v9 offset:3072
	s_waitcnt lgkmcnt(0)
	s_barrier
	buffer_gl0_inv
	v_cmp_neq_f32_e32 vcc_lo, 0, v14
	s_cbranch_vccnz .LBB88_328
; %bb.323:                              ;   in Loop: Header=BB88_325 Depth=2
	v_add_nc_u32_e32 v4, s43, v4
	v_add_nc_u32_e32 v2, s61, v2
	s_mov_b32 s92, 0
	v_cmp_le_u32_e32 vcc_lo, s90, v4
	s_orn2_b32 s93, vcc_lo, exec_lo
.LBB88_324:                             ;   in Loop: Header=BB88_325 Depth=2
	s_and_b32 s93, exec_lo, s93
	s_or_b32 s28, s93, s28
	s_andn2_b32 s91, s91, exec_lo
	s_and_b32 s92, s92, exec_lo
	s_or_b32 s91, s91, s92
	s_andn2_b32 exec_lo, exec_lo, s28
	s_cbranch_execz .LBB88_329
.LBB88_325:                             ;   Parent Loop BB88_6 Depth=1
                                        ; =>  This Inner Loop Header: Depth=2
	s_mov_b32 s92, exec_lo
	v_cmpx_gt_u32_e64 s29, v4
	s_cbranch_execz .LBB88_322
; %bb.326:                              ;   in Loop: Header=BB88_325 Depth=2
	ds_read_b32 v14, v2
	s_waitcnt lgkmcnt(0)
	v_cmp_lt_i32_e32 vcc_lo, -1, v14
	v_cndmask_b32_e64 v8, -1, 0x80000000, vcc_lo
	v_cmp_o_f32_e32 vcc_lo, v14, v14
	v_xor_b32_e32 v8, v8, v14
	v_cndmask_b32_e32 v8, -1, v8, vcc_lo
	v_and_b32_e32 v8, v8, v29
	v_cmp_eq_u32_e32 vcc_lo, v8, v22
	s_and_b32 exec_lo, exec_lo, vcc_lo
	s_cbranch_execz .LBB88_322
; %bb.327:                              ;   in Loop: Header=BB88_325 Depth=2
	ds_write_b64 v9, v[13:14] offset:3072
	s_branch .LBB88_322
.LBB88_328:                             ;   in Loop: Header=BB88_325 Depth=2
	s_mov_b32 s93, -1
	s_mov_b32 s92, -1
                                        ; implicit-def: $vgpr4
                                        ; implicit-def: $vgpr2
	s_branch .LBB88_324
.LBB88_329:                             ;   in Loop: Header=BB88_6 Depth=1
	s_inst_prefetch 0x2
	s_or_b32 exec_lo, exec_lo, s28
	s_and_b32 s28, s91, exec_lo
.LBB88_330:                             ;   in Loop: Header=BB88_6 Depth=1
	s_or_b32 exec_lo, exec_lo, s89
.LBB88_331:                             ;   in Loop: Header=BB88_6 Depth=1
	s_and_b32 vcc_lo, exec_lo, s88
	s_cbranch_vccz .LBB88_343
; %bb.332:                              ;   in Loop: Header=BB88_6 Depth=1
                                        ; implicit-def: $vgpr15
	s_and_saveexec_b32 s24, s9
	s_cbranch_execz .LBB88_342
; %bb.333:                              ;   in Loop: Header=BB88_6 Depth=1
	v_mov_b32_e32 v8, v7
	v_mov_b32_e32 v2, v0
	s_mov_b32 s25, 0
                                        ; implicit-def: $sgpr29
	s_branch .LBB88_337
.LBB88_334:                             ;   in Loop: Header=BB88_337 Depth=2
	s_or_b32 exec_lo, exec_lo, s88
	s_waitcnt lgkmcnt(0)
	s_barrier
	buffer_gl0_inv
	ds_read_b64 v[14:15], v9 offset:3072
	s_waitcnt lgkmcnt(0)
	s_barrier
	buffer_gl0_inv
	v_cmp_eq_f32_e32 vcc_lo, 0, v14
	s_cbranch_vccz .LBB88_340
; %bb.335:                              ;   in Loop: Header=BB88_337 Depth=2
	v_add_nc_u32_e32 v2, s43, v2
	v_add_nc_u32_e32 v8, s47, v8
	s_mov_b32 s88, 0
	v_cmp_le_u32_e32 vcc_lo, s73, v2
	s_orn2_b32 s89, vcc_lo, exec_lo
.LBB88_336:                             ;   in Loop: Header=BB88_337 Depth=2
	s_and_b32 s89, exec_lo, s89
	s_or_b32 s25, s89, s25
	s_andn2_b32 s29, s29, exec_lo
	s_and_b32 s88, s88, exec_lo
	s_or_b32 s29, s29, s88
	s_andn2_b32 exec_lo, exec_lo, s25
	s_cbranch_execz .LBB88_341
.LBB88_337:                             ;   Parent Loop BB88_6 Depth=1
                                        ; =>  This Inner Loop Header: Depth=2
	s_mov_b32 s88, exec_lo
	v_cmpx_gt_u32_e64 s36, v2
	s_cbranch_execz .LBB88_334
; %bb.338:                              ;   in Loop: Header=BB88_337 Depth=2
	v_lshlrev_b64 v[14:15], 2, v[8:9]
	v_add_co_u32 v14, vcc_lo, s31, v14
	v_add_co_ci_u32_e64 v15, null, s33, v15, vcc_lo
	global_load_dword v14, v[14:15], off
	s_waitcnt vmcnt(0)
	v_cmp_lt_i32_e32 vcc_lo, -1, v14
	v_cndmask_b32_e64 v4, -1, 0x80000000, vcc_lo
	v_cmp_o_f32_e32 vcc_lo, v14, v14
	v_xor_b32_e32 v4, v4, v14
	v_cndmask_b32_e32 v4, -1, v4, vcc_lo
	v_and_b32_e32 v4, v4, v29
	v_cmp_eq_u32_e32 vcc_lo, v4, v22
	s_and_b32 exec_lo, exec_lo, vcc_lo
	s_cbranch_execz .LBB88_334
; %bb.339:                              ;   in Loop: Header=BB88_337 Depth=2
	ds_write_b64 v9, v[13:14] offset:3072
	s_branch .LBB88_334
.LBB88_340:                             ;   in Loop: Header=BB88_337 Depth=2
	s_mov_b32 s89, -1
	s_mov_b32 s88, -1
                                        ; implicit-def: $vgpr2
	s_branch .LBB88_336
.LBB88_341:                             ;   in Loop: Header=BB88_6 Depth=1
	s_or_b32 exec_lo, exec_lo, s25
	s_andn2_b32 s25, s28, exec_lo
	s_and_b32 s28, s29, exec_lo
	s_or_b32 s28, s25, s28
.LBB88_342:                             ;   in Loop: Header=BB88_6 Depth=1
	s_or_b32 exec_lo, exec_lo, s24
	s_mov_b32 s24, 0
	s_mov_b32 s25, -1
.LBB88_343:                             ;   in Loop: Header=BB88_6 Depth=1
	s_orn2_b32 s28, s28, exec_lo
.LBB88_344:                             ;   in Loop: Header=BB88_6 Depth=1
	s_or_b32 exec_lo, exec_lo, s26
	s_mov_b32 s29, 0
	s_and_saveexec_b32 s26, s28
	s_cbranch_execz .LBB88_396
; %bb.345:                              ;   in Loop: Header=BB88_6 Depth=1
	v_mov_b32_e32 v2, 1
	v_mov_b32_e32 v3, 1
	s_xor_b32 s28, s27, -1
	s_mov_b32 s88, 0
	s_and_saveexec_b32 s27, s28
	s_cbranch_execz .LBB88_354
; %bb.346:                              ;   in Loop: Header=BB88_6 Depth=1
	s_mov_b32 s28, exec_lo
	v_cmpx_ge_u32_e64 s16, v1
	s_xor_b32 s28, exec_lo, s28
	s_cbranch_execz .LBB88_351
; %bb.347:                              ;   in Loop: Header=BB88_6 Depth=1
	ds_read_b32 v2, v9 offset:4096
	s_lshl_b32 s29, 1, s81
	v_or_b32_e32 v29, s14, v29
	v_and_or_b32 v22, v22, s15, s29
	s_waitcnt lgkmcnt(0)
	v_cmp_ne_u32_e32 vcc_lo, 0, v2
	s_cbranch_vccnz .LBB88_351
; %bb.348:                              ;   in Loop: Header=BB88_6 Depth=1
	s_and_saveexec_b32 s29, s3
; %bb.349:                              ;   in Loop: Header=BB88_6 Depth=1
	v_mov_b32_e32 v2, s16
	ds_write_b32 v9, v2 offset:4100
; %bb.350:                              ;   in Loop: Header=BB88_6 Depth=1
	s_or_b32 exec_lo, exec_lo, s29
	s_waitcnt lgkmcnt(0)
	s_barrier
	buffer_gl0_inv
.LBB88_351:                             ;   in Loop: Header=BB88_6 Depth=1
	s_or_saveexec_b32 s28, s28
	v_mov_b32_e32 v3, 5
	s_mov_b32 s29, 0
	s_xor_b32 exec_lo, exec_lo, s28
; %bb.352:                              ;   in Loop: Header=BB88_6 Depth=1
	v_subrev_nc_u32_e32 v1, s16, v1
	v_mov_b32_e32 v3, 0
	s_mov_b32 s29, exec_lo
; %bb.353:                              ;   in Loop: Header=BB88_6 Depth=1
	s_or_b32 exec_lo, exec_lo, s28
	v_mov_b32_e32 v2, v1
	s_and_b32 s88, s29, exec_lo
.LBB88_354:                             ;   in Loop: Header=BB88_6 Depth=1
	s_or_b32 exec_lo, exec_lo, s27
	s_mov_b32 s27, -1
                                        ; implicit-def: $sgpr29
                                        ; implicit-def: $sgpr28
	s_and_saveexec_b32 s16, s88
	s_cbranch_execz .LBB88_395
; %bb.355:                              ;   in Loop: Header=BB88_6 Depth=1
	v_cmp_eq_u32_e32 vcc_lo, 1, v2
	s_cmp_eq_u32 s13, 1
	s_mov_b32 s89, -1
	s_cselect_b32 s27, -1, 0
                                        ; implicit-def: $sgpr29
                                        ; implicit-def: $sgpr28
	s_and_b32 s27, s27, vcc_lo
	s_and_saveexec_b32 s88, s27
	s_cbranch_execz .LBB88_383
; %bb.356:                              ;   in Loop: Header=BB88_6 Depth=1
	ds_read_b32 v1, v9 offset:4096
	s_waitcnt lgkmcnt(0)
	s_barrier
	buffer_gl0_inv
	v_readfirstlane_b32 s90, v1
	s_and_saveexec_b32 s28, s6
; %bb.357:                              ;   in Loop: Header=BB88_6 Depth=1
	ds_write_b32 v20, v9
; %bb.358:                              ;   in Loop: Header=BB88_6 Depth=1
	s_or_b32 exec_lo, exec_lo, s28
	v_and_b32_e32 v22, s15, v22
	v_or_b32_e32 v29, s14, v29
	s_mov_b32 s28, -1
	s_mov_b32 s29, 0
	s_cmp_eq_u32 s90, 0
	s_mov_b32 s89, 0
	s_mov_b32 s91, -1
	s_waitcnt lgkmcnt(0)
	s_barrier
	buffer_gl0_inv
                                        ; implicit-def: $vgpr15
	s_cbranch_scc1 .LBB88_370
; %bb.359:                              ;   in Loop: Header=BB88_6 Depth=1
	s_add_i32 s89, s90, s66
                                        ; implicit-def: $vgpr15
	s_mul_hi_u32 s91, s89, s72
	s_mul_i32 s91, s91, s43
	s_sub_i32 s91, s89, s91
	s_sub_i32 s92, s91, s43
	s_cmp_ge_u32 s91, s43
	s_cselect_b32 s91, s92, s91
	s_sub_i32 s92, s91, s43
	s_cmp_ge_u32 s91, s43
	s_cselect_b32 s91, s92, s91
	s_mov_b32 s92, exec_lo
	s_sub_i32 s93, s89, s91
	s_mov_b32 s91, 0
	s_mov_b32 s89, 0
	v_cmpx_gt_u32_e64 s93, v0
	s_cbranch_execz .LBB88_369
; %bb.360:                              ;   in Loop: Header=BB88_6 Depth=1
	v_mov_b32_e32 v1, v18
	v_mov_b32_e32 v4, v0
                                        ; implicit-def: $sgpr94
	s_inst_prefetch 0x1
	s_branch .LBB88_364
	.p2align	6
.LBB88_361:                             ;   in Loop: Header=BB88_364 Depth=2
	s_or_b32 exec_lo, exec_lo, s95
	s_waitcnt lgkmcnt(0)
	s_barrier
	buffer_gl0_inv
	ds_read_b64 v[14:15], v9 offset:3072
	s_waitcnt lgkmcnt(0)
	s_barrier
	buffer_gl0_inv
	v_cmp_neq_f32_e32 vcc_lo, 0, v14
	s_cbranch_vccnz .LBB88_367
; %bb.362:                              ;   in Loop: Header=BB88_364 Depth=2
	v_add_nc_u32_e32 v4, s43, v4
	v_add_nc_u32_e32 v1, s61, v1
	s_mov_b32 s95, 0
	v_cmp_le_u32_e32 vcc_lo, s93, v4
	s_orn2_b32 s96, vcc_lo, exec_lo
.LBB88_363:                             ;   in Loop: Header=BB88_364 Depth=2
	s_and_b32 s96, exec_lo, s96
	s_or_b32 s89, s96, s89
	s_andn2_b32 s94, s94, exec_lo
	s_and_b32 s95, s95, exec_lo
	s_or_b32 s94, s94, s95
	s_andn2_b32 exec_lo, exec_lo, s89
	s_cbranch_execz .LBB88_368
.LBB88_364:                             ;   Parent Loop BB88_6 Depth=1
                                        ; =>  This Inner Loop Header: Depth=2
	s_mov_b32 s95, exec_lo
	v_cmpx_gt_u32_e64 s90, v4
	s_cbranch_execz .LBB88_361
; %bb.365:                              ;   in Loop: Header=BB88_364 Depth=2
	ds_read_b32 v14, v1
	s_waitcnt lgkmcnt(0)
	v_cmp_lt_i32_e32 vcc_lo, -1, v14
	v_cndmask_b32_e64 v8, -1, 0x80000000, vcc_lo
	v_cmp_o_f32_e32 vcc_lo, v14, v14
	v_xor_b32_e32 v8, v8, v14
	v_cndmask_b32_e32 v8, -1, v8, vcc_lo
	v_and_b32_e32 v8, v8, v29
	v_cmp_eq_u32_e32 vcc_lo, v8, v22
	s_and_b32 exec_lo, exec_lo, vcc_lo
	s_cbranch_execz .LBB88_361
; %bb.366:                              ;   in Loop: Header=BB88_364 Depth=2
	ds_write_b64 v9, v[13:14] offset:3072
	s_branch .LBB88_361
.LBB88_367:                             ;   in Loop: Header=BB88_364 Depth=2
	s_mov_b32 s96, -1
	s_mov_b32 s95, -1
                                        ; implicit-def: $vgpr4
                                        ; implicit-def: $vgpr1
	s_branch .LBB88_363
.LBB88_368:                             ;   in Loop: Header=BB88_6 Depth=1
	s_inst_prefetch 0x2
	s_or_b32 exec_lo, exec_lo, s89
	s_and_b32 s89, s94, exec_lo
.LBB88_369:                             ;   in Loop: Header=BB88_6 Depth=1
	s_or_b32 exec_lo, exec_lo, s92
.LBB88_370:                             ;   in Loop: Header=BB88_6 Depth=1
	s_and_b32 vcc_lo, exec_lo, s91
	s_cbranch_vccz .LBB88_382
; %bb.371:                              ;   in Loop: Header=BB88_6 Depth=1
                                        ; implicit-def: $vgpr15
	s_and_saveexec_b32 s28, s9
	s_cbranch_execz .LBB88_381
; %bb.372:                              ;   in Loop: Header=BB88_6 Depth=1
	v_mov_b32_e32 v8, v7
	v_mov_b32_e32 v1, v0
	s_mov_b32 s29, 0
                                        ; implicit-def: $sgpr90
	s_branch .LBB88_376
.LBB88_373:                             ;   in Loop: Header=BB88_376 Depth=2
	s_or_b32 exec_lo, exec_lo, s91
	s_waitcnt lgkmcnt(0)
	s_barrier
	buffer_gl0_inv
	ds_read_b64 v[14:15], v9 offset:3072
	s_waitcnt lgkmcnt(0)
	s_barrier
	buffer_gl0_inv
	v_cmp_eq_f32_e32 vcc_lo, 0, v14
	s_cbranch_vccz .LBB88_379
; %bb.374:                              ;   in Loop: Header=BB88_376 Depth=2
	v_add_nc_u32_e32 v1, s43, v1
	v_add_nc_u32_e32 v8, s47, v8
	s_mov_b32 s91, 0
	v_cmp_le_u32_e32 vcc_lo, s73, v1
	s_orn2_b32 s92, vcc_lo, exec_lo
.LBB88_375:                             ;   in Loop: Header=BB88_376 Depth=2
	s_and_b32 s92, exec_lo, s92
	s_or_b32 s29, s92, s29
	s_andn2_b32 s90, s90, exec_lo
	s_and_b32 s91, s91, exec_lo
	s_or_b32 s90, s90, s91
	s_andn2_b32 exec_lo, exec_lo, s29
	s_cbranch_execz .LBB88_380
.LBB88_376:                             ;   Parent Loop BB88_6 Depth=1
                                        ; =>  This Inner Loop Header: Depth=2
	s_mov_b32 s91, exec_lo
	v_cmpx_gt_u32_e64 s36, v1
	s_cbranch_execz .LBB88_373
; %bb.377:                              ;   in Loop: Header=BB88_376 Depth=2
	v_lshlrev_b64 v[14:15], 2, v[8:9]
	v_add_co_u32 v14, vcc_lo, s31, v14
	v_add_co_ci_u32_e64 v15, null, s33, v15, vcc_lo
	global_load_dword v14, v[14:15], off
	s_waitcnt vmcnt(0)
	v_cmp_lt_i32_e32 vcc_lo, -1, v14
	v_cndmask_b32_e64 v4, -1, 0x80000000, vcc_lo
	v_cmp_o_f32_e32 vcc_lo, v14, v14
	v_xor_b32_e32 v4, v4, v14
	v_cndmask_b32_e32 v4, -1, v4, vcc_lo
	v_and_b32_e32 v4, v4, v29
	v_cmp_eq_u32_e32 vcc_lo, v4, v22
	s_and_b32 exec_lo, exec_lo, vcc_lo
	s_cbranch_execz .LBB88_373
; %bb.378:                              ;   in Loop: Header=BB88_376 Depth=2
	ds_write_b64 v9, v[13:14] offset:3072
	s_branch .LBB88_373
.LBB88_379:                             ;   in Loop: Header=BB88_376 Depth=2
	s_mov_b32 s92, -1
	s_mov_b32 s91, -1
                                        ; implicit-def: $vgpr1
	s_branch .LBB88_375
.LBB88_380:                             ;   in Loop: Header=BB88_6 Depth=1
	s_or_b32 exec_lo, exec_lo, s29
	s_andn2_b32 s29, s89, exec_lo
	s_and_b32 s89, s90, exec_lo
	s_or_b32 s89, s29, s89
.LBB88_381:                             ;   in Loop: Header=BB88_6 Depth=1
	s_or_b32 exec_lo, exec_lo, s28
	s_mov_b32 s28, 0
	s_mov_b32 s29, -1
.LBB88_382:                             ;   in Loop: Header=BB88_6 Depth=1
	s_orn2_b32 s89, s89, exec_lo
.LBB88_383:                             ;   in Loop: Header=BB88_6 Depth=1
	s_or_b32 exec_lo, exec_lo, s88
	s_mov_b32 s90, 0
	s_and_saveexec_b32 s88, s89
	s_cbranch_execz .LBB88_394
; %bb.384:                              ;   in Loop: Header=BB88_6 Depth=1
	v_mov_b32_e32 v3, 1
	v_mov_b32_e32 v1, 1
	s_xor_b32 s89, s27, -1
	s_and_saveexec_b32 s27, s89
	s_cbranch_execz .LBB88_393
; %bb.385:                              ;   in Loop: Header=BB88_6 Depth=1
	s_mov_b32 s89, exec_lo
	v_cmpx_ge_u32_e64 s13, v2
	s_xor_b32 s89, exec_lo, s89
	s_cbranch_execz .LBB88_390
; %bb.386:                              ;   in Loop: Header=BB88_6 Depth=1
	ds_read_b32 v1, v9 offset:4096
	v_and_b32_e32 v22, s15, v22
	v_or_b32_e32 v29, s14, v29
	s_waitcnt lgkmcnt(0)
	v_cmp_ne_u32_e32 vcc_lo, 0, v1
	s_cbranch_vccnz .LBB88_390
; %bb.387:                              ;   in Loop: Header=BB88_6 Depth=1
	s_and_saveexec_b32 s14, s3
; %bb.388:                              ;   in Loop: Header=BB88_6 Depth=1
	v_mov_b32_e32 v1, s13
	ds_write_b32 v9, v1 offset:4100
; %bb.389:                              ;   in Loop: Header=BB88_6 Depth=1
	s_or_b32 exec_lo, exec_lo, s14
	s_waitcnt lgkmcnt(0)
	s_barrier
	buffer_gl0_inv
.LBB88_390:                             ;   in Loop: Header=BB88_6 Depth=1
	s_andn2_saveexec_b32 s14, s89
; %bb.391:                              ;   in Loop: Header=BB88_6 Depth=1
	v_subrev_nc_u32_e32 v2, s13, v2
; %bb.392:                              ;   in Loop: Header=BB88_6 Depth=1
	s_or_b32 exec_lo, exec_lo, s14
	v_mov_b32_e32 v3, 5
	v_mov_b32_e32 v1, v2
.LBB88_393:                             ;   in Loop: Header=BB88_6 Depth=1
	s_or_b32 exec_lo, exec_lo, s27
	v_mov_b32_e32 v2, v1
	s_mov_b32 s90, exec_lo
.LBB88_394:                             ;   in Loop: Header=BB88_6 Depth=1
	s_or_b32 exec_lo, exec_lo, s88
	s_orn2_b32 s27, s90, exec_lo
.LBB88_395:                             ;   in Loop: Header=BB88_6 Depth=1
	s_or_b32 exec_lo, exec_lo, s16
	s_andn2_b32 s13, s25, exec_lo
	s_and_b32 s14, s29, exec_lo
	s_andn2_b32 s15, s24, exec_lo
	s_and_b32 s16, s28, exec_lo
	v_mov_b32_e32 v1, v2
	s_or_b32 s25, s13, s14
	s_or_b32 s24, s15, s16
	s_and_b32 s29, s27, exec_lo
.LBB88_396:                             ;   in Loop: Header=BB88_6 Depth=1
	s_or_b32 exec_lo, exec_lo, s26
	s_orn2_b32 s26, s29, exec_lo
.LBB88_397:                             ;   in Loop: Header=BB88_6 Depth=1
	s_or_b32 exec_lo, exec_lo, s17
	s_andn2_b32 s13, s21, exec_lo
	s_and_b32 s14, s25, exec_lo
	s_andn2_b32 s15, s18, exec_lo
	s_and_b32 s16, s24, exec_lo
	v_mov_b32_e32 v32, v1
	s_or_b32 s21, s13, s14
	s_or_b32 s18, s15, s16
	s_and_b32 s26, s26, exec_lo
.LBB88_398:                             ;   in Loop: Header=BB88_6 Depth=1
	s_or_b32 exec_lo, exec_lo, s23
	s_orn2_b32 s23, s26, exec_lo
.LBB88_399:                             ;   in Loop: Header=BB88_6 Depth=1
	s_or_b32 exec_lo, exec_lo, s10
	s_mov_b32 s10, s19
	s_mov_b32 s13, s11
	s_and_saveexec_b32 s14, s23
; %bb.400:                              ;   in Loop: Header=BB88_6 Depth=1
	v_cmp_ne_u32_e32 vcc_lo, 5, v3
	v_cmp_eq_u32_e64 s10, 5, v3
	s_andn2_b32 s13, s11, exec_lo
	s_andn2_b32 s15, s19, exec_lo
	s_and_b32 s16, vcc_lo, exec_lo
	s_and_b32 s10, s10, exec_lo
	s_or_b32 s13, s13, s16
	s_or_b32 s10, s15, s10
; %bb.401:                              ;   in Loop: Header=BB88_6 Depth=1
	s_or_b32 exec_lo, exec_lo, s14
	s_andn2_b32 s14, s22, exec_lo
	s_and_b32 s15, s21, exec_lo
	s_andn2_b32 s12, s12, exec_lo
	s_and_b32 s16, s18, exec_lo
	s_or_b32 s22, s14, s15
	s_andn2_b32 s11, s11, exec_lo
	s_and_b32 s13, s13, exec_lo
	s_andn2_b32 s14, s19, exec_lo
	s_and_b32 s10, s10, exec_lo
	s_or_b32 s12, s12, s16
	s_or_b32 s11, s11, s13
	;; [unrolled: 1-line block ×3, first 2 shown]
.LBB88_402:                             ;   in Loop: Header=BB88_6 Depth=1
	s_or_b32 exec_lo, exec_lo, s20
	s_mov_b32 s20, 0
	s_mov_b32 s21, 0
	s_and_saveexec_b32 s10, s19
.LBB88_403:                             ;   in Loop: Header=BB88_6 Depth=1
	v_mov_b32_e32 v3, 0
	s_or_b32 s11, s11, exec_lo
.LBB88_404:                             ;   in Loop: Header=BB88_6 Depth=1
	s_or_b32 exec_lo, exec_lo, s10
	s_andn2_b32 s10, s85, exec_lo
	s_and_b32 s14, s22, exec_lo
	s_andn2_b32 s15, s83, exec_lo
	s_and_b32 s12, s12, exec_lo
	v_mov_b32_e32 v30, v32
	s_or_b32 s85, s10, s14
	s_or_b32 s83, s15, s12
	s_andn2_b32 s10, s87, exec_lo
	s_and_b32 s12, s21, exec_lo
	s_andn2_b32 s14, s86, exec_lo
	s_and_b32 s15, s20, exec_lo
	s_mov_b32 s13, -1
	s_andn2_b32 s84, s84, exec_lo
	s_or_b32 s87, s10, s12
	s_or_b32 s86, s14, s15
	s_and_saveexec_b32 s10, s11
	s_xor_b32 s10, exec_lo, s10
	s_cbranch_execz .LBB88_5
; %bb.405:                              ;   in Loop: Header=BB88_6 Depth=1
	s_mov_b32 s11, -1
	s_mov_b32 s12, -1
	s_mov_b32 s13, exec_lo
	v_cmpx_eq_u32_e32 0, v3
	s_cbranch_execz .LBB88_4
; %bb.406:                              ;   in Loop: Header=BB88_6 Depth=1
	s_xor_b32 s77, s77, 1
	s_add_i32 s14, s81, -2
	s_cmp_eq_u32 s81, 0
	s_mov_b32 s81, s14
	s_cselect_b32 s11, -1, 0
	s_xor_b32 s12, exec_lo, -1
	s_orn2_b32 s11, s11, exec_lo
	s_branch .LBB88_4
.LBB88_407:
	s_or_b32 exec_lo, exec_lo, s55
	s_xor_b32 s7, s82, -1
	s_xor_b32 s12, s79, -1
	;; [unrolled: 1-line block ×5, first 2 shown]
	s_mov_b32 s9, 0
	s_and_saveexec_b32 s10, s8
	s_xor_b32 s8, exec_lo, s10
	s_cbranch_execnz .LBB88_412
; %bb.408:
	s_andn2_saveexec_b32 s0, s8
	s_cbranch_execnz .LBB88_431
.LBB88_409:
	s_or_b32 exec_lo, exec_lo, s0
	s_and_saveexec_b32 s0, s9
.LBB88_410:
	; divergent unreachable
.LBB88_411:
	s_endpgm
.LBB88_412:
	s_mov_b32 s10, 0
	s_and_saveexec_b32 s9, s11
	s_xor_b32 s9, exec_lo, s9
	s_cbranch_execz .LBB88_429
; %bb.413:
	s_mov_b32 s11, 0
	s_and_saveexec_b32 s10, s12
	s_xor_b32 s10, exec_lo, s10
	s_cbranch_execz .LBB88_427
; %bb.414:
	;; [unrolled: 5-line block ×3, first 2 shown]
	s_and_saveexec_b32 s7, s6
	s_xor_b32 s6, exec_lo, s7
; %bb.416:
	v_cmp_lt_i32_e32 vcc_lo, -1, v22
	v_cndmask_b32_e64 v1, 0x80000000, -1, vcc_lo
	v_xor_b32_e32 v15, v1, v22
; %bb.417:
	s_or_b32 exec_lo, exec_lo, s6
	s_and_saveexec_b32 s6, s3
; %bb.418:
	v_mov_b32_e32 v1, 0
	ds_write_b32 v1, v1 offset:4108
; %bb.419:
	s_or_b32 exec_lo, exec_lo, s6
	v_mov_b32_e32 v8, 0
	s_waitcnt lgkmcnt(0)
	s_barrier
	buffer_gl0_inv
	s_and_saveexec_b32 s3, s2
	s_cbranch_execz .LBB88_421
; %bb.420:
	global_load_dword v8, v[5:6], off
.LBB88_421:
	s_or_b32 exec_lo, exec_lo, s3
	s_mul_i32 s6, s60, s52
	s_add_i32 s12, s36, 31
	s_mul_i32 s3, s58, s53
	s_sub_i32 s6, s58, s6
	s_andn2_b32 s12, s12, 31
	s_sub_i32 s3, s56, s3
	s_add_i32 s7, s60, 1
	s_sub_i32 s13, s6, s52
	s_cmp_ge_u32 s6, s52
	s_mul_i32 s3, s3, s46
	s_cselect_b32 s7, s7, s60
	s_cselect_b32 s6, s13, s6
	s_add_i32 s13, s7, 1
	s_cmp_ge_u32 s6, s52
	v_cmp_lt_i32_e32 vcc_lo, -1, v15
	s_cselect_b32 s6, s13, s7
	s_mul_i32 s13, s57, s51
	s_mul_i32 s7, s6, s52
	;; [unrolled: 1-line block ×3, first 2 shown]
	s_sub_i32 s7, s58, s7
	v_cndmask_b32_e64 v1, -1, 0x80000000, vcc_lo
	s_mul_i32 s7, s7, s45
	v_cmp_o_f32_e32 vcc_lo, v15, v15
	s_add_i32 s3, s7, s3
	s_mul_i32 s7, s59, s50
	s_add_i32 s6, s3, s6
	s_sub_i32 s7, s57, s7
	s_sub_i32 s3, s56, s13
	s_add_i32 s13, s59, 1
	s_sub_i32 s14, s7, s50
	s_cmp_ge_u32 s7, s50
	s_mul_i32 s3, s3, s42
	s_cselect_b32 s13, s13, s59
	s_cselect_b32 s7, s14, s7
	s_add_i32 s14, s13, 1
	s_cmp_ge_u32 s7, s50
	v_xor_b32_e32 v1, v1, v15
	s_cselect_b32 s14, s14, s13
	s_clause 0x1
	s_load_dword s13, s[4:5], 0x1c8
	s_load_dword s5, s[4:5], 0x2a8
	s_mul_i32 s7, s14, s50
	s_mov_b32 s18, -1
	s_sub_i32 s4, s57, s7
	s_mov_b32 s7, 0
	s_mul_i32 s4, s4, s41
	s_mov_b32 s17, s7
	s_add_i32 s3, s4, s3
	s_mul_i32 s4, s14, s40
	s_lshl_b64 s[14:15], s[6:7], 2
	s_add_i32 s16, s3, s4
	s_add_u32 s6, s48, s14
	v_cndmask_b32_e32 v7, -1, v1, vcc_lo
	s_addc_u32 s14, s49, s15
	s_lshl_b64 s[16:17], s[16:17], 3
	v_cmp_gt_u32_e32 vcc_lo, s12, v0
	s_add_u32 s15, s34, s16
	s_addc_u32 s16, s35, s17
	s_mov_b32 s3, 0
	s_and_saveexec_b32 s17, vcc_lo
	s_cbranch_execnz .LBB88_432
; %bb.422:
	s_or_b32 exec_lo, exec_lo, s17
	s_and_saveexec_b32 s4, s18
	s_cbranch_execnz .LBB88_449
.LBB88_423:
	s_or_b32 exec_lo, exec_lo, s4
	s_and_saveexec_b32 s0, s3
	s_xor_b32 s0, exec_lo, s0
	s_cbranch_execnz .LBB88_472
.LBB88_424:
	s_or_b32 exec_lo, exec_lo, s0
	s_and_b32 s12, s7, exec_lo
.LBB88_425:
	s_andn2_saveexec_b32 s0, s11
	s_cbranch_execnz .LBB88_474
.LBB88_426:
	s_or_b32 exec_lo, exec_lo, s0
	s_and_b32 s11, s12, exec_lo
.LBB88_427:
	s_andn2_saveexec_b32 s0, s10
	s_cbranch_execnz .LBB88_473
.LBB88_428:
	s_or_b32 exec_lo, exec_lo, s0
	s_and_b32 s10, s11, exec_lo
.LBB88_429:
	s_andn2_saveexec_b32 s0, s9
	s_cbranch_execnz .LBB88_468
.LBB88_430:
	s_or_b32 exec_lo, exec_lo, s0
	s_and_b32 s9, s10, exec_lo
	s_andn2_saveexec_b32 s0, s8
	s_cbranch_execz .LBB88_409
.LBB88_431:
	s_or_b32 s9, s9, exec_lo
	s_trap 2
	s_or_b32 exec_lo, exec_lo, s0
	s_and_saveexec_b32 s0, s9
	s_cbranch_execnz .LBB88_410
	s_branch .LBB88_411
.LBB88_432:
	v_add_nc_u32_e32 v1, s43, v0
	v_mov_b32_e32 v2, 0
	v_mov_b32_e32 v3, v0
	s_mov_b32 s18, 0
                                        ; implicit-def: $sgpr19
                                        ; implicit-def: $vgpr10
	v_mul_lo_u32 v1, s30, v1
	s_branch .LBB88_434
.LBB88_433:                             ;   in Loop: Header=BB88_434 Depth=1
	s_or_b32 exec_lo, exec_lo, s21
	s_xor_b32 s3, s20, -1
	s_and_b32 s4, exec_lo, s4
	s_waitcnt vmcnt(0)
	v_mov_b32_e32 v8, v11
	s_or_b32 s18, s4, s18
	v_mov_b32_e32 v3, v9
	s_andn2_b32 s4, s19, exec_lo
	s_and_b32 s3, s3, exec_lo
	s_or_b32 s19, s4, s3
	s_andn2_b32 exec_lo, exec_lo, s18
	s_cbranch_execz .LBB88_448
.LBB88_434:                             ; =>This Inner Loop Header: Depth=1
	v_add_nc_u32_e32 v9, s43, v3
	v_mov_b32_e32 v11, 0
	s_mov_b32 s4, exec_lo
	v_cmpx_gt_u32_e64 s36, v9
	s_cbranch_execz .LBB88_436
; %bb.435:                              ;   in Loop: Header=BB88_434 Depth=1
	v_lshlrev_b64 v[11:12], 2, v[1:2]
	v_add_co_u32 v11, s3, s31, v11
	v_add_co_ci_u32_e64 v12, null, s33, v12, s3
	global_load_dword v11, v[11:12], off
.LBB88_436:                             ;   in Loop: Header=BB88_434 Depth=1
	s_or_b32 exec_lo, exec_lo, s4
	s_mov_b32 s20, 0
	s_mov_b32 s4, exec_lo
	v_cmpx_gt_u32_e64 s36, v3
	s_cbranch_execz .LBB88_438
; %bb.437:                              ;   in Loop: Header=BB88_434 Depth=1
	s_waitcnt vmcnt(0)
	v_cmp_lt_i32_e64 s3, -1, v8
	v_cndmask_b32_e64 v4, -1, 0x80000000, s3
	v_cmp_o_f32_e64 s3, v8, v8
	v_xor_b32_e32 v4, v4, v8
	v_cndmask_b32_e64 v4, -1, v4, s3
	v_cmp_gt_u32_e64 s3, v4, v7
	v_cndmask_b32_e64 v12, 0, 1, s3
	v_cmp_lt_u32_e64 s3, v4, v7
	v_cndmask_b32_e64 v4, 0, 1, s3
	v_cndmask_b32_e64 v4, v4, v12, s1
	v_and_b32_e32 v4, 1, v4
	v_cmp_eq_u32_e64 s3, 1, v4
	s_and_b32 s20, s3, exec_lo
.LBB88_438:                             ;   in Loop: Header=BB88_434 Depth=1
	s_or_b32 exec_lo, exec_lo, s4
	v_cndmask_b32_e64 v4, 0, 1, s20
	v_cmp_ne_u32_e64 s3, 0, v4
	s_cmp_lg_u32 s3, 0
	s_cselect_b32 s4, -1, 0
	s_and_b32 s4, s0, s4
	s_and_saveexec_b32 s21, s4
	s_cbranch_execz .LBB88_442
; %bb.439:                              ;   in Loop: Header=BB88_434 Depth=1
	s_mov_b32 s24, exec_lo
	s_bcnt1_i32_b32 s22, s3
	v_mbcnt_lo_u32_b32 v4, s24, 0
	s_mov_b32 s23, exec_lo
                                        ; implicit-def: $vgpr10
	v_cmpx_eq_u32_e32 0, v4
	s_cbranch_execz .LBB88_441
; %bb.440:                              ;   in Loop: Header=BB88_434 Depth=1
	s_bcnt1_i32_b32 s4, s24
	s_mul_i32 s4, s22, s4
	s_waitcnt lgkmcnt(0)
	v_mov_b32_e32 v10, s4
	ds_add_rtn_u32 v10, v2, v10 offset:4108
.LBB88_441:                             ;   in Loop: Header=BB88_434 Depth=1
	s_or_b32 exec_lo, exec_lo, s23
	s_waitcnt lgkmcnt(0)
	v_readfirstlane_b32 s4, v10
	v_mad_u32_u24 v10, s22, v4, s4
.LBB88_442:                             ;   in Loop: Header=BB88_434 Depth=1
	s_or_b32 exec_lo, exec_lo, s21
	s_waitcnt lgkmcnt(0)
	ds_bpermute_b32 v10, v2, v10
	s_mov_b32 s4, -1
	s_mov_b32 s22, -1
	s_and_saveexec_b32 s21, s20
	s_cbranch_execz .LBB88_446
; %bb.443:                              ;   in Loop: Header=BB88_434 Depth=1
	v_and_b32_e32 v4, s3, v16
	s_mov_b32 s20, 0
	s_mov_b32 s22, exec_lo
	s_waitcnt lgkmcnt(0)
	v_bcnt_u32_b32 v4, v4, v10
	v_cmpx_gt_u32_e64 s37, v4
	s_cbranch_execz .LBB88_445
; %bb.444:                              ;   in Loop: Header=BB88_434 Depth=1
	v_mul_lo_u32 v12, v4, s13
	v_mul_lo_u32 v14, v4, s5
	v_mov_b32_e32 v13, v2
	v_mov_b32_e32 v15, v2
	;; [unrolled: 1-line block ×3, first 2 shown]
	s_mov_b32 s20, exec_lo
	v_lshlrev_b64 v[12:13], 2, v[12:13]
	v_lshlrev_b64 v[14:15], 3, v[14:15]
	v_add_co_u32 v12, s3, s6, v12
	v_add_co_ci_u32_e64 v13, null, s14, v13, s3
	v_add_co_u32 v14, s3, s15, v14
	v_add_co_ci_u32_e64 v15, null, s16, v15, s3
	s_waitcnt vmcnt(0)
	global_store_dword v[12:13], v8, off
	global_store_dwordx2 v[14:15], v[3:4], off
.LBB88_445:                             ;   in Loop: Header=BB88_434 Depth=1
	s_or_b32 exec_lo, exec_lo, s22
	s_orn2_b32 s22, s20, exec_lo
.LBB88_446:                             ;   in Loop: Header=BB88_434 Depth=1
	s_or_b32 exec_lo, exec_lo, s21
	s_mov_b32 s20, -1
	s_and_saveexec_b32 s21, s22
	s_cbranch_execz .LBB88_433
; %bb.447:                              ;   in Loop: Header=BB88_434 Depth=1
	v_cmp_le_u32_e64 s3, s12, v9
	v_add_nc_u32_e32 v1, s47, v1
	s_xor_b32 s20, exec_lo, -1
	s_orn2_b32 s4, s3, exec_lo
	s_branch .LBB88_433
.LBB88_448:
	s_or_b32 exec_lo, exec_lo, s18
	s_mov_b32 s3, exec_lo
	s_orn2_b32 s18, s19, exec_lo
	s_or_b32 exec_lo, exec_lo, s17
	s_and_saveexec_b32 s4, s18
	s_cbranch_execz .LBB88_423
.LBB88_449:
	s_waitcnt vmcnt(0)
	v_mov_b32_e32 v8, 0
	s_waitcnt lgkmcnt(0)
	s_waitcnt_vscnt null, 0x0
	s_barrier
	buffer_gl0_inv
	s_and_saveexec_b32 s1, s2
	s_cbranch_execz .LBB88_451
; %bb.450:
	global_load_dword v8, v[5:6], off
.LBB88_451:
	s_or_b32 exec_lo, exec_lo, s1
	s_mov_b32 s1, 0
	s_and_saveexec_b32 s2, vcc_lo
	s_cbranch_execz .LBB88_471
; %bb.452:
	v_add_nc_u32_e32 v1, s43, v0
	v_mov_b32_e32 v3, 0
	s_mov_b32 s7, 0
                                        ; implicit-def: $sgpr17
                                        ; implicit-def: $vgpr5
	v_mul_lo_u32 v2, s30, v1
	s_branch .LBB88_455
.LBB88_453:                             ;   in Loop: Header=BB88_455 Depth=1
	s_or_b32 exec_lo, exec_lo, s19
	s_orn2_b32 s20, s21, exec_lo
	s_orn2_b32 s18, s18, exec_lo
.LBB88_454:                             ;   in Loop: Header=BB88_455 Depth=1
	s_or_b32 exec_lo, exec_lo, s1
	s_xor_b32 s1, s20, -1
	s_and_b32 s18, exec_lo, s18
	v_mov_b32_e32 v0, v4
	s_or_b32 s7, s18, s7
	v_mov_b32_e32 v8, v6
	s_andn2_b32 s17, s17, exec_lo
	s_and_b32 s1, s1, exec_lo
	s_or_b32 s17, s17, s1
	s_andn2_b32 exec_lo, exec_lo, s7
	s_cbranch_execz .LBB88_469
.LBB88_455:                             ; =>This Inner Loop Header: Depth=1
	v_add_nc_u32_e32 v4, s43, v0
	v_mov_b32_e32 v6, 0
	s_mov_b32 s1, exec_lo
	v_cmpx_gt_u32_e64 s36, v4
	s_cbranch_execz .LBB88_457
; %bb.456:                              ;   in Loop: Header=BB88_455 Depth=1
	v_lshlrev_b64 v[9:10], 2, v[2:3]
	v_add_co_u32 v9, vcc_lo, s31, v9
	v_add_co_ci_u32_e64 v10, null, s33, v10, vcc_lo
	global_load_dword v6, v[9:10], off
.LBB88_457:                             ;   in Loop: Header=BB88_455 Depth=1
	s_or_b32 exec_lo, exec_lo, s1
	s_waitcnt vmcnt(0)
	v_cmp_lt_i32_e32 vcc_lo, -1, v8
	v_cndmask_b32_e64 v1, -1, 0x80000000, vcc_lo
	v_cmp_o_f32_e32 vcc_lo, v8, v8
	v_xor_b32_e32 v1, v1, v8
	v_cndmask_b32_e32 v1, -1, v1, vcc_lo
	v_cmp_gt_u32_e32 vcc_lo, s36, v0
	v_cmp_eq_u32_e64 s1, v1, v7
	s_and_b32 s19, vcc_lo, s1
	v_cndmask_b32_e64 v1, 0, 1, s19
	v_cmp_ne_u32_e32 vcc_lo, 0, v1
	s_cmp_lg_u32 vcc_lo, 0
	s_cselect_b32 s1, -1, 0
	s_and_b32 s1, s0, s1
	s_and_saveexec_b32 s18, s1
	s_cbranch_execz .LBB88_461
; %bb.458:                              ;   in Loop: Header=BB88_455 Depth=1
	s_mov_b32 s22, exec_lo
	s_bcnt1_i32_b32 s20, vcc_lo
	v_mbcnt_lo_u32_b32 v1, s22, 0
	s_mov_b32 s21, exec_lo
                                        ; implicit-def: $vgpr5
	v_cmpx_eq_u32_e32 0, v1
; %bb.459:                              ;   in Loop: Header=BB88_455 Depth=1
	s_bcnt1_i32_b32 s1, s22
	s_mul_i32 s1, s20, s1
	v_mov_b32_e32 v5, s1
	ds_add_rtn_u32 v5, v3, v5 offset:4108
; %bb.460:                              ;   in Loop: Header=BB88_455 Depth=1
	s_or_b32 exec_lo, exec_lo, s21
	s_waitcnt lgkmcnt(0)
	v_readfirstlane_b32 s1, v5
	v_mad_u32_u24 v5, s20, v1, s1
.LBB88_461:                             ;   in Loop: Header=BB88_455 Depth=1
	s_or_b32 exec_lo, exec_lo, s18
	ds_bpermute_b32 v5, v3, v5
	s_cmp_eq_u32 vcc_lo, 0
	s_mov_b32 s18, -1
	s_cselect_b32 s20, -1, 0
	s_waitcnt lgkmcnt(0)
	v_cmp_gt_u32_e64 s1, s37, v5
	s_or_b32 s21, s20, s1
	s_mov_b32 s20, -1
	s_and_saveexec_b32 s1, s21
	s_cbranch_execz .LBB88_454
; %bb.462:                              ;   in Loop: Header=BB88_455 Depth=1
	v_and_b32_e32 v1, vcc_lo, v16
	v_sub_nc_u32_e32 v9, s37, v5
	s_mov_b32 s21, -1
	v_bcnt_u32_b32 v1, v1, 0
	v_bcnt_u32_b32 v1, 0, v1
	v_cmp_gt_u32_e32 vcc_lo, v9, v1
	s_and_b32 s22, s19, vcc_lo
	s_and_saveexec_b32 s19, s22
	s_cbranch_execz .LBB88_466
; %bb.463:                              ;   in Loop: Header=BB88_455 Depth=1
	v_add_nc_u32_e32 v1, v5, v1
	s_mov_b32 s20, 0
	s_mov_b32 s21, exec_lo
	v_cmpx_gt_u32_e64 s37, v1
; %bb.464:                              ;   in Loop: Header=BB88_455 Depth=1
	v_mul_lo_u32 v9, v1, s13
	v_mul_lo_u32 v11, v1, s5
	v_mov_b32_e32 v10, v3
	v_mov_b32_e32 v12, v3
	;; [unrolled: 1-line block ×3, first 2 shown]
	s_mov_b32 s20, exec_lo
	v_lshlrev_b64 v[9:10], 2, v[9:10]
	v_lshlrev_b64 v[11:12], 3, v[11:12]
	v_add_co_u32 v9, vcc_lo, s6, v9
	v_add_co_ci_u32_e64 v10, null, s14, v10, vcc_lo
	v_add_co_u32 v11, vcc_lo, s15, v11
	v_add_co_ci_u32_e64 v12, null, s16, v12, vcc_lo
	global_store_dword v[9:10], v8, off
	global_store_dwordx2 v[11:12], v[0:1], off
; %bb.465:                              ;   in Loop: Header=BB88_455 Depth=1
	s_or_b32 exec_lo, exec_lo, s21
	s_xor_b32 s21, exec_lo, -1
	s_orn2_b32 s20, s20, exec_lo
.LBB88_466:                             ;   in Loop: Header=BB88_455 Depth=1
	s_or_b32 exec_lo, exec_lo, s19
	s_and_saveexec_b32 s19, s20
	s_cbranch_execz .LBB88_453
; %bb.467:                              ;   in Loop: Header=BB88_455 Depth=1
	v_cmp_le_u32_e32 vcc_lo, s12, v4
	v_add_nc_u32_e32 v2, s47, v2
	s_or_b32 s21, s21, exec_lo
	s_orn2_b32 s18, vcc_lo, exec_lo
	s_branch .LBB88_453
.LBB88_468:
	s_or_b32 s10, s10, exec_lo
	s_trap 2
	s_branch .LBB88_430
.LBB88_469:
	s_or_b32 exec_lo, exec_lo, s7
	s_mov_b32 s0, 0
	s_and_saveexec_b32 s1, s17
	s_xor_b32 s1, exec_lo, s1
	s_cbranch_execnz .LBB88_475
.LBB88_470:
	s_or_b32 exec_lo, exec_lo, s1
	s_and_b32 s1, s0, exec_lo
.LBB88_471:
	s_or_b32 exec_lo, exec_lo, s2
	s_and_b32 s7, s1, exec_lo
	s_andn2_b32 s3, s3, exec_lo
	s_or_b32 exec_lo, exec_lo, s4
	s_and_saveexec_b32 s0, s3
	s_xor_b32 s0, exec_lo, s0
	s_cbranch_execz .LBB88_424
.LBB88_472:
	s_or_b32 s7, s7, exec_lo
	s_trap 2
	s_branch .LBB88_424
.LBB88_473:
	s_or_b32 s11, s11, exec_lo
	s_trap 2
	s_branch .LBB88_428
.LBB88_474:
	s_or_b32 s12, s12, exec_lo
	s_trap 2
	s_branch .LBB88_426
.LBB88_475:
	s_mov_b32 s0, exec_lo
	s_trap 2
	s_branch .LBB88_470
	.section	.rodata,"a",@progbits
	.p2align	6, 0x0
	.amdhsa_kernel _ZN2at6native6sbtopk10gatherTopKIfjLi3ELb0EEEvNS_4cuda6detail10TensorInfoIKT_T0_EES8_S8_bS8_S8_NS5_IS6_S8_EES8_NS5_IlS8_EES8_PS6_
		.amdhsa_group_segment_fixed_size 4112
		.amdhsa_private_segment_fixed_size 0
		.amdhsa_kernarg_size 952
		.amdhsa_user_sgpr_count 6
		.amdhsa_user_sgpr_private_segment_buffer 1
		.amdhsa_user_sgpr_dispatch_ptr 0
		.amdhsa_user_sgpr_queue_ptr 0
		.amdhsa_user_sgpr_kernarg_segment_ptr 1
		.amdhsa_user_sgpr_dispatch_id 0
		.amdhsa_user_sgpr_flat_scratch_init 0
		.amdhsa_user_sgpr_private_segment_size 0
		.amdhsa_wavefront_size32 1
		.amdhsa_uses_dynamic_stack 0
		.amdhsa_system_sgpr_private_segment_wavefront_offset 0
		.amdhsa_system_sgpr_workgroup_id_x 1
		.amdhsa_system_sgpr_workgroup_id_y 1
		.amdhsa_system_sgpr_workgroup_id_z 1
		.amdhsa_system_sgpr_workgroup_info 0
		.amdhsa_system_vgpr_workitem_id 0
		.amdhsa_next_free_vgpr 43
		.amdhsa_next_free_sgpr 105
		.amdhsa_reserve_vcc 1
		.amdhsa_reserve_flat_scratch 0
		.amdhsa_float_round_mode_32 0
		.amdhsa_float_round_mode_16_64 0
		.amdhsa_float_denorm_mode_32 3
		.amdhsa_float_denorm_mode_16_64 3
		.amdhsa_dx10_clamp 1
		.amdhsa_ieee_mode 1
		.amdhsa_fp16_overflow 0
		.amdhsa_workgroup_processor_mode 1
		.amdhsa_memory_ordered 1
		.amdhsa_forward_progress 1
		.amdhsa_shared_vgpr_count 0
		.amdhsa_exception_fp_ieee_invalid_op 0
		.amdhsa_exception_fp_denorm_src 0
		.amdhsa_exception_fp_ieee_div_zero 0
		.amdhsa_exception_fp_ieee_overflow 0
		.amdhsa_exception_fp_ieee_underflow 0
		.amdhsa_exception_fp_ieee_inexact 0
		.amdhsa_exception_int_div_zero 0
	.end_amdhsa_kernel
	.section	.text._ZN2at6native6sbtopk10gatherTopKIfjLi3ELb0EEEvNS_4cuda6detail10TensorInfoIKT_T0_EES8_S8_bS8_S8_NS5_IS6_S8_EES8_NS5_IlS8_EES8_PS6_,"axG",@progbits,_ZN2at6native6sbtopk10gatherTopKIfjLi3ELb0EEEvNS_4cuda6detail10TensorInfoIKT_T0_EES8_S8_bS8_S8_NS5_IS6_S8_EES8_NS5_IlS8_EES8_PS6_,comdat
.Lfunc_end88:
	.size	_ZN2at6native6sbtopk10gatherTopKIfjLi3ELb0EEEvNS_4cuda6detail10TensorInfoIKT_T0_EES8_S8_bS8_S8_NS5_IS6_S8_EES8_NS5_IlS8_EES8_PS6_, .Lfunc_end88-_ZN2at6native6sbtopk10gatherTopKIfjLi3ELb0EEEvNS_4cuda6detail10TensorInfoIKT_T0_EES8_S8_bS8_S8_NS5_IS6_S8_EES8_NS5_IlS8_EES8_PS6_
                                        ; -- End function
	.set _ZN2at6native6sbtopk10gatherTopKIfjLi3ELb0EEEvNS_4cuda6detail10TensorInfoIKT_T0_EES8_S8_bS8_S8_NS5_IS6_S8_EES8_NS5_IlS8_EES8_PS6_.num_vgpr, 43
	.set _ZN2at6native6sbtopk10gatherTopKIfjLi3ELb0EEEvNS_4cuda6detail10TensorInfoIKT_T0_EES8_S8_bS8_S8_NS5_IS6_S8_EES8_NS5_IlS8_EES8_PS6_.num_agpr, 0
	.set _ZN2at6native6sbtopk10gatherTopKIfjLi3ELb0EEEvNS_4cuda6detail10TensorInfoIKT_T0_EES8_S8_bS8_S8_NS5_IS6_S8_EES8_NS5_IlS8_EES8_PS6_.numbered_sgpr, 105
	.set _ZN2at6native6sbtopk10gatherTopKIfjLi3ELb0EEEvNS_4cuda6detail10TensorInfoIKT_T0_EES8_S8_bS8_S8_NS5_IS6_S8_EES8_NS5_IlS8_EES8_PS6_.num_named_barrier, 0
	.set _ZN2at6native6sbtopk10gatherTopKIfjLi3ELb0EEEvNS_4cuda6detail10TensorInfoIKT_T0_EES8_S8_bS8_S8_NS5_IS6_S8_EES8_NS5_IlS8_EES8_PS6_.private_seg_size, 0
	.set _ZN2at6native6sbtopk10gatherTopKIfjLi3ELb0EEEvNS_4cuda6detail10TensorInfoIKT_T0_EES8_S8_bS8_S8_NS5_IS6_S8_EES8_NS5_IlS8_EES8_PS6_.uses_vcc, 1
	.set _ZN2at6native6sbtopk10gatherTopKIfjLi3ELb0EEEvNS_4cuda6detail10TensorInfoIKT_T0_EES8_S8_bS8_S8_NS5_IS6_S8_EES8_NS5_IlS8_EES8_PS6_.uses_flat_scratch, 0
	.set _ZN2at6native6sbtopk10gatherTopKIfjLi3ELb0EEEvNS_4cuda6detail10TensorInfoIKT_T0_EES8_S8_bS8_S8_NS5_IS6_S8_EES8_NS5_IlS8_EES8_PS6_.has_dyn_sized_stack, 0
	.set _ZN2at6native6sbtopk10gatherTopKIfjLi3ELb0EEEvNS_4cuda6detail10TensorInfoIKT_T0_EES8_S8_bS8_S8_NS5_IS6_S8_EES8_NS5_IlS8_EES8_PS6_.has_recursion, 0
	.set _ZN2at6native6sbtopk10gatherTopKIfjLi3ELb0EEEvNS_4cuda6detail10TensorInfoIKT_T0_EES8_S8_bS8_S8_NS5_IS6_S8_EES8_NS5_IlS8_EES8_PS6_.has_indirect_call, 0
	.section	.AMDGPU.csdata,"",@progbits
; Kernel info:
; codeLenInByte = 14996
; TotalNumSgprs: 107
; NumVgprs: 43
; ScratchSize: 0
; MemoryBound: 0
; FloatMode: 240
; IeeeMode: 1
; LDSByteSize: 4112 bytes/workgroup (compile time only)
; SGPRBlocks: 0
; VGPRBlocks: 5
; NumSGPRsForWavesPerEU: 107
; NumVGPRsForWavesPerEU: 43
; Occupancy: 16
; WaveLimiterHint : 1
; COMPUTE_PGM_RSRC2:SCRATCH_EN: 0
; COMPUTE_PGM_RSRC2:USER_SGPR: 6
; COMPUTE_PGM_RSRC2:TRAP_HANDLER: 0
; COMPUTE_PGM_RSRC2:TGID_X_EN: 1
; COMPUTE_PGM_RSRC2:TGID_Y_EN: 1
; COMPUTE_PGM_RSRC2:TGID_Z_EN: 1
; COMPUTE_PGM_RSRC2:TIDIG_COMP_CNT: 0
	.section	.text._ZN2at6native6mbtopk23computeBlockDigitCountsIfjjLin1EEEvNS_4cuda6detail10TensorInfoIKT_T0_EEjPjjS8_iijT1_PSB_Ps,"axG",@progbits,_ZN2at6native6mbtopk23computeBlockDigitCountsIfjjLin1EEEvNS_4cuda6detail10TensorInfoIKT_T0_EEjPjjS8_iijT1_PSB_Ps,comdat
	.protected	_ZN2at6native6mbtopk23computeBlockDigitCountsIfjjLin1EEEvNS_4cuda6detail10TensorInfoIKT_T0_EEjPjjS8_iijT1_PSB_Ps ; -- Begin function _ZN2at6native6mbtopk23computeBlockDigitCountsIfjjLin1EEEvNS_4cuda6detail10TensorInfoIKT_T0_EEjPjjS8_iijT1_PSB_Ps
	.globl	_ZN2at6native6mbtopk23computeBlockDigitCountsIfjjLin1EEEvNS_4cuda6detail10TensorInfoIKT_T0_EEjPjjS8_iijT1_PSB_Ps
	.p2align	8
	.type	_ZN2at6native6mbtopk23computeBlockDigitCountsIfjjLin1EEEvNS_4cuda6detail10TensorInfoIKT_T0_EEjPjjS8_iijT1_PSB_Ps,@function
_ZN2at6native6mbtopk23computeBlockDigitCountsIfjjLin1EEEvNS_4cuda6detail10TensorInfoIKT_T0_EEjPjjS8_iijT1_PSB_Ps: ; @_ZN2at6native6mbtopk23computeBlockDigitCountsIfjjLin1EEEvNS_4cuda6detail10TensorInfoIKT_T0_EEjPjjS8_iijT1_PSB_Ps
; %bb.0:
	s_clause 0x2
	s_load_dwordx2 s[10:11], s[4:5], 0xf8
	s_load_dwordx4 s[12:15], s[4:5], 0xe8
	s_load_dwordx2 s[0:1], s[4:5], 0x110
	s_waitcnt lgkmcnt(0)
	v_cvt_f32_u32_e32 v1, s10
	s_sub_i32 s3, 0, s10
	s_mul_i32 s1, s1, s8
	s_add_i32 s1, s1, s7
	v_rcp_iflag_f32_e32 v1, v1
	s_mul_i32 s16, s1, s0
	s_mov_b32 s7, 0
	s_add_i32 s16, s16, s6
	v_mul_f32_e32 v1, 0x4f7ffffe, v1
	v_cvt_u32_f32_e32 v1, v1
	v_readfirstlane_b32 s2, v1
	s_mul_i32 s3, s3, s2
	s_mul_hi_u32 s0, s2, s3
	s_add_i32 s2, s2, s0
	s_mul_hi_u32 s0, s16, s2
	s_mul_i32 s1, s0, s10
	s_add_i32 s2, s0, 1
	s_sub_i32 s1, s16, s1
	s_sub_i32 s3, s1, s10
	s_cmp_ge_u32 s1, s10
	s_cselect_b32 s0, s2, s0
	s_cselect_b32 s1, s3, s1
	s_add_i32 s2, s0, 1
	s_cmp_ge_u32 s1, s10
	s_cselect_b32 s6, s2, s0
	s_cmp_ge_u32 s6, s12
	s_cbranch_scc1 .LBB89_30
; %bb.1:
	s_clause 0x1
	s_load_dwordx4 s[0:3], s[4:5], 0x100
	s_load_dword s8, s[4:5], 0xd0
	s_lshl_b64 s[18:19], s[6:7], 2
	s_mov_b32 s17, s6
	s_waitcnt lgkmcnt(0)
	s_add_u32 s0, s0, s18
	s_addc_u32 s1, s1, s19
	s_cmp_lt_i32 s8, 2
	s_cbranch_scc1 .LBB89_4
; %bb.2:
	s_add_i32 s18, s8, -1
	s_mov_b32 s19, 0
	s_add_i32 s12, s8, 1
	s_lshl_b64 s[20:21], s[18:19], 2
	s_mov_b32 s17, s6
	s_add_u32 s7, s4, s20
	s_addc_u32 s9, s5, s21
	s_add_u32 s8, s7, 8
	s_addc_u32 s9, s9, 0
	s_mov_b32 s7, s19
	s_inst_prefetch 0x1
	.p2align	6
.LBB89_3:                               ; =>This Inner Loop Header: Depth=1
	s_clause 0x1
	s_load_dword s18, s[8:9], 0x0
	s_load_dword s19, s[8:9], 0x64
	s_mov_b32 s22, s17
	s_waitcnt lgkmcnt(0)
	v_cvt_f32_u32_e32 v1, s18
	s_sub_i32 s21, 0, s18
	v_rcp_iflag_f32_e32 v1, v1
	v_mul_f32_e32 v1, 0x4f7ffffe, v1
	v_cvt_u32_f32_e32 v1, v1
	v_readfirstlane_b32 s20, v1
	s_mul_i32 s21, s21, s20
	s_mul_hi_u32 s21, s20, s21
	s_add_i32 s20, s20, s21
	s_mul_hi_u32 s17, s17, s20
	s_mul_i32 s20, s17, s18
	s_add_i32 s21, s17, 1
	s_sub_i32 s20, s22, s20
	s_sub_i32 s23, s20, s18
	s_cmp_ge_u32 s20, s18
	s_cselect_b32 s17, s21, s17
	s_cselect_b32 s20, s23, s20
	s_add_i32 s21, s17, 1
	s_cmp_ge_u32 s20, s18
	s_cselect_b32 s17, s21, s17
	s_add_i32 s12, s12, -1
	s_mul_i32 s18, s17, s18
	s_sub_i32 s18, s22, s18
	s_mul_i32 s18, s19, s18
	s_add_i32 s7, s18, s7
	s_add_u32 s8, s8, -4
	s_addc_u32 s9, s9, -1
	s_cmp_gt_u32 s12, 2
	s_cbranch_scc1 .LBB89_3
.LBB89_4:
	s_inst_prefetch 0x2
	s_load_dword s8, s[0:1], 0x0
	v_cmp_gt_u32_e32 vcc_lo, 0x100, v0
	v_lshlrev_b32_e32 v3, 2, v0
	s_and_saveexec_b32 s0, vcc_lo
; %bb.5:
	v_mov_b32_e32 v1, 0
	ds_write_b32 v3, v1
; %bb.6:
	s_or_b32 exec_lo, exec_lo, s0
	s_load_dword s9, s[4:5], 0xd8
	s_mul_i32 s0, s6, s10
	s_waitcnt lgkmcnt(0)
	s_sub_i32 s0, s16, s0
	s_barrier
	s_mul_i32 s1, s15, s0
	s_add_i32 s6, s0, 1
	s_lshl_b32 s12, s1, 8
	buffer_gl0_inv
	s_sub_i32 s1, s9, s12
	s_add_u32 s0, s1, 0xff
	s_addc_u32 s1, 0, 0
	s_lshr_b64 s[0:1], s[0:1], 8
	s_cmp_lt_u32 s6, s10
	s_mov_b32 s1, 0
	s_cselect_b32 s10, s15, s0
	s_cmp_lt_i32 s10, 1
	s_cbranch_scc1 .LBB89_28
; %bb.7:
	s_clause 0x1
	s_load_dword s0, s[4:5], 0x6c
	s_load_dwordx2 s[4:5], s[4:5], 0x0
	s_waitcnt lgkmcnt(0)
	s_mul_i32 s0, s0, s17
	s_add_i32 s0, s0, s7
	s_lshl_b64 s[6:7], s[0:1], 2
	s_add_u32 s4, s4, s6
	s_addc_u32 s5, s5, s7
	s_and_b32 s6, s14, 0xff
	s_cmp_lt_u32 s10, 4
	s_cbranch_scc1 .LBB89_22
; %bb.8:
	v_add_nc_u32_e32 v1, s12, v0
	v_mov_b32_e32 v9, 1
	s_and_b32 s1, s10, 0x7ffffffc
	s_lshl_b32 s7, s13, 10
	s_mov_b32 s14, 0
	v_add_nc_u32_e32 v4, 0x300, v1
	v_add_nc_u32_e32 v2, 0x200, v1
	;; [unrolled: 1-line block ×3, first 2 shown]
	v_mul_lo_u32 v8, s13, v1
	s_mov_b32 s15, 0
	v_mul_lo_u32 v5, s13, v4
	v_mul_lo_u32 v6, s13, v2
	;; [unrolled: 1-line block ×3, first 2 shown]
	v_mov_b32_e32 v2, 0
	s_branch .LBB89_10
.LBB89_9:                               ;   in Loop: Header=BB89_10 Depth=1
	s_or_b32 exec_lo, exec_lo, s17
	v_add_nc_u32_e32 v4, 0x400, v4
	s_add_i32 s15, s15, 4
	s_add_i32 s14, s14, s7
	s_cmp_eq_u32 s1, s15
	s_cbranch_scc1 .LBB89_22
.LBB89_10:                              ; =>This Inner Loop Header: Depth=1
	v_add_nc_u32_e32 v1, 0xfffffd00, v4
	s_mov_b32 s17, exec_lo
	v_cmpx_gt_u32_e64 s9, v1
	s_cbranch_execz .LBB89_13
; %bb.11:                               ;   in Loop: Header=BB89_10 Depth=1
	v_add_nc_u32_e32 v1, s14, v8
	v_lshlrev_b64 v[10:11], 2, v[1:2]
	v_add_co_u32 v10, s0, s4, v10
	v_add_co_ci_u32_e64 v11, null, s5, v11, s0
	global_load_dword v1, v[10:11], off
	s_waitcnt vmcnt(0)
	v_cmp_lt_i32_e64 s0, -1, v1
	v_cndmask_b32_e64 v10, -1, 0x80000000, s0
	v_cmp_o_f32_e64 s0, v1, v1
	v_xor_b32_e32 v10, v10, v1
	v_cndmask_b32_e64 v1, -1, v10, s0
	v_xor_b32_e32 v10, s8, v1
	v_and_b32_e32 v10, s11, v10
	v_cmp_eq_u32_e64 s0, 0, v10
	s_and_b32 exec_lo, exec_lo, s0
; %bb.12:                               ;   in Loop: Header=BB89_10 Depth=1
	v_bfe_u32 v1, v1, s6, 8
	v_lshlrev_b32_e32 v1, 2, v1
	ds_add_u32 v1, v9
.LBB89_13:                              ;   in Loop: Header=BB89_10 Depth=1
	s_or_b32 exec_lo, exec_lo, s17
	v_add_nc_u32_e32 v1, 0xfffffe00, v4
	s_mov_b32 s17, exec_lo
	v_cmpx_gt_u32_e64 s9, v1
	s_cbranch_execz .LBB89_16
; %bb.14:                               ;   in Loop: Header=BB89_10 Depth=1
	v_add_nc_u32_e32 v1, s14, v7
	v_lshlrev_b64 v[10:11], 2, v[1:2]
	v_add_co_u32 v10, s0, s4, v10
	v_add_co_ci_u32_e64 v11, null, s5, v11, s0
	global_load_dword v1, v[10:11], off
	s_waitcnt vmcnt(0)
	v_cmp_lt_i32_e64 s0, -1, v1
	v_cndmask_b32_e64 v10, -1, 0x80000000, s0
	v_cmp_o_f32_e64 s0, v1, v1
	v_xor_b32_e32 v10, v10, v1
	v_cndmask_b32_e64 v1, -1, v10, s0
	v_xor_b32_e32 v10, s8, v1
	v_and_b32_e32 v10, s11, v10
	v_cmp_eq_u32_e64 s0, 0, v10
	s_and_b32 exec_lo, exec_lo, s0
; %bb.15:                               ;   in Loop: Header=BB89_10 Depth=1
	v_bfe_u32 v1, v1, s6, 8
	v_lshlrev_b32_e32 v1, 2, v1
	ds_add_u32 v1, v9
.LBB89_16:                              ;   in Loop: Header=BB89_10 Depth=1
	s_or_b32 exec_lo, exec_lo, s17
	;; [unrolled: 26-line block ×3, first 2 shown]
	s_mov_b32 s17, exec_lo
	v_cmpx_gt_u32_e64 s9, v4
	s_cbranch_execz .LBB89_9
; %bb.20:                               ;   in Loop: Header=BB89_10 Depth=1
	v_add_nc_u32_e32 v1, s14, v5
	v_lshlrev_b64 v[10:11], 2, v[1:2]
	v_add_co_u32 v10, s0, s4, v10
	v_add_co_ci_u32_e64 v11, null, s5, v11, s0
	global_load_dword v1, v[10:11], off
	s_waitcnt vmcnt(0)
	v_cmp_lt_i32_e64 s0, -1, v1
	v_cndmask_b32_e64 v10, -1, 0x80000000, s0
	v_cmp_o_f32_e64 s0, v1, v1
	v_xor_b32_e32 v10, v10, v1
	v_cndmask_b32_e64 v1, -1, v10, s0
	v_xor_b32_e32 v10, s8, v1
	v_and_b32_e32 v10, s11, v10
	v_cmp_eq_u32_e64 s0, 0, v10
	s_and_b32 exec_lo, exec_lo, s0
	s_cbranch_execz .LBB89_9
; %bb.21:                               ;   in Loop: Header=BB89_10 Depth=1
	v_bfe_u32 v1, v1, s6, 8
	v_lshlrev_b32_e32 v1, 2, v1
	ds_add_u32 v1, v9
	s_branch .LBB89_9
.LBB89_22:
	s_and_b32 s7, s10, 3
	s_cmp_eq_u32 s7, 0
	s_cbranch_scc1 .LBB89_28
; %bb.23:
	s_lshl_b32 s0, s1, 8
	v_mov_b32_e32 v2, 0
	v_add3_u32 v4, s0, s12, v0
	v_mov_b32_e32 v5, 1
	s_lshl_b32 s1, s13, 8
	v_mul_lo_u32 v1, s13, v4
	s_inst_prefetch 0x1
	s_branch .LBB89_25
	.p2align	6
.LBB89_24:                              ;   in Loop: Header=BB89_25 Depth=1
	s_or_b32 exec_lo, exec_lo, s10
	v_add_nc_u32_e32 v1, s1, v1
	v_add_nc_u32_e32 v4, 0x100, v4
	s_add_i32 s7, s7, -1
	s_cmp_lg_u32 s7, 0
	s_cbranch_scc0 .LBB89_28
.LBB89_25:                              ; =>This Inner Loop Header: Depth=1
	s_mov_b32 s10, exec_lo
	v_cmpx_gt_u32_e64 s9, v4
	s_cbranch_execz .LBB89_24
; %bb.26:                               ;   in Loop: Header=BB89_25 Depth=1
	v_lshlrev_b64 v[6:7], 2, v[1:2]
	v_add_co_u32 v6, s0, s4, v6
	v_add_co_ci_u32_e64 v7, null, s5, v7, s0
	global_load_dword v6, v[6:7], off
	s_waitcnt vmcnt(0)
	v_cmp_lt_i32_e64 s0, -1, v6
	v_cndmask_b32_e64 v7, -1, 0x80000000, s0
	v_cmp_o_f32_e64 s0, v6, v6
	v_xor_b32_e32 v7, v7, v6
	v_cndmask_b32_e64 v6, -1, v7, s0
	v_xor_b32_e32 v7, s8, v6
	v_and_b32_e32 v7, s11, v7
	v_cmp_eq_u32_e64 s0, 0, v7
	s_and_b32 exec_lo, exec_lo, s0
	s_cbranch_execz .LBB89_24
; %bb.27:                               ;   in Loop: Header=BB89_25 Depth=1
	v_bfe_u32 v6, v6, s6, 8
	v_lshlrev_b32_e32 v6, 2, v6
	ds_add_u32 v6, v5
	s_branch .LBB89_24
.LBB89_28:
	s_inst_prefetch 0x2
	s_waitcnt lgkmcnt(0)
	s_barrier
	buffer_gl0_inv
	s_and_saveexec_b32 s0, vcc_lo
	s_cbranch_execz .LBB89_30
; %bb.29:
	ds_read_b32 v2, v3
	v_lshl_or_b32 v0, s16, 8, v0
	v_mov_b32_e32 v1, 0
	v_lshlrev_b64 v[0:1], 1, v[0:1]
	v_add_co_u32 v0, vcc_lo, s2, v0
	v_add_co_ci_u32_e64 v1, null, s3, v1, vcc_lo
	s_waitcnt lgkmcnt(0)
	global_store_short v[0:1], v2, off
.LBB89_30:
	s_endpgm
	.section	.rodata,"a",@progbits
	.p2align	6, 0x0
	.amdhsa_kernel _ZN2at6native6mbtopk23computeBlockDigitCountsIfjjLin1EEEvNS_4cuda6detail10TensorInfoIKT_T0_EEjPjjS8_iijT1_PSB_Ps
		.amdhsa_group_segment_fixed_size 1024
		.amdhsa_private_segment_fixed_size 0
		.amdhsa_kernarg_size 528
		.amdhsa_user_sgpr_count 6
		.amdhsa_user_sgpr_private_segment_buffer 1
		.amdhsa_user_sgpr_dispatch_ptr 0
		.amdhsa_user_sgpr_queue_ptr 0
		.amdhsa_user_sgpr_kernarg_segment_ptr 1
		.amdhsa_user_sgpr_dispatch_id 0
		.amdhsa_user_sgpr_flat_scratch_init 0
		.amdhsa_user_sgpr_private_segment_size 0
		.amdhsa_wavefront_size32 1
		.amdhsa_uses_dynamic_stack 0
		.amdhsa_system_sgpr_private_segment_wavefront_offset 0
		.amdhsa_system_sgpr_workgroup_id_x 1
		.amdhsa_system_sgpr_workgroup_id_y 1
		.amdhsa_system_sgpr_workgroup_id_z 1
		.amdhsa_system_sgpr_workgroup_info 0
		.amdhsa_system_vgpr_workitem_id 0
		.amdhsa_next_free_vgpr 12
		.amdhsa_next_free_sgpr 24
		.amdhsa_reserve_vcc 1
		.amdhsa_reserve_flat_scratch 0
		.amdhsa_float_round_mode_32 0
		.amdhsa_float_round_mode_16_64 0
		.amdhsa_float_denorm_mode_32 3
		.amdhsa_float_denorm_mode_16_64 3
		.amdhsa_dx10_clamp 1
		.amdhsa_ieee_mode 1
		.amdhsa_fp16_overflow 0
		.amdhsa_workgroup_processor_mode 1
		.amdhsa_memory_ordered 1
		.amdhsa_forward_progress 1
		.amdhsa_shared_vgpr_count 0
		.amdhsa_exception_fp_ieee_invalid_op 0
		.amdhsa_exception_fp_denorm_src 0
		.amdhsa_exception_fp_ieee_div_zero 0
		.amdhsa_exception_fp_ieee_overflow 0
		.amdhsa_exception_fp_ieee_underflow 0
		.amdhsa_exception_fp_ieee_inexact 0
		.amdhsa_exception_int_div_zero 0
	.end_amdhsa_kernel
	.section	.text._ZN2at6native6mbtopk23computeBlockDigitCountsIfjjLin1EEEvNS_4cuda6detail10TensorInfoIKT_T0_EEjPjjS8_iijT1_PSB_Ps,"axG",@progbits,_ZN2at6native6mbtopk23computeBlockDigitCountsIfjjLin1EEEvNS_4cuda6detail10TensorInfoIKT_T0_EEjPjjS8_iijT1_PSB_Ps,comdat
.Lfunc_end89:
	.size	_ZN2at6native6mbtopk23computeBlockDigitCountsIfjjLin1EEEvNS_4cuda6detail10TensorInfoIKT_T0_EEjPjjS8_iijT1_PSB_Ps, .Lfunc_end89-_ZN2at6native6mbtopk23computeBlockDigitCountsIfjjLin1EEEvNS_4cuda6detail10TensorInfoIKT_T0_EEjPjjS8_iijT1_PSB_Ps
                                        ; -- End function
	.set _ZN2at6native6mbtopk23computeBlockDigitCountsIfjjLin1EEEvNS_4cuda6detail10TensorInfoIKT_T0_EEjPjjS8_iijT1_PSB_Ps.num_vgpr, 12
	.set _ZN2at6native6mbtopk23computeBlockDigitCountsIfjjLin1EEEvNS_4cuda6detail10TensorInfoIKT_T0_EEjPjjS8_iijT1_PSB_Ps.num_agpr, 0
	.set _ZN2at6native6mbtopk23computeBlockDigitCountsIfjjLin1EEEvNS_4cuda6detail10TensorInfoIKT_T0_EEjPjjS8_iijT1_PSB_Ps.numbered_sgpr, 24
	.set _ZN2at6native6mbtopk23computeBlockDigitCountsIfjjLin1EEEvNS_4cuda6detail10TensorInfoIKT_T0_EEjPjjS8_iijT1_PSB_Ps.num_named_barrier, 0
	.set _ZN2at6native6mbtopk23computeBlockDigitCountsIfjjLin1EEEvNS_4cuda6detail10TensorInfoIKT_T0_EEjPjjS8_iijT1_PSB_Ps.private_seg_size, 0
	.set _ZN2at6native6mbtopk23computeBlockDigitCountsIfjjLin1EEEvNS_4cuda6detail10TensorInfoIKT_T0_EEjPjjS8_iijT1_PSB_Ps.uses_vcc, 1
	.set _ZN2at6native6mbtopk23computeBlockDigitCountsIfjjLin1EEEvNS_4cuda6detail10TensorInfoIKT_T0_EEjPjjS8_iijT1_PSB_Ps.uses_flat_scratch, 0
	.set _ZN2at6native6mbtopk23computeBlockDigitCountsIfjjLin1EEEvNS_4cuda6detail10TensorInfoIKT_T0_EEjPjjS8_iijT1_PSB_Ps.has_dyn_sized_stack, 0
	.set _ZN2at6native6mbtopk23computeBlockDigitCountsIfjjLin1EEEvNS_4cuda6detail10TensorInfoIKT_T0_EEjPjjS8_iijT1_PSB_Ps.has_recursion, 0
	.set _ZN2at6native6mbtopk23computeBlockDigitCountsIfjjLin1EEEvNS_4cuda6detail10TensorInfoIKT_T0_EEjPjjS8_iijT1_PSB_Ps.has_indirect_call, 0
	.section	.AMDGPU.csdata,"",@progbits
; Kernel info:
; codeLenInByte = 1664
; TotalNumSgprs: 26
; NumVgprs: 12
; ScratchSize: 0
; MemoryBound: 0
; FloatMode: 240
; IeeeMode: 1
; LDSByteSize: 1024 bytes/workgroup (compile time only)
; SGPRBlocks: 0
; VGPRBlocks: 1
; NumSGPRsForWavesPerEU: 26
; NumVGPRsForWavesPerEU: 12
; Occupancy: 16
; WaveLimiterHint : 1
; COMPUTE_PGM_RSRC2:SCRATCH_EN: 0
; COMPUTE_PGM_RSRC2:USER_SGPR: 6
; COMPUTE_PGM_RSRC2:TRAP_HANDLER: 0
; COMPUTE_PGM_RSRC2:TGID_X_EN: 1
; COMPUTE_PGM_RSRC2:TGID_Y_EN: 1
; COMPUTE_PGM_RSRC2:TGID_Z_EN: 1
; COMPUTE_PGM_RSRC2:TIDIG_COMP_CNT: 0
	.section	.text._ZN2at6native6mbtopk10gatherTopKIfjLin1EEEvNS_4cuda6detail10TensorInfoIKT_T0_EES8_S8_bjS8_NS5_IS6_S8_EES8_NS5_IlS8_EES8_jjPS6_PjSD_j,"axG",@progbits,_ZN2at6native6mbtopk10gatherTopKIfjLin1EEEvNS_4cuda6detail10TensorInfoIKT_T0_EES8_S8_bjS8_NS5_IS6_S8_EES8_NS5_IlS8_EES8_jjPS6_PjSD_j,comdat
	.protected	_ZN2at6native6mbtopk10gatherTopKIfjLin1EEEvNS_4cuda6detail10TensorInfoIKT_T0_EES8_S8_bjS8_NS5_IS6_S8_EES8_NS5_IlS8_EES8_jjPS6_PjSD_j ; -- Begin function _ZN2at6native6mbtopk10gatherTopKIfjLin1EEEvNS_4cuda6detail10TensorInfoIKT_T0_EES8_S8_bjS8_NS5_IS6_S8_EES8_NS5_IlS8_EES8_jjPS6_PjSD_j
	.globl	_ZN2at6native6mbtopk10gatherTopKIfjLin1EEEvNS_4cuda6detail10TensorInfoIKT_T0_EES8_S8_bjS8_NS5_IS6_S8_EES8_NS5_IlS8_EES8_jjPS6_PjSD_j
	.p2align	8
	.type	_ZN2at6native6mbtopk10gatherTopKIfjLin1EEEvNS_4cuda6detail10TensorInfoIKT_T0_EES8_S8_bjS8_NS5_IS6_S8_EES8_NS5_IlS8_EES8_jjPS6_PjSD_j,@function
_ZN2at6native6mbtopk10gatherTopKIfjLin1EEEvNS_4cuda6detail10TensorInfoIKT_T0_EES8_S8_bjS8_NS5_IS6_S8_EES8_NS5_IlS8_EES8_jjPS6_PjSD_j: ; @_ZN2at6native6mbtopk10gatherTopKIfjLin1EEEvNS_4cuda6detail10TensorInfoIKT_T0_EES8_S8_bjS8_NS5_IS6_S8_EES8_NS5_IlS8_EES8_jjPS6_PjSD_j
; %bb.0:
	s_clause 0x1
	s_load_dwordx2 s[0:1], s[4:5], 0x2d8
	s_load_dword s2, s[4:5], 0x2d0
	s_waitcnt lgkmcnt(0)
	s_mul_i32 s1, s1, s8
	s_add_i32 s1, s1, s7
	s_mul_i32 s13, s1, s0
	s_add_i32 s13, s13, s6
	s_cmp_ge_u32 s13, s2
	s_cbranch_scc1 .LBB90_49
; %bb.1:
	s_clause 0x1
	s_load_dwordx4 s[8:11], s[4:5], 0x2a8
	s_load_dword s0, s[4:5], 0xd0
	s_mov_b32 s7, 0
	s_waitcnt lgkmcnt(0)
	v_cvt_f32_u32_e32 v1, s10
	s_sub_i32 s2, 0, s10
	v_rcp_iflag_f32_e32 v1, v1
	v_mul_f32_e32 v1, 0x4f7ffffe, v1
	v_cvt_u32_f32_e32 v1, v1
	v_readfirstlane_b32 s1, v1
	s_mul_i32 s2, s2, s1
	s_mul_hi_u32 s2, s1, s2
	s_add_i32 s1, s1, s2
	s_mul_hi_u32 s1, s13, s1
	s_mul_i32 s2, s1, s10
	s_add_i32 s3, s1, 1
	s_sub_i32 s2, s13, s2
	s_sub_i32 s6, s2, s10
	s_cmp_ge_u32 s2, s10
	s_cselect_b32 s1, s3, s1
	s_cselect_b32 s2, s6, s2
	s_add_i32 s3, s1, 1
	s_cmp_ge_u32 s2, s10
	s_cselect_b32 s16, s3, s1
	s_cmp_lt_i32 s0, 2
	s_mov_b32 s6, s16
	s_cbranch_scc1 .LBB90_4
; %bb.2:
	s_add_i32 s6, s0, -1
	s_add_i32 s2, s0, 1
	s_lshl_b64 s[14:15], s[6:7], 2
	s_mov_b32 s6, s16
	s_add_u32 s0, s4, s14
	s_addc_u32 s1, s5, s15
	s_add_u32 s0, s0, 8
	s_addc_u32 s1, s1, 0
	s_inst_prefetch 0x1
	.p2align	6
.LBB90_3:                               ; =>This Inner Loop Header: Depth=1
	s_clause 0x1
	s_load_dword s3, s[0:1], 0x0
	s_load_dword s11, s[0:1], 0x64
	s_mov_b32 s15, s6
	s_waitcnt lgkmcnt(0)
	v_cvt_f32_u32_e32 v1, s3
	s_sub_i32 s14, 0, s3
	v_rcp_iflag_f32_e32 v1, v1
	v_mul_f32_e32 v1, 0x4f7ffffe, v1
	v_cvt_u32_f32_e32 v1, v1
	v_readfirstlane_b32 s12, v1
	s_mul_i32 s14, s14, s12
	s_mul_hi_u32 s14, s12, s14
	s_add_i32 s12, s12, s14
	s_mul_hi_u32 s6, s6, s12
	s_mul_i32 s12, s6, s3
	s_add_i32 s14, s6, 1
	s_sub_i32 s12, s15, s12
	s_sub_i32 s17, s12, s3
	s_cmp_ge_u32 s12, s3
	s_cselect_b32 s6, s14, s6
	s_cselect_b32 s12, s17, s12
	s_add_i32 s14, s6, 1
	s_cmp_ge_u32 s12, s3
	s_cselect_b32 s6, s14, s6
	s_add_i32 s2, s2, -1
	s_mul_i32 s3, s6, s3
	s_sub_i32 s3, s15, s3
	s_mul_i32 s3, s11, s3
	s_add_i32 s7, s3, s7
	s_add_u32 s0, s0, -4
	s_addc_u32 s1, s1, -1
	s_cmp_gt_u32 s2, 2
	s_cbranch_scc1 .LBB90_3
.LBB90_4:
	s_inst_prefetch 0x2
	s_load_dword s2, s[4:5], 0x1c0
	s_add_u32 s0, s4, 0xf0
	s_addc_u32 s1, s5, 0
	s_mov_b32 s19, 0
	s_mov_b32 s11, s16
	s_waitcnt lgkmcnt(0)
	s_cmp_lt_i32 s2, 2
	s_cbranch_scc1 .LBB90_7
; %bb.5:
	s_add_i32 s18, s2, -1
	s_add_i32 s12, s2, 1
	s_lshl_b64 s[14:15], s[18:19], 2
	s_mov_b32 s11, s16
	s_add_u32 s2, s0, s14
	s_addc_u32 s3, s1, s15
	s_add_u32 s2, s2, 8
	s_addc_u32 s3, s3, 0
	s_inst_prefetch 0x1
	.p2align	6
.LBB90_6:                               ; =>This Inner Loop Header: Depth=1
	s_clause 0x1
	s_load_dword s14, s[2:3], 0x0
	s_load_dword s15, s[2:3], 0x64
	s_mov_b32 s20, s11
	s_waitcnt lgkmcnt(0)
	v_cvt_f32_u32_e32 v1, s14
	s_sub_i32 s18, 0, s14
	v_rcp_iflag_f32_e32 v1, v1
	v_mul_f32_e32 v1, 0x4f7ffffe, v1
	v_cvt_u32_f32_e32 v1, v1
	v_readfirstlane_b32 s17, v1
	s_mul_i32 s18, s18, s17
	s_mul_hi_u32 s18, s17, s18
	s_add_i32 s17, s17, s18
	s_mul_hi_u32 s11, s11, s17
	s_mul_i32 s17, s11, s14
	s_add_i32 s18, s11, 1
	s_sub_i32 s17, s20, s17
	s_sub_i32 s21, s17, s14
	s_cmp_ge_u32 s17, s14
	s_cselect_b32 s11, s18, s11
	s_cselect_b32 s17, s21, s17
	s_add_i32 s18, s11, 1
	s_cmp_ge_u32 s17, s14
	s_cselect_b32 s11, s18, s11
	s_add_i32 s12, s12, -1
	s_mul_i32 s14, s11, s14
	s_sub_i32 s14, s20, s14
	s_mul_i32 s14, s15, s14
	s_add_i32 s19, s14, s19
	s_add_u32 s2, s2, -4
	s_addc_u32 s3, s3, -1
	s_cmp_gt_u32 s12, 2
	s_cbranch_scc1 .LBB90_6
.LBB90_7:
	s_inst_prefetch 0x2
	s_clause 0x1
	s_load_dword s18, s[4:5], 0x6c
	s_load_dword s2, s[4:5], 0x2a0
	s_add_u32 s3, s4, 0x1d0
	s_addc_u32 s14, s5, 0
	s_mov_b32 s21, 0
	s_mov_b32 s20, s16
	s_waitcnt lgkmcnt(0)
	s_cmp_lt_i32 s2, 2
	s_cbranch_scc1 .LBB90_10
; %bb.8:
	s_add_i32 s20, s2, -1
	s_add_i32 s12, s2, 1
	s_lshl_b64 s[22:23], s[20:21], 2
	s_mov_b32 s20, s16
	s_add_u32 s2, s3, s22
	s_addc_u32 s3, s14, s23
	s_add_u32 s2, s2, 8
	s_addc_u32 s3, s3, 0
	s_inst_prefetch 0x1
	.p2align	6
.LBB90_9:                               ; =>This Inner Loop Header: Depth=1
	s_clause 0x1
	s_load_dword s14, s[2:3], 0x0
	s_load_dword s15, s[2:3], 0x64
	s_mov_b32 s23, s20
	s_waitcnt lgkmcnt(0)
	v_cvt_f32_u32_e32 v1, s14
	s_sub_i32 s22, 0, s14
	v_rcp_iflag_f32_e32 v1, v1
	v_mul_f32_e32 v1, 0x4f7ffffe, v1
	v_cvt_u32_f32_e32 v1, v1
	v_readfirstlane_b32 s17, v1
	s_mul_i32 s22, s22, s17
	s_mul_hi_u32 s22, s17, s22
	s_add_i32 s17, s17, s22
	s_mul_hi_u32 s17, s20, s17
	s_mul_i32 s20, s17, s14
	s_add_i32 s22, s17, 1
	s_sub_i32 s20, s23, s20
	s_sub_i32 s24, s20, s14
	s_cmp_ge_u32 s20, s14
	s_cselect_b32 s17, s22, s17
	s_cselect_b32 s20, s24, s20
	s_add_i32 s22, s17, 1
	s_cmp_ge_u32 s20, s14
	s_cselect_b32 s20, s22, s17
	s_add_i32 s12, s12, -1
	s_mul_i32 s14, s20, s14
	s_sub_i32 s14, s23, s14
	s_mul_i32 s14, s15, s14
	s_add_i32 s21, s14, s21
	s_add_u32 s2, s2, -4
	s_addc_u32 s3, s3, -1
	s_cmp_gt_u32 s12, 2
	s_cbranch_scc1 .LBB90_9
.LBB90_10:
	s_inst_prefetch 0x2
	s_clause 0x1
	s_load_dword s36, s[0:1], 0x6c
	s_load_dwordx4 s[0:3], s[4:5], 0x2b8
	s_mov_b32 s17, 0
	s_mul_i32 s12, s16, s10
	s_lshl_b64 s[14:15], s[16:17], 2
	s_sub_i32 s16, s13, s12
	s_waitcnt lgkmcnt(0)
	s_add_u32 s0, s0, s14
	s_addc_u32 s1, s1, s15
	s_clause 0x2
	s_load_dwordx2 s[26:27], s[4:5], 0x0
	s_load_dwordx2 s[24:25], s[4:5], 0xf0
	;; [unrolled: 1-line block ×3, first 2 shown]
	s_load_dword s33, s[0:1], 0x0
	v_cmp_ne_u32_e64 s0, 0, v0
	v_cmp_eq_u32_e64 s1, 0, v0
	s_and_saveexec_b32 s37, s1
	s_cbranch_execz .LBB90_26
; %bb.11:
	s_load_dwordx2 s[28:29], s[4:5], 0x2c8
	s_mov_b32 s13, s17
	s_mov_b32 s38, 0
	s_lshl_b64 s[30:31], s[12:13], 2
	s_mov_b32 s39, 0
	s_add_u32 s12, s2, s30
	s_addc_u32 s13, s3, s31
	s_waitcnt lgkmcnt(0)
	s_add_u32 s14, s28, s30
	s_addc_u32 s15, s29, s31
	s_cmp_lt_u32 s10, 4
	s_cbranch_scc1 .LBB90_23
; %bb.12:
	s_mov_b32 s40, 0
.LBB90_13:                              ; =>This Inner Loop Header: Depth=1
	s_add_u32 s12, s2, s30
	s_addc_u32 s13, s3, s31
	s_add_u32 s34, s28, s30
	s_load_dwordx4 s[12:15], s[12:13], 0x0
	s_addc_u32 s35, s29, s31
	s_cmp_ge_u32 s40, s16
	s_cbranch_scc0 .LBB90_20
; %bb.14:                               ;   in Loop: Header=BB90_13 Depth=1
	s_add_i32 s41, s40, 1
	s_cmp_ge_u32 s41, s16
	s_cbranch_scc0 .LBB90_21
.LBB90_15:                              ;   in Loop: Header=BB90_13 Depth=1
	s_add_i32 s41, s41, 1
	s_cmp_ge_u32 s41, s16
	s_cbranch_scc0 .LBB90_22
.LBB90_16:                              ;   in Loop: Header=BB90_13 Depth=1
	s_add_i32 s41, s41, 1
	s_cmp_ge_u32 s41, s16
	s_cbranch_scc1 .LBB90_18
.LBB90_17:                              ;   in Loop: Header=BB90_13 Depth=1
	s_load_dword s34, s[34:35], 0xc
	s_waitcnt lgkmcnt(0)
	s_add_i32 s17, s17, s15
	s_add_i32 s38, s34, s38
.LBB90_18:                              ;   in Loop: Header=BB90_13 Depth=1
	s_waitcnt lgkmcnt(0)
	s_add_i32 s12, s12, s39
	s_add_i32 s12, s12, s13
	s_add_i32 s12, s12, s14
	s_add_i32 s39, s12, s15
	s_add_u32 s2, s2, 16
	s_addc_u32 s3, s3, 0
	s_add_u32 s28, s28, 16
	s_addc_u32 s29, s29, 0
	s_add_i32 s35, s41, 4
	s_add_u32 s14, s28, s30
	s_addc_u32 s15, s29, s31
	s_add_u32 s12, s2, s30
	s_addc_u32 s13, s3, s31
	s_add_i32 s34, s41, 1
	s_cmp_ge_u32 s35, s10
	s_cbranch_scc1 .LBB90_24
; %bb.19:                               ;   in Loop: Header=BB90_13 Depth=1
	s_mov_b32 s40, s34
	s_branch .LBB90_13
.LBB90_20:                              ;   in Loop: Header=BB90_13 Depth=1
	s_load_dword s41, s[34:35], 0x0
	s_waitcnt lgkmcnt(0)
	s_add_i32 s17, s12, s17
	s_add_i32 s38, s41, s38
	;; [unrolled: 1-line block ×3, first 2 shown]
	s_cmp_ge_u32 s41, s16
	s_cbranch_scc1 .LBB90_15
.LBB90_21:                              ;   in Loop: Header=BB90_13 Depth=1
	s_load_dword s42, s[34:35], 0x4
	s_waitcnt lgkmcnt(0)
	s_add_i32 s17, s17, s13
	s_add_i32 s38, s42, s38
	;; [unrolled: 1-line block ×3, first 2 shown]
	s_cmp_ge_u32 s41, s16
	s_cbranch_scc1 .LBB90_16
.LBB90_22:                              ;   in Loop: Header=BB90_13 Depth=1
	s_load_dword s42, s[34:35], 0x8
	s_waitcnt lgkmcnt(0)
	s_add_i32 s17, s17, s14
	s_add_i32 s38, s42, s38
	;; [unrolled: 1-line block ×3, first 2 shown]
	s_cmp_ge_u32 s41, s16
	s_cbranch_scc0 .LBB90_17
	s_branch .LBB90_18
.LBB90_23:
	s_mov_b32 s2, 0
	s_cmp_ge_u32 s2, s10
	s_cbranch_scc0 .LBB90_47
	s_branch .LBB90_25
.LBB90_24:
	s_add_i32 s2, s40, 4
	s_cmp_ge_u32 s2, s10
	s_cbranch_scc0 .LBB90_47
.LBB90_25:
	v_mov_b32_e32 v1, s38
	v_mov_b32_e32 v2, s39
	;; [unrolled: 1-line block ×4, first 2 shown]
	ds_write_b96 v4, v[1:3] offset:1056
.LBB90_26:
	s_or_b32 exec_lo, exec_lo, s37
	s_clause 0x1
	s_load_dword s17, s[4:5], 0x23c
	s_load_dwordx4 s[12:15], s[4:5], 0xd8
	s_mul_i32 s2, s9, s16
	s_add_i32 s16, s16, 1
	s_lshl_b32 s28, s2, 8
	s_waitcnt lgkmcnt(0)
	s_barrier
	buffer_gl0_inv
	s_sub_i32 s2, s12, s28
	s_add_u32 s2, s2, 0xff
	s_addc_u32 s3, 0, 0
	s_lshr_b64 s[2:3], s[2:3], 8
	s_cmp_lt_u32 s16, s10
	s_mov_b32 s3, 0
	s_cselect_b32 s9, s9, s2
	s_cmp_eq_u32 s9, 0
	s_cbranch_scc1 .LBB90_49
; %bb.27:
	v_mov_b32_e32 v5, 0
	s_mul_i32 s2, s36, s11
	s_mul_i32 s6, s18, s6
	s_load_dword s18, s[4:5], 0xe8
	s_add_i32 s10, s2, s19
	ds_read_b96 v[1:3], v5 offset:1056
	s_add_i32 s2, s6, s7
	s_mul_i32 s11, s17, s20
	s_lshl_b64 s[6:7], s[2:3], 2
	s_add_i32 s2, s11, s21
	s_mov_b32 s11, s3
	v_lshrrev_b32_e32 v4, 3, v0
	v_add_nc_u32_e32 v9, -1, v0
	s_add_u32 s6, s26, s6
	s_addc_u32 s7, s27, s7
	s_lshl_b64 s[10:11], s[10:11], 2
	s_load_dword s4, s[4:5], 0x1c8
	s_add_u32 s10, s24, s10
	s_addc_u32 s11, s25, s11
	s_lshl_b64 s[2:3], s[2:3], 3
	v_and_b32_e32 v4, 28, v4
	v_lshrrev_b32_e32 v8, 3, v9
	s_add_u32 s15, s22, s2
	s_addc_u32 s16, s23, s3
	s_cmp_gt_i32 s33, -1
	v_cmp_o_f32_e64 s2, s33, s33
	s_waitcnt lgkmcnt(0)
	v_add_nc_u32_e32 v6, v1, v2
	v_lshl_add_u32 v7, v0, 2, v4
	v_and_b32_e32 v4, 0x1ffffffc, v8
	v_add_nc_u32_e32 v1, s28, v0
	s_cselect_b32 s3, 0x80000000, -1
	v_and_b32_e32 v2, 0xfc, v0
	s_xor_b32 s3, s3, s33
	v_lshlrev_b32_e32 v10, 5, v0
	v_mbcnt_lo_u32_b32 v8, -1, 0
	s_and_b32 s2, s2, exec_lo
	v_cmp_gt_u32_e64 s2, 32, v0
	v_lshl_add_u32 v0, v9, 2, v4
	v_mul_lo_u32 v4, s18, v1
	v_add_nc_u32_e32 v9, v2, v10
	v_and_b32_e32 v10, 15, v8
	v_bfe_i32 v11, v8, 4, 1
	v_add_nc_u32_e32 v12, -1, v8
	s_cselect_b32 s17, s3, -1
	s_bitcmp1_b32 s14, 0
                                        ; implicit-def: $vgpr13
	s_cselect_b32 s3, -1, 0
	s_lshl_b32 s5, s18, 8
	s_branch .LBB90_30
.LBB90_28:                              ;   in Loop: Header=BB90_30 Depth=1
	s_or_b32 exec_lo, exec_lo, s14
	v_add_nc_u32_e32 v6, v16, v6
.LBB90_29:                              ;   in Loop: Header=BB90_30 Depth=1
	v_add_nc_u32_e32 v3, v15, v3
	v_add_nc_u32_e32 v4, s5, v4
	;; [unrolled: 1-line block ×3, first 2 shown]
	s_add_i32 s9, s9, -1
	s_cmp_lg_u32 s9, 0
	s_cbranch_scc0 .LBB90_49
.LBB90_30:                              ; =>This Inner Loop Header: Depth=1
	v_mov_b32_e32 v2, 0
	v_mov_b32_e32 v14, 0
	s_mov_b32 s14, exec_lo
	v_cmpx_gt_u32_e64 s12, v1
	s_cbranch_execz .LBB90_32
; %bb.31:                               ;   in Loop: Header=BB90_30 Depth=1
	v_lshlrev_b64 v[13:14], 2, v[4:5]
	v_add_co_u32 v13, vcc_lo, s6, v13
	v_add_co_ci_u32_e64 v14, null, s7, v14, vcc_lo
	global_load_dword v13, v[13:14], off
	s_waitcnt vmcnt(0)
	v_cmp_lt_i32_e32 vcc_lo, -1, v13
	v_cndmask_b32_e64 v2, -1, 0x80000000, vcc_lo
	v_cmp_o_f32_e32 vcc_lo, v13, v13
	v_xor_b32_e32 v2, v2, v13
	v_cndmask_b32_e32 v14, -1, v2, vcc_lo
	v_cmp_lt_u32_e32 vcc_lo, s17, v14
	v_cndmask_b32_e64 v2, 0, 1, vcc_lo
	v_cmp_gt_u32_e32 vcc_lo, s17, v14
	v_cndmask_b32_e64 v15, 0, 1, vcc_lo
	v_cmp_eq_u32_e32 vcc_lo, s17, v14
	v_cndmask_b32_e64 v2, v15, v2, s3
	v_cndmask_b32_e64 v14, 0, 1, vcc_lo
	v_and_b32_e32 v2, 1, v2
.LBB90_32:                              ;   in Loop: Header=BB90_30 Depth=1
	s_or_b32 exec_lo, exec_lo, s14
	ds_write_b32 v7, v2
	s_waitcnt lgkmcnt(0)
	s_barrier
	buffer_gl0_inv
	s_and_saveexec_b32 s14, s2
	s_cbranch_execz .LBB90_34
; %bb.33:                               ;   in Loop: Header=BB90_30 Depth=1
	ds_read2_b32 v[15:16], v9 offset1:1
	ds_read2_b32 v[17:18], v9 offset0:2 offset1:3
	ds_read2_b32 v[19:20], v9 offset0:4 offset1:5
	;; [unrolled: 1-line block ×3, first 2 shown]
	v_cmp_ne_u32_e32 vcc_lo, 0, v10
	; wave barrier
	s_waitcnt lgkmcnt(3)
	v_add_nc_u32_e32 v16, v16, v15
	s_waitcnt lgkmcnt(2)
	v_add3_u32 v16, v16, v17, v18
	s_waitcnt lgkmcnt(1)
	v_add3_u32 v16, v16, v19, v20
	;; [unrolled: 2-line block ×3, first 2 shown]
	v_mov_b32_dpp v17, v16 row_shr:1 row_mask:0xf bank_mask:0xf
	v_cndmask_b32_e32 v17, 0, v17, vcc_lo
	v_cmp_lt_u32_e32 vcc_lo, 1, v10
	v_add_nc_u32_e32 v16, v17, v16
	v_mov_b32_dpp v17, v16 row_shr:2 row_mask:0xf bank_mask:0xf
	v_cndmask_b32_e32 v17, 0, v17, vcc_lo
	v_cmp_lt_u32_e32 vcc_lo, 3, v10
	v_add_nc_u32_e32 v16, v16, v17
	;; [unrolled: 4-line block ×3, first 2 shown]
	v_mov_b32_dpp v17, v16 row_shr:8 row_mask:0xf bank_mask:0xf
	v_cndmask_b32_e32 v17, 0, v17, vcc_lo
	v_cmp_gt_i32_e32 vcc_lo, 0, v12
	v_add_nc_u32_e32 v16, v16, v17
	v_cndmask_b32_e32 v18, v12, v8, vcc_lo
	ds_swizzle_b32 v17, v16 offset:swizzle(BROADCAST,32,15)
	v_lshlrev_b32_e32 v18, 2, v18
	s_waitcnt lgkmcnt(0)
	v_and_b32_e32 v17, v11, v17
	v_add_nc_u32_e32 v16, v16, v17
	ds_bpermute_b32 v16, v18, v16
	s_waitcnt lgkmcnt(0)
	v_add_nc_u32_e32 v15, v16, v15
	v_cndmask_b32_e64 v21, v15, v2, s1
	ds_write_b32 v9, v21
	; wave barrier
	ds_read2_b32 v[15:16], v9 offset0:1 offset1:2
	ds_read2_b32 v[17:18], v9 offset0:3 offset1:4
	;; [unrolled: 1-line block ×3, first 2 shown]
	ds_read_b32 v22, v9 offset:28
	s_waitcnt lgkmcnt(3)
	v_add_nc_u32_e32 v15, v15, v21
	v_add_nc_u32_e32 v16, v16, v15
	s_waitcnt lgkmcnt(2)
	v_add_nc_u32_e32 v17, v17, v16
	v_add_nc_u32_e32 v18, v18, v17
	;; [unrolled: 3-line block ×3, first 2 shown]
	s_waitcnt lgkmcnt(0)
	v_add_nc_u32_e32 v21, v22, v20
	ds_write2_b32 v9, v15, v16 offset0:1 offset1:2
	ds_write2_b32 v9, v17, v18 offset0:3 offset1:4
	;; [unrolled: 1-line block ×3, first 2 shown]
	ds_write_b32 v9, v21 offset:28
.LBB90_34:                              ;   in Loop: Header=BB90_30 Depth=1
	s_or_b32 exec_lo, exec_lo, s14
	v_mov_b32_e32 v16, 0
	s_waitcnt lgkmcnt(0)
	s_barrier
	buffer_gl0_inv
	s_and_saveexec_b32 s14, s0
; %bb.35:                               ;   in Loop: Header=BB90_30 Depth=1
	ds_read_b32 v16, v0
; %bb.36:                               ;   in Loop: Header=BB90_30 Depth=1
	s_or_b32 exec_lo, exec_lo, s14
	ds_read_b32 v15, v5 offset:1048
	s_mov_b32 s14, exec_lo
	s_waitcnt lgkmcnt(0)
	s_barrier
	buffer_gl0_inv
	v_cmpx_ne_u32_e32 0, v2
	s_cbranch_execz .LBB90_38
; %bb.37:                               ;   in Loop: Header=BB90_30 Depth=1
	v_add_nc_u32_e32 v2, v16, v3
	v_mov_b32_e32 v17, v5
	v_mov_b32_e32 v19, v5
	v_mul_lo_u32 v16, v2, s4
	v_mul_lo_u32 v18, v2, s8
	v_mov_b32_e32 v2, v5
	v_lshlrev_b64 v[16:17], 2, v[16:17]
	v_lshlrev_b64 v[18:19], 3, v[18:19]
	v_add_co_u32 v16, vcc_lo, s10, v16
	v_add_co_ci_u32_e64 v17, null, s11, v17, vcc_lo
	v_add_co_u32 v18, vcc_lo, s15, v18
	v_add_co_ci_u32_e64 v19, null, s16, v19, vcc_lo
	global_store_dword v[16:17], v13, off
	global_store_dwordx2 v[18:19], v[1:2], off
.LBB90_38:                              ;   in Loop: Header=BB90_30 Depth=1
	s_or_b32 exec_lo, exec_lo, s14
	v_cmp_le_u32_e32 vcc_lo, s13, v6
	s_cbranch_vccnz .LBB90_29
; %bb.39:                               ;   in Loop: Header=BB90_30 Depth=1
	ds_write_b32 v7, v14
	s_waitcnt lgkmcnt(0)
	s_waitcnt_vscnt null, 0x0
	s_barrier
	buffer_gl0_inv
	s_and_saveexec_b32 s14, s2
	s_cbranch_execz .LBB90_41
; %bb.40:                               ;   in Loop: Header=BB90_30 Depth=1
	ds_read2_b32 v[16:17], v9 offset1:1
	ds_read2_b32 v[18:19], v9 offset0:2 offset1:3
	ds_read2_b32 v[20:21], v9 offset0:4 offset1:5
	;; [unrolled: 1-line block ×3, first 2 shown]
	v_cmp_ne_u32_e32 vcc_lo, 0, v10
	; wave barrier
	s_waitcnt lgkmcnt(3)
	v_add_nc_u32_e32 v2, v17, v16
	s_waitcnt lgkmcnt(2)
	v_add3_u32 v2, v2, v18, v19
	s_waitcnt lgkmcnt(1)
	v_add3_u32 v2, v2, v20, v21
	s_waitcnt lgkmcnt(0)
	v_add3_u32 v2, v2, v22, v23
	v_mov_b32_dpp v17, v2 row_shr:1 row_mask:0xf bank_mask:0xf
	v_cndmask_b32_e32 v17, 0, v17, vcc_lo
	v_cmp_lt_u32_e32 vcc_lo, 1, v10
	v_add_nc_u32_e32 v2, v17, v2
	v_mov_b32_dpp v17, v2 row_shr:2 row_mask:0xf bank_mask:0xf
	v_cndmask_b32_e32 v17, 0, v17, vcc_lo
	v_cmp_lt_u32_e32 vcc_lo, 3, v10
	v_add_nc_u32_e32 v2, v2, v17
	;; [unrolled: 4-line block ×3, first 2 shown]
	v_mov_b32_dpp v17, v2 row_shr:8 row_mask:0xf bank_mask:0xf
	v_cndmask_b32_e32 v17, 0, v17, vcc_lo
	v_cmp_gt_i32_e32 vcc_lo, 0, v12
	v_add_nc_u32_e32 v2, v2, v17
	v_cndmask_b32_e32 v18, v12, v8, vcc_lo
	ds_swizzle_b32 v17, v2 offset:swizzle(BROADCAST,32,15)
	v_lshlrev_b32_e32 v18, 2, v18
	s_waitcnt lgkmcnt(0)
	v_and_b32_e32 v17, v11, v17
	v_add_nc_u32_e32 v2, v2, v17
	ds_bpermute_b32 v2, v18, v2
	s_waitcnt lgkmcnt(0)
	v_add_nc_u32_e32 v2, v2, v16
	v_cndmask_b32_e64 v2, v2, v14, s1
	ds_write_b32 v9, v2
	; wave barrier
	ds_read2_b32 v[16:17], v9 offset0:1 offset1:2
	ds_read2_b32 v[18:19], v9 offset0:3 offset1:4
	;; [unrolled: 1-line block ×3, first 2 shown]
	ds_read_b32 v22, v9 offset:28
	s_waitcnt lgkmcnt(3)
	v_add_nc_u32_e32 v2, v16, v2
	v_add_nc_u32_e32 v16, v17, v2
	s_waitcnt lgkmcnt(2)
	v_add_nc_u32_e32 v17, v18, v16
	v_add_nc_u32_e32 v18, v19, v17
	;; [unrolled: 3-line block ×3, first 2 shown]
	s_waitcnt lgkmcnt(0)
	v_add_nc_u32_e32 v21, v22, v20
	ds_write2_b32 v9, v2, v16 offset0:1 offset1:2
	ds_write2_b32 v9, v17, v18 offset0:3 offset1:4
	;; [unrolled: 1-line block ×3, first 2 shown]
	ds_write_b32 v9, v21 offset:28
.LBB90_41:                              ;   in Loop: Header=BB90_30 Depth=1
	s_or_b32 exec_lo, exec_lo, s14
	v_mov_b32_e32 v2, 0
	s_waitcnt lgkmcnt(0)
	s_barrier
	buffer_gl0_inv
	s_and_saveexec_b32 s14, s0
; %bb.42:                               ;   in Loop: Header=BB90_30 Depth=1
	ds_read_b32 v2, v0
; %bb.43:                               ;   in Loop: Header=BB90_30 Depth=1
	s_or_b32 exec_lo, exec_lo, s14
	ds_read_b32 v16, v5 offset:1048
	s_mov_b32 s14, exec_lo
	s_waitcnt lgkmcnt(0)
	s_barrier
	buffer_gl0_inv
	v_cmpx_ne_u32_e32 0, v14
	s_cbranch_execz .LBB90_28
; %bb.44:                               ;   in Loop: Header=BB90_30 Depth=1
	v_add_nc_u32_e32 v2, v2, v6
	v_cmp_gt_u32_e32 vcc_lo, s13, v2
	s_and_b32 exec_lo, exec_lo, vcc_lo
	s_cbranch_execz .LBB90_28
; %bb.45:                               ;   in Loop: Header=BB90_30 Depth=1
	v_mul_lo_u32 v17, v2, s4
	v_mul_lo_u32 v19, v2, s8
	v_mov_b32_e32 v18, v5
	v_mov_b32_e32 v20, v5
	;; [unrolled: 1-line block ×3, first 2 shown]
	v_lshlrev_b64 v[17:18], 2, v[17:18]
	v_lshlrev_b64 v[19:20], 3, v[19:20]
	v_add_co_u32 v17, vcc_lo, s10, v17
	v_add_co_ci_u32_e64 v18, null, s11, v18, vcc_lo
	v_add_co_u32 v19, vcc_lo, s15, v19
	v_add_co_ci_u32_e64 v20, null, s16, v20, vcc_lo
	global_store_dword v[17:18], v13, off
	global_store_dwordx2 v[19:20], v[1:2], off
	s_branch .LBB90_28
	.p2align	6
.LBB90_46:                              ;   in Loop: Header=BB90_47 Depth=1
	s_add_u32 s12, s12, 4
	s_addc_u32 s13, s13, 0
	s_waitcnt lgkmcnt(0)
	s_add_i32 s39, s3, s39
	s_add_u32 s14, s14, 4
	s_addc_u32 s15, s15, 0
	s_add_i32 s2, s2, 1
	s_cmp_lt_u32 s2, s10
	s_cbranch_scc0 .LBB90_25
.LBB90_47:                              ; =>This Inner Loop Header: Depth=1
	s_load_dword s3, s[12:13], 0x0
	s_cmp_ge_u32 s2, s16
	s_cbranch_scc1 .LBB90_46
; %bb.48:                               ;   in Loop: Header=BB90_47 Depth=1
	s_load_dword s28, s[14:15], 0x0
	s_waitcnt lgkmcnt(0)
	s_add_i32 s17, s3, s17
	s_add_i32 s38, s28, s38
	s_branch .LBB90_46
.LBB90_49:
	s_endpgm
	.section	.rodata,"a",@progbits
	.p2align	6, 0x0
	.amdhsa_kernel _ZN2at6native6mbtopk10gatherTopKIfjLin1EEEvNS_4cuda6detail10TensorInfoIKT_T0_EES8_S8_bjS8_NS5_IS6_S8_EES8_NS5_IlS8_EES8_jjPS6_PjSD_j
		.amdhsa_group_segment_fixed_size 1068
		.amdhsa_private_segment_fixed_size 0
		.amdhsa_kernarg_size 984
		.amdhsa_user_sgpr_count 6
		.amdhsa_user_sgpr_private_segment_buffer 1
		.amdhsa_user_sgpr_dispatch_ptr 0
		.amdhsa_user_sgpr_queue_ptr 0
		.amdhsa_user_sgpr_kernarg_segment_ptr 1
		.amdhsa_user_sgpr_dispatch_id 0
		.amdhsa_user_sgpr_flat_scratch_init 0
		.amdhsa_user_sgpr_private_segment_size 0
		.amdhsa_wavefront_size32 1
		.amdhsa_uses_dynamic_stack 0
		.amdhsa_system_sgpr_private_segment_wavefront_offset 0
		.amdhsa_system_sgpr_workgroup_id_x 1
		.amdhsa_system_sgpr_workgroup_id_y 1
		.amdhsa_system_sgpr_workgroup_id_z 1
		.amdhsa_system_sgpr_workgroup_info 0
		.amdhsa_system_vgpr_workitem_id 0
		.amdhsa_next_free_vgpr 24
		.amdhsa_next_free_sgpr 43
		.amdhsa_reserve_vcc 1
		.amdhsa_reserve_flat_scratch 0
		.amdhsa_float_round_mode_32 0
		.amdhsa_float_round_mode_16_64 0
		.amdhsa_float_denorm_mode_32 3
		.amdhsa_float_denorm_mode_16_64 3
		.amdhsa_dx10_clamp 1
		.amdhsa_ieee_mode 1
		.amdhsa_fp16_overflow 0
		.amdhsa_workgroup_processor_mode 1
		.amdhsa_memory_ordered 1
		.amdhsa_forward_progress 1
		.amdhsa_shared_vgpr_count 0
		.amdhsa_exception_fp_ieee_invalid_op 0
		.amdhsa_exception_fp_denorm_src 0
		.amdhsa_exception_fp_ieee_div_zero 0
		.amdhsa_exception_fp_ieee_overflow 0
		.amdhsa_exception_fp_ieee_underflow 0
		.amdhsa_exception_fp_ieee_inexact 0
		.amdhsa_exception_int_div_zero 0
	.end_amdhsa_kernel
	.section	.text._ZN2at6native6mbtopk10gatherTopKIfjLin1EEEvNS_4cuda6detail10TensorInfoIKT_T0_EES8_S8_bjS8_NS5_IS6_S8_EES8_NS5_IlS8_EES8_jjPS6_PjSD_j,"axG",@progbits,_ZN2at6native6mbtopk10gatherTopKIfjLin1EEEvNS_4cuda6detail10TensorInfoIKT_T0_EES8_S8_bjS8_NS5_IS6_S8_EES8_NS5_IlS8_EES8_jjPS6_PjSD_j,comdat
.Lfunc_end90:
	.size	_ZN2at6native6mbtopk10gatherTopKIfjLin1EEEvNS_4cuda6detail10TensorInfoIKT_T0_EES8_S8_bjS8_NS5_IS6_S8_EES8_NS5_IlS8_EES8_jjPS6_PjSD_j, .Lfunc_end90-_ZN2at6native6mbtopk10gatherTopKIfjLin1EEEvNS_4cuda6detail10TensorInfoIKT_T0_EES8_S8_bjS8_NS5_IS6_S8_EES8_NS5_IlS8_EES8_jjPS6_PjSD_j
                                        ; -- End function
	.set _ZN2at6native6mbtopk10gatherTopKIfjLin1EEEvNS_4cuda6detail10TensorInfoIKT_T0_EES8_S8_bjS8_NS5_IS6_S8_EES8_NS5_IlS8_EES8_jjPS6_PjSD_j.num_vgpr, 24
	.set _ZN2at6native6mbtopk10gatherTopKIfjLin1EEEvNS_4cuda6detail10TensorInfoIKT_T0_EES8_S8_bjS8_NS5_IS6_S8_EES8_NS5_IlS8_EES8_jjPS6_PjSD_j.num_agpr, 0
	.set _ZN2at6native6mbtopk10gatherTopKIfjLin1EEEvNS_4cuda6detail10TensorInfoIKT_T0_EES8_S8_bjS8_NS5_IS6_S8_EES8_NS5_IlS8_EES8_jjPS6_PjSD_j.numbered_sgpr, 43
	.set _ZN2at6native6mbtopk10gatherTopKIfjLin1EEEvNS_4cuda6detail10TensorInfoIKT_T0_EES8_S8_bjS8_NS5_IS6_S8_EES8_NS5_IlS8_EES8_jjPS6_PjSD_j.num_named_barrier, 0
	.set _ZN2at6native6mbtopk10gatherTopKIfjLin1EEEvNS_4cuda6detail10TensorInfoIKT_T0_EES8_S8_bjS8_NS5_IS6_S8_EES8_NS5_IlS8_EES8_jjPS6_PjSD_j.private_seg_size, 0
	.set _ZN2at6native6mbtopk10gatherTopKIfjLin1EEEvNS_4cuda6detail10TensorInfoIKT_T0_EES8_S8_bjS8_NS5_IS6_S8_EES8_NS5_IlS8_EES8_jjPS6_PjSD_j.uses_vcc, 1
	.set _ZN2at6native6mbtopk10gatherTopKIfjLin1EEEvNS_4cuda6detail10TensorInfoIKT_T0_EES8_S8_bjS8_NS5_IS6_S8_EES8_NS5_IlS8_EES8_jjPS6_PjSD_j.uses_flat_scratch, 0
	.set _ZN2at6native6mbtopk10gatherTopKIfjLin1EEEvNS_4cuda6detail10TensorInfoIKT_T0_EES8_S8_bjS8_NS5_IS6_S8_EES8_NS5_IlS8_EES8_jjPS6_PjSD_j.has_dyn_sized_stack, 0
	.set _ZN2at6native6mbtopk10gatherTopKIfjLin1EEEvNS_4cuda6detail10TensorInfoIKT_T0_EES8_S8_bjS8_NS5_IS6_S8_EES8_NS5_IlS8_EES8_jjPS6_PjSD_j.has_recursion, 0
	.set _ZN2at6native6mbtopk10gatherTopKIfjLin1EEEvNS_4cuda6detail10TensorInfoIKT_T0_EES8_S8_bjS8_NS5_IS6_S8_EES8_NS5_IlS8_EES8_jjPS6_PjSD_j.has_indirect_call, 0
	.section	.AMDGPU.csdata,"",@progbits
; Kernel info:
; codeLenInByte = 3152
; TotalNumSgprs: 45
; NumVgprs: 24
; ScratchSize: 0
; MemoryBound: 0
; FloatMode: 240
; IeeeMode: 1
; LDSByteSize: 1068 bytes/workgroup (compile time only)
; SGPRBlocks: 0
; VGPRBlocks: 2
; NumSGPRsForWavesPerEU: 45
; NumVGPRsForWavesPerEU: 24
; Occupancy: 16
; WaveLimiterHint : 1
; COMPUTE_PGM_RSRC2:SCRATCH_EN: 0
; COMPUTE_PGM_RSRC2:USER_SGPR: 6
; COMPUTE_PGM_RSRC2:TRAP_HANDLER: 0
; COMPUTE_PGM_RSRC2:TGID_X_EN: 1
; COMPUTE_PGM_RSRC2:TGID_Y_EN: 1
; COMPUTE_PGM_RSRC2:TGID_Z_EN: 1
; COMPUTE_PGM_RSRC2:TIDIG_COMP_CNT: 0
	.section	.text._ZN2at6native6sbtopk10gatherTopKIfjLin1ELb0EEEvNS_4cuda6detail10TensorInfoIKT_T0_EES8_S8_bS8_S8_NS5_IS6_S8_EES8_NS5_IlS8_EES8_PS6_,"axG",@progbits,_ZN2at6native6sbtopk10gatherTopKIfjLin1ELb0EEEvNS_4cuda6detail10TensorInfoIKT_T0_EES8_S8_bS8_S8_NS5_IS6_S8_EES8_NS5_IlS8_EES8_PS6_,comdat
	.protected	_ZN2at6native6sbtopk10gatherTopKIfjLin1ELb0EEEvNS_4cuda6detail10TensorInfoIKT_T0_EES8_S8_bS8_S8_NS5_IS6_S8_EES8_NS5_IlS8_EES8_PS6_ ; -- Begin function _ZN2at6native6sbtopk10gatherTopKIfjLin1ELb0EEEvNS_4cuda6detail10TensorInfoIKT_T0_EES8_S8_bS8_S8_NS5_IS6_S8_EES8_NS5_IlS8_EES8_PS6_
	.globl	_ZN2at6native6sbtopk10gatherTopKIfjLin1ELb0EEEvNS_4cuda6detail10TensorInfoIKT_T0_EES8_S8_bS8_S8_NS5_IS6_S8_EES8_NS5_IlS8_EES8_PS6_
	.p2align	8
	.type	_ZN2at6native6sbtopk10gatherTopKIfjLin1ELb0EEEvNS_4cuda6detail10TensorInfoIKT_T0_EES8_S8_bS8_S8_NS5_IS6_S8_EES8_NS5_IlS8_EES8_PS6_,@function
_ZN2at6native6sbtopk10gatherTopKIfjLin1ELb0EEEvNS_4cuda6detail10TensorInfoIKT_T0_EES8_S8_bS8_S8_NS5_IS6_S8_EES8_NS5_IlS8_EES8_PS6_: ; @_ZN2at6native6sbtopk10gatherTopKIfjLin1ELb0EEEvNS_4cuda6detail10TensorInfoIKT_T0_EES8_S8_bS8_S8_NS5_IS6_S8_EES8_NS5_IlS8_EES8_PS6_
; %bb.0:
	s_clause 0x1
	s_load_dwordx2 s[2:3], s[4:5], 0x2b8
	s_load_dwordx4 s[36:39], s[4:5], 0xd8
	s_add_u32 s10, s4, 0x2b8
	s_addc_u32 s11, s5, 0
	s_waitcnt lgkmcnt(0)
	s_mul_i32 s0, s3, s8
	s_add_i32 s0, s0, s7
	s_mul_i32 s0, s0, s2
	s_add_i32 s48, s0, s6
	s_cmp_ge_u32 s48, s39
	s_cbranch_scc1 .LBB91_420
; %bb.1:
	s_clause 0x1
	s_load_dword s3, s[4:5], 0xd0
	s_load_dword s30, s[4:5], 0xe8
	s_mov_b32 s1, 0
	s_mov_b32 s0, s48
	s_waitcnt lgkmcnt(0)
	s_cmp_lt_i32 s3, 2
	s_cbranch_scc1 .LBB91_4
; %bb.2:
	s_add_i32 s0, s3, -1
	s_add_i32 s3, s3, 1
	s_lshl_b64 s[8:9], s[0:1], 2
	s_add_u32 s0, s4, s8
	s_addc_u32 s7, s5, s9
	s_add_u32 s8, s0, 8
	s_addc_u32 s9, s7, 0
	s_mov_b32 s0, s48
	s_inst_prefetch 0x1
	.p2align	6
.LBB91_3:                               ; =>This Inner Loop Header: Depth=1
	s_clause 0x1
	s_load_dword s7, s[8:9], 0x0
	s_load_dword s12, s[8:9], 0x64
	s_mov_b32 s15, s0
	s_waitcnt lgkmcnt(0)
	v_cvt_f32_u32_e32 v1, s7
	s_sub_i32 s14, 0, s7
	v_rcp_iflag_f32_e32 v1, v1
	v_mul_f32_e32 v1, 0x4f7ffffe, v1
	v_cvt_u32_f32_e32 v1, v1
	v_readfirstlane_b32 s13, v1
	s_mul_i32 s14, s14, s13
	s_mul_hi_u32 s14, s13, s14
	s_add_i32 s13, s13, s14
	s_mul_hi_u32 s0, s0, s13
	s_mul_i32 s13, s0, s7
	s_add_i32 s14, s0, 1
	s_sub_i32 s13, s15, s13
	s_sub_i32 s16, s13, s7
	s_cmp_ge_u32 s13, s7
	s_cselect_b32 s0, s14, s0
	s_cselect_b32 s13, s16, s13
	s_add_i32 s14, s0, 1
	s_cmp_ge_u32 s13, s7
	s_cselect_b32 s0, s14, s0
	s_add_i32 s3, s3, -1
	s_mul_i32 s7, s0, s7
	s_sub_i32 s7, s15, s7
	s_mul_i32 s7, s12, s7
	s_add_i32 s1, s7, s1
	s_add_u32 s8, s8, -4
	s_addc_u32 s9, s9, -1
	s_cmp_gt_u32 s3, 2
	s_cbranch_scc1 .LBB91_3
.LBB91_4:
	s_inst_prefetch 0x2
	s_load_dword s3, s[4:5], 0x1c0
	s_add_u32 s8, s4, 0xf0
	s_addc_u32 s9, s5, 0
	s_mov_b32 s35, 0
	s_mov_b32 s49, s48
	s_waitcnt lgkmcnt(0)
	s_cmp_lt_i32 s3, 2
	s_cbranch_scc1 .LBB91_7
; %bb.5:
	s_add_i32 s34, s3, -1
	s_add_i32 s3, s3, 1
	s_lshl_b64 s[12:13], s[34:35], 2
	s_mov_b32 s49, s48
	s_add_u32 s7, s8, s12
	s_addc_u32 s13, s9, s13
	s_add_u32 s12, s7, 8
	s_addc_u32 s13, s13, 0
	s_inst_prefetch 0x1
	.p2align	6
.LBB91_6:                               ; =>This Inner Loop Header: Depth=1
	s_clause 0x1
	s_load_dword s7, s[12:13], 0x0
	s_load_dword s14, s[12:13], 0x64
	s_mov_b32 s17, s49
	s_waitcnt lgkmcnt(0)
	v_cvt_f32_u32_e32 v1, s7
	s_sub_i32 s16, 0, s7
	v_rcp_iflag_f32_e32 v1, v1
	v_mul_f32_e32 v1, 0x4f7ffffe, v1
	v_cvt_u32_f32_e32 v1, v1
	v_readfirstlane_b32 s15, v1
	s_mul_i32 s16, s16, s15
	s_mul_hi_u32 s16, s15, s16
	s_add_i32 s15, s15, s16
	s_mul_hi_u32 s15, s49, s15
	s_mul_i32 s16, s15, s7
	s_add_i32 s18, s15, 1
	s_sub_i32 s16, s49, s16
	s_sub_i32 s19, s16, s7
	s_cmp_ge_u32 s16, s7
	s_cselect_b32 s15, s18, s15
	s_cselect_b32 s16, s19, s16
	s_add_i32 s18, s15, 1
	s_cmp_ge_u32 s16, s7
	s_cselect_b32 s49, s18, s15
	s_add_i32 s3, s3, -1
	s_mul_i32 s7, s49, s7
	s_sub_i32 s7, s17, s7
	s_mul_i32 s7, s14, s7
	s_add_i32 s35, s7, s35
	s_add_u32 s12, s12, -4
	s_addc_u32 s13, s13, -1
	s_cmp_gt_u32 s3, 2
	s_cbranch_scc1 .LBB91_6
.LBB91_7:
	s_inst_prefetch 0x2
	s_clause 0x1
	s_load_dword s7, s[4:5], 0x6c
	s_load_dword s3, s[4:5], 0x2a0
	s_add_u32 s12, s4, 0x1d0
	s_addc_u32 s13, s5, 0
	s_mov_b32 s41, 0
	s_waitcnt lgkmcnt(0)
	s_cmp_lt_i32 s3, 2
	s_cbranch_scc1 .LBB91_10
; %bb.8:
	s_add_i32 s40, s3, -1
	s_add_i32 s3, s3, 1
	s_lshl_b64 s[14:15], s[40:41], 2
	s_add_u32 s12, s12, s14
	s_addc_u32 s13, s13, s15
	s_add_u32 s12, s12, 8
	s_addc_u32 s13, s13, 0
	s_inst_prefetch 0x1
	.p2align	6
.LBB91_9:                               ; =>This Inner Loop Header: Depth=1
	s_clause 0x1
	s_load_dword s14, s[12:13], 0x0
	s_load_dword s15, s[12:13], 0x64
	s_mov_b32 s18, s48
	s_waitcnt lgkmcnt(0)
	v_cvt_f32_u32_e32 v1, s14
	s_sub_i32 s17, 0, s14
	v_rcp_iflag_f32_e32 v1, v1
	v_mul_f32_e32 v1, 0x4f7ffffe, v1
	v_cvt_u32_f32_e32 v1, v1
	v_readfirstlane_b32 s16, v1
	s_mul_i32 s17, s17, s16
	s_mul_hi_u32 s17, s16, s17
	s_add_i32 s16, s16, s17
	s_mul_hi_u32 s16, s48, s16
	s_mul_i32 s17, s16, s14
	s_add_i32 s19, s16, 1
	s_sub_i32 s17, s48, s17
	s_sub_i32 s20, s17, s14
	s_cmp_ge_u32 s17, s14
	s_cselect_b32 s16, s19, s16
	s_cselect_b32 s17, s20, s17
	s_add_i32 s19, s16, 1
	s_cmp_ge_u32 s17, s14
	s_cselect_b32 s48, s19, s16
	s_add_i32 s3, s3, -1
	s_mul_i32 s14, s48, s14
	s_sub_i32 s14, s18, s14
	s_mul_i32 s14, s15, s14
	s_add_i32 s41, s14, s41
	s_add_u32 s12, s12, -4
	s_addc_u32 s13, s13, -1
	s_cmp_gt_u32 s3, 2
	s_cbranch_scc1 .LBB91_9
.LBB91_10:
	s_inst_prefetch 0x2
	s_clause 0x3
	s_load_dword s50, s[8:9], 0x6c
	s_load_dwordx2 s[8:9], s[4:5], 0x0
	s_load_dwordx2 s[44:45], s[4:5], 0xf0
	s_load_dwordx2 s[42:43], s[4:5], 0x1d0
	v_cmp_eq_u32_e64 s3, 0, v0
	s_mov_b32 s47, 0
	s_and_saveexec_b32 s12, s3
	s_cbranch_execz .LBB91_12
; %bb.11:
	v_mov_b32_e32 v1, 0
	v_mov_b32_e32 v2, s36
	;; [unrolled: 1-line block ×3, first 2 shown]
	ds_write_b96 v1, v[1:3] offset:4096
.LBB91_12:
	s_or_b32 exec_lo, exec_lo, s12
	s_waitcnt lgkmcnt(0)
	s_barrier
	buffer_gl0_inv
	s_load_dword s14, s[10:11], 0xc
	s_mul_i32 s0, s7, s0
	v_mbcnt_lo_u32_b32 v17, -1, 0
	s_add_i32 s46, s0, s1
	v_cmp_gt_u32_e32 vcc_lo, 32, v0
	s_lshl_b64 s[12:13], s[46:47], 2
	v_mov_b32_e32 v9, 0
	s_add_u32 s31, s8, s12
	s_addc_u32 s33, s9, s13
	s_bitcmp1_b32 s38, 0
	v_cmp_gt_i32_e64 s0, 4, v17
	s_cselect_b32 s1, -1, 0
	v_mul_lo_u32 v7, s30, v0
	s_xor_b32 s52, s1, -1
	v_mov_b32_e32 v8, v9
	s_and_b32 s51, vcc_lo, s0
	s_load_dword s46, s[4:5], 0x23c
	v_lshlrev_b32_e32 v18, 2, v0
	v_lshlrev_b32_e32 v27, 4, v0
	v_lshl_or_b32 v28, v17, 2, 0xc00
	s_waitcnt lgkmcnt(0)
	s_and_b32 s34, s14, 0xffff
	s_bfe_u32 s0, s14, 0xb0005
	s_lshl_b32 s53, s34, 2
	s_bfe_u32 s7, s34, 0x80008
	v_cvt_f32_u32_e32 v1, s53
	s_lshl_b32 s54, s7, 3
	s_cmpk_gt_u32 s36, 0x300
	v_cvt_f32_u32_e32 v2, s34
	s_cselect_b32 s55, -1, 0
	v_rcp_iflag_f32_e32 v1, v1
	s_cmp_gt_u32 s34, 31
	v_mad_u64_u32 v[12:13], null, s30, v18, s[30:31]
	s_cselect_b32 s56, -1, 0
	s_add_i32 s57, s34, -1
	v_rcp_iflag_f32_e32 v2, v2
	s_add_i32 s9, s57, s36
	s_cmp_lt_u32 s6, s2
	v_cmp_gt_u32_e64 s2, s36, v0
	v_mul_f32_e32 v1, 0x4f7ffffe, v1
	s_cselect_b32 s6, 12, 18
	v_add_nc_u32_e32 v20, 0xc00, v18
	s_add_u32 s38, s10, s6
	s_addc_u32 s39, s11, 0
	s_add_i32 s0, s0, -1
	v_cvt_u32_f32_e32 v1, v1
	s_and_b32 s0, s0, 0xffff
	s_bfe_u32 s58, s34, 0x30005
	s_cmp_gt_u32 s0, 6
	v_mul_f32_e32 v3, 0x4f7ffffe, v2
	v_readfirstlane_b32 s7, v1
	s_cselect_b32 s59, -1, 0
	s_cmp_lg_u32 s58, 0
	v_lshlrev_b64 v[1:2], v17, -1
	s_cselect_b32 s60, -1, 0
	s_sub_i32 s0, 0, s53
	v_cvt_u32_f32_e32 v4, v3
	s_mul_i32 s0, s0, s7
	v_lshlrev_b64 v[2:3], 2, v[7:8]
	s_mul_hi_u32 s8, s7, s0
	v_not_b32_e32 v16, v1
	s_add_i32 s61, s7, s8
	v_lshrrev_b32_e32 v1, 1, v0
	s_mul_hi_u32 s7, s36, s61
	v_add_co_u32 v5, vcc_lo, s31, v2
	s_mul_i32 s7, s7, s53
	v_add_co_ci_u32_e64 v6, null, s33, v3, vcc_lo
	s_sub_i32 s7, s36, s7
	v_or_b32_e32 v3, 3, v18
	s_sub_i32 s8, s7, s53
	s_cmp_ge_u32 s7, s53
	v_cmp_gt_u32_e64 s6, 2, v0
	s_cselect_b32 s7, s8, s7
	v_readfirstlane_b32 s8, v4
	s_sub_i32 s10, s7, s53
	s_cmp_ge_u32 s7, s53
	v_mul_lo_u32 v24, s30, v3
	s_cselect_b32 s10, s10, s7
	s_sub_i32 s7, 0, s34
	s_sub_i32 s62, s36, s10
	s_mul_i32 s7, s7, s8
	v_add_nc_u32_e32 v19, s62, v0
	s_mul_hi_u32 s7, s8, s7
	v_cmp_eq_u32_e64 s0, 0, v17
	s_add_i32 s63, s8, s7
	s_movk_i32 s8, 0x1f0
	v_mul_lo_u32 v8, v19, s30
	v_and_or_b32 v21, v1, s8, 0xc00
	s_mul_hi_u32 s7, s9, s63
	v_lshlrev_b32_e32 v25, 2, v7
	s_mul_i32 s7, s7, s34
	v_mov_b32_e32 v30, s37
	s_sub_i32 s7, s9, s7
	v_mov_b32_e32 v13, 1.0
	v_lshlrev_b64 v[1:2], 2, v[8:9]
	s_sub_i32 s11, s7, s34
	s_cmp_ge_u32 s7, s34
	v_mov_b32_e32 v15, 0
	s_cselect_b32 s8, s11, s7
	v_cmp_gt_u32_e64 s7, s62, v18
	v_add_co_u32 v10, vcc_lo, s31, v1
	v_add3_u32 v1, s34, s36, v0
	v_add_co_ci_u32_e64 v11, null, s33, v2, vcc_lo
	v_or_b32_e32 v2, 2, v18
	s_sub_i32 s11, s8, s34
	v_subrev_nc_u32_e32 v1, s10, v1
	s_cmp_ge_u32 s8, s34
	v_mov_b32_e32 v22, 0
	s_cselect_b32 s11, s11, s8
	v_mul_lo_u32 v23, s30, v2
	v_mul_lo_u32 v26, s30, v1
	s_sub_i32 s64, s9, s11
	v_cmp_gt_u32_e64 s8, s36, v19
	v_cmp_gt_u32_e64 s9, s64, v0
	v_mov_b32_e32 v29, 0
	s_mul_i32 s40, s30, s34
	s_lshl_b32 s66, s34, 4
	s_lshl_b32 s65, s40, 2
	s_mov_b32 s72, 30
	s_mov_b32 s68, 0
                                        ; implicit-def: $sgpr67
                                        ; implicit-def: $sgpr71
                                        ; implicit-def: $sgpr70
                                        ; implicit-def: $sgpr73
                                        ; implicit-def: $sgpr69
                                        ; implicit-def: $sgpr77
                                        ; implicit-def: $sgpr78
                                        ; implicit-def: $sgpr74
                                        ; implicit-def: $sgpr76
                                        ; implicit-def: $sgpr75
	s_branch .LBB91_15
.LBB91_13:                              ;   in Loop: Header=BB91_15 Depth=1
	s_or_b32 exec_lo, exec_lo, s13
	v_mov_b32_e32 v30, v32
	s_andn2_b32 s13, s75, exec_lo
	s_and_b32 s12, s12, exec_lo
	s_andn2_b32 s76, s76, exec_lo
	s_or_b32 s75, s13, s12
	s_andn2_b32 s74, s74, exec_lo
	s_andn2_b32 s78, s78, exec_lo
	;; [unrolled: 1-line block ×3, first 2 shown]
	s_orn2_b32 s13, s11, exec_lo
.LBB91_14:                              ;   in Loop: Header=BB91_15 Depth=1
	s_or_b32 exec_lo, exec_lo, s10
	s_and_b32 s10, exec_lo, s13
	s_or_b32 s47, s10, s47
	s_andn2_b32 s10, s69, exec_lo
	s_and_b32 s11, s75, exec_lo
	s_andn2_b32 s12, s73, exec_lo
	s_or_b32 s69, s10, s11
	s_and_b32 s10, s76, exec_lo
	s_andn2_b32 s11, s70, exec_lo
	s_and_b32 s13, s74, exec_lo
	s_or_b32 s73, s12, s10
	s_or_b32 s70, s11, s13
	s_andn2_b32 s10, s71, exec_lo
	s_and_b32 s11, s78, exec_lo
	s_andn2_b32 s12, s67, exec_lo
	s_and_b32 s13, s77, exec_lo
	s_or_b32 s71, s10, s11
	s_or_b32 s67, s12, s13
	s_andn2_b32 exec_lo, exec_lo, s47
	s_cbranch_execz .LBB91_416
.LBB91_15:                              ; =>This Loop Header: Depth=1
                                        ;     Child Loop BB91_21 Depth 2
                                        ;     Child Loop BB91_34 Depth 2
	;; [unrolled: 1-line block ×24, first 2 shown]
	ds_read_b64 v[1:2], v9 offset:4096
	s_waitcnt lgkmcnt(0)
	v_readfirstlane_b32 s79, v1
	s_cmp_lg_u32 s79, 0
	s_cbranch_scc1 .LBB91_42
; %bb.16:                               ;   in Loop: Header=BB91_15 Depth=1
	s_and_b32 vcc_lo, exec_lo, s55
	s_cbranch_vccz .LBB91_29
; %bb.17:                               ;   in Loop: Header=BB91_15 Depth=1
	v_cmp_gt_u32_e32 vcc_lo, 0x301, v2
	s_mov_b32 s12, 0
	s_mov_b32 s10, 0
	s_cbranch_vccz .LBB91_30
; %bb.18:                               ;   in Loop: Header=BB91_15 Depth=1
	s_and_saveexec_b32 s13, s2
	s_cbranch_execz .LBB91_90
; %bb.19:                               ;   in Loop: Header=BB91_15 Depth=1
	global_load_ushort v1, v9, s[38:39]
	global_load_dword v3, v[5:6], off
	v_mov_b32_e32 v4, v0
	s_mov_b32 s14, 0
	s_waitcnt vmcnt(1)
	v_add_nc_u32_e32 v2, v0, v1
	v_mul_lo_u32 v8, s30, v2
	v_mul_lo_u32 v2, s30, v1
	s_branch .LBB91_21
.LBB91_20:                              ;   in Loop: Header=BB91_21 Depth=2
	s_or_b32 exec_lo, exec_lo, s11
	v_add_nc_u32_e32 v8, v8, v2
	v_mov_b32_e32 v3, v14
	s_andn2_b32 exec_lo, exec_lo, s14
	s_cbranch_execz .LBB91_90
.LBB91_21:                              ;   Parent Loop BB91_15 Depth=1
                                        ; =>  This Inner Loop Header: Depth=2
	v_add_nc_u32_e32 v4, v4, v1
	s_waitcnt lgkmcnt(0)
	v_mov_b32_e32 v31, 0
	v_mov_b32_e32 v14, 0
	s_mov_b32 s11, exec_lo
	v_cmp_le_u32_e32 vcc_lo, s36, v4
	v_cmpx_gt_u32_e64 s36, v4
	s_cbranch_execz .LBB91_23
; %bb.22:                               ;   in Loop: Header=BB91_21 Depth=2
	v_lshlrev_b64 v[32:33], 2, v[8:9]
	v_add_co_u32 v32, s10, s31, v32
	v_add_co_ci_u32_e64 v33, null, s33, v33, s10
	global_load_dword v14, v[32:33], off
.LBB91_23:                              ;   in Loop: Header=BB91_21 Depth=2
	s_or_b32 exec_lo, exec_lo, s11
	s_waitcnt vmcnt(0)
	v_cmp_lt_i32_e64 s10, -1, v3
	v_cndmask_b32_e64 v32, -1, 0x80000000, s10
	v_cmp_o_f32_e64 s10, v3, v3
	v_xor_b32_e32 v32, v32, v3
	v_cndmask_b32_e64 v32, -1, v32, s10
	v_and_b32_e32 v32, v32, v29
	v_cmp_eq_u32_e64 s10, v32, v22
	s_cmp_lg_u32 s10, 0
	s_cselect_b32 s11, -1, 0
	s_and_b32 s11, s0, s11
	s_and_saveexec_b32 s15, s11
	s_cbranch_execz .LBB91_27
; %bb.24:                               ;   in Loop: Header=BB91_21 Depth=2
	s_mov_b32 s18, exec_lo
	s_bcnt1_i32_b32 s16, s10
	v_mbcnt_lo_u32_b32 v31, s18, 0
	s_mov_b32 s17, exec_lo
                                        ; implicit-def: $vgpr32
	v_cmpx_eq_u32_e32 0, v31
; %bb.25:                               ;   in Loop: Header=BB91_21 Depth=2
	s_bcnt1_i32_b32 s11, s18
	s_mul_i32 s11, s16, s11
	v_mov_b32_e32 v32, s11
	ds_add_rtn_u32 v32, v9, v32 offset:4104
; %bb.26:                               ;   in Loop: Header=BB91_21 Depth=2
	s_or_b32 exec_lo, exec_lo, s17
	s_waitcnt lgkmcnt(0)
	v_readfirstlane_b32 s11, v32
	v_mad_u32_u24 v31, s16, v31, s11
.LBB91_27:                              ;   in Loop: Header=BB91_21 Depth=2
	s_or_b32 exec_lo, exec_lo, s15
	ds_bpermute_b32 v31, v9, v31
	s_and_b32 s11, exec_lo, vcc_lo
	s_or_b32 s14, s11, s14
	s_and_saveexec_b32 s11, s10
	s_cbranch_execz .LBB91_20
; %bb.28:                               ;   in Loop: Header=BB91_21 Depth=2
	v_and_b32_e32 v32, s10, v16
	v_bcnt_u32_b32 v32, v32, 0
	v_lshlrev_b32_e32 v32, 2, v32
	s_waitcnt lgkmcnt(0)
	v_lshl_add_u32 v31, v31, 2, v32
	ds_write_b32 v31, v3
	s_branch .LBB91_20
.LBB91_29:                              ;   in Loop: Header=BB91_15 Depth=1
	s_mov_b32 s12, -1
	s_mov_b32 s10, 0
.LBB91_30:                              ;   in Loop: Header=BB91_15 Depth=1
	s_and_b32 vcc_lo, exec_lo, s12
	s_cbranch_vccz .LBB91_40
.LBB91_31:                              ;   in Loop: Header=BB91_15 Depth=1
	s_and_saveexec_b32 s10, s2
	s_cbranch_execz .LBB91_37
; %bb.32:                               ;   in Loop: Header=BB91_15 Depth=1
	global_load_ushort v1, v9, s[38:39]
	global_load_dword v3, v[5:6], off
	v_mov_b32_e32 v2, v0
	s_mov_b32 s11, exec_lo
	s_waitcnt vmcnt(1)
	v_add_nc_u32_e32 v4, v0, v1
	v_cmpx_gt_u32_e64 s36, v4
	s_cbranch_execz .LBB91_36
; %bb.33:                               ;   in Loop: Header=BB91_15 Depth=1
	v_mul_lo_u32 v8, s30, v4
	v_mul_lo_u32 v4, s30, v1
	v_lshlrev_b32_e32 v14, 2, v1
	v_mov_b32_e32 v31, v18
	v_mov_b32_e32 v2, v0
	s_mov_b32 s12, 0
	.p2align	6
.LBB91_34:                              ;   Parent Loop BB91_15 Depth=1
                                        ; =>  This Inner Loop Header: Depth=2
	v_lshlrev_b64 v[32:33], 2, v[8:9]
	v_add_nc_u32_e32 v2, v2, v1
	s_waitcnt vmcnt(0)
	ds_write_b32 v31, v3
	v_add_nc_u32_e32 v31, v31, v14
	v_add_nc_u32_e32 v8, v8, v4
	v_add_co_u32 v32, vcc_lo, s31, v32
	v_add_co_ci_u32_e64 v33, null, s33, v33, vcc_lo
	global_load_dword v32, v[32:33], off
	v_add_nc_u32_e32 v33, v1, v2
	v_cmp_le_u32_e32 vcc_lo, s36, v33
	s_or_b32 s12, vcc_lo, s12
	s_waitcnt vmcnt(0)
	v_mov_b32_e32 v3, v32
	s_andn2_b32 exec_lo, exec_lo, s12
	s_cbranch_execnz .LBB91_34
; %bb.35:                               ;   in Loop: Header=BB91_15 Depth=1
	s_or_b32 exec_lo, exec_lo, s12
	v_mov_b32_e32 v3, v32
.LBB91_36:                              ;   in Loop: Header=BB91_15 Depth=1
	s_or_b32 exec_lo, exec_lo, s11
	v_lshlrev_b32_e32 v1, 2, v2
	s_waitcnt vmcnt(0)
	ds_write_b32 v1, v3
.LBB91_37:                              ;   in Loop: Header=BB91_15 Depth=1
	s_or_b32 exec_lo, exec_lo, s10
	s_waitcnt lgkmcnt(0)
	s_barrier
	buffer_gl0_inv
	s_and_saveexec_b32 s10, s3
; %bb.38:                               ;   in Loop: Header=BB91_15 Depth=1
	v_mov_b32_e32 v1, s36
	ds_write_b32 v9, v1 offset:4096
; %bb.39:                               ;   in Loop: Header=BB91_15 Depth=1
	s_or_b32 exec_lo, exec_lo, s10
	s_mov_b32 s10, -1
	s_waitcnt lgkmcnt(0)
	s_barrier
.LBB91_40:                              ;   in Loop: Header=BB91_15 Depth=1
	s_and_b32 vcc_lo, exec_lo, s10
	s_mov_b32 s79, 0
	s_cbranch_vccz .LBB91_42
; %bb.41:                               ;   in Loop: Header=BB91_15 Depth=1
	buffer_gl0_inv
	ds_read_b32 v1, v9 offset:4096
	s_waitcnt lgkmcnt(0)
	v_readfirstlane_b32 s79, v1
.LBB91_42:                              ;   in Loop: Header=BB91_15 Depth=1
	s_cmp_lt_i32 s79, 1
	s_mov_b32 s10, -1
                                        ; implicit-def: $vgpr1
	s_cbranch_scc1 .LBB91_52
; %bb.43:                               ;   in Loop: Header=BB91_15 Depth=1
	s_and_b32 vcc_lo, exec_lo, s10
	s_cbranch_vccnz .LBB91_63
.LBB91_44:                              ;   in Loop: Header=BB91_15 Depth=1
	s_lshl_b32 s10, s68, 7
	s_and_saveexec_b32 s11, s0
.LBB91_45:                              ;   in Loop: Header=BB91_15 Depth=1
	v_lshl_add_u32 v8, s10, 2, v21
	ds_write_b128 v8, v[1:4]
.LBB91_46:                              ;   in Loop: Header=BB91_15 Depth=1
	s_or_b32 exec_lo, exec_lo, s11
	s_waitcnt lgkmcnt(0)
	s_barrier
	buffer_gl0_inv
	s_and_saveexec_b32 s11, s51
	s_cbranch_execz .LBB91_76
; %bb.47:                               ;   in Loop: Header=BB91_15 Depth=1
	v_mov_b32_e32 v1, 0
	s_andn2_b32 vcc_lo, exec_lo, s56
	s_cbranch_vccnz .LBB91_75
; %bb.48:                               ;   in Loop: Header=BB91_15 Depth=1
	s_andn2_b32 vcc_lo, exec_lo, s59
	s_cbranch_vccnz .LBB91_72
; %bb.49:                               ;   in Loop: Header=BB91_15 Depth=1
	v_lshl_add_u32 v2, s68, 9, v28
	v_mov_b32_e32 v1, 0
	s_mov_b32 s12, 0
	.p2align	6
.LBB91_50:                              ;   Parent Loop BB91_15 Depth=1
                                        ; =>  This Inner Loop Header: Depth=2
	ds_read2_b32 v[3:4], v2 offset1:4
	ds_read2_b32 v[31:32], v2 offset0:8 offset1:12
	ds_read2_b32 v[33:34], v2 offset0:16 offset1:20
	;; [unrolled: 1-line block ×3, first 2 shown]
	v_add_nc_u32_e32 v2, 0x80, v2
	s_add_i32 s12, s12, 8
	s_cmp_eq_u32 s54, s12
	s_waitcnt lgkmcnt(3)
	v_add3_u32 v1, v3, v1, v4
	s_waitcnt lgkmcnt(2)
	v_add3_u32 v1, v31, v1, v32
	;; [unrolled: 2-line block ×4, first 2 shown]
	s_cbranch_scc0 .LBB91_50
; %bb.51:                               ;   in Loop: Header=BB91_15 Depth=1
	s_mov_b32 s12, s54
	s_andn2_b32 vcc_lo, exec_lo, s60
	s_cbranch_vccz .LBB91_73
	s_branch .LBB91_75
.LBB91_52:                              ;   in Loop: Header=BB91_15 Depth=1
	v_mov_b32_e32 v1, 0
	v_mov_b32_e32 v2, 0
	;; [unrolled: 1-line block ×4, first 2 shown]
	s_and_saveexec_b32 s21, s7
	s_cbranch_execz .LBB91_56
; %bb.53:                               ;   in Loop: Header=BB91_15 Depth=1
	v_mov_b32_e32 v14, v18
	s_mov_b32 s22, 0
	s_mov_b32 s23, 0
	;; [unrolled: 1-line block ×6, first 2 shown]
.LBB91_54:                              ;   Parent Loop BB91_15 Depth=1
                                        ; =>  This Inner Loop Header: Depth=2
	v_add_nc_u32_e32 v8, s23, v25
	v_add_nc_u32_e32 v14, s53, v14
	v_lshlrev_b64 v[1:2], 2, v[8:9]
	v_add_nc_u32_e32 v8, s23, v12
	v_lshlrev_b64 v[3:4], 2, v[8:9]
	v_add_nc_u32_e32 v8, s23, v23
	v_add_co_u32 v1, vcc_lo, s31, v1
	v_add_co_ci_u32_e64 v2, null, s33, v2, vcc_lo
	v_lshlrev_b64 v[31:32], 2, v[8:9]
	v_add_nc_u32_e32 v8, s23, v24
	s_add_i32 s23, s23, s65
	global_load_dword v33, v[1:2], off
	v_add_co_u32 v1, vcc_lo, s31, v3
	v_add_co_ci_u32_e64 v2, null, s33, v4, vcc_lo
	v_add_co_u32 v31, vcc_lo, s31, v31
	v_add_co_ci_u32_e64 v32, null, s33, v32, vcc_lo
	v_lshlrev_b64 v[3:4], 2, v[8:9]
	s_clause 0x1
	global_load_dword v8, v[1:2], off
	global_load_dword v31, v[31:32], off
	v_add_co_u32 v1, vcc_lo, s31, v3
	v_add_co_ci_u32_e64 v2, null, s33, v4, vcc_lo
	v_cmp_le_u32_e32 vcc_lo, s62, v14
	global_load_dword v1, v[1:2], off
	s_waitcnt vmcnt(3)
	v_cmp_lt_i32_e64 s10, -1, v33
	v_cndmask_b32_e64 v2, -1, 0x80000000, s10
	s_waitcnt vmcnt(2)
	v_cmp_lt_i32_e64 s10, -1, v8
	v_xor_b32_e32 v2, v2, v33
	s_waitcnt vmcnt(1)
	v_cmp_lt_i32_e64 s11, -1, v31
	v_cndmask_b32_e64 v3, -1, 0x80000000, s10
	v_cmp_o_f32_e64 s10, v33, v33
	v_cndmask_b32_e64 v4, -1, 0x80000000, s11
	v_xor_b32_e32 v3, v3, v8
	v_cndmask_b32_e64 v2, -1, v2, s10
	v_cmp_o_f32_e64 s10, v8, v8
	v_xor_b32_e32 v4, v4, v31
	s_waitcnt vmcnt(0)
	v_cmp_o_f32_e64 s15, v1, v1
	v_and_b32_e32 v32, v2, v29
	v_cndmask_b32_e64 v3, -1, v3, s10
	v_cmp_lt_i32_e64 s10, -1, v1
	v_bfe_u32 v2, v2, s72, 2
	v_cndmask_b32_e64 v8, -1, 0x80000000, s10
	v_cmp_o_f32_e64 s10, v31, v31
	v_cmp_eq_u32_e64 s11, 0, v2
	v_and_b32_e32 v31, v3, v29
	v_bfe_u32 v3, v3, s72, 2
	v_xor_b32_e32 v8, v8, v1
	v_cndmask_b32_e64 v4, -1, v4, s10
	v_cmp_eq_u32_e64 s10, v32, v22
	v_cmp_eq_u32_e64 s12, 1, v2
	;; [unrolled: 1-line block ×4, first 2 shown]
	v_cndmask_b32_e64 v1, -1, v8, s15
	s_and_b32 s11, s10, s11
	v_cmp_eq_u32_e64 s15, v31, v22
	v_cmp_eq_u32_e64 s16, 0, v3
	v_cndmask_b32_e64 v8, 0, 1, s11
	v_cmp_eq_u32_e64 s11, 1, v3
	s_and_b32 s12, s10, s12
	v_and_b32_e32 v2, v4, v29
	v_bfe_u32 v4, v4, s72, 2
	v_cndmask_b32_e64 v31, 0, 1, s12
	v_cmp_eq_u32_e64 s12, 2, v3
	s_and_b32 s13, s10, s13
	s_and_b32 s10, s10, s14
	v_cndmask_b32_e64 v32, 0, 1, s13
	s_and_b32 s16, s15, s16
	s_and_b32 s11, s15, s11
	v_cmp_eq_u32_e64 s13, 3, v3
	v_cndmask_b32_e64 v3, 0, 1, s10
	v_cmp_eq_u32_e64 s10, v2, v22
	v_cmp_eq_u32_e64 s14, 0, v4
	v_cmp_ne_u32_e64 s17, 0, v8
	v_cndmask_b32_e64 v8, 0, 1, s16
	v_cmp_eq_u32_e64 s16, 1, v4
	v_cmp_ne_u32_e64 s18, 0, v31
	v_cndmask_b32_e64 v31, 0, 1, s11
	v_cmp_eq_u32_e64 s11, 2, v4
	s_and_b32 s12, s15, s12
	v_and_b32_e32 v2, v1, v29
	v_bfe_u32 v1, v1, s72, 2
	v_cmp_ne_u32_e64 s19, 0, v32
	v_cndmask_b32_e64 v32, 0, 1, s12
	v_cmp_eq_u32_e64 s12, 3, v4
	s_and_b32 s13, s15, s13
	s_and_b32 s14, s10, s14
	;; [unrolled: 1-line block ×4, first 2 shown]
	v_cmp_ne_u32_e64 s20, 0, v3
	v_cndmask_b32_e64 v3, 0, 1, s13
	v_cmp_eq_u32_e64 s13, v2, v22
	v_cmp_eq_u32_e64 s15, 0, v1
	s_bcnt1_i32_b32 s28, s17
	v_cmp_ne_u32_e64 s17, 0, v8
	v_cndmask_b32_e64 v2, 0, 1, s14
	v_cmp_eq_u32_e64 s14, 1, v1
	v_cndmask_b32_e64 v4, 0, 1, s16
	v_cmp_eq_u32_e64 s16, 2, v1
	;; [unrolled: 2-line block ×3, first 2 shown]
	s_and_b32 s10, s10, s12
	s_bcnt1_i32_b32 s81, s20
	v_cndmask_b32_e64 v1, 0, 1, s10
	v_cmp_ne_u32_e64 s20, 0, v3
	s_and_b32 s12, s13, s15
	s_and_b32 s14, s13, s14
	s_and_b32 s15, s13, s16
	s_and_b32 s11, s13, s11
	v_cmp_ne_u32_e64 s10, 0, v2
	v_cndmask_b32_e64 v2, 0, 1, s12
	v_cmp_ne_u32_e64 s12, 0, v4
	v_cndmask_b32_e64 v3, 0, 1, s14
	v_cndmask_b32_e64 v4, 0, 1, s15
	v_cmp_ne_u32_e64 s15, 0, v1
	v_cndmask_b32_e64 v1, 0, 1, s11
	s_bcnt1_i32_b32 s29, s18
	v_cmp_ne_u32_e64 s18, 0, v31
	s_bcnt1_i32_b32 s80, s19
	v_cmp_ne_u32_e64 s19, 0, v32
	s_add_i32 s24, s81, s24
	v_cmp_ne_u32_e64 s14, 0, v8
	s_bcnt1_i32_b32 s16, s20
	s_bcnt1_i32_b32 s20, s10
	s_add_i32 s16, s24, s16
	v_cmp_ne_u32_e64 s10, 0, v2
	s_bcnt1_i32_b32 s24, s12
	v_cmp_ne_u32_e64 s11, 0, v3
	v_cmp_ne_u32_e64 s12, 0, v4
	;; [unrolled: 1-line block ×3, first 2 shown]
	s_add_i32 s27, s28, s27
	s_add_i32 s26, s29, s26
	;; [unrolled: 1-line block ×3, first 2 shown]
	s_bcnt1_i32_b32 s17, s17
	s_bcnt1_i32_b32 s18, s18
	;; [unrolled: 1-line block ×3, first 2 shown]
	s_add_i32 s17, s27, s17
	s_add_i32 s18, s26, s18
	;; [unrolled: 1-line block ×3, first 2 shown]
	s_bcnt1_i32_b32 s14, s14
	s_bcnt1_i32_b32 s15, s15
	s_add_i32 s17, s17, s20
	s_add_i32 s18, s18, s24
	;; [unrolled: 1-line block ×4, first 2 shown]
	s_bcnt1_i32_b32 s10, s10
	s_bcnt1_i32_b32 s11, s11
	;; [unrolled: 1-line block ×4, first 2 shown]
	s_add_i32 s27, s17, s10
	s_add_i32 s26, s18, s11
	;; [unrolled: 1-line block ×4, first 2 shown]
	v_mov_b32_e32 v1, s27
	v_mov_b32_e32 v2, s26
	;; [unrolled: 1-line block ×4, first 2 shown]
	s_or_b32 s22, vcc_lo, s22
	s_andn2_b32 exec_lo, exec_lo, s22
	s_cbranch_execnz .LBB91_54
; %bb.55:                               ;   in Loop: Header=BB91_15 Depth=1
	s_or_b32 exec_lo, exec_lo, s22
.LBB91_56:                              ;   in Loop: Header=BB91_15 Depth=1
	s_or_b32 exec_lo, exec_lo, s21
	s_and_saveexec_b32 s14, s8
	s_cbranch_execz .LBB91_62
; %bb.57:                               ;   in Loop: Header=BB91_15 Depth=1
	global_load_dword v32, v[10:11], off
	v_mov_b32_e32 v8, v26
	v_mov_b32_e32 v14, v19
	s_mov_b32 s15, 0
	s_branch .LBB91_59
.LBB91_58:                              ;   in Loop: Header=BB91_59 Depth=2
	s_or_b32 exec_lo, exec_lo, s11
	s_waitcnt vmcnt(0)
	v_cmp_lt_i32_e64 s10, -1, v32
	s_and_b32 s11, exec_lo, vcc_lo
	v_add_nc_u32_e32 v8, s40, v8
	s_or_b32 s15, s11, s15
	v_cndmask_b32_e64 v33, -1, 0x80000000, s10
	v_cmp_o_f32_e64 s10, v32, v32
	v_xor_b32_e32 v33, v33, v32
	v_cndmask_b32_e64 v32, -1, v33, s10
	v_and_b32_e32 v33, v32, v29
	v_bfe_u32 v32, v32, s72, 2
	v_cmp_eq_u32_e32 vcc_lo, v33, v22
	v_cmp_eq_u32_e64 s10, 0, v32
	v_cmp_eq_u32_e64 s11, 1, v32
	;; [unrolled: 1-line block ×4, first 2 shown]
	s_and_b32 s10, vcc_lo, s10
	v_cndmask_b32_e64 v32, 0, 1, s10
	s_and_b32 s10, vcc_lo, s11
	v_cndmask_b32_e64 v33, 0, 1, s10
	;; [unrolled: 2-line block ×3, first 2 shown]
	s_and_b32 s10, vcc_lo, s13
	v_cmp_ne_u32_e32 vcc_lo, 0, v32
	v_cndmask_b32_e64 v35, 0, 1, s10
	v_cmp_ne_u32_e64 s10, 0, v33
	v_cmp_ne_u32_e64 s11, 0, v34
	v_mov_b32_e32 v32, v31
	s_bcnt1_i32_b32 s13, vcc_lo
	v_cmp_ne_u32_e64 s12, 0, v35
	s_bcnt1_i32_b32 s10, s10
	s_bcnt1_i32_b32 s11, s11
	v_add_nc_u32_e32 v1, s13, v1
	v_add_nc_u32_e32 v2, s10, v2
	s_bcnt1_i32_b32 s12, s12
	v_add_nc_u32_e32 v3, s11, v3
	v_add_nc_u32_e32 v4, s12, v4
	s_andn2_b32 exec_lo, exec_lo, s15
	s_cbranch_execz .LBB91_61
.LBB91_59:                              ;   Parent Loop BB91_15 Depth=1
                                        ; =>  This Inner Loop Header: Depth=2
	v_add_nc_u32_e32 v14, s34, v14
	v_mov_b32_e32 v31, 0
	s_mov_b32 s11, exec_lo
	v_cmp_le_u32_e32 vcc_lo, s36, v14
	v_cmpx_gt_u32_e64 s36, v14
	s_cbranch_execz .LBB91_58
; %bb.60:                               ;   in Loop: Header=BB91_59 Depth=2
	v_lshlrev_b64 v[33:34], 2, v[8:9]
	v_add_co_u32 v33, s10, s31, v33
	v_add_co_ci_u32_e64 v34, null, s33, v34, s10
	global_load_dword v31, v[33:34], off
	s_branch .LBB91_58
.LBB91_61:                              ;   in Loop: Header=BB91_15 Depth=1
	s_or_b32 exec_lo, exec_lo, s15
.LBB91_62:                              ;   in Loop: Header=BB91_15 Depth=1
	s_or_b32 exec_lo, exec_lo, s14
	s_branch .LBB91_44
.LBB91_63:                              ;   in Loop: Header=BB91_15 Depth=1
	s_mul_hi_u32 s10, s79, s61
	v_mov_b32_e32 v1, 0
	s_mul_i32 s10, s10, s53
	v_mov_b32_e32 v2, 0
	s_sub_i32 s10, s79, s10
	v_mov_b32_e32 v3, 0
	s_sub_i32 s11, s10, s53
	s_cmp_ge_u32 s10, s53
	v_mov_b32_e32 v4, 0
	s_cselect_b32 s10, s11, s10
	s_mov_b32 s81, exec_lo
	s_sub_i32 s11, s10, s53
	s_cmp_ge_u32 s10, s53
	s_cselect_b32 s10, s11, s10
	s_sub_i32 s80, s79, s10
	v_cmpx_gt_u32_e64 s80, v18
	s_cbranch_execz .LBB91_67
; %bb.64:                               ;   in Loop: Header=BB91_15 Depth=1
	v_mov_b32_e32 v8, v27
	v_mov_b32_e32 v14, v18
	s_mov_b32 s82, 0
	s_mov_b32 s83, 0
	;; [unrolled: 1-line block ×5, first 2 shown]
.LBB91_65:                              ;   Parent Loop BB91_15 Depth=1
                                        ; =>  This Inner Loop Header: Depth=2
	ds_read_b128 v[1:4], v8
	v_add_nc_u32_e32 v14, s53, v14
	v_add_nc_u32_e32 v8, s66, v8
	v_cmp_le_u32_e32 vcc_lo, s80, v14
	s_waitcnt lgkmcnt(0)
	v_cmp_lt_i32_e64 s10, -1, v1
	v_cmp_o_f32_e64 s13, v1, v1
	v_cmp_o_f32_e64 s11, v3, v3
	;; [unrolled: 1-line block ×3, first 2 shown]
	v_cndmask_b32_e64 v31, -1, 0x80000000, s10
	v_cmp_lt_i32_e64 s10, -1, v2
	v_xor_b32_e32 v31, v31, v1
	v_cndmask_b32_e64 v32, -1, 0x80000000, s10
	v_cmp_lt_i32_e64 s10, -1, v3
	v_cndmask_b32_e64 v1, -1, v31, s13
	v_xor_b32_e32 v32, v32, v2
	v_cndmask_b32_e64 v33, -1, 0x80000000, s10
	v_cmp_lt_i32_e64 s10, -1, v4
	v_and_b32_e32 v31, v1, v29
	v_bfe_u32 v1, v1, s72, 2
	v_cndmask_b32_e64 v34, -1, 0x80000000, s10
	v_cmp_o_f32_e64 s10, v2, v2
	v_xor_b32_e32 v2, v33, v3
	v_cmp_eq_u32_e64 s14, 0, v1
	v_cmp_eq_u32_e64 s18, 1, v1
	v_xor_b32_e32 v3, v34, v4
	v_cndmask_b32_e64 v4, -1, v32, s10
	v_cndmask_b32_e64 v2, -1, v2, s11
	v_cmp_eq_u32_e64 s10, v31, v22
	v_cmp_eq_u32_e64 s22, 2, v1
	v_cndmask_b32_e64 v3, -1, v3, s12
	v_and_b32_e32 v32, v4, v29
	v_bfe_u32 v4, v4, s72, 2
	v_and_b32_e32 v33, v2, v29
	v_bfe_u32 v2, v2, s72, 2
	;; [unrolled: 2-line block ×3, first 2 shown]
	v_cmp_eq_u32_e64 s11, v32, v22
	v_cmp_eq_u32_e64 s15, 0, v4
	;; [unrolled: 1-line block ×4, first 2 shown]
	s_and_b32 s14, s10, s14
	v_cmp_eq_u32_e64 s13, v34, v22
	v_cmp_eq_u32_e64 s17, 0, v3
	;; [unrolled: 1-line block ×3, first 2 shown]
	v_cndmask_b32_e64 v1, 0, 1, s14
	s_and_b32 s14, s11, s15
	v_cmp_eq_u32_e64 s20, 1, v2
	v_cmp_eq_u32_e64 s24, 2, v2
	v_cmp_eq_u32_e64 s28, 3, v2
	v_cndmask_b32_e64 v2, 0, 1, s14
	s_and_b32 s14, s12, s16
	v_cmp_eq_u32_e64 s19, 1, v4
	v_cmp_eq_u32_e64 s21, 1, v3
	;; [unrolled: 1-line block ×4, first 2 shown]
	v_cndmask_b32_e64 v3, 0, 1, s14
	s_and_b32 s14, s13, s17
	v_cmp_eq_u32_e64 s23, 2, v4
	v_cmp_eq_u32_e64 s27, 3, v4
	v_cndmask_b32_e64 v4, 0, 1, s14
	s_and_b32 s14, s10, s18
	v_cndmask_b32_e64 v31, 0, 1, s14
	s_and_b32 s14, s11, s19
	;; [unrolled: 2-line block ×4, first 2 shown]
	v_cmp_ne_u32_e64 s15, 0, v32
	v_cndmask_b32_e64 v34, 0, 1, s14
	s_and_b32 s14, s10, s22
	s_and_b32 s10, s10, s26
	v_cndmask_b32_e64 v35, 0, 1, s14
	s_and_b32 s14, s11, s23
	v_cndmask_b32_e64 v39, 0, 1, s10
	;; [unrolled: 2-line block ×7, first 2 shown]
	v_cndmask_b32_e64 v42, 0, 1, s10
	v_cmp_ne_u32_e64 s10, 0, v1
	v_cmp_ne_u32_e64 s14, 0, v31
	;; [unrolled: 1-line block ×11, first 2 shown]
	s_bcnt1_i32_b32 s10, s10
	s_bcnt1_i32_b32 s14, s14
	;; [unrolled: 1-line block ×4, first 2 shown]
	v_cmp_ne_u32_e64 s13, 0, v4
	v_cmp_ne_u32_e64 s17, 0, v34
	;; [unrolled: 1-line block ×4, first 2 shown]
	s_bcnt1_i32_b32 s11, s11
	s_bcnt1_i32_b32 s15, s15
	s_bcnt1_i32_b32 s19, s19
	s_bcnt1_i32_b32 s23, s23
	s_add_i32 s10, s10, s86
	s_add_i32 s14, s14, s85
	s_add_i32 s18, s18, s84
	s_add_i32 s22, s22, s83
	s_bcnt1_i32_b32 s12, s12
	s_bcnt1_i32_b32 s16, s16
	s_bcnt1_i32_b32 s20, s20
	s_bcnt1_i32_b32 s24, s24
	s_add_i32 s10, s10, s11
	s_add_i32 s11, s14, s15
	s_add_i32 s14, s18, s19
	s_add_i32 s15, s22, s23
	;; [unrolled: 8-line block ×3, first 2 shown]
	s_add_i32 s86, s10, s13
	s_add_i32 s85, s11, s17
	;; [unrolled: 1-line block ×4, first 2 shown]
	v_mov_b32_e32 v1, s86
	v_mov_b32_e32 v2, s85
	;; [unrolled: 1-line block ×4, first 2 shown]
	s_or_b32 s82, vcc_lo, s82
	s_andn2_b32 exec_lo, exec_lo, s82
	s_cbranch_execnz .LBB91_65
; %bb.66:                               ;   in Loop: Header=BB91_15 Depth=1
	s_or_b32 exec_lo, exec_lo, s82
.LBB91_67:                              ;   in Loop: Header=BB91_15 Depth=1
	s_or_b32 exec_lo, exec_lo, s81
	v_add_nc_u32_e32 v8, s80, v0
	s_mov_b32 s15, exec_lo
	v_cmpx_gt_u32_e64 s79, v8
	s_cbranch_execz .LBB91_71
; %bb.68:                               ;   in Loop: Header=BB91_15 Depth=1
	v_lshlrev_b32_e32 v14, 2, v8
	s_mov_b32 s16, 0
.LBB91_69:                              ;   Parent Loop BB91_15 Depth=1
                                        ; =>  This Inner Loop Header: Depth=2
	ds_read_b32 v31, v14
	v_add_nc_u32_e32 v8, s34, v8
	v_add_nc_u32_e32 v14, s53, v14
	v_cmp_le_u32_e32 vcc_lo, s79, v8
	s_waitcnt lgkmcnt(0)
	v_cmp_lt_i32_e64 s10, -1, v31
	v_cndmask_b32_e64 v32, -1, 0x80000000, s10
	v_cmp_o_f32_e64 s10, v31, v31
	v_xor_b32_e32 v32, v32, v31
	v_cndmask_b32_e64 v31, -1, v32, s10
	v_and_b32_e32 v32, v31, v29
	v_bfe_u32 v31, v31, s72, 2
	v_cmp_eq_u32_e64 s10, v32, v22
	v_cmp_eq_u32_e64 s11, 0, v31
	;; [unrolled: 1-line block ×5, first 2 shown]
	s_and_b32 s11, s10, s11
	v_cndmask_b32_e64 v31, 0, 1, s11
	s_and_b32 s11, s10, s12
	v_cndmask_b32_e64 v32, 0, 1, s11
	s_and_b32 s11, s10, s13
	s_and_b32 s10, s10, s14
	v_cndmask_b32_e64 v33, 0, 1, s11
	v_cndmask_b32_e64 v34, 0, 1, s10
	v_cmp_ne_u32_e64 s10, 0, v31
	v_cmp_ne_u32_e64 s11, 0, v32
	;; [unrolled: 1-line block ×4, first 2 shown]
	s_bcnt1_i32_b32 s10, s10
	s_bcnt1_i32_b32 s11, s11
	v_add_nc_u32_e32 v1, s10, v1
	s_bcnt1_i32_b32 s12, s12
	s_bcnt1_i32_b32 s13, s13
	v_add_nc_u32_e32 v2, s11, v2
	v_add_nc_u32_e32 v3, s12, v3
	;; [unrolled: 1-line block ×3, first 2 shown]
	s_or_b32 s16, vcc_lo, s16
	s_andn2_b32 exec_lo, exec_lo, s16
	s_cbranch_execnz .LBB91_69
; %bb.70:                               ;   in Loop: Header=BB91_15 Depth=1
	s_or_b32 exec_lo, exec_lo, s16
.LBB91_71:                              ;   in Loop: Header=BB91_15 Depth=1
	s_or_b32 exec_lo, exec_lo, s15
	s_lshl_b32 s10, s68, 7
	s_and_saveexec_b32 s11, s0
	s_cbranch_execnz .LBB91_45
	s_branch .LBB91_46
.LBB91_72:                              ;   in Loop: Header=BB91_15 Depth=1
	v_mov_b32_e32 v1, 0
	s_mov_b32 s12, 0
	s_andn2_b32 vcc_lo, exec_lo, s60
	s_cbranch_vccnz .LBB91_75
.LBB91_73:                              ;   in Loop: Header=BB91_15 Depth=1
	s_lshl_b32 s13, s68, 9
	s_lshl_b32 s12, s12, 4
	v_add3_u32 v2, s13, s12, v28
	s_mov_b32 s12, s58
.LBB91_74:                              ;   Parent Loop BB91_15 Depth=1
                                        ; =>  This Inner Loop Header: Depth=2
	ds_read_b32 v3, v2
	v_add_nc_u32_e32 v2, 16, v2
	s_add_i32 s12, s12, -1
	s_cmp_lg_u32 s12, 0
	s_waitcnt lgkmcnt(0)
	v_add_nc_u32_e32 v1, v3, v1
	s_cbranch_scc1 .LBB91_74
.LBB91_75:                              ;   in Loop: Header=BB91_15 Depth=1
	v_add_lshl_u32 v2, s10, v17, 2
	ds_write_b32 v2, v1 offset:3072
.LBB91_76:                              ;   in Loop: Header=BB91_15 Depth=1
	s_or_b32 exec_lo, exec_lo, s11
	s_lshl_b32 s10, s10, 2
	s_waitcnt lgkmcnt(0)
	v_mov_b32_e32 v1, s10
	s_barrier
	buffer_gl0_inv
	v_cmp_eq_u32_e64 s10, 1, v30
	s_lshl_b32 s14, 3, s72
	ds_read_b128 v[1:4], v1 offset:3072
	s_mov_b32 s22, -1
	s_not_b32 s15, s14
	s_mov_b32 s12, 0
	s_andn2_b32 vcc_lo, exec_lo, s52
	s_mov_b32 s19, 0
	s_mov_b32 s11, 0
                                        ; implicit-def: $sgpr20
                                        ; implicit-def: $sgpr21
                                        ; implicit-def: $vgpr32
                                        ; implicit-def: $vgpr31
	s_waitcnt lgkmcnt(0)
	v_readfirstlane_b32 s13, v1
	v_readfirstlane_b32 s16, v2
	;; [unrolled: 1-line block ×4, first 2 shown]
                                        ; implicit-def: $vgpr3
                                        ; implicit-def: $vgpr4
                                        ; implicit-def: $vgpr2
	s_cbranch_vccnz .LBB91_245
; %bb.77:                               ;   in Loop: Header=BB91_15 Depth=1
	s_cmp_eq_u32 s13, 1
	v_mov_b32_e32 v4, v22
	v_mov_b32_e32 v31, v29
	;; [unrolled: 1-line block ×3, first 2 shown]
	s_cselect_b32 s11, -1, 0
	s_mov_b32 s25, -1
	s_and_b32 s24, s11, s10
                                        ; implicit-def: $sgpr21
                                        ; implicit-def: $sgpr20
	s_and_saveexec_b32 s11, s24
	s_cbranch_execz .LBB91_108
; %bb.78:                               ;   in Loop: Header=BB91_15 Depth=1
	ds_read_b32 v1, v9 offset:4096
	s_waitcnt lgkmcnt(0)
	s_barrier
	buffer_gl0_inv
	v_readfirstlane_b32 s22, v1
	s_and_saveexec_b32 s19, s6
; %bb.79:                               ;   in Loop: Header=BB91_15 Depth=1
	ds_write_b32 v20, v9
; %bb.80:                               ;   in Loop: Header=BB91_15 Depth=1
	s_or_b32 exec_lo, exec_lo, s19
	v_and_b32_e32 v4, s15, v22
	v_or_b32_e32 v31, s14, v29
	s_mov_b32 s20, -1
	s_mov_b32 s21, 0
	s_cmp_eq_u32 s22, 0
	s_mov_b32 s19, 0
	s_mov_b32 s23, -1
	s_waitcnt lgkmcnt(0)
	s_barrier
	buffer_gl0_inv
                                        ; implicit-def: $vgpr2
	s_cbranch_scc1 .LBB91_95
; %bb.81:                               ;   in Loop: Header=BB91_15 Depth=1
	s_add_i32 s19, s22, s57
                                        ; implicit-def: $vgpr2
	s_mul_hi_u32 s23, s19, s63
	s_mul_i32 s23, s23, s34
	s_sub_i32 s23, s19, s23
	s_sub_i32 s25, s23, s34
	s_cmp_ge_u32 s23, s34
	s_cselect_b32 s23, s25, s23
	s_sub_i32 s25, s23, s34
	s_cmp_ge_u32 s23, s34
	s_cselect_b32 s23, s25, s23
	s_mov_b32 s25, exec_lo
	s_sub_i32 s26, s19, s23
	s_mov_b32 s23, 0
	s_mov_b32 s19, 0
	v_cmpx_gt_u32_e64 s26, v0
	s_cbranch_execz .LBB91_94
; %bb.82:                               ;   in Loop: Header=BB91_15 Depth=1
	v_mov_b32_e32 v3, v18
	v_mov_b32_e32 v8, v0
                                        ; implicit-def: $sgpr27
	s_inst_prefetch 0x1
	s_branch .LBB91_86
	.p2align	6
.LBB91_83:                              ;   in Loop: Header=BB91_86 Depth=2
	s_or_b32 exec_lo, exec_lo, s28
	s_waitcnt lgkmcnt(0)
	s_barrier
	buffer_gl0_inv
	ds_read_b64 v[1:2], v9 offset:3072
	s_waitcnt lgkmcnt(0)
	s_barrier
	buffer_gl0_inv
	v_cmp_neq_f32_e32 vcc_lo, 0, v1
	s_cbranch_vccnz .LBB91_89
; %bb.84:                               ;   in Loop: Header=BB91_86 Depth=2
	v_add_nc_u32_e32 v8, s34, v8
	v_add_nc_u32_e32 v3, s53, v3
	s_mov_b32 s28, 0
	v_cmp_le_u32_e32 vcc_lo, s26, v8
	s_orn2_b32 s29, vcc_lo, exec_lo
.LBB91_85:                              ;   in Loop: Header=BB91_86 Depth=2
	s_and_b32 s29, exec_lo, s29
	s_or_b32 s19, s29, s19
	s_andn2_b32 s27, s27, exec_lo
	s_and_b32 s28, s28, exec_lo
	s_or_b32 s27, s27, s28
	s_andn2_b32 exec_lo, exec_lo, s19
	s_cbranch_execz .LBB91_93
.LBB91_86:                              ;   Parent Loop BB91_15 Depth=1
                                        ; =>  This Inner Loop Header: Depth=2
	s_mov_b32 s28, exec_lo
	v_cmpx_gt_u32_e64 s22, v8
	s_cbranch_execz .LBB91_83
; %bb.87:                               ;   in Loop: Header=BB91_86 Depth=2
	ds_read_b32 v14, v3
	s_waitcnt lgkmcnt(0)
	v_cmp_lt_i32_e32 vcc_lo, -1, v14
	v_cndmask_b32_e64 v1, -1, 0x80000000, vcc_lo
	v_cmp_o_f32_e32 vcc_lo, v14, v14
	v_xor_b32_e32 v1, v1, v14
	v_cndmask_b32_e32 v1, -1, v1, vcc_lo
	v_and_b32_e32 v1, v1, v31
	v_cmp_eq_u32_e32 vcc_lo, v1, v4
	s_and_b32 exec_lo, exec_lo, vcc_lo
	s_cbranch_execz .LBB91_83
; %bb.88:                               ;   in Loop: Header=BB91_86 Depth=2
	ds_write_b64 v9, v[13:14] offset:3072
	s_branch .LBB91_83
.LBB91_89:                              ;   in Loop: Header=BB91_86 Depth=2
	s_mov_b32 s29, -1
	s_mov_b32 s28, -1
                                        ; implicit-def: $vgpr8
                                        ; implicit-def: $vgpr3
	s_branch .LBB91_85
.LBB91_90:                              ;   in Loop: Header=BB91_15 Depth=1
	s_or_b32 exec_lo, exec_lo, s13
	s_waitcnt lgkmcnt(0)
	s_barrier
	buffer_gl0_inv
	s_and_saveexec_b32 s10, s3
	s_cbranch_execz .LBB91_92
; %bb.91:                               ;   in Loop: Header=BB91_15 Depth=1
	ds_read_b32 v1, v9 offset:4104
	s_waitcnt lgkmcnt(0)
	ds_write_b32 v9, v1 offset:4096
.LBB91_92:                              ;   in Loop: Header=BB91_15 Depth=1
	s_or_b32 exec_lo, exec_lo, s10
	s_waitcnt lgkmcnt(0)
	s_mov_b32 s10, -1
	s_barrier
	s_and_b32 vcc_lo, exec_lo, s12
	s_cbranch_vccnz .LBB91_31
	s_branch .LBB91_40
.LBB91_93:                              ;   in Loop: Header=BB91_15 Depth=1
	s_inst_prefetch 0x2
	s_or_b32 exec_lo, exec_lo, s19
	s_and_b32 s19, s27, exec_lo
.LBB91_94:                              ;   in Loop: Header=BB91_15 Depth=1
	s_or_b32 exec_lo, exec_lo, s25
.LBB91_95:                              ;   in Loop: Header=BB91_15 Depth=1
	s_and_b32 vcc_lo, exec_lo, s23
	s_cbranch_vccz .LBB91_107
; %bb.96:                               ;   in Loop: Header=BB91_15 Depth=1
                                        ; implicit-def: $vgpr2
	s_and_saveexec_b32 s20, s9
	s_cbranch_execz .LBB91_106
; %bb.97:                               ;   in Loop: Header=BB91_15 Depth=1
	v_mov_b32_e32 v8, v7
	v_mov_b32_e32 v3, v0
	s_mov_b32 s21, 0
                                        ; implicit-def: $sgpr22
	s_branch .LBB91_101
.LBB91_98:                              ;   in Loop: Header=BB91_101 Depth=2
	s_or_b32 exec_lo, exec_lo, s23
	s_waitcnt lgkmcnt(0)
	s_barrier
	buffer_gl0_inv
	ds_read_b64 v[1:2], v9 offset:3072
	s_waitcnt lgkmcnt(0)
	s_barrier
	buffer_gl0_inv
	v_cmp_neq_f32_e32 vcc_lo, 0, v1
	s_cbranch_vccnz .LBB91_104
; %bb.99:                               ;   in Loop: Header=BB91_101 Depth=2
	v_add_nc_u32_e32 v3, s34, v3
	v_add_nc_u32_e32 v8, s40, v8
	s_mov_b32 s23, 0
	v_cmp_le_u32_e32 vcc_lo, s64, v3
	s_orn2_b32 s25, vcc_lo, exec_lo
.LBB91_100:                             ;   in Loop: Header=BB91_101 Depth=2
	s_and_b32 s25, exec_lo, s25
	s_or_b32 s21, s25, s21
	s_andn2_b32 s22, s22, exec_lo
	s_and_b32 s23, s23, exec_lo
	s_or_b32 s22, s22, s23
	s_andn2_b32 exec_lo, exec_lo, s21
	s_cbranch_execz .LBB91_105
.LBB91_101:                             ;   Parent Loop BB91_15 Depth=1
                                        ; =>  This Inner Loop Header: Depth=2
	s_mov_b32 s23, exec_lo
	v_cmpx_gt_u32_e64 s36, v3
	s_cbranch_execz .LBB91_98
; %bb.102:                              ;   in Loop: Header=BB91_101 Depth=2
	v_lshlrev_b64 v[1:2], 2, v[8:9]
	v_add_co_u32 v1, vcc_lo, s31, v1
	v_add_co_ci_u32_e64 v2, null, s33, v2, vcc_lo
	global_load_dword v14, v[1:2], off
	s_waitcnt vmcnt(0)
	v_cmp_lt_i32_e32 vcc_lo, -1, v14
	v_cndmask_b32_e64 v1, -1, 0x80000000, vcc_lo
	v_cmp_o_f32_e32 vcc_lo, v14, v14
	v_xor_b32_e32 v1, v1, v14
	v_cndmask_b32_e32 v1, -1, v1, vcc_lo
	v_and_b32_e32 v1, v1, v31
	v_cmp_eq_u32_e32 vcc_lo, v1, v4
	s_and_b32 exec_lo, exec_lo, vcc_lo
	s_cbranch_execz .LBB91_98
; %bb.103:                              ;   in Loop: Header=BB91_101 Depth=2
	ds_write_b64 v9, v[13:14] offset:3072
	s_branch .LBB91_98
.LBB91_104:                             ;   in Loop: Header=BB91_101 Depth=2
	s_mov_b32 s25, -1
	s_mov_b32 s23, -1
                                        ; implicit-def: $vgpr3
	s_branch .LBB91_100
.LBB91_105:                             ;   in Loop: Header=BB91_15 Depth=1
	s_or_b32 exec_lo, exec_lo, s21
	s_andn2_b32 s19, s19, exec_lo
	s_and_b32 s21, s22, exec_lo
	s_or_b32 s19, s19, s21
.LBB91_106:                             ;   in Loop: Header=BB91_15 Depth=1
	s_or_b32 exec_lo, exec_lo, s20
	s_mov_b32 s20, 0
	s_mov_b32 s21, -1
.LBB91_107:                             ;   in Loop: Header=BB91_15 Depth=1
	s_orn2_b32 s25, s19, exec_lo
.LBB91_108:                             ;   in Loop: Header=BB91_15 Depth=1
	s_or_b32 exec_lo, exec_lo, s11
	s_mov_b32 s22, 0
	s_mov_b32 s19, 0
	s_mov_b32 s11, 0
                                        ; implicit-def: $vgpr32
                                        ; implicit-def: $vgpr3
	s_and_saveexec_b32 s23, s25
	s_cbranch_execz .LBB91_244
; %bb.109:                              ;   in Loop: Header=BB91_15 Depth=1
	v_mov_b32_e32 v32, 1
	v_mov_b32_e32 v3, 1
	s_xor_b32 s19, s24, -1
	s_mov_b32 s26, 0
	s_and_saveexec_b32 s11, s19
	s_cbranch_execz .LBB91_118
; %bb.110:                              ;   in Loop: Header=BB91_15 Depth=1
	s_mov_b32 s19, exec_lo
	v_cmpx_ge_u32_e64 s13, v30
	s_xor_b32 s19, exec_lo, s19
	s_cbranch_execz .LBB91_115
; %bb.111:                              ;   in Loop: Header=BB91_15 Depth=1
	ds_read_b32 v1, v9 offset:4096
	v_and_b32_e32 v4, s15, v4
	v_or_b32_e32 v31, s14, v31
	s_waitcnt lgkmcnt(0)
	v_cmp_ne_u32_e32 vcc_lo, 0, v1
	s_cbranch_vccnz .LBB91_115
; %bb.112:                              ;   in Loop: Header=BB91_15 Depth=1
	s_and_saveexec_b32 s24, s3
; %bb.113:                              ;   in Loop: Header=BB91_15 Depth=1
	v_mov_b32_e32 v1, s13
	ds_write_b32 v9, v1 offset:4100
; %bb.114:                              ;   in Loop: Header=BB91_15 Depth=1
	s_or_b32 exec_lo, exec_lo, s24
	s_waitcnt lgkmcnt(0)
	s_barrier
	buffer_gl0_inv
.LBB91_115:                             ;   in Loop: Header=BB91_15 Depth=1
	s_or_saveexec_b32 s19, s19
	v_mov_b32_e32 v3, 8
	v_mov_b32_e32 v32, v30
	s_mov_b32 s24, 0
	s_xor_b32 exec_lo, exec_lo, s19
; %bb.116:                              ;   in Loop: Header=BB91_15 Depth=1
	v_subrev_nc_u32_e32 v32, s13, v30
	v_mov_b32_e32 v3, 0
	s_mov_b32 s24, exec_lo
; %bb.117:                              ;   in Loop: Header=BB91_15 Depth=1
	s_or_b32 exec_lo, exec_lo, s19
	s_and_b32 s26, s24, exec_lo
.LBB91_118:                             ;   in Loop: Header=BB91_15 Depth=1
	s_or_b32 exec_lo, exec_lo, s11
	s_mov_b32 s25, -1
                                        ; implicit-def: $sgpr19
                                        ; implicit-def: $sgpr24
	s_and_saveexec_b32 s11, s26
	s_xor_b32 s11, exec_lo, s11
	s_cbranch_execz .LBB91_241
; %bb.119:                              ;   in Loop: Header=BB91_15 Depth=1
	v_cmp_eq_u32_e32 vcc_lo, 1, v32
	s_cmp_eq_u32 s16, 1
	s_mov_b32 s27, -1
	s_cselect_b32 s19, -1, 0
                                        ; implicit-def: $sgpr24
	s_and_b32 s26, s19, vcc_lo
                                        ; implicit-def: $sgpr19
	s_and_saveexec_b32 s25, s26
	s_cbranch_execz .LBB91_147
; %bb.120:                              ;   in Loop: Header=BB91_15 Depth=1
	ds_read_b32 v1, v9 offset:4096
	s_waitcnt lgkmcnt(0)
	s_barrier
	buffer_gl0_inv
	v_readfirstlane_b32 s28, v1
	s_and_saveexec_b32 s19, s6
; %bb.121:                              ;   in Loop: Header=BB91_15 Depth=1
	ds_write_b32 v20, v9
; %bb.122:                              ;   in Loop: Header=BB91_15 Depth=1
	s_or_b32 exec_lo, exec_lo, s19
	s_lshl_b32 s19, 1, s72
	v_or_b32_e32 v31, s14, v31
	v_and_or_b32 v4, v4, s15, s19
	s_mov_b32 s19, -1
	s_mov_b32 s24, 0
	s_cmp_eq_u32 s28, 0
	s_mov_b32 s27, 0
	s_mov_b32 s29, -1
	s_waitcnt lgkmcnt(0)
	s_barrier
	buffer_gl0_inv
                                        ; implicit-def: $vgpr2
	s_cbranch_scc1 .LBB91_134
; %bb.123:                              ;   in Loop: Header=BB91_15 Depth=1
	s_add_i32 s27, s28, s57
                                        ; implicit-def: $vgpr2
	s_mul_hi_u32 s29, s27, s63
	s_mul_i32 s29, s29, s34
	s_sub_i32 s29, s27, s29
	s_sub_i32 s79, s29, s34
	s_cmp_ge_u32 s29, s34
	s_cselect_b32 s29, s79, s29
	s_sub_i32 s79, s29, s34
	s_cmp_ge_u32 s29, s34
	s_cselect_b32 s29, s79, s29
	s_mov_b32 s79, exec_lo
	s_sub_i32 s80, s27, s29
	s_mov_b32 s29, 0
	s_mov_b32 s27, 0
	v_cmpx_gt_u32_e64 s80, v0
	s_cbranch_execz .LBB91_133
; %bb.124:                              ;   in Loop: Header=BB91_15 Depth=1
	v_mov_b32_e32 v8, v18
	v_mov_b32_e32 v33, v0
                                        ; implicit-def: $sgpr81
	s_inst_prefetch 0x1
	s_branch .LBB91_128
	.p2align	6
.LBB91_125:                             ;   in Loop: Header=BB91_128 Depth=2
	s_or_b32 exec_lo, exec_lo, s82
	s_waitcnt lgkmcnt(0)
	s_barrier
	buffer_gl0_inv
	ds_read_b64 v[1:2], v9 offset:3072
	s_waitcnt lgkmcnt(0)
	s_barrier
	buffer_gl0_inv
	v_cmp_neq_f32_e32 vcc_lo, 0, v1
	s_cbranch_vccnz .LBB91_131
; %bb.126:                              ;   in Loop: Header=BB91_128 Depth=2
	v_add_nc_u32_e32 v33, s34, v33
	v_add_nc_u32_e32 v8, s53, v8
	s_mov_b32 s82, 0
	v_cmp_le_u32_e32 vcc_lo, s80, v33
	s_orn2_b32 s83, vcc_lo, exec_lo
.LBB91_127:                             ;   in Loop: Header=BB91_128 Depth=2
	s_and_b32 s83, exec_lo, s83
	s_or_b32 s27, s83, s27
	s_andn2_b32 s81, s81, exec_lo
	s_and_b32 s82, s82, exec_lo
	s_or_b32 s81, s81, s82
	s_andn2_b32 exec_lo, exec_lo, s27
	s_cbranch_execz .LBB91_132
.LBB91_128:                             ;   Parent Loop BB91_15 Depth=1
                                        ; =>  This Inner Loop Header: Depth=2
	s_mov_b32 s82, exec_lo
	v_cmpx_gt_u32_e64 s28, v33
	s_cbranch_execz .LBB91_125
; %bb.129:                              ;   in Loop: Header=BB91_128 Depth=2
	ds_read_b32 v14, v8
	s_waitcnt lgkmcnt(0)
	v_cmp_lt_i32_e32 vcc_lo, -1, v14
	v_cndmask_b32_e64 v1, -1, 0x80000000, vcc_lo
	v_cmp_o_f32_e32 vcc_lo, v14, v14
	v_xor_b32_e32 v1, v1, v14
	v_cndmask_b32_e32 v1, -1, v1, vcc_lo
	v_and_b32_e32 v1, v1, v31
	v_cmp_eq_u32_e32 vcc_lo, v1, v4
	s_and_b32 exec_lo, exec_lo, vcc_lo
	s_cbranch_execz .LBB91_125
; %bb.130:                              ;   in Loop: Header=BB91_128 Depth=2
	ds_write_b64 v9, v[13:14] offset:3072
	s_branch .LBB91_125
.LBB91_131:                             ;   in Loop: Header=BB91_128 Depth=2
	s_mov_b32 s83, -1
	s_mov_b32 s82, -1
                                        ; implicit-def: $vgpr33
                                        ; implicit-def: $vgpr8
	s_branch .LBB91_127
.LBB91_132:                             ;   in Loop: Header=BB91_15 Depth=1
	s_inst_prefetch 0x2
	s_or_b32 exec_lo, exec_lo, s27
	s_and_b32 s27, s81, exec_lo
.LBB91_133:                             ;   in Loop: Header=BB91_15 Depth=1
	s_or_b32 exec_lo, exec_lo, s79
.LBB91_134:                             ;   in Loop: Header=BB91_15 Depth=1
	s_and_b32 vcc_lo, exec_lo, s29
	s_cbranch_vccz .LBB91_146
; %bb.135:                              ;   in Loop: Header=BB91_15 Depth=1
                                        ; implicit-def: $vgpr2
	s_and_saveexec_b32 s19, s9
	s_cbranch_execz .LBB91_145
; %bb.136:                              ;   in Loop: Header=BB91_15 Depth=1
	v_mov_b32_e32 v8, v7
	v_mov_b32_e32 v33, v0
	s_mov_b32 s24, 0
                                        ; implicit-def: $sgpr28
	s_branch .LBB91_140
.LBB91_137:                             ;   in Loop: Header=BB91_140 Depth=2
	s_or_b32 exec_lo, exec_lo, s29
	s_waitcnt lgkmcnt(0)
	s_barrier
	buffer_gl0_inv
	ds_read_b64 v[1:2], v9 offset:3072
	s_waitcnt lgkmcnt(0)
	s_barrier
	buffer_gl0_inv
	v_cmp_eq_f32_e32 vcc_lo, 0, v1
	s_cbranch_vccz .LBB91_143
; %bb.138:                              ;   in Loop: Header=BB91_140 Depth=2
	v_add_nc_u32_e32 v33, s34, v33
	v_add_nc_u32_e32 v8, s40, v8
	s_mov_b32 s29, 0
	v_cmp_le_u32_e32 vcc_lo, s64, v33
	s_orn2_b32 s79, vcc_lo, exec_lo
.LBB91_139:                             ;   in Loop: Header=BB91_140 Depth=2
	s_and_b32 s79, exec_lo, s79
	s_or_b32 s24, s79, s24
	s_andn2_b32 s28, s28, exec_lo
	s_and_b32 s29, s29, exec_lo
	s_or_b32 s28, s28, s29
	s_andn2_b32 exec_lo, exec_lo, s24
	s_cbranch_execz .LBB91_144
.LBB91_140:                             ;   Parent Loop BB91_15 Depth=1
                                        ; =>  This Inner Loop Header: Depth=2
	s_mov_b32 s29, exec_lo
	v_cmpx_gt_u32_e64 s36, v33
	s_cbranch_execz .LBB91_137
; %bb.141:                              ;   in Loop: Header=BB91_140 Depth=2
	v_lshlrev_b64 v[1:2], 2, v[8:9]
	v_add_co_u32 v1, vcc_lo, s31, v1
	v_add_co_ci_u32_e64 v2, null, s33, v2, vcc_lo
	global_load_dword v14, v[1:2], off
	s_waitcnt vmcnt(0)
	v_cmp_lt_i32_e32 vcc_lo, -1, v14
	v_cndmask_b32_e64 v1, -1, 0x80000000, vcc_lo
	v_cmp_o_f32_e32 vcc_lo, v14, v14
	v_xor_b32_e32 v1, v1, v14
	v_cndmask_b32_e32 v1, -1, v1, vcc_lo
	v_and_b32_e32 v1, v1, v31
	v_cmp_eq_u32_e32 vcc_lo, v1, v4
	s_and_b32 exec_lo, exec_lo, vcc_lo
	s_cbranch_execz .LBB91_137
; %bb.142:                              ;   in Loop: Header=BB91_140 Depth=2
	ds_write_b64 v9, v[13:14] offset:3072
	s_branch .LBB91_137
.LBB91_143:                             ;   in Loop: Header=BB91_140 Depth=2
	s_mov_b32 s79, -1
	s_mov_b32 s29, -1
                                        ; implicit-def: $vgpr33
	s_branch .LBB91_139
.LBB91_144:                             ;   in Loop: Header=BB91_15 Depth=1
	s_or_b32 exec_lo, exec_lo, s24
	s_andn2_b32 s24, s27, exec_lo
	s_and_b32 s27, s28, exec_lo
	s_or_b32 s27, s24, s27
.LBB91_145:                             ;   in Loop: Header=BB91_15 Depth=1
	s_or_b32 exec_lo, exec_lo, s19
	s_mov_b32 s19, 0
	s_mov_b32 s24, -1
.LBB91_146:                             ;   in Loop: Header=BB91_15 Depth=1
	s_orn2_b32 s27, s27, exec_lo
.LBB91_147:                             ;   in Loop: Header=BB91_15 Depth=1
	s_or_b32 exec_lo, exec_lo, s25
	s_mov_b32 s28, 0
	s_and_saveexec_b32 s25, s27
	s_cbranch_execz .LBB91_240
; %bb.148:                              ;   in Loop: Header=BB91_15 Depth=1
	v_mov_b32_e32 v33, 1
	v_mov_b32_e32 v3, 1
	s_xor_b32 s27, s26, -1
	s_mov_b32 s79, 0
	s_and_saveexec_b32 s26, s27
	s_cbranch_execz .LBB91_157
; %bb.149:                              ;   in Loop: Header=BB91_15 Depth=1
	s_mov_b32 s27, exec_lo
	v_cmpx_ge_u32_e64 s16, v32
	s_xor_b32 s27, exec_lo, s27
	s_cbranch_execz .LBB91_154
; %bb.150:                              ;   in Loop: Header=BB91_15 Depth=1
	ds_read_b32 v1, v9 offset:4096
	s_lshl_b32 s28, 1, s72
	v_or_b32_e32 v31, s14, v31
	v_and_or_b32 v4, v4, s15, s28
	s_waitcnt lgkmcnt(0)
	v_cmp_ne_u32_e32 vcc_lo, 0, v1
	s_cbranch_vccnz .LBB91_154
; %bb.151:                              ;   in Loop: Header=BB91_15 Depth=1
	s_and_saveexec_b32 s28, s3
; %bb.152:                              ;   in Loop: Header=BB91_15 Depth=1
	v_mov_b32_e32 v1, s16
	ds_write_b32 v9, v1 offset:4100
; %bb.153:                              ;   in Loop: Header=BB91_15 Depth=1
	s_or_b32 exec_lo, exec_lo, s28
	s_waitcnt lgkmcnt(0)
	s_barrier
	buffer_gl0_inv
.LBB91_154:                             ;   in Loop: Header=BB91_15 Depth=1
	s_or_saveexec_b32 s27, s27
	v_mov_b32_e32 v3, 8
	s_mov_b32 s28, 0
	s_xor_b32 exec_lo, exec_lo, s27
; %bb.155:                              ;   in Loop: Header=BB91_15 Depth=1
	v_subrev_nc_u32_e32 v32, s16, v32
	v_mov_b32_e32 v3, 0
	s_mov_b32 s28, exec_lo
; %bb.156:                              ;   in Loop: Header=BB91_15 Depth=1
	s_or_b32 exec_lo, exec_lo, s27
	v_mov_b32_e32 v33, v32
	s_and_b32 s79, s28, exec_lo
.LBB91_157:                             ;   in Loop: Header=BB91_15 Depth=1
	s_or_b32 exec_lo, exec_lo, s26
	s_mov_b32 s29, -1
                                        ; implicit-def: $sgpr27
                                        ; implicit-def: $sgpr28
	s_and_saveexec_b32 s26, s79
	s_cbranch_execz .LBB91_239
; %bb.158:                              ;   in Loop: Header=BB91_15 Depth=1
	v_cmp_eq_u32_e32 vcc_lo, 1, v33
	s_cmp_eq_u32 s17, 1
	s_mov_b32 s80, -1
	s_cselect_b32 s27, -1, 0
                                        ; implicit-def: $sgpr28
	s_and_b32 s79, s27, vcc_lo
                                        ; implicit-def: $sgpr27
	s_and_saveexec_b32 s29, s79
	s_cbranch_execz .LBB91_186
; %bb.159:                              ;   in Loop: Header=BB91_15 Depth=1
	ds_read_b32 v1, v9 offset:4096
	s_waitcnt lgkmcnt(0)
	s_barrier
	buffer_gl0_inv
	v_readfirstlane_b32 s81, v1
	s_and_saveexec_b32 s27, s6
; %bb.160:                              ;   in Loop: Header=BB91_15 Depth=1
	ds_write_b32 v20, v9
; %bb.161:                              ;   in Loop: Header=BB91_15 Depth=1
	s_or_b32 exec_lo, exec_lo, s27
	s_lshl_b32 s27, 2, s72
	v_or_b32_e32 v31, s14, v31
	v_and_or_b32 v4, v4, s15, s27
	s_mov_b32 s27, -1
	s_mov_b32 s28, 0
	s_cmp_eq_u32 s81, 0
	s_mov_b32 s80, 0
	s_mov_b32 s82, -1
	s_waitcnt lgkmcnt(0)
	s_barrier
	buffer_gl0_inv
                                        ; implicit-def: $vgpr2
	s_cbranch_scc1 .LBB91_173
; %bb.162:                              ;   in Loop: Header=BB91_15 Depth=1
	s_add_i32 s80, s81, s57
                                        ; implicit-def: $vgpr2
	s_mul_hi_u32 s82, s80, s63
	s_mul_i32 s82, s82, s34
	s_sub_i32 s82, s80, s82
	s_sub_i32 s83, s82, s34
	s_cmp_ge_u32 s82, s34
	s_cselect_b32 s82, s83, s82
	s_sub_i32 s83, s82, s34
	s_cmp_ge_u32 s82, s34
	s_cselect_b32 s82, s83, s82
	s_mov_b32 s83, exec_lo
	s_sub_i32 s84, s80, s82
	s_mov_b32 s82, 0
	s_mov_b32 s80, 0
	v_cmpx_gt_u32_e64 s84, v0
	s_cbranch_execz .LBB91_172
; %bb.163:                              ;   in Loop: Header=BB91_15 Depth=1
	v_mov_b32_e32 v8, v18
	v_mov_b32_e32 v32, v0
                                        ; implicit-def: $sgpr85
	s_inst_prefetch 0x1
	s_branch .LBB91_167
	.p2align	6
.LBB91_164:                             ;   in Loop: Header=BB91_167 Depth=2
	s_or_b32 exec_lo, exec_lo, s86
	s_waitcnt lgkmcnt(0)
	s_barrier
	buffer_gl0_inv
	ds_read_b64 v[1:2], v9 offset:3072
	s_waitcnt lgkmcnt(0)
	s_barrier
	buffer_gl0_inv
	v_cmp_neq_f32_e32 vcc_lo, 0, v1
	s_cbranch_vccnz .LBB91_170
; %bb.165:                              ;   in Loop: Header=BB91_167 Depth=2
	v_add_nc_u32_e32 v32, s34, v32
	v_add_nc_u32_e32 v8, s53, v8
	s_mov_b32 s86, 0
	v_cmp_le_u32_e32 vcc_lo, s84, v32
	s_orn2_b32 s87, vcc_lo, exec_lo
.LBB91_166:                             ;   in Loop: Header=BB91_167 Depth=2
	s_and_b32 s87, exec_lo, s87
	s_or_b32 s80, s87, s80
	s_andn2_b32 s85, s85, exec_lo
	s_and_b32 s86, s86, exec_lo
	s_or_b32 s85, s85, s86
	s_andn2_b32 exec_lo, exec_lo, s80
	s_cbranch_execz .LBB91_171
.LBB91_167:                             ;   Parent Loop BB91_15 Depth=1
                                        ; =>  This Inner Loop Header: Depth=2
	s_mov_b32 s86, exec_lo
	v_cmpx_gt_u32_e64 s81, v32
	s_cbranch_execz .LBB91_164
; %bb.168:                              ;   in Loop: Header=BB91_167 Depth=2
	ds_read_b32 v14, v8
	s_waitcnt lgkmcnt(0)
	v_cmp_lt_i32_e32 vcc_lo, -1, v14
	v_cndmask_b32_e64 v1, -1, 0x80000000, vcc_lo
	v_cmp_o_f32_e32 vcc_lo, v14, v14
	v_xor_b32_e32 v1, v1, v14
	v_cndmask_b32_e32 v1, -1, v1, vcc_lo
	v_and_b32_e32 v1, v1, v31
	v_cmp_eq_u32_e32 vcc_lo, v1, v4
	s_and_b32 exec_lo, exec_lo, vcc_lo
	s_cbranch_execz .LBB91_164
; %bb.169:                              ;   in Loop: Header=BB91_167 Depth=2
	ds_write_b64 v9, v[13:14] offset:3072
	s_branch .LBB91_164
.LBB91_170:                             ;   in Loop: Header=BB91_167 Depth=2
	s_mov_b32 s87, -1
	s_mov_b32 s86, -1
                                        ; implicit-def: $vgpr32
                                        ; implicit-def: $vgpr8
	s_branch .LBB91_166
.LBB91_171:                             ;   in Loop: Header=BB91_15 Depth=1
	s_inst_prefetch 0x2
	s_or_b32 exec_lo, exec_lo, s80
	s_and_b32 s80, s85, exec_lo
.LBB91_172:                             ;   in Loop: Header=BB91_15 Depth=1
	s_or_b32 exec_lo, exec_lo, s83
.LBB91_173:                             ;   in Loop: Header=BB91_15 Depth=1
	s_and_b32 vcc_lo, exec_lo, s82
	s_cbranch_vccz .LBB91_185
; %bb.174:                              ;   in Loop: Header=BB91_15 Depth=1
                                        ; implicit-def: $vgpr2
	s_and_saveexec_b32 s27, s9
	s_cbranch_execz .LBB91_184
; %bb.175:                              ;   in Loop: Header=BB91_15 Depth=1
	v_mov_b32_e32 v8, v7
	v_mov_b32_e32 v32, v0
	s_mov_b32 s28, 0
                                        ; implicit-def: $sgpr81
	s_branch .LBB91_179
.LBB91_176:                             ;   in Loop: Header=BB91_179 Depth=2
	s_or_b32 exec_lo, exec_lo, s82
	s_waitcnt lgkmcnt(0)
	s_barrier
	buffer_gl0_inv
	ds_read_b64 v[1:2], v9 offset:3072
	s_waitcnt lgkmcnt(0)
	s_barrier
	buffer_gl0_inv
	v_cmp_eq_f32_e32 vcc_lo, 0, v1
	s_cbranch_vccz .LBB91_182
; %bb.177:                              ;   in Loop: Header=BB91_179 Depth=2
	v_add_nc_u32_e32 v32, s34, v32
	v_add_nc_u32_e32 v8, s40, v8
	s_mov_b32 s82, 0
	v_cmp_le_u32_e32 vcc_lo, s64, v32
	s_orn2_b32 s83, vcc_lo, exec_lo
.LBB91_178:                             ;   in Loop: Header=BB91_179 Depth=2
	s_and_b32 s83, exec_lo, s83
	s_or_b32 s28, s83, s28
	s_andn2_b32 s81, s81, exec_lo
	s_and_b32 s82, s82, exec_lo
	s_or_b32 s81, s81, s82
	s_andn2_b32 exec_lo, exec_lo, s28
	s_cbranch_execz .LBB91_183
.LBB91_179:                             ;   Parent Loop BB91_15 Depth=1
                                        ; =>  This Inner Loop Header: Depth=2
	s_mov_b32 s82, exec_lo
	v_cmpx_gt_u32_e64 s36, v32
	s_cbranch_execz .LBB91_176
; %bb.180:                              ;   in Loop: Header=BB91_179 Depth=2
	v_lshlrev_b64 v[1:2], 2, v[8:9]
	v_add_co_u32 v1, vcc_lo, s31, v1
	v_add_co_ci_u32_e64 v2, null, s33, v2, vcc_lo
	global_load_dword v14, v[1:2], off
	s_waitcnt vmcnt(0)
	v_cmp_lt_i32_e32 vcc_lo, -1, v14
	v_cndmask_b32_e64 v1, -1, 0x80000000, vcc_lo
	v_cmp_o_f32_e32 vcc_lo, v14, v14
	v_xor_b32_e32 v1, v1, v14
	v_cndmask_b32_e32 v1, -1, v1, vcc_lo
	v_and_b32_e32 v1, v1, v31
	v_cmp_eq_u32_e32 vcc_lo, v1, v4
	s_and_b32 exec_lo, exec_lo, vcc_lo
	s_cbranch_execz .LBB91_176
; %bb.181:                              ;   in Loop: Header=BB91_179 Depth=2
	ds_write_b64 v9, v[13:14] offset:3072
	s_branch .LBB91_176
.LBB91_182:                             ;   in Loop: Header=BB91_179 Depth=2
	s_mov_b32 s83, -1
	s_mov_b32 s82, -1
                                        ; implicit-def: $vgpr32
	s_branch .LBB91_178
.LBB91_183:                             ;   in Loop: Header=BB91_15 Depth=1
	s_or_b32 exec_lo, exec_lo, s28
	s_andn2_b32 s28, s80, exec_lo
	s_and_b32 s80, s81, exec_lo
	s_or_b32 s80, s28, s80
.LBB91_184:                             ;   in Loop: Header=BB91_15 Depth=1
	s_or_b32 exec_lo, exec_lo, s27
	s_mov_b32 s27, 0
	s_mov_b32 s28, -1
.LBB91_185:                             ;   in Loop: Header=BB91_15 Depth=1
	s_orn2_b32 s80, s80, exec_lo
.LBB91_186:                             ;   in Loop: Header=BB91_15 Depth=1
	s_or_b32 exec_lo, exec_lo, s29
	s_mov_b32 s81, 0
	s_and_saveexec_b32 s29, s80
	s_cbranch_execz .LBB91_238
; %bb.187:                              ;   in Loop: Header=BB91_15 Depth=1
	v_mov_b32_e32 v32, 1
	v_mov_b32_e32 v3, 1
	s_xor_b32 s80, s79, -1
	s_mov_b32 s83, 0
	s_and_saveexec_b32 s79, s80
	s_cbranch_execz .LBB91_196
; %bb.188:                              ;   in Loop: Header=BB91_15 Depth=1
	s_mov_b32 s80, exec_lo
	v_cmpx_ge_u32_e64 s17, v33
	s_xor_b32 s80, exec_lo, s80
	s_cbranch_execz .LBB91_193
; %bb.189:                              ;   in Loop: Header=BB91_15 Depth=1
	ds_read_b32 v1, v9 offset:4096
	s_lshl_b32 s81, 2, s72
	v_or_b32_e32 v31, s14, v31
	v_and_or_b32 v4, v4, s15, s81
	s_waitcnt lgkmcnt(0)
	v_cmp_ne_u32_e32 vcc_lo, 0, v1
	s_cbranch_vccnz .LBB91_193
; %bb.190:                              ;   in Loop: Header=BB91_15 Depth=1
	s_and_saveexec_b32 s81, s3
; %bb.191:                              ;   in Loop: Header=BB91_15 Depth=1
	v_mov_b32_e32 v1, s17
	ds_write_b32 v9, v1 offset:4100
; %bb.192:                              ;   in Loop: Header=BB91_15 Depth=1
	s_or_b32 exec_lo, exec_lo, s81
	s_waitcnt lgkmcnt(0)
	s_barrier
	buffer_gl0_inv
.LBB91_193:                             ;   in Loop: Header=BB91_15 Depth=1
	s_or_saveexec_b32 s80, s80
	v_mov_b32_e32 v3, 8
	s_mov_b32 s81, 0
	s_xor_b32 exec_lo, exec_lo, s80
; %bb.194:                              ;   in Loop: Header=BB91_15 Depth=1
	v_subrev_nc_u32_e32 v33, s17, v33
	v_mov_b32_e32 v3, 0
	s_mov_b32 s81, exec_lo
; %bb.195:                              ;   in Loop: Header=BB91_15 Depth=1
	s_or_b32 exec_lo, exec_lo, s80
	v_mov_b32_e32 v32, v33
	s_and_b32 s83, s81, exec_lo
.LBB91_196:                             ;   in Loop: Header=BB91_15 Depth=1
	s_or_b32 exec_lo, exec_lo, s79
	s_mov_b32 s80, -1
                                        ; implicit-def: $sgpr82
                                        ; implicit-def: $sgpr81
	s_and_saveexec_b32 s79, s83
	s_cbranch_execz .LBB91_237
; %bb.197:                              ;   in Loop: Header=BB91_15 Depth=1
	v_cmp_eq_u32_e32 vcc_lo, 1, v32
	s_cmp_eq_u32 s18, 1
	s_mov_b32 s84, -1
	s_cselect_b32 s80, -1, 0
                                        ; implicit-def: $sgpr82
                                        ; implicit-def: $sgpr81
	s_and_b32 s80, s80, vcc_lo
	s_and_saveexec_b32 s83, s80
	s_cbranch_execz .LBB91_225
; %bb.198:                              ;   in Loop: Header=BB91_15 Depth=1
	ds_read_b32 v1, v9 offset:4096
	s_waitcnt lgkmcnt(0)
	s_barrier
	buffer_gl0_inv
	v_readfirstlane_b32 s85, v1
	s_and_saveexec_b32 s81, s6
; %bb.199:                              ;   in Loop: Header=BB91_15 Depth=1
	ds_write_b32 v20, v9
; %bb.200:                              ;   in Loop: Header=BB91_15 Depth=1
	s_or_b32 exec_lo, exec_lo, s81
	v_or_b32_e32 v4, s14, v4
	v_or_b32_e32 v31, s14, v31
	s_mov_b32 s81, -1
	s_mov_b32 s82, 0
	s_cmp_eq_u32 s85, 0
	s_mov_b32 s84, 0
	s_mov_b32 s86, -1
	s_waitcnt lgkmcnt(0)
	s_barrier
	buffer_gl0_inv
                                        ; implicit-def: $vgpr2
	s_cbranch_scc1 .LBB91_212
; %bb.201:                              ;   in Loop: Header=BB91_15 Depth=1
	s_add_i32 s84, s85, s57
                                        ; implicit-def: $vgpr2
	s_mul_hi_u32 s86, s84, s63
	s_mul_i32 s86, s86, s34
	s_sub_i32 s86, s84, s86
	s_sub_i32 s87, s86, s34
	s_cmp_ge_u32 s86, s34
	s_cselect_b32 s86, s87, s86
	s_sub_i32 s87, s86, s34
	s_cmp_ge_u32 s86, s34
	s_cselect_b32 s86, s87, s86
	s_mov_b32 s87, exec_lo
	s_sub_i32 s88, s84, s86
	s_mov_b32 s86, 0
	s_mov_b32 s84, 0
	v_cmpx_gt_u32_e64 s88, v0
	s_cbranch_execz .LBB91_211
; %bb.202:                              ;   in Loop: Header=BB91_15 Depth=1
	v_mov_b32_e32 v8, v18
	v_mov_b32_e32 v33, v0
                                        ; implicit-def: $sgpr89
	s_inst_prefetch 0x1
	s_branch .LBB91_206
	.p2align	6
.LBB91_203:                             ;   in Loop: Header=BB91_206 Depth=2
	s_or_b32 exec_lo, exec_lo, s90
	s_waitcnt lgkmcnt(0)
	s_barrier
	buffer_gl0_inv
	ds_read_b64 v[1:2], v9 offset:3072
	s_waitcnt lgkmcnt(0)
	s_barrier
	buffer_gl0_inv
	v_cmp_neq_f32_e32 vcc_lo, 0, v1
	s_cbranch_vccnz .LBB91_209
; %bb.204:                              ;   in Loop: Header=BB91_206 Depth=2
	v_add_nc_u32_e32 v33, s34, v33
	v_add_nc_u32_e32 v8, s53, v8
	s_mov_b32 s90, 0
	v_cmp_le_u32_e32 vcc_lo, s88, v33
	s_orn2_b32 s91, vcc_lo, exec_lo
.LBB91_205:                             ;   in Loop: Header=BB91_206 Depth=2
	s_and_b32 s91, exec_lo, s91
	s_or_b32 s84, s91, s84
	s_andn2_b32 s89, s89, exec_lo
	s_and_b32 s90, s90, exec_lo
	s_or_b32 s89, s89, s90
	s_andn2_b32 exec_lo, exec_lo, s84
	s_cbranch_execz .LBB91_210
.LBB91_206:                             ;   Parent Loop BB91_15 Depth=1
                                        ; =>  This Inner Loop Header: Depth=2
	s_mov_b32 s90, exec_lo
	v_cmpx_gt_u32_e64 s85, v33
	s_cbranch_execz .LBB91_203
; %bb.207:                              ;   in Loop: Header=BB91_206 Depth=2
	ds_read_b32 v14, v8
	s_waitcnt lgkmcnt(0)
	v_cmp_lt_i32_e32 vcc_lo, -1, v14
	v_cndmask_b32_e64 v1, -1, 0x80000000, vcc_lo
	v_cmp_o_f32_e32 vcc_lo, v14, v14
	v_xor_b32_e32 v1, v1, v14
	v_cndmask_b32_e32 v1, -1, v1, vcc_lo
	v_and_b32_e32 v1, v1, v31
	v_cmp_eq_u32_e32 vcc_lo, v1, v4
	s_and_b32 exec_lo, exec_lo, vcc_lo
	s_cbranch_execz .LBB91_203
; %bb.208:                              ;   in Loop: Header=BB91_206 Depth=2
	ds_write_b64 v9, v[13:14] offset:3072
	s_branch .LBB91_203
.LBB91_209:                             ;   in Loop: Header=BB91_206 Depth=2
	s_mov_b32 s91, -1
	s_mov_b32 s90, -1
                                        ; implicit-def: $vgpr33
                                        ; implicit-def: $vgpr8
	s_branch .LBB91_205
.LBB91_210:                             ;   in Loop: Header=BB91_15 Depth=1
	s_inst_prefetch 0x2
	s_or_b32 exec_lo, exec_lo, s84
	s_and_b32 s84, s89, exec_lo
.LBB91_211:                             ;   in Loop: Header=BB91_15 Depth=1
	s_or_b32 exec_lo, exec_lo, s87
.LBB91_212:                             ;   in Loop: Header=BB91_15 Depth=1
	s_and_b32 vcc_lo, exec_lo, s86
	s_cbranch_vccz .LBB91_224
; %bb.213:                              ;   in Loop: Header=BB91_15 Depth=1
                                        ; implicit-def: $vgpr2
	s_and_saveexec_b32 s81, s9
	s_cbranch_execz .LBB91_223
; %bb.214:                              ;   in Loop: Header=BB91_15 Depth=1
	v_mov_b32_e32 v8, v7
	v_mov_b32_e32 v33, v0
	s_mov_b32 s82, 0
                                        ; implicit-def: $sgpr85
	s_branch .LBB91_218
.LBB91_215:                             ;   in Loop: Header=BB91_218 Depth=2
	s_or_b32 exec_lo, exec_lo, s86
	s_waitcnt lgkmcnt(0)
	s_barrier
	buffer_gl0_inv
	ds_read_b64 v[1:2], v9 offset:3072
	s_waitcnt lgkmcnt(0)
	s_barrier
	buffer_gl0_inv
	v_cmp_eq_f32_e32 vcc_lo, 0, v1
	s_cbranch_vccz .LBB91_221
; %bb.216:                              ;   in Loop: Header=BB91_218 Depth=2
	v_add_nc_u32_e32 v33, s34, v33
	v_add_nc_u32_e32 v8, s40, v8
	s_mov_b32 s86, 0
	v_cmp_le_u32_e32 vcc_lo, s64, v33
	s_orn2_b32 s87, vcc_lo, exec_lo
.LBB91_217:                             ;   in Loop: Header=BB91_218 Depth=2
	s_and_b32 s87, exec_lo, s87
	s_or_b32 s82, s87, s82
	s_andn2_b32 s85, s85, exec_lo
	s_and_b32 s86, s86, exec_lo
	s_or_b32 s85, s85, s86
	s_andn2_b32 exec_lo, exec_lo, s82
	s_cbranch_execz .LBB91_222
.LBB91_218:                             ;   Parent Loop BB91_15 Depth=1
                                        ; =>  This Inner Loop Header: Depth=2
	s_mov_b32 s86, exec_lo
	v_cmpx_gt_u32_e64 s36, v33
	s_cbranch_execz .LBB91_215
; %bb.219:                              ;   in Loop: Header=BB91_218 Depth=2
	v_lshlrev_b64 v[1:2], 2, v[8:9]
	v_add_co_u32 v1, vcc_lo, s31, v1
	v_add_co_ci_u32_e64 v2, null, s33, v2, vcc_lo
	global_load_dword v14, v[1:2], off
	s_waitcnt vmcnt(0)
	v_cmp_lt_i32_e32 vcc_lo, -1, v14
	v_cndmask_b32_e64 v1, -1, 0x80000000, vcc_lo
	v_cmp_o_f32_e32 vcc_lo, v14, v14
	v_xor_b32_e32 v1, v1, v14
	v_cndmask_b32_e32 v1, -1, v1, vcc_lo
	v_and_b32_e32 v1, v1, v31
	v_cmp_eq_u32_e32 vcc_lo, v1, v4
	s_and_b32 exec_lo, exec_lo, vcc_lo
	s_cbranch_execz .LBB91_215
; %bb.220:                              ;   in Loop: Header=BB91_218 Depth=2
	ds_write_b64 v9, v[13:14] offset:3072
	s_branch .LBB91_215
.LBB91_221:                             ;   in Loop: Header=BB91_218 Depth=2
	s_mov_b32 s87, -1
	s_mov_b32 s86, -1
                                        ; implicit-def: $vgpr33
	s_branch .LBB91_217
.LBB91_222:                             ;   in Loop: Header=BB91_15 Depth=1
	s_or_b32 exec_lo, exec_lo, s82
	s_andn2_b32 s82, s84, exec_lo
	s_and_b32 s84, s85, exec_lo
	s_or_b32 s84, s82, s84
.LBB91_223:                             ;   in Loop: Header=BB91_15 Depth=1
	s_or_b32 exec_lo, exec_lo, s81
	s_mov_b32 s81, 0
	s_mov_b32 s82, -1
.LBB91_224:                             ;   in Loop: Header=BB91_15 Depth=1
	s_orn2_b32 s84, s84, exec_lo
.LBB91_225:                             ;   in Loop: Header=BB91_15 Depth=1
	s_or_b32 exec_lo, exec_lo, s83
	s_mov_b32 s85, 0
	s_and_saveexec_b32 s83, s84
	s_cbranch_execz .LBB91_236
; %bb.226:                              ;   in Loop: Header=BB91_15 Depth=1
	v_mov_b32_e32 v3, 1
	v_mov_b32_e32 v1, 1
	s_xor_b32 s84, s80, -1
	s_and_saveexec_b32 s80, s84
	s_cbranch_execz .LBB91_235
; %bb.227:                              ;   in Loop: Header=BB91_15 Depth=1
	s_mov_b32 s84, exec_lo
	v_cmpx_ge_u32_e64 s18, v32
	s_xor_b32 s84, exec_lo, s84
	s_cbranch_execz .LBB91_232
; %bb.228:                              ;   in Loop: Header=BB91_15 Depth=1
	ds_read_b32 v1, v9 offset:4096
	v_or_b32_e32 v4, s14, v4
	v_or_b32_e32 v31, s14, v31
	s_waitcnt lgkmcnt(0)
	v_cmp_ne_u32_e32 vcc_lo, 0, v1
	s_cbranch_vccnz .LBB91_232
; %bb.229:                              ;   in Loop: Header=BB91_15 Depth=1
	s_and_saveexec_b32 s85, s3
; %bb.230:                              ;   in Loop: Header=BB91_15 Depth=1
	v_mov_b32_e32 v1, s18
	ds_write_b32 v9, v1 offset:4100
; %bb.231:                              ;   in Loop: Header=BB91_15 Depth=1
	s_or_b32 exec_lo, exec_lo, s85
	s_waitcnt lgkmcnt(0)
	s_barrier
	buffer_gl0_inv
.LBB91_232:                             ;   in Loop: Header=BB91_15 Depth=1
	s_andn2_saveexec_b32 s84, s84
; %bb.233:                              ;   in Loop: Header=BB91_15 Depth=1
	v_subrev_nc_u32_e32 v32, s18, v32
; %bb.234:                              ;   in Loop: Header=BB91_15 Depth=1
	s_or_b32 exec_lo, exec_lo, s84
	v_mov_b32_e32 v3, 8
	v_mov_b32_e32 v1, v32
.LBB91_235:                             ;   in Loop: Header=BB91_15 Depth=1
	s_or_b32 exec_lo, exec_lo, s80
	v_mov_b32_e32 v32, v1
	s_mov_b32 s85, exec_lo
.LBB91_236:                             ;   in Loop: Header=BB91_15 Depth=1
	s_or_b32 exec_lo, exec_lo, s83
	s_orn2_b32 s80, s85, exec_lo
.LBB91_237:                             ;   in Loop: Header=BB91_15 Depth=1
	s_or_b32 exec_lo, exec_lo, s79
	v_mov_b32_e32 v33, v32
	s_andn2_b32 s28, s28, exec_lo
	s_and_b32 s79, s82, exec_lo
	s_andn2_b32 s27, s27, exec_lo
	s_and_b32 s81, s81, exec_lo
	s_or_b32 s28, s28, s79
	s_or_b32 s27, s27, s81
	s_and_b32 s81, s80, exec_lo
.LBB91_238:                             ;   in Loop: Header=BB91_15 Depth=1
	s_or_b32 exec_lo, exec_lo, s29
	s_orn2_b32 s29, s81, exec_lo
.LBB91_239:                             ;   in Loop: Header=BB91_15 Depth=1
	s_or_b32 exec_lo, exec_lo, s26
	v_mov_b32_e32 v32, v33
	s_andn2_b32 s24, s24, exec_lo
	s_and_b32 s26, s28, exec_lo
	s_andn2_b32 s19, s19, exec_lo
	s_and_b32 s27, s27, exec_lo
	s_or_b32 s24, s24, s26
	s_or_b32 s19, s19, s27
	s_and_b32 s28, s29, exec_lo
.LBB91_240:                             ;   in Loop: Header=BB91_15 Depth=1
	s_or_b32 exec_lo, exec_lo, s25
	s_orn2_b32 s25, s28, exec_lo
.LBB91_241:                             ;   in Loop: Header=BB91_15 Depth=1
	s_or_b32 exec_lo, exec_lo, s11
	s_mov_b32 s26, 0
	s_mov_b32 s27, 0
	s_and_saveexec_b32 s11, s25
	s_xor_b32 s25, exec_lo, s11
; %bb.242:                              ;   in Loop: Header=BB91_15 Depth=1
	v_cmp_ne_u32_e32 vcc_lo, 8, v3
	v_cmp_eq_u32_e64 s11, 8, v3
	s_and_b32 s27, vcc_lo, exec_lo
	s_and_b32 s26, s11, exec_lo
; %bb.243:                              ;   in Loop: Header=BB91_15 Depth=1
	s_or_b32 exec_lo, exec_lo, s25
	s_andn2_b32 s11, s21, exec_lo
	s_and_b32 s21, s24, exec_lo
	s_andn2_b32 s20, s20, exec_lo
	s_and_b32 s19, s19, exec_lo
	s_or_b32 s21, s11, s21
	s_or_b32 s20, s20, s19
	s_and_b32 s11, s27, exec_lo
	s_and_b32 s19, s26, exec_lo
.LBB91_244:                             ;   in Loop: Header=BB91_15 Depth=1
	s_or_b32 exec_lo, exec_lo, s23
.LBB91_245:                             ;   in Loop: Header=BB91_15 Depth=1
	s_and_b32 vcc_lo, exec_lo, s22
	s_cbranch_vccz .LBB91_259
; %bb.246:                              ;   in Loop: Header=BB91_15 Depth=1
	s_cmp_eq_u32 s18, 1
	s_mov_b32 s21, -1
	s_cselect_b32 s12, -1, 0
                                        ; implicit-def: $sgpr22
	s_and_b32 s10, s12, s10
                                        ; implicit-def: $sgpr12
	s_and_saveexec_b32 s20, s10
	s_cbranch_execz .LBB91_275
; %bb.247:                              ;   in Loop: Header=BB91_15 Depth=1
	ds_read_b32 v1, v9 offset:4096
	s_waitcnt lgkmcnt(0)
	s_barrier
	buffer_gl0_inv
	v_readfirstlane_b32 s23, v1
	s_and_saveexec_b32 s12, s6
; %bb.248:                              ;   in Loop: Header=BB91_15 Depth=1
	ds_write_b32 v20, v9
; %bb.249:                              ;   in Loop: Header=BB91_15 Depth=1
	s_or_b32 exec_lo, exec_lo, s12
	v_or_b32_e32 v22, s14, v22
	v_or_b32_e32 v29, s14, v29
	s_mov_b32 s12, -1
	s_mov_b32 s22, 0
	s_cmp_eq_u32 s23, 0
	s_mov_b32 s21, 0
	s_mov_b32 s24, -1
	s_waitcnt lgkmcnt(0)
	s_barrier
	buffer_gl0_inv
                                        ; implicit-def: $vgpr15
	s_cbranch_scc1 .LBB91_262
; %bb.250:                              ;   in Loop: Header=BB91_15 Depth=1
	s_add_i32 s21, s23, s57
                                        ; implicit-def: $vgpr15
	s_mul_hi_u32 s24, s21, s63
	s_mul_i32 s24, s24, s34
	s_sub_i32 s24, s21, s24
	s_sub_i32 s25, s24, s34
	s_cmp_ge_u32 s24, s34
	s_cselect_b32 s24, s25, s24
	s_sub_i32 s25, s24, s34
	s_cmp_ge_u32 s24, s34
	s_cselect_b32 s24, s25, s24
	s_mov_b32 s25, exec_lo
	s_sub_i32 s26, s21, s24
	s_mov_b32 s24, 0
	s_mov_b32 s21, 0
	v_cmpx_gt_u32_e64 s26, v0
	s_cbranch_execz .LBB91_261
; %bb.251:                              ;   in Loop: Header=BB91_15 Depth=1
	v_mov_b32_e32 v1, v18
	v_mov_b32_e32 v2, v0
                                        ; implicit-def: $sgpr27
	s_inst_prefetch 0x1
	s_branch .LBB91_255
	.p2align	6
.LBB91_252:                             ;   in Loop: Header=BB91_255 Depth=2
	s_or_b32 exec_lo, exec_lo, s28
	s_waitcnt lgkmcnt(0)
	s_barrier
	buffer_gl0_inv
	ds_read_b64 v[14:15], v9 offset:3072
	s_waitcnt lgkmcnt(0)
	s_barrier
	buffer_gl0_inv
	v_cmp_neq_f32_e32 vcc_lo, 0, v14
	s_cbranch_vccnz .LBB91_258
; %bb.253:                              ;   in Loop: Header=BB91_255 Depth=2
	v_add_nc_u32_e32 v2, s34, v2
	v_add_nc_u32_e32 v1, s53, v1
	s_mov_b32 s28, 0
	v_cmp_le_u32_e32 vcc_lo, s26, v2
	s_orn2_b32 s29, vcc_lo, exec_lo
.LBB91_254:                             ;   in Loop: Header=BB91_255 Depth=2
	s_and_b32 s29, exec_lo, s29
	s_or_b32 s21, s29, s21
	s_andn2_b32 s27, s27, exec_lo
	s_and_b32 s28, s28, exec_lo
	s_or_b32 s27, s27, s28
	s_andn2_b32 exec_lo, exec_lo, s21
	s_cbranch_execz .LBB91_260
.LBB91_255:                             ;   Parent Loop BB91_15 Depth=1
                                        ; =>  This Inner Loop Header: Depth=2
	s_mov_b32 s28, exec_lo
	v_cmpx_gt_u32_e64 s23, v2
	s_cbranch_execz .LBB91_252
; %bb.256:                              ;   in Loop: Header=BB91_255 Depth=2
	ds_read_b32 v14, v1
	s_waitcnt lgkmcnt(0)
	v_cmp_lt_i32_e32 vcc_lo, -1, v14
	v_cndmask_b32_e64 v3, -1, 0x80000000, vcc_lo
	v_cmp_o_f32_e32 vcc_lo, v14, v14
	v_xor_b32_e32 v3, v3, v14
	v_cndmask_b32_e32 v3, -1, v3, vcc_lo
	v_and_b32_e32 v3, v3, v29
	v_cmp_eq_u32_e32 vcc_lo, v3, v22
	s_and_b32 exec_lo, exec_lo, vcc_lo
	s_cbranch_execz .LBB91_252
; %bb.257:                              ;   in Loop: Header=BB91_255 Depth=2
	ds_write_b64 v9, v[13:14] offset:3072
	s_branch .LBB91_252
.LBB91_258:                             ;   in Loop: Header=BB91_255 Depth=2
	s_mov_b32 s29, -1
	s_mov_b32 s28, -1
                                        ; implicit-def: $vgpr2
                                        ; implicit-def: $vgpr1
	s_branch .LBB91_254
.LBB91_259:                             ;   in Loop: Header=BB91_15 Depth=1
	v_mov_b32_e32 v22, v4
	v_mov_b32_e32 v29, v31
	v_mov_b32_e32 v15, v2
	s_mov_b32 s22, 0
	s_and_saveexec_b32 s10, s19
	s_cbranch_execnz .LBB91_412
	s_branch .LBB91_413
.LBB91_260:                             ;   in Loop: Header=BB91_15 Depth=1
	s_inst_prefetch 0x2
	s_or_b32 exec_lo, exec_lo, s21
	s_and_b32 s21, s27, exec_lo
.LBB91_261:                             ;   in Loop: Header=BB91_15 Depth=1
	s_or_b32 exec_lo, exec_lo, s25
.LBB91_262:                             ;   in Loop: Header=BB91_15 Depth=1
	s_and_b32 vcc_lo, exec_lo, s24
	s_cbranch_vccz .LBB91_274
; %bb.263:                              ;   in Loop: Header=BB91_15 Depth=1
                                        ; implicit-def: $vgpr15
	s_and_saveexec_b32 s12, s9
	s_cbranch_execz .LBB91_273
; %bb.264:                              ;   in Loop: Header=BB91_15 Depth=1
	v_mov_b32_e32 v8, v7
	v_mov_b32_e32 v1, v0
	s_mov_b32 s22, 0
                                        ; implicit-def: $sgpr23
	s_branch .LBB91_268
.LBB91_265:                             ;   in Loop: Header=BB91_268 Depth=2
	s_or_b32 exec_lo, exec_lo, s24
	s_waitcnt lgkmcnt(0)
	s_barrier
	buffer_gl0_inv
	ds_read_b64 v[14:15], v9 offset:3072
	s_waitcnt lgkmcnt(0)
	s_barrier
	buffer_gl0_inv
	v_cmp_neq_f32_e32 vcc_lo, 0, v14
	s_cbranch_vccnz .LBB91_271
; %bb.266:                              ;   in Loop: Header=BB91_268 Depth=2
	v_add_nc_u32_e32 v1, s34, v1
	v_add_nc_u32_e32 v8, s40, v8
	s_mov_b32 s24, 0
	v_cmp_le_u32_e32 vcc_lo, s64, v1
	s_orn2_b32 s25, vcc_lo, exec_lo
.LBB91_267:                             ;   in Loop: Header=BB91_268 Depth=2
	s_and_b32 s25, exec_lo, s25
	s_or_b32 s22, s25, s22
	s_andn2_b32 s23, s23, exec_lo
	s_and_b32 s24, s24, exec_lo
	s_or_b32 s23, s23, s24
	s_andn2_b32 exec_lo, exec_lo, s22
	s_cbranch_execz .LBB91_272
.LBB91_268:                             ;   Parent Loop BB91_15 Depth=1
                                        ; =>  This Inner Loop Header: Depth=2
	s_mov_b32 s24, exec_lo
	v_cmpx_gt_u32_e64 s36, v1
	s_cbranch_execz .LBB91_265
; %bb.269:                              ;   in Loop: Header=BB91_268 Depth=2
	v_lshlrev_b64 v[2:3], 2, v[8:9]
	v_add_co_u32 v2, vcc_lo, s31, v2
	v_add_co_ci_u32_e64 v3, null, s33, v3, vcc_lo
	global_load_dword v14, v[2:3], off
	s_waitcnt vmcnt(0)
	v_cmp_lt_i32_e32 vcc_lo, -1, v14
	v_cndmask_b32_e64 v2, -1, 0x80000000, vcc_lo
	v_cmp_o_f32_e32 vcc_lo, v14, v14
	v_xor_b32_e32 v2, v2, v14
	v_cndmask_b32_e32 v2, -1, v2, vcc_lo
	v_and_b32_e32 v2, v2, v29
	v_cmp_eq_u32_e32 vcc_lo, v2, v22
	s_and_b32 exec_lo, exec_lo, vcc_lo
	s_cbranch_execz .LBB91_265
; %bb.270:                              ;   in Loop: Header=BB91_268 Depth=2
	ds_write_b64 v9, v[13:14] offset:3072
	s_branch .LBB91_265
.LBB91_271:                             ;   in Loop: Header=BB91_268 Depth=2
	s_mov_b32 s25, -1
	s_mov_b32 s24, -1
                                        ; implicit-def: $vgpr1
	s_branch .LBB91_267
.LBB91_272:                             ;   in Loop: Header=BB91_15 Depth=1
	s_or_b32 exec_lo, exec_lo, s22
	s_andn2_b32 s21, s21, exec_lo
	s_and_b32 s22, s23, exec_lo
	s_or_b32 s21, s21, s22
.LBB91_273:                             ;   in Loop: Header=BB91_15 Depth=1
	s_or_b32 exec_lo, exec_lo, s12
	s_mov_b32 s12, 0
	s_mov_b32 s22, -1
.LBB91_274:                             ;   in Loop: Header=BB91_15 Depth=1
	s_orn2_b32 s21, s21, exec_lo
.LBB91_275:                             ;   in Loop: Header=BB91_15 Depth=1
	s_or_b32 exec_lo, exec_lo, s20
                                        ; implicit-def: $vgpr32
                                        ; implicit-def: $vgpr3
	s_and_saveexec_b32 s20, s21
	s_cbranch_execz .LBB91_411
; %bb.276:                              ;   in Loop: Header=BB91_15 Depth=1
	v_mov_b32_e32 v32, 1
	v_mov_b32_e32 v3, 1
	s_xor_b32 s21, s10, -1
	s_mov_b32 s24, 0
	s_and_saveexec_b32 s10, s21
	s_cbranch_execz .LBB91_285
; %bb.277:                              ;   in Loop: Header=BB91_15 Depth=1
	s_mov_b32 s21, exec_lo
	v_cmpx_ge_u32_e64 s18, v30
	s_xor_b32 s21, exec_lo, s21
	s_cbranch_execz .LBB91_282
; %bb.278:                              ;   in Loop: Header=BB91_15 Depth=1
	ds_read_b32 v1, v9 offset:4096
	v_or_b32_e32 v22, s14, v22
	v_or_b32_e32 v29, s14, v29
	s_waitcnt lgkmcnt(0)
	v_cmp_ne_u32_e32 vcc_lo, 0, v1
	s_cbranch_vccnz .LBB91_282
; %bb.279:                              ;   in Loop: Header=BB91_15 Depth=1
	s_and_saveexec_b32 s23, s3
; %bb.280:                              ;   in Loop: Header=BB91_15 Depth=1
	v_mov_b32_e32 v1, s18
	ds_write_b32 v9, v1 offset:4100
; %bb.281:                              ;   in Loop: Header=BB91_15 Depth=1
	s_or_b32 exec_lo, exec_lo, s23
	s_waitcnt lgkmcnt(0)
	s_barrier
	buffer_gl0_inv
.LBB91_282:                             ;   in Loop: Header=BB91_15 Depth=1
	s_or_saveexec_b32 s21, s21
	v_mov_b32_e32 v3, 5
	s_mov_b32 s23, 0
	s_xor_b32 exec_lo, exec_lo, s21
; %bb.283:                              ;   in Loop: Header=BB91_15 Depth=1
	v_subrev_nc_u32_e32 v30, s18, v30
	v_mov_b32_e32 v3, 0
	s_mov_b32 s23, exec_lo
; %bb.284:                              ;   in Loop: Header=BB91_15 Depth=1
	s_or_b32 exec_lo, exec_lo, s21
	v_mov_b32_e32 v32, v30
	s_and_b32 s24, s23, exec_lo
.LBB91_285:                             ;   in Loop: Header=BB91_15 Depth=1
	s_or_b32 exec_lo, exec_lo, s10
	s_mov_b32 s23, -1
                                        ; implicit-def: $sgpr18
                                        ; implicit-def: $sgpr21
	s_and_saveexec_b32 s10, s24
	s_xor_b32 s10, exec_lo, s10
	s_cbranch_execz .LBB91_408
; %bb.286:                              ;   in Loop: Header=BB91_15 Depth=1
	v_cmp_eq_u32_e32 vcc_lo, 1, v32
	s_cmp_eq_u32 s17, 1
	s_mov_b32 s25, -1
	s_cselect_b32 s18, -1, 0
                                        ; implicit-def: $sgpr21
	s_and_b32 s24, s18, vcc_lo
                                        ; implicit-def: $sgpr18
	s_and_saveexec_b32 s23, s24
	s_cbranch_execz .LBB91_314
; %bb.287:                              ;   in Loop: Header=BB91_15 Depth=1
	ds_read_b32 v1, v9 offset:4096
	s_waitcnt lgkmcnt(0)
	s_barrier
	buffer_gl0_inv
	v_readfirstlane_b32 s26, v1
	s_and_saveexec_b32 s18, s6
; %bb.288:                              ;   in Loop: Header=BB91_15 Depth=1
	ds_write_b32 v20, v9
; %bb.289:                              ;   in Loop: Header=BB91_15 Depth=1
	s_or_b32 exec_lo, exec_lo, s18
	s_lshl_b32 s18, 2, s72
	v_or_b32_e32 v29, s14, v29
	v_and_or_b32 v22, v22, s15, s18
	s_mov_b32 s18, -1
	s_mov_b32 s21, 0
	s_cmp_eq_u32 s26, 0
	s_mov_b32 s25, 0
	s_mov_b32 s27, -1
	s_waitcnt lgkmcnt(0)
	s_barrier
	buffer_gl0_inv
                                        ; implicit-def: $vgpr15
	s_cbranch_scc1 .LBB91_301
; %bb.290:                              ;   in Loop: Header=BB91_15 Depth=1
	s_add_i32 s25, s26, s57
                                        ; implicit-def: $vgpr15
	s_mul_hi_u32 s27, s25, s63
	s_mul_i32 s27, s27, s34
	s_sub_i32 s27, s25, s27
	s_sub_i32 s28, s27, s34
	s_cmp_ge_u32 s27, s34
	s_cselect_b32 s27, s28, s27
	s_sub_i32 s28, s27, s34
	s_cmp_ge_u32 s27, s34
	s_cselect_b32 s27, s28, s27
	s_mov_b32 s28, exec_lo
	s_sub_i32 s29, s25, s27
	s_mov_b32 s27, 0
	s_mov_b32 s25, 0
	v_cmpx_gt_u32_e64 s29, v0
	s_cbranch_execz .LBB91_300
; %bb.291:                              ;   in Loop: Header=BB91_15 Depth=1
	v_mov_b32_e32 v1, v18
	v_mov_b32_e32 v2, v0
                                        ; implicit-def: $sgpr79
	s_inst_prefetch 0x1
	s_branch .LBB91_295
	.p2align	6
.LBB91_292:                             ;   in Loop: Header=BB91_295 Depth=2
	s_or_b32 exec_lo, exec_lo, s80
	s_waitcnt lgkmcnt(0)
	s_barrier
	buffer_gl0_inv
	ds_read_b64 v[14:15], v9 offset:3072
	s_waitcnt lgkmcnt(0)
	s_barrier
	buffer_gl0_inv
	v_cmp_neq_f32_e32 vcc_lo, 0, v14
	s_cbranch_vccnz .LBB91_298
; %bb.293:                              ;   in Loop: Header=BB91_295 Depth=2
	v_add_nc_u32_e32 v2, s34, v2
	v_add_nc_u32_e32 v1, s53, v1
	s_mov_b32 s80, 0
	v_cmp_le_u32_e32 vcc_lo, s29, v2
	s_orn2_b32 s81, vcc_lo, exec_lo
.LBB91_294:                             ;   in Loop: Header=BB91_295 Depth=2
	s_and_b32 s81, exec_lo, s81
	s_or_b32 s25, s81, s25
	s_andn2_b32 s79, s79, exec_lo
	s_and_b32 s80, s80, exec_lo
	s_or_b32 s79, s79, s80
	s_andn2_b32 exec_lo, exec_lo, s25
	s_cbranch_execz .LBB91_299
.LBB91_295:                             ;   Parent Loop BB91_15 Depth=1
                                        ; =>  This Inner Loop Header: Depth=2
	s_mov_b32 s80, exec_lo
	v_cmpx_gt_u32_e64 s26, v2
	s_cbranch_execz .LBB91_292
; %bb.296:                              ;   in Loop: Header=BB91_295 Depth=2
	ds_read_b32 v14, v1
	s_waitcnt lgkmcnt(0)
	v_cmp_lt_i32_e32 vcc_lo, -1, v14
	v_cndmask_b32_e64 v4, -1, 0x80000000, vcc_lo
	v_cmp_o_f32_e32 vcc_lo, v14, v14
	v_xor_b32_e32 v4, v4, v14
	v_cndmask_b32_e32 v4, -1, v4, vcc_lo
	v_and_b32_e32 v4, v4, v29
	v_cmp_eq_u32_e32 vcc_lo, v4, v22
	s_and_b32 exec_lo, exec_lo, vcc_lo
	s_cbranch_execz .LBB91_292
; %bb.297:                              ;   in Loop: Header=BB91_295 Depth=2
	ds_write_b64 v9, v[13:14] offset:3072
	s_branch .LBB91_292
.LBB91_298:                             ;   in Loop: Header=BB91_295 Depth=2
	s_mov_b32 s81, -1
	s_mov_b32 s80, -1
                                        ; implicit-def: $vgpr2
                                        ; implicit-def: $vgpr1
	s_branch .LBB91_294
.LBB91_299:                             ;   in Loop: Header=BB91_15 Depth=1
	s_inst_prefetch 0x2
	s_or_b32 exec_lo, exec_lo, s25
	s_and_b32 s25, s79, exec_lo
.LBB91_300:                             ;   in Loop: Header=BB91_15 Depth=1
	s_or_b32 exec_lo, exec_lo, s28
.LBB91_301:                             ;   in Loop: Header=BB91_15 Depth=1
	s_and_b32 vcc_lo, exec_lo, s27
	s_cbranch_vccz .LBB91_313
; %bb.302:                              ;   in Loop: Header=BB91_15 Depth=1
                                        ; implicit-def: $vgpr15
	s_and_saveexec_b32 s18, s9
	s_cbranch_execz .LBB91_312
; %bb.303:                              ;   in Loop: Header=BB91_15 Depth=1
	v_mov_b32_e32 v8, v7
	v_mov_b32_e32 v1, v0
	s_mov_b32 s21, 0
                                        ; implicit-def: $sgpr26
	s_branch .LBB91_307
.LBB91_304:                             ;   in Loop: Header=BB91_307 Depth=2
	s_or_b32 exec_lo, exec_lo, s27
	s_waitcnt lgkmcnt(0)
	s_barrier
	buffer_gl0_inv
	ds_read_b64 v[14:15], v9 offset:3072
	s_waitcnt lgkmcnt(0)
	s_barrier
	buffer_gl0_inv
	v_cmp_eq_f32_e32 vcc_lo, 0, v14
	s_cbranch_vccz .LBB91_310
; %bb.305:                              ;   in Loop: Header=BB91_307 Depth=2
	v_add_nc_u32_e32 v1, s34, v1
	v_add_nc_u32_e32 v8, s40, v8
	s_mov_b32 s27, 0
	v_cmp_le_u32_e32 vcc_lo, s64, v1
	s_orn2_b32 s28, vcc_lo, exec_lo
.LBB91_306:                             ;   in Loop: Header=BB91_307 Depth=2
	s_and_b32 s28, exec_lo, s28
	s_or_b32 s21, s28, s21
	s_andn2_b32 s26, s26, exec_lo
	s_and_b32 s27, s27, exec_lo
	s_or_b32 s26, s26, s27
	s_andn2_b32 exec_lo, exec_lo, s21
	s_cbranch_execz .LBB91_311
.LBB91_307:                             ;   Parent Loop BB91_15 Depth=1
                                        ; =>  This Inner Loop Header: Depth=2
	s_mov_b32 s27, exec_lo
	v_cmpx_gt_u32_e64 s36, v1
	s_cbranch_execz .LBB91_304
; %bb.308:                              ;   in Loop: Header=BB91_307 Depth=2
	v_lshlrev_b64 v[14:15], 2, v[8:9]
	v_add_co_u32 v14, vcc_lo, s31, v14
	v_add_co_ci_u32_e64 v15, null, s33, v15, vcc_lo
	global_load_dword v14, v[14:15], off
	s_waitcnt vmcnt(0)
	v_cmp_lt_i32_e32 vcc_lo, -1, v14
	v_cndmask_b32_e64 v2, -1, 0x80000000, vcc_lo
	v_cmp_o_f32_e32 vcc_lo, v14, v14
	v_xor_b32_e32 v2, v2, v14
	v_cndmask_b32_e32 v2, -1, v2, vcc_lo
	v_and_b32_e32 v2, v2, v29
	v_cmp_eq_u32_e32 vcc_lo, v2, v22
	s_and_b32 exec_lo, exec_lo, vcc_lo
	s_cbranch_execz .LBB91_304
; %bb.309:                              ;   in Loop: Header=BB91_307 Depth=2
	ds_write_b64 v9, v[13:14] offset:3072
	s_branch .LBB91_304
.LBB91_310:                             ;   in Loop: Header=BB91_307 Depth=2
	s_mov_b32 s28, -1
	s_mov_b32 s27, -1
                                        ; implicit-def: $vgpr1
	s_branch .LBB91_306
.LBB91_311:                             ;   in Loop: Header=BB91_15 Depth=1
	s_or_b32 exec_lo, exec_lo, s21
	s_andn2_b32 s21, s25, exec_lo
	s_and_b32 s25, s26, exec_lo
	s_or_b32 s25, s21, s25
.LBB91_312:                             ;   in Loop: Header=BB91_15 Depth=1
	s_or_b32 exec_lo, exec_lo, s18
	s_mov_b32 s18, 0
	s_mov_b32 s21, -1
.LBB91_313:                             ;   in Loop: Header=BB91_15 Depth=1
	s_orn2_b32 s25, s25, exec_lo
.LBB91_314:                             ;   in Loop: Header=BB91_15 Depth=1
	s_or_b32 exec_lo, exec_lo, s23
	s_mov_b32 s26, 0
	s_and_saveexec_b32 s23, s25
	s_cbranch_execz .LBB91_407
; %bb.315:                              ;   in Loop: Header=BB91_15 Depth=1
	v_mov_b32_e32 v1, 1
	v_mov_b32_e32 v3, 1
	s_xor_b32 s25, s24, -1
	s_mov_b32 s27, 0
	s_and_saveexec_b32 s24, s25
	s_cbranch_execz .LBB91_324
; %bb.316:                              ;   in Loop: Header=BB91_15 Depth=1
	s_mov_b32 s25, exec_lo
	v_cmpx_ge_u32_e64 s17, v32
	s_xor_b32 s25, exec_lo, s25
	s_cbranch_execz .LBB91_321
; %bb.317:                              ;   in Loop: Header=BB91_15 Depth=1
	ds_read_b32 v1, v9 offset:4096
	s_lshl_b32 s26, 2, s72
	v_or_b32_e32 v29, s14, v29
	v_and_or_b32 v22, v22, s15, s26
	s_waitcnt lgkmcnt(0)
	v_cmp_ne_u32_e32 vcc_lo, 0, v1
	s_cbranch_vccnz .LBB91_321
; %bb.318:                              ;   in Loop: Header=BB91_15 Depth=1
	s_and_saveexec_b32 s26, s3
; %bb.319:                              ;   in Loop: Header=BB91_15 Depth=1
	v_mov_b32_e32 v1, s17
	ds_write_b32 v9, v1 offset:4100
; %bb.320:                              ;   in Loop: Header=BB91_15 Depth=1
	s_or_b32 exec_lo, exec_lo, s26
	s_waitcnt lgkmcnt(0)
	s_barrier
	buffer_gl0_inv
.LBB91_321:                             ;   in Loop: Header=BB91_15 Depth=1
	s_or_saveexec_b32 s25, s25
	v_mov_b32_e32 v3, 5
	s_mov_b32 s26, 0
	s_xor_b32 exec_lo, exec_lo, s25
; %bb.322:                              ;   in Loop: Header=BB91_15 Depth=1
	v_subrev_nc_u32_e32 v32, s17, v32
	v_mov_b32_e32 v3, 0
	s_mov_b32 s26, exec_lo
; %bb.323:                              ;   in Loop: Header=BB91_15 Depth=1
	s_or_b32 exec_lo, exec_lo, s25
	v_mov_b32_e32 v1, v32
	s_and_b32 s27, s26, exec_lo
.LBB91_324:                             ;   in Loop: Header=BB91_15 Depth=1
	s_or_b32 exec_lo, exec_lo, s24
	s_mov_b32 s26, -1
                                        ; implicit-def: $sgpr24
                                        ; implicit-def: $sgpr25
	s_and_saveexec_b32 s17, s27
	s_cbranch_execz .LBB91_406
; %bb.325:                              ;   in Loop: Header=BB91_15 Depth=1
	v_cmp_eq_u32_e32 vcc_lo, 1, v1
	s_cmp_eq_u32 s16, 1
	s_mov_b32 s28, -1
	s_cselect_b32 s24, -1, 0
                                        ; implicit-def: $sgpr25
	s_and_b32 s27, s24, vcc_lo
                                        ; implicit-def: $sgpr24
	s_and_saveexec_b32 s26, s27
	s_cbranch_execz .LBB91_353
; %bb.326:                              ;   in Loop: Header=BB91_15 Depth=1
	ds_read_b32 v2, v9 offset:4096
	s_waitcnt lgkmcnt(0)
	s_barrier
	buffer_gl0_inv
	v_readfirstlane_b32 s29, v2
	s_and_saveexec_b32 s24, s6
; %bb.327:                              ;   in Loop: Header=BB91_15 Depth=1
	ds_write_b32 v20, v9
; %bb.328:                              ;   in Loop: Header=BB91_15 Depth=1
	s_or_b32 exec_lo, exec_lo, s24
	s_lshl_b32 s24, 1, s72
	v_or_b32_e32 v29, s14, v29
	v_and_or_b32 v22, v22, s15, s24
	s_mov_b32 s24, -1
	s_mov_b32 s25, 0
	s_cmp_eq_u32 s29, 0
	s_mov_b32 s28, 0
	s_mov_b32 s79, -1
	s_waitcnt lgkmcnt(0)
	s_barrier
	buffer_gl0_inv
                                        ; implicit-def: $vgpr15
	s_cbranch_scc1 .LBB91_340
; %bb.329:                              ;   in Loop: Header=BB91_15 Depth=1
	s_add_i32 s28, s29, s57
                                        ; implicit-def: $vgpr15
	s_mul_hi_u32 s79, s28, s63
	s_mul_i32 s79, s79, s34
	s_sub_i32 s79, s28, s79
	s_sub_i32 s80, s79, s34
	s_cmp_ge_u32 s79, s34
	s_cselect_b32 s79, s80, s79
	s_sub_i32 s80, s79, s34
	s_cmp_ge_u32 s79, s34
	s_cselect_b32 s79, s80, s79
	s_mov_b32 s80, exec_lo
	s_sub_i32 s81, s28, s79
	s_mov_b32 s79, 0
	s_mov_b32 s28, 0
	v_cmpx_gt_u32_e64 s81, v0
	s_cbranch_execz .LBB91_339
; %bb.330:                              ;   in Loop: Header=BB91_15 Depth=1
	v_mov_b32_e32 v2, v18
	v_mov_b32_e32 v4, v0
                                        ; implicit-def: $sgpr82
	s_inst_prefetch 0x1
	s_branch .LBB91_334
	.p2align	6
.LBB91_331:                             ;   in Loop: Header=BB91_334 Depth=2
	s_or_b32 exec_lo, exec_lo, s83
	s_waitcnt lgkmcnt(0)
	s_barrier
	buffer_gl0_inv
	ds_read_b64 v[14:15], v9 offset:3072
	s_waitcnt lgkmcnt(0)
	s_barrier
	buffer_gl0_inv
	v_cmp_neq_f32_e32 vcc_lo, 0, v14
	s_cbranch_vccnz .LBB91_337
; %bb.332:                              ;   in Loop: Header=BB91_334 Depth=2
	v_add_nc_u32_e32 v4, s34, v4
	v_add_nc_u32_e32 v2, s53, v2
	s_mov_b32 s83, 0
	v_cmp_le_u32_e32 vcc_lo, s81, v4
	s_orn2_b32 s84, vcc_lo, exec_lo
.LBB91_333:                             ;   in Loop: Header=BB91_334 Depth=2
	s_and_b32 s84, exec_lo, s84
	s_or_b32 s28, s84, s28
	s_andn2_b32 s82, s82, exec_lo
	s_and_b32 s83, s83, exec_lo
	s_or_b32 s82, s82, s83
	s_andn2_b32 exec_lo, exec_lo, s28
	s_cbranch_execz .LBB91_338
.LBB91_334:                             ;   Parent Loop BB91_15 Depth=1
                                        ; =>  This Inner Loop Header: Depth=2
	s_mov_b32 s83, exec_lo
	v_cmpx_gt_u32_e64 s29, v4
	s_cbranch_execz .LBB91_331
; %bb.335:                              ;   in Loop: Header=BB91_334 Depth=2
	ds_read_b32 v14, v2
	s_waitcnt lgkmcnt(0)
	v_cmp_lt_i32_e32 vcc_lo, -1, v14
	v_cndmask_b32_e64 v8, -1, 0x80000000, vcc_lo
	v_cmp_o_f32_e32 vcc_lo, v14, v14
	v_xor_b32_e32 v8, v8, v14
	v_cndmask_b32_e32 v8, -1, v8, vcc_lo
	v_and_b32_e32 v8, v8, v29
	v_cmp_eq_u32_e32 vcc_lo, v8, v22
	s_and_b32 exec_lo, exec_lo, vcc_lo
	s_cbranch_execz .LBB91_331
; %bb.336:                              ;   in Loop: Header=BB91_334 Depth=2
	ds_write_b64 v9, v[13:14] offset:3072
	s_branch .LBB91_331
.LBB91_337:                             ;   in Loop: Header=BB91_334 Depth=2
	s_mov_b32 s84, -1
	s_mov_b32 s83, -1
                                        ; implicit-def: $vgpr4
                                        ; implicit-def: $vgpr2
	s_branch .LBB91_333
.LBB91_338:                             ;   in Loop: Header=BB91_15 Depth=1
	s_inst_prefetch 0x2
	s_or_b32 exec_lo, exec_lo, s28
	s_and_b32 s28, s82, exec_lo
.LBB91_339:                             ;   in Loop: Header=BB91_15 Depth=1
	s_or_b32 exec_lo, exec_lo, s80
.LBB91_340:                             ;   in Loop: Header=BB91_15 Depth=1
	s_and_b32 vcc_lo, exec_lo, s79
	s_cbranch_vccz .LBB91_352
; %bb.341:                              ;   in Loop: Header=BB91_15 Depth=1
                                        ; implicit-def: $vgpr15
	s_and_saveexec_b32 s24, s9
	s_cbranch_execz .LBB91_351
; %bb.342:                              ;   in Loop: Header=BB91_15 Depth=1
	v_mov_b32_e32 v8, v7
	v_mov_b32_e32 v2, v0
	s_mov_b32 s25, 0
                                        ; implicit-def: $sgpr29
	s_branch .LBB91_346
.LBB91_343:                             ;   in Loop: Header=BB91_346 Depth=2
	s_or_b32 exec_lo, exec_lo, s79
	s_waitcnt lgkmcnt(0)
	s_barrier
	buffer_gl0_inv
	ds_read_b64 v[14:15], v9 offset:3072
	s_waitcnt lgkmcnt(0)
	s_barrier
	buffer_gl0_inv
	v_cmp_eq_f32_e32 vcc_lo, 0, v14
	s_cbranch_vccz .LBB91_349
; %bb.344:                              ;   in Loop: Header=BB91_346 Depth=2
	v_add_nc_u32_e32 v2, s34, v2
	v_add_nc_u32_e32 v8, s40, v8
	s_mov_b32 s79, 0
	v_cmp_le_u32_e32 vcc_lo, s64, v2
	s_orn2_b32 s80, vcc_lo, exec_lo
.LBB91_345:                             ;   in Loop: Header=BB91_346 Depth=2
	s_and_b32 s80, exec_lo, s80
	s_or_b32 s25, s80, s25
	s_andn2_b32 s29, s29, exec_lo
	s_and_b32 s79, s79, exec_lo
	s_or_b32 s29, s29, s79
	s_andn2_b32 exec_lo, exec_lo, s25
	s_cbranch_execz .LBB91_350
.LBB91_346:                             ;   Parent Loop BB91_15 Depth=1
                                        ; =>  This Inner Loop Header: Depth=2
	s_mov_b32 s79, exec_lo
	v_cmpx_gt_u32_e64 s36, v2
	s_cbranch_execz .LBB91_343
; %bb.347:                              ;   in Loop: Header=BB91_346 Depth=2
	v_lshlrev_b64 v[14:15], 2, v[8:9]
	v_add_co_u32 v14, vcc_lo, s31, v14
	v_add_co_ci_u32_e64 v15, null, s33, v15, vcc_lo
	global_load_dword v14, v[14:15], off
	s_waitcnt vmcnt(0)
	v_cmp_lt_i32_e32 vcc_lo, -1, v14
	v_cndmask_b32_e64 v4, -1, 0x80000000, vcc_lo
	v_cmp_o_f32_e32 vcc_lo, v14, v14
	v_xor_b32_e32 v4, v4, v14
	v_cndmask_b32_e32 v4, -1, v4, vcc_lo
	v_and_b32_e32 v4, v4, v29
	v_cmp_eq_u32_e32 vcc_lo, v4, v22
	s_and_b32 exec_lo, exec_lo, vcc_lo
	s_cbranch_execz .LBB91_343
; %bb.348:                              ;   in Loop: Header=BB91_346 Depth=2
	ds_write_b64 v9, v[13:14] offset:3072
	s_branch .LBB91_343
.LBB91_349:                             ;   in Loop: Header=BB91_346 Depth=2
	s_mov_b32 s80, -1
	s_mov_b32 s79, -1
                                        ; implicit-def: $vgpr2
	s_branch .LBB91_345
.LBB91_350:                             ;   in Loop: Header=BB91_15 Depth=1
	s_or_b32 exec_lo, exec_lo, s25
	s_andn2_b32 s25, s28, exec_lo
	s_and_b32 s28, s29, exec_lo
	s_or_b32 s28, s25, s28
.LBB91_351:                             ;   in Loop: Header=BB91_15 Depth=1
	s_or_b32 exec_lo, exec_lo, s24
	s_mov_b32 s24, 0
	s_mov_b32 s25, -1
.LBB91_352:                             ;   in Loop: Header=BB91_15 Depth=1
	s_orn2_b32 s28, s28, exec_lo
.LBB91_353:                             ;   in Loop: Header=BB91_15 Depth=1
	s_or_b32 exec_lo, exec_lo, s26
	s_mov_b32 s29, 0
	s_and_saveexec_b32 s26, s28
	s_cbranch_execz .LBB91_405
; %bb.354:                              ;   in Loop: Header=BB91_15 Depth=1
	v_mov_b32_e32 v2, 1
	v_mov_b32_e32 v3, 1
	s_xor_b32 s28, s27, -1
	s_mov_b32 s79, 0
	s_and_saveexec_b32 s27, s28
	s_cbranch_execz .LBB91_363
; %bb.355:                              ;   in Loop: Header=BB91_15 Depth=1
	s_mov_b32 s28, exec_lo
	v_cmpx_ge_u32_e64 s16, v1
	s_xor_b32 s28, exec_lo, s28
	s_cbranch_execz .LBB91_360
; %bb.356:                              ;   in Loop: Header=BB91_15 Depth=1
	ds_read_b32 v2, v9 offset:4096
	s_lshl_b32 s29, 1, s72
	v_or_b32_e32 v29, s14, v29
	v_and_or_b32 v22, v22, s15, s29
	s_waitcnt lgkmcnt(0)
	v_cmp_ne_u32_e32 vcc_lo, 0, v2
	s_cbranch_vccnz .LBB91_360
; %bb.357:                              ;   in Loop: Header=BB91_15 Depth=1
	s_and_saveexec_b32 s29, s3
; %bb.358:                              ;   in Loop: Header=BB91_15 Depth=1
	v_mov_b32_e32 v2, s16
	ds_write_b32 v9, v2 offset:4100
; %bb.359:                              ;   in Loop: Header=BB91_15 Depth=1
	s_or_b32 exec_lo, exec_lo, s29
	s_waitcnt lgkmcnt(0)
	s_barrier
	buffer_gl0_inv
.LBB91_360:                             ;   in Loop: Header=BB91_15 Depth=1
	s_or_saveexec_b32 s28, s28
	v_mov_b32_e32 v3, 5
	s_mov_b32 s29, 0
	s_xor_b32 exec_lo, exec_lo, s28
; %bb.361:                              ;   in Loop: Header=BB91_15 Depth=1
	v_subrev_nc_u32_e32 v1, s16, v1
	v_mov_b32_e32 v3, 0
	s_mov_b32 s29, exec_lo
; %bb.362:                              ;   in Loop: Header=BB91_15 Depth=1
	s_or_b32 exec_lo, exec_lo, s28
	v_mov_b32_e32 v2, v1
	s_and_b32 s79, s29, exec_lo
.LBB91_363:                             ;   in Loop: Header=BB91_15 Depth=1
	s_or_b32 exec_lo, exec_lo, s27
	s_mov_b32 s27, -1
                                        ; implicit-def: $sgpr29
                                        ; implicit-def: $sgpr28
	s_and_saveexec_b32 s16, s79
	s_cbranch_execz .LBB91_404
; %bb.364:                              ;   in Loop: Header=BB91_15 Depth=1
	v_cmp_eq_u32_e32 vcc_lo, 1, v2
	s_cmp_eq_u32 s13, 1
	s_mov_b32 s80, -1
	s_cselect_b32 s27, -1, 0
                                        ; implicit-def: $sgpr29
                                        ; implicit-def: $sgpr28
	s_and_b32 s27, s27, vcc_lo
	s_and_saveexec_b32 s79, s27
	s_cbranch_execz .LBB91_392
; %bb.365:                              ;   in Loop: Header=BB91_15 Depth=1
	ds_read_b32 v1, v9 offset:4096
	s_waitcnt lgkmcnt(0)
	s_barrier
	buffer_gl0_inv
	v_readfirstlane_b32 s81, v1
	s_and_saveexec_b32 s28, s6
; %bb.366:                              ;   in Loop: Header=BB91_15 Depth=1
	ds_write_b32 v20, v9
; %bb.367:                              ;   in Loop: Header=BB91_15 Depth=1
	s_or_b32 exec_lo, exec_lo, s28
	v_and_b32_e32 v22, s15, v22
	v_or_b32_e32 v29, s14, v29
	s_mov_b32 s28, -1
	s_mov_b32 s29, 0
	s_cmp_eq_u32 s81, 0
	s_mov_b32 s80, 0
	s_mov_b32 s82, -1
	s_waitcnt lgkmcnt(0)
	s_barrier
	buffer_gl0_inv
                                        ; implicit-def: $vgpr15
	s_cbranch_scc1 .LBB91_379
; %bb.368:                              ;   in Loop: Header=BB91_15 Depth=1
	s_add_i32 s80, s81, s57
                                        ; implicit-def: $vgpr15
	s_mul_hi_u32 s82, s80, s63
	s_mul_i32 s82, s82, s34
	s_sub_i32 s82, s80, s82
	s_sub_i32 s83, s82, s34
	s_cmp_ge_u32 s82, s34
	s_cselect_b32 s82, s83, s82
	s_sub_i32 s83, s82, s34
	s_cmp_ge_u32 s82, s34
	s_cselect_b32 s82, s83, s82
	s_mov_b32 s83, exec_lo
	s_sub_i32 s84, s80, s82
	s_mov_b32 s82, 0
	s_mov_b32 s80, 0
	v_cmpx_gt_u32_e64 s84, v0
	s_cbranch_execz .LBB91_378
; %bb.369:                              ;   in Loop: Header=BB91_15 Depth=1
	v_mov_b32_e32 v1, v18
	v_mov_b32_e32 v4, v0
                                        ; implicit-def: $sgpr85
	s_inst_prefetch 0x1
	s_branch .LBB91_373
	.p2align	6
.LBB91_370:                             ;   in Loop: Header=BB91_373 Depth=2
	s_or_b32 exec_lo, exec_lo, s86
	s_waitcnt lgkmcnt(0)
	s_barrier
	buffer_gl0_inv
	ds_read_b64 v[14:15], v9 offset:3072
	s_waitcnt lgkmcnt(0)
	s_barrier
	buffer_gl0_inv
	v_cmp_neq_f32_e32 vcc_lo, 0, v14
	s_cbranch_vccnz .LBB91_376
; %bb.371:                              ;   in Loop: Header=BB91_373 Depth=2
	v_add_nc_u32_e32 v4, s34, v4
	v_add_nc_u32_e32 v1, s53, v1
	s_mov_b32 s86, 0
	v_cmp_le_u32_e32 vcc_lo, s84, v4
	s_orn2_b32 s87, vcc_lo, exec_lo
.LBB91_372:                             ;   in Loop: Header=BB91_373 Depth=2
	s_and_b32 s87, exec_lo, s87
	s_or_b32 s80, s87, s80
	s_andn2_b32 s85, s85, exec_lo
	s_and_b32 s86, s86, exec_lo
	s_or_b32 s85, s85, s86
	s_andn2_b32 exec_lo, exec_lo, s80
	s_cbranch_execz .LBB91_377
.LBB91_373:                             ;   Parent Loop BB91_15 Depth=1
                                        ; =>  This Inner Loop Header: Depth=2
	s_mov_b32 s86, exec_lo
	v_cmpx_gt_u32_e64 s81, v4
	s_cbranch_execz .LBB91_370
; %bb.374:                              ;   in Loop: Header=BB91_373 Depth=2
	ds_read_b32 v14, v1
	s_waitcnt lgkmcnt(0)
	v_cmp_lt_i32_e32 vcc_lo, -1, v14
	v_cndmask_b32_e64 v8, -1, 0x80000000, vcc_lo
	v_cmp_o_f32_e32 vcc_lo, v14, v14
	v_xor_b32_e32 v8, v8, v14
	v_cndmask_b32_e32 v8, -1, v8, vcc_lo
	v_and_b32_e32 v8, v8, v29
	v_cmp_eq_u32_e32 vcc_lo, v8, v22
	s_and_b32 exec_lo, exec_lo, vcc_lo
	s_cbranch_execz .LBB91_370
; %bb.375:                              ;   in Loop: Header=BB91_373 Depth=2
	ds_write_b64 v9, v[13:14] offset:3072
	s_branch .LBB91_370
.LBB91_376:                             ;   in Loop: Header=BB91_373 Depth=2
	s_mov_b32 s87, -1
	s_mov_b32 s86, -1
                                        ; implicit-def: $vgpr4
                                        ; implicit-def: $vgpr1
	s_branch .LBB91_372
.LBB91_377:                             ;   in Loop: Header=BB91_15 Depth=1
	s_inst_prefetch 0x2
	s_or_b32 exec_lo, exec_lo, s80
	s_and_b32 s80, s85, exec_lo
.LBB91_378:                             ;   in Loop: Header=BB91_15 Depth=1
	s_or_b32 exec_lo, exec_lo, s83
.LBB91_379:                             ;   in Loop: Header=BB91_15 Depth=1
	s_and_b32 vcc_lo, exec_lo, s82
	s_cbranch_vccz .LBB91_391
; %bb.380:                              ;   in Loop: Header=BB91_15 Depth=1
                                        ; implicit-def: $vgpr15
	s_and_saveexec_b32 s28, s9
	s_cbranch_execz .LBB91_390
; %bb.381:                              ;   in Loop: Header=BB91_15 Depth=1
	v_mov_b32_e32 v8, v7
	v_mov_b32_e32 v1, v0
	s_mov_b32 s29, 0
                                        ; implicit-def: $sgpr81
	s_branch .LBB91_385
.LBB91_382:                             ;   in Loop: Header=BB91_385 Depth=2
	s_or_b32 exec_lo, exec_lo, s82
	s_waitcnt lgkmcnt(0)
	s_barrier
	buffer_gl0_inv
	ds_read_b64 v[14:15], v9 offset:3072
	s_waitcnt lgkmcnt(0)
	s_barrier
	buffer_gl0_inv
	v_cmp_eq_f32_e32 vcc_lo, 0, v14
	s_cbranch_vccz .LBB91_388
; %bb.383:                              ;   in Loop: Header=BB91_385 Depth=2
	v_add_nc_u32_e32 v1, s34, v1
	v_add_nc_u32_e32 v8, s40, v8
	s_mov_b32 s82, 0
	v_cmp_le_u32_e32 vcc_lo, s64, v1
	s_orn2_b32 s83, vcc_lo, exec_lo
.LBB91_384:                             ;   in Loop: Header=BB91_385 Depth=2
	s_and_b32 s83, exec_lo, s83
	s_or_b32 s29, s83, s29
	s_andn2_b32 s81, s81, exec_lo
	s_and_b32 s82, s82, exec_lo
	s_or_b32 s81, s81, s82
	s_andn2_b32 exec_lo, exec_lo, s29
	s_cbranch_execz .LBB91_389
.LBB91_385:                             ;   Parent Loop BB91_15 Depth=1
                                        ; =>  This Inner Loop Header: Depth=2
	s_mov_b32 s82, exec_lo
	v_cmpx_gt_u32_e64 s36, v1
	s_cbranch_execz .LBB91_382
; %bb.386:                              ;   in Loop: Header=BB91_385 Depth=2
	v_lshlrev_b64 v[14:15], 2, v[8:9]
	v_add_co_u32 v14, vcc_lo, s31, v14
	v_add_co_ci_u32_e64 v15, null, s33, v15, vcc_lo
	global_load_dword v14, v[14:15], off
	s_waitcnt vmcnt(0)
	v_cmp_lt_i32_e32 vcc_lo, -1, v14
	v_cndmask_b32_e64 v4, -1, 0x80000000, vcc_lo
	v_cmp_o_f32_e32 vcc_lo, v14, v14
	v_xor_b32_e32 v4, v4, v14
	v_cndmask_b32_e32 v4, -1, v4, vcc_lo
	v_and_b32_e32 v4, v4, v29
	v_cmp_eq_u32_e32 vcc_lo, v4, v22
	s_and_b32 exec_lo, exec_lo, vcc_lo
	s_cbranch_execz .LBB91_382
; %bb.387:                              ;   in Loop: Header=BB91_385 Depth=2
	ds_write_b64 v9, v[13:14] offset:3072
	s_branch .LBB91_382
.LBB91_388:                             ;   in Loop: Header=BB91_385 Depth=2
	s_mov_b32 s83, -1
	s_mov_b32 s82, -1
                                        ; implicit-def: $vgpr1
	s_branch .LBB91_384
.LBB91_389:                             ;   in Loop: Header=BB91_15 Depth=1
	s_or_b32 exec_lo, exec_lo, s29
	s_andn2_b32 s29, s80, exec_lo
	s_and_b32 s80, s81, exec_lo
	s_or_b32 s80, s29, s80
.LBB91_390:                             ;   in Loop: Header=BB91_15 Depth=1
	s_or_b32 exec_lo, exec_lo, s28
	s_mov_b32 s28, 0
	s_mov_b32 s29, -1
.LBB91_391:                             ;   in Loop: Header=BB91_15 Depth=1
	s_orn2_b32 s80, s80, exec_lo
.LBB91_392:                             ;   in Loop: Header=BB91_15 Depth=1
	s_or_b32 exec_lo, exec_lo, s79
	s_mov_b32 s81, 0
	s_and_saveexec_b32 s79, s80
	s_cbranch_execz .LBB91_403
; %bb.393:                              ;   in Loop: Header=BB91_15 Depth=1
	v_mov_b32_e32 v3, 1
	v_mov_b32_e32 v1, 1
	s_xor_b32 s80, s27, -1
	s_and_saveexec_b32 s27, s80
	s_cbranch_execz .LBB91_402
; %bb.394:                              ;   in Loop: Header=BB91_15 Depth=1
	s_mov_b32 s80, exec_lo
	v_cmpx_ge_u32_e64 s13, v2
	s_xor_b32 s80, exec_lo, s80
	s_cbranch_execz .LBB91_399
; %bb.395:                              ;   in Loop: Header=BB91_15 Depth=1
	ds_read_b32 v1, v9 offset:4096
	v_and_b32_e32 v22, s15, v22
	v_or_b32_e32 v29, s14, v29
	s_waitcnt lgkmcnt(0)
	v_cmp_ne_u32_e32 vcc_lo, 0, v1
	s_cbranch_vccnz .LBB91_399
; %bb.396:                              ;   in Loop: Header=BB91_15 Depth=1
	s_and_saveexec_b32 s14, s3
; %bb.397:                              ;   in Loop: Header=BB91_15 Depth=1
	v_mov_b32_e32 v1, s13
	ds_write_b32 v9, v1 offset:4100
; %bb.398:                              ;   in Loop: Header=BB91_15 Depth=1
	s_or_b32 exec_lo, exec_lo, s14
	s_waitcnt lgkmcnt(0)
	s_barrier
	buffer_gl0_inv
.LBB91_399:                             ;   in Loop: Header=BB91_15 Depth=1
	s_andn2_saveexec_b32 s14, s80
; %bb.400:                              ;   in Loop: Header=BB91_15 Depth=1
	v_subrev_nc_u32_e32 v2, s13, v2
; %bb.401:                              ;   in Loop: Header=BB91_15 Depth=1
	s_or_b32 exec_lo, exec_lo, s14
	v_mov_b32_e32 v3, 5
	v_mov_b32_e32 v1, v2
.LBB91_402:                             ;   in Loop: Header=BB91_15 Depth=1
	s_or_b32 exec_lo, exec_lo, s27
	v_mov_b32_e32 v2, v1
	s_mov_b32 s81, exec_lo
.LBB91_403:                             ;   in Loop: Header=BB91_15 Depth=1
	s_or_b32 exec_lo, exec_lo, s79
	s_orn2_b32 s27, s81, exec_lo
.LBB91_404:                             ;   in Loop: Header=BB91_15 Depth=1
	s_or_b32 exec_lo, exec_lo, s16
	s_andn2_b32 s13, s25, exec_lo
	s_and_b32 s14, s29, exec_lo
	s_andn2_b32 s15, s24, exec_lo
	s_and_b32 s16, s28, exec_lo
	v_mov_b32_e32 v1, v2
	s_or_b32 s25, s13, s14
	s_or_b32 s24, s15, s16
	s_and_b32 s29, s27, exec_lo
.LBB91_405:                             ;   in Loop: Header=BB91_15 Depth=1
	s_or_b32 exec_lo, exec_lo, s26
	s_orn2_b32 s26, s29, exec_lo
.LBB91_406:                             ;   in Loop: Header=BB91_15 Depth=1
	s_or_b32 exec_lo, exec_lo, s17
	s_andn2_b32 s13, s21, exec_lo
	s_and_b32 s14, s25, exec_lo
	s_andn2_b32 s15, s18, exec_lo
	s_and_b32 s16, s24, exec_lo
	v_mov_b32_e32 v32, v1
	s_or_b32 s21, s13, s14
	s_or_b32 s18, s15, s16
	s_and_b32 s26, s26, exec_lo
.LBB91_407:                             ;   in Loop: Header=BB91_15 Depth=1
	s_or_b32 exec_lo, exec_lo, s23
	s_orn2_b32 s23, s26, exec_lo
.LBB91_408:                             ;   in Loop: Header=BB91_15 Depth=1
	s_or_b32 exec_lo, exec_lo, s10
	s_mov_b32 s10, s19
	s_mov_b32 s13, s11
	s_and_saveexec_b32 s14, s23
; %bb.409:                              ;   in Loop: Header=BB91_15 Depth=1
	v_cmp_ne_u32_e32 vcc_lo, 5, v3
	v_cmp_eq_u32_e64 s10, 5, v3
	s_andn2_b32 s13, s11, exec_lo
	s_andn2_b32 s15, s19, exec_lo
	s_and_b32 s16, vcc_lo, exec_lo
	s_and_b32 s10, s10, exec_lo
	s_or_b32 s13, s13, s16
	s_or_b32 s10, s15, s10
; %bb.410:                              ;   in Loop: Header=BB91_15 Depth=1
	s_or_b32 exec_lo, exec_lo, s14
	s_andn2_b32 s14, s22, exec_lo
	s_and_b32 s15, s21, exec_lo
	s_andn2_b32 s12, s12, exec_lo
	s_and_b32 s16, s18, exec_lo
	s_or_b32 s22, s14, s15
	s_andn2_b32 s11, s11, exec_lo
	s_and_b32 s13, s13, exec_lo
	s_andn2_b32 s14, s19, exec_lo
	s_and_b32 s10, s10, exec_lo
	s_or_b32 s12, s12, s16
	s_or_b32 s11, s11, s13
	;; [unrolled: 1-line block ×3, first 2 shown]
.LBB91_411:                             ;   in Loop: Header=BB91_15 Depth=1
	s_or_b32 exec_lo, exec_lo, s20
	s_mov_b32 s20, 0
	s_mov_b32 s21, 0
	s_and_saveexec_b32 s10, s19
.LBB91_412:                             ;   in Loop: Header=BB91_15 Depth=1
	v_mov_b32_e32 v3, 0
	s_or_b32 s11, s11, exec_lo
.LBB91_413:                             ;   in Loop: Header=BB91_15 Depth=1
	s_or_b32 exec_lo, exec_lo, s10
	s_andn2_b32 s10, s76, exec_lo
	s_and_b32 s14, s22, exec_lo
	s_andn2_b32 s15, s74, exec_lo
	s_and_b32 s12, s12, exec_lo
	v_mov_b32_e32 v30, v32
	s_or_b32 s76, s10, s14
	s_or_b32 s74, s15, s12
	s_andn2_b32 s10, s78, exec_lo
	s_and_b32 s12, s21, exec_lo
	s_andn2_b32 s14, s77, exec_lo
	s_and_b32 s15, s20, exec_lo
	s_mov_b32 s13, -1
	s_andn2_b32 s75, s75, exec_lo
	s_or_b32 s78, s10, s12
	s_or_b32 s77, s14, s15
	s_and_saveexec_b32 s10, s11
	s_xor_b32 s10, exec_lo, s10
	s_cbranch_execz .LBB91_14
; %bb.414:                              ;   in Loop: Header=BB91_15 Depth=1
	s_mov_b32 s11, -1
	s_mov_b32 s12, -1
	s_mov_b32 s13, exec_lo
	v_cmpx_eq_u32_e32 0, v3
	s_cbranch_execz .LBB91_13
; %bb.415:                              ;   in Loop: Header=BB91_15 Depth=1
	s_xor_b32 s68, s68, 1
	s_add_i32 s14, s72, -2
	s_cmp_eq_u32 s72, 0
	s_mov_b32 s72, s14
	s_cselect_b32 s11, -1, 0
	s_xor_b32 s12, exec_lo, -1
	s_orn2_b32 s11, s11, exec_lo
	s_branch .LBB91_13
.LBB91_416:
	s_or_b32 exec_lo, exec_lo, s47
	s_xor_b32 s9, s73, -1
	s_xor_b32 s12, s70, -1
	;; [unrolled: 1-line block ×5, first 2 shown]
	s_mov_b32 s7, 0
	s_and_saveexec_b32 s8, s6
	s_xor_b32 s6, exec_lo, s8
	s_cbranch_execnz .LBB91_421
; %bb.417:
	s_andn2_saveexec_b32 s0, s6
	s_cbranch_execnz .LBB91_440
.LBB91_418:
	s_or_b32 exec_lo, exec_lo, s0
	s_and_saveexec_b32 s0, s7
.LBB91_419:
	; divergent unreachable
.LBB91_420:
	s_endpgm
.LBB91_421:
	s_mov_b32 s8, 0
	s_and_saveexec_b32 s7, s11
	s_xor_b32 s7, exec_lo, s7
	s_cbranch_execz .LBB91_438
; %bb.422:
	s_mov_b32 s11, 0
	s_and_saveexec_b32 s8, s12
	s_xor_b32 s8, exec_lo, s8
	s_cbranch_execz .LBB91_436
; %bb.423:
	s_and_saveexec_b32 s12, s9
	s_xor_b32 s9, exec_lo, s12
	s_cbranch_execz .LBB91_434
; %bb.424:
	s_and_saveexec_b32 s11, s10
	s_xor_b32 s10, exec_lo, s11
; %bb.425:
	v_cmp_lt_i32_e32 vcc_lo, -1, v22
	v_cndmask_b32_e64 v1, 0x80000000, -1, vcc_lo
	v_xor_b32_e32 v15, v1, v22
; %bb.426:
	s_or_b32 exec_lo, exec_lo, s10
	s_and_saveexec_b32 s10, s3
; %bb.427:
	v_mov_b32_e32 v1, 0
	ds_write_b32 v1, v1 offset:4108
; %bb.428:
	s_or_b32 exec_lo, exec_lo, s10
	v_mov_b32_e32 v8, 0
	s_waitcnt lgkmcnt(0)
	s_barrier
	buffer_gl0_inv
	s_and_saveexec_b32 s3, s2
	s_cbranch_execz .LBB91_430
; %bb.429:
	global_load_dword v8, v[5:6], off
.LBB91_430:
	s_or_b32 exec_lo, exec_lo, s3
	v_cmp_lt_i32_e32 vcc_lo, -1, v15
	s_clause 0x1
	s_load_dword s10, s[4:5], 0x1c8
	s_load_dword s11, s[4:5], 0x2a8
	s_mul_i32 s3, s50, s49
	s_mov_b32 s5, 0
	s_add_i32 s4, s3, s35
	v_cndmask_b32_e64 v1, -1, 0x80000000, vcc_lo
	v_cmp_o_f32_e32 vcc_lo, v15, v15
	s_add_i32 s12, s36, 31
	s_mul_i32 s3, s46, s48
	s_lshl_b64 s[14:15], s[4:5], 2
	v_xor_b32_e32 v1, v1, v15
	s_andn2_b32 s12, s12, 31
	s_add_i32 s16, s3, s41
	s_mov_b32 s17, s5
	s_add_u32 s13, s44, s14
	v_cndmask_b32_e32 v7, -1, v1, vcc_lo
	s_addc_u32 s14, s45, s15
	s_lshl_b64 s[16:17], s[16:17], 3
	v_cmp_gt_u32_e32 vcc_lo, s12, v0
	s_add_u32 s15, s42, s16
	s_mov_b32 s18, -1
	s_addc_u32 s16, s43, s17
	s_mov_b32 s3, 0
	s_and_saveexec_b32 s17, vcc_lo
	s_cbranch_execnz .LBB91_441
; %bb.431:
	s_or_b32 exec_lo, exec_lo, s17
	s_and_saveexec_b32 s4, s18
	s_cbranch_execnz .LBB91_458
.LBB91_432:
	s_or_b32 exec_lo, exec_lo, s4
	s_and_saveexec_b32 s0, s3
	s_xor_b32 s0, exec_lo, s0
	s_cbranch_execnz .LBB91_481
.LBB91_433:
	s_or_b32 exec_lo, exec_lo, s0
	s_waitcnt lgkmcnt(0)
	s_and_b32 s11, s5, exec_lo
.LBB91_434:
	s_andn2_saveexec_b32 s0, s9
	s_cbranch_execnz .LBB91_483
.LBB91_435:
	s_or_b32 exec_lo, exec_lo, s0
	s_and_b32 s11, s11, exec_lo
.LBB91_436:
	s_andn2_saveexec_b32 s0, s8
	s_cbranch_execnz .LBB91_482
.LBB91_437:
	s_or_b32 exec_lo, exec_lo, s0
	s_and_b32 s8, s11, exec_lo
.LBB91_438:
	s_andn2_saveexec_b32 s0, s7
	s_cbranch_execnz .LBB91_477
.LBB91_439:
	s_or_b32 exec_lo, exec_lo, s0
	s_and_b32 s7, s8, exec_lo
	s_andn2_saveexec_b32 s0, s6
	s_cbranch_execz .LBB91_418
.LBB91_440:
	s_or_b32 s7, s7, exec_lo
	s_trap 2
	s_or_b32 exec_lo, exec_lo, s0
	s_and_saveexec_b32 s0, s7
	s_cbranch_execnz .LBB91_419
	s_branch .LBB91_420
.LBB91_441:
	v_add_nc_u32_e32 v1, s34, v0
	v_mov_b32_e32 v2, 0
	v_mov_b32_e32 v3, v0
	s_mov_b32 s18, 0
                                        ; implicit-def: $sgpr19
                                        ; implicit-def: $vgpr10
	v_mul_lo_u32 v1, s30, v1
	s_branch .LBB91_443
.LBB91_442:                             ;   in Loop: Header=BB91_443 Depth=1
	s_or_b32 exec_lo, exec_lo, s21
	s_xor_b32 s3, s20, -1
	s_and_b32 s4, exec_lo, s4
	s_waitcnt vmcnt(0)
	v_mov_b32_e32 v8, v11
	s_or_b32 s18, s4, s18
	v_mov_b32_e32 v3, v9
	s_andn2_b32 s4, s19, exec_lo
	s_and_b32 s3, s3, exec_lo
	s_or_b32 s19, s4, s3
	s_andn2_b32 exec_lo, exec_lo, s18
	s_cbranch_execz .LBB91_457
.LBB91_443:                             ; =>This Inner Loop Header: Depth=1
	v_add_nc_u32_e32 v9, s34, v3
	v_mov_b32_e32 v11, 0
	s_mov_b32 s4, exec_lo
	v_cmpx_gt_u32_e64 s36, v9
	s_cbranch_execz .LBB91_445
; %bb.444:                              ;   in Loop: Header=BB91_443 Depth=1
	v_lshlrev_b64 v[11:12], 2, v[1:2]
	v_add_co_u32 v11, s3, s31, v11
	v_add_co_ci_u32_e64 v12, null, s33, v12, s3
	global_load_dword v11, v[11:12], off
.LBB91_445:                             ;   in Loop: Header=BB91_443 Depth=1
	s_or_b32 exec_lo, exec_lo, s4
	s_mov_b32 s20, 0
	s_mov_b32 s4, exec_lo
	v_cmpx_gt_u32_e64 s36, v3
	s_cbranch_execz .LBB91_447
; %bb.446:                              ;   in Loop: Header=BB91_443 Depth=1
	s_waitcnt vmcnt(0)
	v_cmp_lt_i32_e64 s3, -1, v8
	v_cndmask_b32_e64 v4, -1, 0x80000000, s3
	v_cmp_o_f32_e64 s3, v8, v8
	v_xor_b32_e32 v4, v4, v8
	v_cndmask_b32_e64 v4, -1, v4, s3
	v_cmp_gt_u32_e64 s3, v4, v7
	v_cndmask_b32_e64 v12, 0, 1, s3
	v_cmp_lt_u32_e64 s3, v4, v7
	v_cndmask_b32_e64 v4, 0, 1, s3
	v_cndmask_b32_e64 v4, v4, v12, s1
	v_and_b32_e32 v4, 1, v4
	v_cmp_eq_u32_e64 s3, 1, v4
	s_and_b32 s20, s3, exec_lo
.LBB91_447:                             ;   in Loop: Header=BB91_443 Depth=1
	s_or_b32 exec_lo, exec_lo, s4
	v_cndmask_b32_e64 v4, 0, 1, s20
	v_cmp_ne_u32_e64 s3, 0, v4
	s_cmp_lg_u32 s3, 0
	s_cselect_b32 s4, -1, 0
	s_and_b32 s4, s0, s4
	s_and_saveexec_b32 s21, s4
	s_cbranch_execz .LBB91_451
; %bb.448:                              ;   in Loop: Header=BB91_443 Depth=1
	s_mov_b32 s24, exec_lo
	s_bcnt1_i32_b32 s22, s3
	v_mbcnt_lo_u32_b32 v4, s24, 0
	s_mov_b32 s23, exec_lo
                                        ; implicit-def: $vgpr10
	v_cmpx_eq_u32_e32 0, v4
	s_cbranch_execz .LBB91_450
; %bb.449:                              ;   in Loop: Header=BB91_443 Depth=1
	s_bcnt1_i32_b32 s4, s24
	s_mul_i32 s4, s22, s4
	s_waitcnt lgkmcnt(0)
	v_mov_b32_e32 v10, s4
	ds_add_rtn_u32 v10, v2, v10 offset:4108
.LBB91_450:                             ;   in Loop: Header=BB91_443 Depth=1
	s_or_b32 exec_lo, exec_lo, s23
	s_waitcnt lgkmcnt(0)
	v_readfirstlane_b32 s4, v10
	v_mad_u32_u24 v10, s22, v4, s4
.LBB91_451:                             ;   in Loop: Header=BB91_443 Depth=1
	s_or_b32 exec_lo, exec_lo, s21
	s_waitcnt lgkmcnt(0)
	ds_bpermute_b32 v10, v2, v10
	s_mov_b32 s4, -1
	s_mov_b32 s22, -1
	s_and_saveexec_b32 s21, s20
	s_cbranch_execz .LBB91_455
; %bb.452:                              ;   in Loop: Header=BB91_443 Depth=1
	v_and_b32_e32 v4, s3, v16
	s_mov_b32 s20, 0
	s_mov_b32 s22, exec_lo
	s_waitcnt lgkmcnt(0)
	v_bcnt_u32_b32 v4, v4, v10
	v_cmpx_gt_u32_e64 s37, v4
	s_cbranch_execz .LBB91_454
; %bb.453:                              ;   in Loop: Header=BB91_443 Depth=1
	v_mul_lo_u32 v12, v4, s10
	v_mul_lo_u32 v14, v4, s11
	v_mov_b32_e32 v13, v2
	v_mov_b32_e32 v15, v2
	;; [unrolled: 1-line block ×3, first 2 shown]
	s_mov_b32 s20, exec_lo
	v_lshlrev_b64 v[12:13], 2, v[12:13]
	v_lshlrev_b64 v[14:15], 3, v[14:15]
	v_add_co_u32 v12, s3, s13, v12
	v_add_co_ci_u32_e64 v13, null, s14, v13, s3
	v_add_co_u32 v14, s3, s15, v14
	v_add_co_ci_u32_e64 v15, null, s16, v15, s3
	s_waitcnt vmcnt(0)
	global_store_dword v[12:13], v8, off
	global_store_dwordx2 v[14:15], v[3:4], off
.LBB91_454:                             ;   in Loop: Header=BB91_443 Depth=1
	s_or_b32 exec_lo, exec_lo, s22
	s_orn2_b32 s22, s20, exec_lo
.LBB91_455:                             ;   in Loop: Header=BB91_443 Depth=1
	s_or_b32 exec_lo, exec_lo, s21
	s_mov_b32 s20, -1
	s_and_saveexec_b32 s21, s22
	s_cbranch_execz .LBB91_442
; %bb.456:                              ;   in Loop: Header=BB91_443 Depth=1
	v_cmp_le_u32_e64 s3, s12, v9
	v_add_nc_u32_e32 v1, s40, v1
	s_xor_b32 s20, exec_lo, -1
	s_orn2_b32 s4, s3, exec_lo
	s_branch .LBB91_442
.LBB91_457:
	s_or_b32 exec_lo, exec_lo, s18
	s_mov_b32 s3, exec_lo
	s_orn2_b32 s18, s19, exec_lo
	s_or_b32 exec_lo, exec_lo, s17
	s_and_saveexec_b32 s4, s18
	s_cbranch_execz .LBB91_432
.LBB91_458:
	s_waitcnt vmcnt(0)
	v_mov_b32_e32 v8, 0
	s_waitcnt lgkmcnt(0)
	s_waitcnt_vscnt null, 0x0
	s_barrier
	buffer_gl0_inv
	s_and_saveexec_b32 s1, s2
	s_cbranch_execz .LBB91_460
; %bb.459:
	global_load_dword v8, v[5:6], off
.LBB91_460:
	s_or_b32 exec_lo, exec_lo, s1
	s_mov_b32 s1, 0
	s_and_saveexec_b32 s2, vcc_lo
	s_cbranch_execz .LBB91_480
; %bb.461:
	v_add_nc_u32_e32 v1, s34, v0
	v_mov_b32_e32 v3, 0
	s_mov_b32 s5, 0
                                        ; implicit-def: $sgpr17
                                        ; implicit-def: $vgpr5
	v_mul_lo_u32 v2, s30, v1
	s_branch .LBB91_464
.LBB91_462:                             ;   in Loop: Header=BB91_464 Depth=1
	s_or_b32 exec_lo, exec_lo, s19
	s_orn2_b32 s20, s21, exec_lo
	s_orn2_b32 s18, s18, exec_lo
.LBB91_463:                             ;   in Loop: Header=BB91_464 Depth=1
	s_or_b32 exec_lo, exec_lo, s1
	s_xor_b32 s1, s20, -1
	s_and_b32 s18, exec_lo, s18
	v_mov_b32_e32 v0, v4
	s_or_b32 s5, s18, s5
	v_mov_b32_e32 v8, v6
	s_andn2_b32 s17, s17, exec_lo
	s_and_b32 s1, s1, exec_lo
	s_or_b32 s17, s17, s1
	s_andn2_b32 exec_lo, exec_lo, s5
	s_cbranch_execz .LBB91_478
.LBB91_464:                             ; =>This Inner Loop Header: Depth=1
	v_add_nc_u32_e32 v4, s34, v0
	v_mov_b32_e32 v6, 0
	s_mov_b32 s1, exec_lo
	v_cmpx_gt_u32_e64 s36, v4
	s_cbranch_execz .LBB91_466
; %bb.465:                              ;   in Loop: Header=BB91_464 Depth=1
	v_lshlrev_b64 v[9:10], 2, v[2:3]
	v_add_co_u32 v9, vcc_lo, s31, v9
	v_add_co_ci_u32_e64 v10, null, s33, v10, vcc_lo
	global_load_dword v6, v[9:10], off
.LBB91_466:                             ;   in Loop: Header=BB91_464 Depth=1
	s_or_b32 exec_lo, exec_lo, s1
	s_waitcnt vmcnt(0)
	v_cmp_lt_i32_e32 vcc_lo, -1, v8
	v_cndmask_b32_e64 v1, -1, 0x80000000, vcc_lo
	v_cmp_o_f32_e32 vcc_lo, v8, v8
	v_xor_b32_e32 v1, v1, v8
	v_cndmask_b32_e32 v1, -1, v1, vcc_lo
	v_cmp_gt_u32_e32 vcc_lo, s36, v0
	v_cmp_eq_u32_e64 s1, v1, v7
	s_and_b32 s19, vcc_lo, s1
	v_cndmask_b32_e64 v1, 0, 1, s19
	v_cmp_ne_u32_e32 vcc_lo, 0, v1
	s_cmp_lg_u32 vcc_lo, 0
	s_cselect_b32 s1, -1, 0
	s_and_b32 s1, s0, s1
	s_and_saveexec_b32 s18, s1
	s_cbranch_execz .LBB91_470
; %bb.467:                              ;   in Loop: Header=BB91_464 Depth=1
	s_mov_b32 s22, exec_lo
	s_bcnt1_i32_b32 s20, vcc_lo
	v_mbcnt_lo_u32_b32 v1, s22, 0
	s_mov_b32 s21, exec_lo
                                        ; implicit-def: $vgpr5
	v_cmpx_eq_u32_e32 0, v1
; %bb.468:                              ;   in Loop: Header=BB91_464 Depth=1
	s_bcnt1_i32_b32 s1, s22
	s_mul_i32 s1, s20, s1
	v_mov_b32_e32 v5, s1
	ds_add_rtn_u32 v5, v3, v5 offset:4108
; %bb.469:                              ;   in Loop: Header=BB91_464 Depth=1
	s_or_b32 exec_lo, exec_lo, s21
	s_waitcnt lgkmcnt(0)
	v_readfirstlane_b32 s1, v5
	v_mad_u32_u24 v5, s20, v1, s1
.LBB91_470:                             ;   in Loop: Header=BB91_464 Depth=1
	s_or_b32 exec_lo, exec_lo, s18
	ds_bpermute_b32 v5, v3, v5
	s_cmp_eq_u32 vcc_lo, 0
	s_mov_b32 s18, -1
	s_cselect_b32 s20, -1, 0
	s_waitcnt lgkmcnt(0)
	v_cmp_gt_u32_e64 s1, s37, v5
	s_or_b32 s21, s20, s1
	s_mov_b32 s20, -1
	s_and_saveexec_b32 s1, s21
	s_cbranch_execz .LBB91_463
; %bb.471:                              ;   in Loop: Header=BB91_464 Depth=1
	v_and_b32_e32 v1, vcc_lo, v16
	v_sub_nc_u32_e32 v9, s37, v5
	s_mov_b32 s21, -1
	v_bcnt_u32_b32 v1, v1, 0
	v_bcnt_u32_b32 v1, 0, v1
	v_cmp_gt_u32_e32 vcc_lo, v9, v1
	s_and_b32 s22, s19, vcc_lo
	s_and_saveexec_b32 s19, s22
	s_cbranch_execz .LBB91_475
; %bb.472:                              ;   in Loop: Header=BB91_464 Depth=1
	v_add_nc_u32_e32 v1, v5, v1
	s_mov_b32 s20, 0
	s_mov_b32 s21, exec_lo
	v_cmpx_gt_u32_e64 s37, v1
; %bb.473:                              ;   in Loop: Header=BB91_464 Depth=1
	v_mul_lo_u32 v9, v1, s10
	v_mul_lo_u32 v11, v1, s11
	v_mov_b32_e32 v10, v3
	v_mov_b32_e32 v12, v3
	v_mov_b32_e32 v1, v3
	s_mov_b32 s20, exec_lo
	v_lshlrev_b64 v[9:10], 2, v[9:10]
	v_lshlrev_b64 v[11:12], 3, v[11:12]
	v_add_co_u32 v9, vcc_lo, s13, v9
	v_add_co_ci_u32_e64 v10, null, s14, v10, vcc_lo
	v_add_co_u32 v11, vcc_lo, s15, v11
	v_add_co_ci_u32_e64 v12, null, s16, v12, vcc_lo
	global_store_dword v[9:10], v8, off
	global_store_dwordx2 v[11:12], v[0:1], off
; %bb.474:                              ;   in Loop: Header=BB91_464 Depth=1
	s_or_b32 exec_lo, exec_lo, s21
	s_xor_b32 s21, exec_lo, -1
	s_orn2_b32 s20, s20, exec_lo
.LBB91_475:                             ;   in Loop: Header=BB91_464 Depth=1
	s_or_b32 exec_lo, exec_lo, s19
	s_and_saveexec_b32 s19, s20
	s_cbranch_execz .LBB91_462
; %bb.476:                              ;   in Loop: Header=BB91_464 Depth=1
	v_cmp_le_u32_e32 vcc_lo, s12, v4
	v_add_nc_u32_e32 v2, s40, v2
	s_or_b32 s21, s21, exec_lo
	s_orn2_b32 s18, vcc_lo, exec_lo
	s_branch .LBB91_462
.LBB91_477:
	s_or_b32 s8, s8, exec_lo
	s_trap 2
	s_branch .LBB91_439
.LBB91_478:
	s_or_b32 exec_lo, exec_lo, s5
	s_mov_b32 s0, 0
	s_and_saveexec_b32 s1, s17
	s_xor_b32 s1, exec_lo, s1
	s_cbranch_execnz .LBB91_484
.LBB91_479:
	s_or_b32 exec_lo, exec_lo, s1
	s_and_b32 s1, s0, exec_lo
.LBB91_480:
	s_or_b32 exec_lo, exec_lo, s2
	s_and_b32 s5, s1, exec_lo
	s_andn2_b32 s3, s3, exec_lo
	s_or_b32 exec_lo, exec_lo, s4
	s_and_saveexec_b32 s0, s3
	s_xor_b32 s0, exec_lo, s0
	s_cbranch_execz .LBB91_433
.LBB91_481:
	s_or_b32 s5, s5, exec_lo
	s_trap 2
	s_branch .LBB91_433
.LBB91_482:
	s_or_b32 s11, s11, exec_lo
	s_trap 2
	s_branch .LBB91_437
.LBB91_483:
	s_or_b32 s11, s11, exec_lo
	s_trap 2
	s_branch .LBB91_435
.LBB91_484:
	s_mov_b32 s0, exec_lo
	s_trap 2
	s_branch .LBB91_479
	.section	.rodata,"a",@progbits
	.p2align	6, 0x0
	.amdhsa_kernel _ZN2at6native6sbtopk10gatherTopKIfjLin1ELb0EEEvNS_4cuda6detail10TensorInfoIKT_T0_EES8_S8_bS8_S8_NS5_IS6_S8_EES8_NS5_IlS8_EES8_PS6_
		.amdhsa_group_segment_fixed_size 4112
		.amdhsa_private_segment_fixed_size 0
		.amdhsa_kernarg_size 952
		.amdhsa_user_sgpr_count 6
		.amdhsa_user_sgpr_private_segment_buffer 1
		.amdhsa_user_sgpr_dispatch_ptr 0
		.amdhsa_user_sgpr_queue_ptr 0
		.amdhsa_user_sgpr_kernarg_segment_ptr 1
		.amdhsa_user_sgpr_dispatch_id 0
		.amdhsa_user_sgpr_flat_scratch_init 0
		.amdhsa_user_sgpr_private_segment_size 0
		.amdhsa_wavefront_size32 1
		.amdhsa_uses_dynamic_stack 0
		.amdhsa_system_sgpr_private_segment_wavefront_offset 0
		.amdhsa_system_sgpr_workgroup_id_x 1
		.amdhsa_system_sgpr_workgroup_id_y 1
		.amdhsa_system_sgpr_workgroup_id_z 1
		.amdhsa_system_sgpr_workgroup_info 0
		.amdhsa_system_vgpr_workitem_id 0
		.amdhsa_next_free_vgpr 43
		.amdhsa_next_free_sgpr 92
		.amdhsa_reserve_vcc 1
		.amdhsa_reserve_flat_scratch 0
		.amdhsa_float_round_mode_32 0
		.amdhsa_float_round_mode_16_64 0
		.amdhsa_float_denorm_mode_32 3
		.amdhsa_float_denorm_mode_16_64 3
		.amdhsa_dx10_clamp 1
		.amdhsa_ieee_mode 1
		.amdhsa_fp16_overflow 0
		.amdhsa_workgroup_processor_mode 1
		.amdhsa_memory_ordered 1
		.amdhsa_forward_progress 1
		.amdhsa_shared_vgpr_count 0
		.amdhsa_exception_fp_ieee_invalid_op 0
		.amdhsa_exception_fp_denorm_src 0
		.amdhsa_exception_fp_ieee_div_zero 0
		.amdhsa_exception_fp_ieee_overflow 0
		.amdhsa_exception_fp_ieee_underflow 0
		.amdhsa_exception_fp_ieee_inexact 0
		.amdhsa_exception_int_div_zero 0
	.end_amdhsa_kernel
	.section	.text._ZN2at6native6sbtopk10gatherTopKIfjLin1ELb0EEEvNS_4cuda6detail10TensorInfoIKT_T0_EES8_S8_bS8_S8_NS5_IS6_S8_EES8_NS5_IlS8_EES8_PS6_,"axG",@progbits,_ZN2at6native6sbtopk10gatherTopKIfjLin1ELb0EEEvNS_4cuda6detail10TensorInfoIKT_T0_EES8_S8_bS8_S8_NS5_IS6_S8_EES8_NS5_IlS8_EES8_PS6_,comdat
.Lfunc_end91:
	.size	_ZN2at6native6sbtopk10gatherTopKIfjLin1ELb0EEEvNS_4cuda6detail10TensorInfoIKT_T0_EES8_S8_bS8_S8_NS5_IS6_S8_EES8_NS5_IlS8_EES8_PS6_, .Lfunc_end91-_ZN2at6native6sbtopk10gatherTopKIfjLin1ELb0EEEvNS_4cuda6detail10TensorInfoIKT_T0_EES8_S8_bS8_S8_NS5_IS6_S8_EES8_NS5_IlS8_EES8_PS6_
                                        ; -- End function
	.set _ZN2at6native6sbtopk10gatherTopKIfjLin1ELb0EEEvNS_4cuda6detail10TensorInfoIKT_T0_EES8_S8_bS8_S8_NS5_IS6_S8_EES8_NS5_IlS8_EES8_PS6_.num_vgpr, 43
	.set _ZN2at6native6sbtopk10gatherTopKIfjLin1ELb0EEEvNS_4cuda6detail10TensorInfoIKT_T0_EES8_S8_bS8_S8_NS5_IS6_S8_EES8_NS5_IlS8_EES8_PS6_.num_agpr, 0
	.set _ZN2at6native6sbtopk10gatherTopKIfjLin1ELb0EEEvNS_4cuda6detail10TensorInfoIKT_T0_EES8_S8_bS8_S8_NS5_IS6_S8_EES8_NS5_IlS8_EES8_PS6_.numbered_sgpr, 92
	.set _ZN2at6native6sbtopk10gatherTopKIfjLin1ELb0EEEvNS_4cuda6detail10TensorInfoIKT_T0_EES8_S8_bS8_S8_NS5_IS6_S8_EES8_NS5_IlS8_EES8_PS6_.num_named_barrier, 0
	.set _ZN2at6native6sbtopk10gatherTopKIfjLin1ELb0EEEvNS_4cuda6detail10TensorInfoIKT_T0_EES8_S8_bS8_S8_NS5_IS6_S8_EES8_NS5_IlS8_EES8_PS6_.private_seg_size, 0
	.set _ZN2at6native6sbtopk10gatherTopKIfjLin1ELb0EEEvNS_4cuda6detail10TensorInfoIKT_T0_EES8_S8_bS8_S8_NS5_IS6_S8_EES8_NS5_IlS8_EES8_PS6_.uses_vcc, 1
	.set _ZN2at6native6sbtopk10gatherTopKIfjLin1ELb0EEEvNS_4cuda6detail10TensorInfoIKT_T0_EES8_S8_bS8_S8_NS5_IS6_S8_EES8_NS5_IlS8_EES8_PS6_.uses_flat_scratch, 0
	.set _ZN2at6native6sbtopk10gatherTopKIfjLin1ELb0EEEvNS_4cuda6detail10TensorInfoIKT_T0_EES8_S8_bS8_S8_NS5_IS6_S8_EES8_NS5_IlS8_EES8_PS6_.has_dyn_sized_stack, 0
	.set _ZN2at6native6sbtopk10gatherTopKIfjLin1ELb0EEEvNS_4cuda6detail10TensorInfoIKT_T0_EES8_S8_bS8_S8_NS5_IS6_S8_EES8_NS5_IlS8_EES8_PS6_.has_recursion, 0
	.set _ZN2at6native6sbtopk10gatherTopKIfjLin1ELb0EEEvNS_4cuda6detail10TensorInfoIKT_T0_EES8_S8_bS8_S8_NS5_IS6_S8_EES8_NS5_IlS8_EES8_PS6_.has_indirect_call, 0
	.section	.AMDGPU.csdata,"",@progbits
; Kernel info:
; codeLenInByte = 15180
; TotalNumSgprs: 94
; NumVgprs: 43
; ScratchSize: 0
; MemoryBound: 0
; FloatMode: 240
; IeeeMode: 1
; LDSByteSize: 4112 bytes/workgroup (compile time only)
; SGPRBlocks: 0
; VGPRBlocks: 5
; NumSGPRsForWavesPerEU: 94
; NumVGPRsForWavesPerEU: 43
; Occupancy: 16
; WaveLimiterHint : 1
; COMPUTE_PGM_RSRC2:SCRATCH_EN: 0
; COMPUTE_PGM_RSRC2:USER_SGPR: 6
; COMPUTE_PGM_RSRC2:TRAP_HANDLER: 0
; COMPUTE_PGM_RSRC2:TGID_X_EN: 1
; COMPUTE_PGM_RSRC2:TGID_Y_EN: 1
; COMPUTE_PGM_RSRC2:TGID_Z_EN: 1
; COMPUTE_PGM_RSRC2:TIDIG_COMP_CNT: 0
	.section	.text._ZN2at6native6mbtopk23computeBlockDigitCountsIN3c104HalfEjjLi1EEEvNS_4cuda6detail10TensorInfoIKT_T0_EEjPjjSA_iijT1_PSD_Ps,"axG",@progbits,_ZN2at6native6mbtopk23computeBlockDigitCountsIN3c104HalfEjjLi1EEEvNS_4cuda6detail10TensorInfoIKT_T0_EEjPjjSA_iijT1_PSD_Ps,comdat
	.protected	_ZN2at6native6mbtopk23computeBlockDigitCountsIN3c104HalfEjjLi1EEEvNS_4cuda6detail10TensorInfoIKT_T0_EEjPjjSA_iijT1_PSD_Ps ; -- Begin function _ZN2at6native6mbtopk23computeBlockDigitCountsIN3c104HalfEjjLi1EEEvNS_4cuda6detail10TensorInfoIKT_T0_EEjPjjSA_iijT1_PSD_Ps
	.globl	_ZN2at6native6mbtopk23computeBlockDigitCountsIN3c104HalfEjjLi1EEEvNS_4cuda6detail10TensorInfoIKT_T0_EEjPjjSA_iijT1_PSD_Ps
	.p2align	8
	.type	_ZN2at6native6mbtopk23computeBlockDigitCountsIN3c104HalfEjjLi1EEEvNS_4cuda6detail10TensorInfoIKT_T0_EEjPjjSA_iijT1_PSD_Ps,@function
_ZN2at6native6mbtopk23computeBlockDigitCountsIN3c104HalfEjjLi1EEEvNS_4cuda6detail10TensorInfoIKT_T0_EEjPjjSA_iijT1_PSD_Ps: ; @_ZN2at6native6mbtopk23computeBlockDigitCountsIN3c104HalfEjjLi1EEEvNS_4cuda6detail10TensorInfoIKT_T0_EEjPjjSA_iijT1_PSD_Ps
; %bb.0:
	s_clause 0x2
	s_load_dwordx2 s[10:11], s[4:5], 0xf8
	s_load_dwordx4 s[12:15], s[4:5], 0xe8
	s_load_dwordx2 s[0:1], s[4:5], 0x110
	s_waitcnt lgkmcnt(0)
	v_cvt_f32_u32_e32 v1, s10
	s_sub_i32 s3, 0, s10
	s_mul_i32 s1, s1, s8
	s_add_i32 s1, s1, s7
	v_rcp_iflag_f32_e32 v1, v1
	s_mul_i32 s16, s1, s0
	s_mov_b32 s7, 0
	s_add_i32 s16, s16, s6
	v_mul_f32_e32 v1, 0x4f7ffffe, v1
	v_cvt_u32_f32_e32 v1, v1
	v_readfirstlane_b32 s2, v1
	s_mul_i32 s3, s3, s2
	s_mul_hi_u32 s0, s2, s3
	s_add_i32 s2, s2, s0
	s_mul_hi_u32 s0, s16, s2
	s_mul_i32 s1, s0, s10
	s_add_i32 s2, s0, 1
	s_sub_i32 s1, s16, s1
	s_sub_i32 s3, s1, s10
	s_cmp_ge_u32 s1, s10
	s_cselect_b32 s0, s2, s0
	s_cselect_b32 s1, s3, s1
	s_add_i32 s2, s0, 1
	s_cmp_ge_u32 s1, s10
	s_cselect_b32 s6, s2, s0
	s_cmp_ge_u32 s6, s12
	s_cbranch_scc1 .LBB92_27
; %bb.1:
	s_load_dwordx4 s[0:3], s[4:5], 0x100
	s_lshl_b64 s[8:9], s[6:7], 2
	v_cmp_gt_u32_e32 vcc_lo, 0x100, v0
	v_lshlrev_b32_e32 v3, 2, v0
	s_waitcnt lgkmcnt(0)
	s_add_u32 s8, s0, s8
	s_addc_u32 s9, s1, s9
	s_and_saveexec_b32 s0, vcc_lo
; %bb.2:
	v_mov_b32_e32 v1, 0
	ds_write_b32 v3, v1
; %bb.3:
	s_or_b32 exec_lo, exec_lo, s0
	s_load_dword s7, s[4:5], 0xd8
	s_mul_i32 s0, s6, s10
	s_waitcnt lgkmcnt(0)
	s_sub_i32 s0, s16, s0
	s_barrier
	s_mul_i32 s1, s15, s0
	s_add_i32 s17, s0, 1
	s_lshl_b32 s12, s1, 8
	buffer_gl0_inv
	s_sub_i32 s1, s7, s12
	s_add_u32 s0, s1, 0xff
	s_addc_u32 s1, 0, 0
	s_lshr_b64 s[0:1], s[0:1], 8
	s_cmp_lt_u32 s17, s10
	s_mov_b32 s1, 0
	s_cselect_b32 s10, s15, s0
	s_cmp_lt_i32 s10, 1
	s_cbranch_scc1 .LBB92_25
; %bb.4:
	s_clause 0x1
	s_load_dword s0, s[4:5], 0x6c
	s_load_dwordx2 s[18:19], s[4:5], 0x0
	s_load_dword s4, s[8:9], 0x0
	s_waitcnt lgkmcnt(0)
	s_mul_i32 s0, s0, s6
	s_lshl_b64 s[8:9], s[0:1], 1
	s_add_u32 s5, s18, s8
	s_addc_u32 s6, s19, s9
	s_and_b32 s8, s14, 0xff
	s_cmp_lt_u32 s10, 4
	s_cbranch_scc1 .LBB92_19
; %bb.5:
	v_add_nc_u32_e32 v1, s12, v0
	v_mov_b32_e32 v9, 1
	v_mov_b32_e32 v10, 0x8000
	s_and_b32 s1, s10, 0x7ffffffc
	s_lshl_b32 s9, s13, 10
	v_add_nc_u32_e32 v4, 0x300, v1
	v_add_nc_u32_e32 v2, 0x200, v1
	;; [unrolled: 1-line block ×3, first 2 shown]
	v_mul_lo_u32 v8, s13, v1
	s_mov_b32 s14, 0
	v_mul_lo_u32 v5, s13, v4
	v_mul_lo_u32 v6, s13, v2
	;; [unrolled: 1-line block ×3, first 2 shown]
	v_mov_b32_e32 v2, 0
	s_mov_b32 s15, 0
	s_branch .LBB92_7
.LBB92_6:                               ;   in Loop: Header=BB92_7 Depth=1
	s_or_b32 exec_lo, exec_lo, s17
	v_add_nc_u32_e32 v4, 0x400, v4
	s_add_i32 s15, s15, 4
	s_add_i32 s14, s14, s9
	s_cmp_eq_u32 s1, s15
	s_cbranch_scc1 .LBB92_19
.LBB92_7:                               ; =>This Inner Loop Header: Depth=1
	v_add_nc_u32_e32 v1, 0xfffffd00, v4
	s_mov_b32 s17, exec_lo
	v_cmpx_gt_u32_e64 s7, v1
	s_cbranch_execz .LBB92_10
; %bb.8:                                ;   in Loop: Header=BB92_7 Depth=1
	v_add_nc_u32_e32 v1, s14, v8
	v_lshlrev_b64 v[11:12], 1, v[1:2]
	v_add_co_u32 v11, s0, s5, v11
	v_add_co_ci_u32_e64 v12, null, s6, v12, s0
	global_load_ushort v1, v[11:12], off
	s_waitcnt vmcnt(0)
	v_cmp_lt_i16_e64 s0, -1, v1
	v_cndmask_b32_e64 v11, 0xffff, v10, s0
	v_cmp_o_f16_e64 s0, v1, v1
	v_xor_b32_sdwa v11, v11, v1 dst_sel:DWORD dst_unused:UNUSED_PAD src0_sel:DWORD src1_sel:WORD_0
	v_cndmask_b32_e64 v1, 0xffff, v11, s0
	v_xor_b32_e32 v11, s4, v1
	v_and_b32_e32 v11, s11, v11
	v_cmp_eq_u32_e64 s0, 0, v11
	s_and_b32 exec_lo, exec_lo, s0
; %bb.9:                                ;   in Loop: Header=BB92_7 Depth=1
	v_bfe_u32 v1, v1, s8, 8
	v_lshlrev_b32_e32 v1, 2, v1
	ds_add_u32 v1, v9
.LBB92_10:                              ;   in Loop: Header=BB92_7 Depth=1
	s_or_b32 exec_lo, exec_lo, s17
	v_add_nc_u32_e32 v1, 0xfffffe00, v4
	s_mov_b32 s17, exec_lo
	v_cmpx_gt_u32_e64 s7, v1
	s_cbranch_execz .LBB92_13
; %bb.11:                               ;   in Loop: Header=BB92_7 Depth=1
	v_add_nc_u32_e32 v1, s14, v7
	v_lshlrev_b64 v[11:12], 1, v[1:2]
	v_add_co_u32 v11, s0, s5, v11
	v_add_co_ci_u32_e64 v12, null, s6, v12, s0
	global_load_ushort v1, v[11:12], off
	s_waitcnt vmcnt(0)
	v_cmp_lt_i16_e64 s0, -1, v1
	v_cndmask_b32_e64 v11, 0xffff, v10, s0
	v_cmp_o_f16_e64 s0, v1, v1
	v_xor_b32_sdwa v11, v11, v1 dst_sel:DWORD dst_unused:UNUSED_PAD src0_sel:DWORD src1_sel:WORD_0
	v_cndmask_b32_e64 v1, 0xffff, v11, s0
	v_xor_b32_e32 v11, s4, v1
	v_and_b32_e32 v11, s11, v11
	v_cmp_eq_u32_e64 s0, 0, v11
	s_and_b32 exec_lo, exec_lo, s0
; %bb.12:                               ;   in Loop: Header=BB92_7 Depth=1
	v_bfe_u32 v1, v1, s8, 8
	v_lshlrev_b32_e32 v1, 2, v1
	ds_add_u32 v1, v9
.LBB92_13:                              ;   in Loop: Header=BB92_7 Depth=1
	s_or_b32 exec_lo, exec_lo, s17
	v_add_nc_u32_e32 v1, 0xffffff00, v4
	s_mov_b32 s17, exec_lo
	v_cmpx_gt_u32_e64 s7, v1
	s_cbranch_execz .LBB92_16
; %bb.14:                               ;   in Loop: Header=BB92_7 Depth=1
	v_add_nc_u32_e32 v1, s14, v6
	v_lshlrev_b64 v[11:12], 1, v[1:2]
	v_add_co_u32 v11, s0, s5, v11
	v_add_co_ci_u32_e64 v12, null, s6, v12, s0
	global_load_ushort v1, v[11:12], off
	s_waitcnt vmcnt(0)
	v_cmp_lt_i16_e64 s0, -1, v1
	v_cndmask_b32_e64 v11, 0xffff, v10, s0
	v_cmp_o_f16_e64 s0, v1, v1
	v_xor_b32_sdwa v11, v11, v1 dst_sel:DWORD dst_unused:UNUSED_PAD src0_sel:DWORD src1_sel:WORD_0
	v_cndmask_b32_e64 v1, 0xffff, v11, s0
	v_xor_b32_e32 v11, s4, v1
	v_and_b32_e32 v11, s11, v11
	v_cmp_eq_u32_e64 s0, 0, v11
	s_and_b32 exec_lo, exec_lo, s0
; %bb.15:                               ;   in Loop: Header=BB92_7 Depth=1
	v_bfe_u32 v1, v1, s8, 8
	v_lshlrev_b32_e32 v1, 2, v1
	ds_add_u32 v1, v9
.LBB92_16:                              ;   in Loop: Header=BB92_7 Depth=1
	s_or_b32 exec_lo, exec_lo, s17
	s_mov_b32 s17, exec_lo
	v_cmpx_gt_u32_e64 s7, v4
	s_cbranch_execz .LBB92_6
; %bb.17:                               ;   in Loop: Header=BB92_7 Depth=1
	v_add_nc_u32_e32 v1, s14, v5
	v_lshlrev_b64 v[11:12], 1, v[1:2]
	v_add_co_u32 v11, s0, s5, v11
	v_add_co_ci_u32_e64 v12, null, s6, v12, s0
	global_load_ushort v1, v[11:12], off
	s_waitcnt vmcnt(0)
	v_cmp_lt_i16_e64 s0, -1, v1
	v_cndmask_b32_e64 v11, 0xffff, v10, s0
	v_cmp_o_f16_e64 s0, v1, v1
	v_xor_b32_sdwa v11, v11, v1 dst_sel:DWORD dst_unused:UNUSED_PAD src0_sel:DWORD src1_sel:WORD_0
	v_cndmask_b32_e64 v1, 0xffff, v11, s0
	v_xor_b32_e32 v11, s4, v1
	v_and_b32_e32 v11, s11, v11
	v_cmp_eq_u32_e64 s0, 0, v11
	s_and_b32 exec_lo, exec_lo, s0
	s_cbranch_execz .LBB92_6
; %bb.18:                               ;   in Loop: Header=BB92_7 Depth=1
	v_bfe_u32 v1, v1, s8, 8
	v_lshlrev_b32_e32 v1, 2, v1
	ds_add_u32 v1, v9
	s_branch .LBB92_6
.LBB92_19:
	s_and_b32 s9, s10, 3
	s_cmp_eq_u32 s9, 0
	s_cbranch_scc1 .LBB92_25
; %bb.20:
	s_lshl_b32 s0, s1, 8
	v_mov_b32_e32 v2, 0
	v_add3_u32 v4, s0, s12, v0
	v_mov_b32_e32 v5, 1
	v_mov_b32_e32 v6, 0x8000
	s_lshl_b32 s1, s13, 8
	v_mul_lo_u32 v1, s13, v4
	s_inst_prefetch 0x1
	s_branch .LBB92_22
	.p2align	6
.LBB92_21:                              ;   in Loop: Header=BB92_22 Depth=1
	s_or_b32 exec_lo, exec_lo, s10
	v_add_nc_u32_e32 v1, s1, v1
	v_add_nc_u32_e32 v4, 0x100, v4
	s_add_i32 s9, s9, -1
	s_cmp_lg_u32 s9, 0
	s_cbranch_scc0 .LBB92_25
.LBB92_22:                              ; =>This Inner Loop Header: Depth=1
	s_mov_b32 s10, exec_lo
	v_cmpx_gt_u32_e64 s7, v4
	s_cbranch_execz .LBB92_21
; %bb.23:                               ;   in Loop: Header=BB92_22 Depth=1
	v_lshlrev_b64 v[7:8], 1, v[1:2]
	v_add_co_u32 v7, s0, s5, v7
	v_add_co_ci_u32_e64 v8, null, s6, v8, s0
	global_load_ushort v7, v[7:8], off
	s_waitcnt vmcnt(0)
	v_cmp_lt_i16_e64 s0, -1, v7
	v_cndmask_b32_e64 v8, 0xffff, v6, s0
	v_cmp_o_f16_e64 s0, v7, v7
	v_xor_b32_sdwa v8, v8, v7 dst_sel:DWORD dst_unused:UNUSED_PAD src0_sel:DWORD src1_sel:WORD_0
	v_cndmask_b32_e64 v7, 0xffff, v8, s0
	v_xor_b32_e32 v8, s4, v7
	v_and_b32_e32 v8, s11, v8
	v_cmp_eq_u32_e64 s0, 0, v8
	s_and_b32 exec_lo, exec_lo, s0
	s_cbranch_execz .LBB92_21
; %bb.24:                               ;   in Loop: Header=BB92_22 Depth=1
	v_bfe_u32 v7, v7, s8, 8
	v_lshlrev_b32_e32 v7, 2, v7
	ds_add_u32 v7, v5
	s_branch .LBB92_21
.LBB92_25:
	s_inst_prefetch 0x2
	s_waitcnt lgkmcnt(0)
	s_barrier
	buffer_gl0_inv
	s_and_saveexec_b32 s0, vcc_lo
	s_cbranch_execz .LBB92_27
; %bb.26:
	ds_read_b32 v2, v3
	v_lshl_or_b32 v0, s16, 8, v0
	v_mov_b32_e32 v1, 0
	v_lshlrev_b64 v[0:1], 1, v[0:1]
	v_add_co_u32 v0, vcc_lo, s2, v0
	v_add_co_ci_u32_e64 v1, null, s3, v1, vcc_lo
	s_waitcnt lgkmcnt(0)
	global_store_short v[0:1], v2, off
.LBB92_27:
	s_endpgm
	.section	.rodata,"a",@progbits
	.p2align	6, 0x0
	.amdhsa_kernel _ZN2at6native6mbtopk23computeBlockDigitCountsIN3c104HalfEjjLi1EEEvNS_4cuda6detail10TensorInfoIKT_T0_EEjPjjSA_iijT1_PSD_Ps
		.amdhsa_group_segment_fixed_size 1024
		.amdhsa_private_segment_fixed_size 0
		.amdhsa_kernarg_size 528
		.amdhsa_user_sgpr_count 6
		.amdhsa_user_sgpr_private_segment_buffer 1
		.amdhsa_user_sgpr_dispatch_ptr 0
		.amdhsa_user_sgpr_queue_ptr 0
		.amdhsa_user_sgpr_kernarg_segment_ptr 1
		.amdhsa_user_sgpr_dispatch_id 0
		.amdhsa_user_sgpr_flat_scratch_init 0
		.amdhsa_user_sgpr_private_segment_size 0
		.amdhsa_wavefront_size32 1
		.amdhsa_uses_dynamic_stack 0
		.amdhsa_system_sgpr_private_segment_wavefront_offset 0
		.amdhsa_system_sgpr_workgroup_id_x 1
		.amdhsa_system_sgpr_workgroup_id_y 1
		.amdhsa_system_sgpr_workgroup_id_z 1
		.amdhsa_system_sgpr_workgroup_info 0
		.amdhsa_system_vgpr_workitem_id 0
		.amdhsa_next_free_vgpr 13
		.amdhsa_next_free_sgpr 20
		.amdhsa_reserve_vcc 1
		.amdhsa_reserve_flat_scratch 0
		.amdhsa_float_round_mode_32 0
		.amdhsa_float_round_mode_16_64 0
		.amdhsa_float_denorm_mode_32 3
		.amdhsa_float_denorm_mode_16_64 3
		.amdhsa_dx10_clamp 1
		.amdhsa_ieee_mode 1
		.amdhsa_fp16_overflow 0
		.amdhsa_workgroup_processor_mode 1
		.amdhsa_memory_ordered 1
		.amdhsa_forward_progress 1
		.amdhsa_shared_vgpr_count 0
		.amdhsa_exception_fp_ieee_invalid_op 0
		.amdhsa_exception_fp_denorm_src 0
		.amdhsa_exception_fp_ieee_div_zero 0
		.amdhsa_exception_fp_ieee_overflow 0
		.amdhsa_exception_fp_ieee_underflow 0
		.amdhsa_exception_fp_ieee_inexact 0
		.amdhsa_exception_int_div_zero 0
	.end_amdhsa_kernel
	.section	.text._ZN2at6native6mbtopk23computeBlockDigitCountsIN3c104HalfEjjLi1EEEvNS_4cuda6detail10TensorInfoIKT_T0_EEjPjjSA_iijT1_PSD_Ps,"axG",@progbits,_ZN2at6native6mbtopk23computeBlockDigitCountsIN3c104HalfEjjLi1EEEvNS_4cuda6detail10TensorInfoIKT_T0_EEjPjjSA_iijT1_PSD_Ps,comdat
.Lfunc_end92:
	.size	_ZN2at6native6mbtopk23computeBlockDigitCountsIN3c104HalfEjjLi1EEEvNS_4cuda6detail10TensorInfoIKT_T0_EEjPjjSA_iijT1_PSD_Ps, .Lfunc_end92-_ZN2at6native6mbtopk23computeBlockDigitCountsIN3c104HalfEjjLi1EEEvNS_4cuda6detail10TensorInfoIKT_T0_EEjPjjSA_iijT1_PSD_Ps
                                        ; -- End function
	.set _ZN2at6native6mbtopk23computeBlockDigitCountsIN3c104HalfEjjLi1EEEvNS_4cuda6detail10TensorInfoIKT_T0_EEjPjjSA_iijT1_PSD_Ps.num_vgpr, 13
	.set _ZN2at6native6mbtopk23computeBlockDigitCountsIN3c104HalfEjjLi1EEEvNS_4cuda6detail10TensorInfoIKT_T0_EEjPjjSA_iijT1_PSD_Ps.num_agpr, 0
	.set _ZN2at6native6mbtopk23computeBlockDigitCountsIN3c104HalfEjjLi1EEEvNS_4cuda6detail10TensorInfoIKT_T0_EEjPjjSA_iijT1_PSD_Ps.numbered_sgpr, 20
	.set _ZN2at6native6mbtopk23computeBlockDigitCountsIN3c104HalfEjjLi1EEEvNS_4cuda6detail10TensorInfoIKT_T0_EEjPjjSA_iijT1_PSD_Ps.num_named_barrier, 0
	.set _ZN2at6native6mbtopk23computeBlockDigitCountsIN3c104HalfEjjLi1EEEvNS_4cuda6detail10TensorInfoIKT_T0_EEjPjjSA_iijT1_PSD_Ps.private_seg_size, 0
	.set _ZN2at6native6mbtopk23computeBlockDigitCountsIN3c104HalfEjjLi1EEEvNS_4cuda6detail10TensorInfoIKT_T0_EEjPjjSA_iijT1_PSD_Ps.uses_vcc, 1
	.set _ZN2at6native6mbtopk23computeBlockDigitCountsIN3c104HalfEjjLi1EEEvNS_4cuda6detail10TensorInfoIKT_T0_EEjPjjSA_iijT1_PSD_Ps.uses_flat_scratch, 0
	.set _ZN2at6native6mbtopk23computeBlockDigitCountsIN3c104HalfEjjLi1EEEvNS_4cuda6detail10TensorInfoIKT_T0_EEjPjjSA_iijT1_PSD_Ps.has_dyn_sized_stack, 0
	.set _ZN2at6native6mbtopk23computeBlockDigitCountsIN3c104HalfEjjLi1EEEvNS_4cuda6detail10TensorInfoIKT_T0_EEjPjjSA_iijT1_PSD_Ps.has_recursion, 0
	.set _ZN2at6native6mbtopk23computeBlockDigitCountsIN3c104HalfEjjLi1EEEvNS_4cuda6detail10TensorInfoIKT_T0_EEjPjjSA_iijT1_PSD_Ps.has_indirect_call, 0
	.section	.AMDGPU.csdata,"",@progbits
; Kernel info:
; codeLenInByte = 1480
; TotalNumSgprs: 22
; NumVgprs: 13
; ScratchSize: 0
; MemoryBound: 0
; FloatMode: 240
; IeeeMode: 1
; LDSByteSize: 1024 bytes/workgroup (compile time only)
; SGPRBlocks: 0
; VGPRBlocks: 1
; NumSGPRsForWavesPerEU: 22
; NumVGPRsForWavesPerEU: 13
; Occupancy: 16
; WaveLimiterHint : 1
; COMPUTE_PGM_RSRC2:SCRATCH_EN: 0
; COMPUTE_PGM_RSRC2:USER_SGPR: 6
; COMPUTE_PGM_RSRC2:TRAP_HANDLER: 0
; COMPUTE_PGM_RSRC2:TGID_X_EN: 1
; COMPUTE_PGM_RSRC2:TGID_Y_EN: 1
; COMPUTE_PGM_RSRC2:TGID_Z_EN: 1
; COMPUTE_PGM_RSRC2:TIDIG_COMP_CNT: 0
	.section	.text._ZN2at6native6mbtopk29computeBlockwiseWithinKCountsIjN3c104HalfEEEvPT_PsPjjibS8_PT0_S8_S6_S8_j,"axG",@progbits,_ZN2at6native6mbtopk29computeBlockwiseWithinKCountsIjN3c104HalfEEEvPT_PsPjjibS8_PT0_S8_S6_S8_j,comdat
	.protected	_ZN2at6native6mbtopk29computeBlockwiseWithinKCountsIjN3c104HalfEEEvPT_PsPjjibS8_PT0_S8_S6_S8_j ; -- Begin function _ZN2at6native6mbtopk29computeBlockwiseWithinKCountsIjN3c104HalfEEEvPT_PsPjjibS8_PT0_S8_S6_S8_j
	.globl	_ZN2at6native6mbtopk29computeBlockwiseWithinKCountsIjN3c104HalfEEEvPT_PsPjjibS8_PT0_S8_S6_S8_j
	.p2align	8
	.type	_ZN2at6native6mbtopk29computeBlockwiseWithinKCountsIjN3c104HalfEEEvPT_PsPjjibS8_PT0_S8_S6_S8_j,@function
_ZN2at6native6mbtopk29computeBlockwiseWithinKCountsIjN3c104HalfEEEvPT_PsPjjibS8_PT0_S8_S6_S8_j: ; @_ZN2at6native6mbtopk29computeBlockwiseWithinKCountsIjN3c104HalfEEEvPT_PsPjjibS8_PT0_S8_S6_S8_j
; %bb.0:
	s_clause 0x2
	s_load_dwordx4 s[16:19], s[4:5], 0x18
	s_load_dwordx2 s[0:1], s[4:5], 0x58
	s_load_dword s3, s[4:5], 0x50
	s_waitcnt lgkmcnt(0)
	v_cvt_f32_u32_e32 v1, s16
	s_mul_i32 s1, s1, s8
	s_add_i32 s1, s1, s7
	v_rcp_iflag_f32_e32 v1, v1
	s_mul_i32 s0, s1, s0
	s_add_i32 s2, s0, s6
	s_cmp_ge_u32 s2, s3
	v_mul_f32_e32 v1, 0x4f7ffffe, v1
	v_cvt_u32_f32_e32 v1, v1
	v_readfirstlane_b32 s0, v1
	s_cbranch_scc1 .LBB93_40
; %bb.1:
	s_sub_i32 s1, 0, s16
	v_cmp_gt_u32_e32 vcc_lo, 0x100, v0
	s_mul_i32 s1, s1, s0
	s_load_dwordx4 s[20:23], s[4:5], 0x0
	s_mul_hi_u32 s1, s0, s1
	s_add_i32 s3, s0, s1
	s_load_dwordx2 s[0:1], s[4:5], 0x10
	s_mul_hi_u32 s6, s2, s3
	s_mul_i32 s3, s6, s16
	s_add_i32 s8, s6, 1
	s_sub_i32 s7, s2, s3
	s_mov_b32 s3, 0
	s_sub_i32 s9, s7, s16
	s_cmp_ge_u32 s7, s16
	s_mov_b32 s25, s3
	s_cselect_b32 s6, s8, s6
	s_cselect_b32 s7, s9, s7
	s_add_i32 s8, s6, 1
	s_cmp_ge_u32 s7, s16
	s_cselect_b32 s24, s8, s6
	s_lshl_b64 s[6:7], s[24:25], 2
	s_waitcnt lgkmcnt(0)
	s_add_u32 s8, s0, s6
	s_addc_u32 s9, s1, s7
	s_and_saveexec_b32 s1, vcc_lo
	s_cbranch_execz .LBB93_8
; %bb.2:
	s_mul_i32 s0, s24, s16
	s_mov_b32 s11, s3
	s_lshl_b32 s10, s0, 8
	v_lshlrev_b32_e32 v1, 1, v0
	s_lshl_b64 s[10:11], s[10:11], 1
	v_mov_b32_e32 v3, 0
	s_add_u32 s0, s22, s10
	s_addc_u32 s10, s23, s11
	v_add_co_u32 v1, s0, s0, v1
	v_add_co_ci_u32_e64 v2, null, s10, 0, s0
	s_cmp_lt_u32 s16, 4
	s_cbranch_scc1 .LBB93_41
; %bb.3:
	v_mov_b32_e32 v3, 0
	s_mov_b32 s10, 0
	.p2align	6
.LBB93_4:                               ; =>This Inner Loop Header: Depth=1
	s_clause 0x3
	global_load_sshort v4, v[1:2], off
	global_load_sshort v5, v[1:2], off offset:512
	global_load_sshort v6, v[1:2], off offset:1024
	global_load_sshort v7, v[1:2], off offset:1536
	v_add_co_u32 v1, s0, 0x800, v1
	v_add_co_ci_u32_e64 v2, null, 0, v2, s0
	s_add_i32 s0, s10, 7
	s_add_i32 s10, s10, 4
	s_cmp_ge_u32 s0, s16
	s_waitcnt vmcnt(2)
	v_add3_u32 v3, v3, v4, v5
	s_waitcnt vmcnt(0)
	v_add3_u32 v3, v3, v6, v7
	s_cbranch_scc0 .LBB93_4
; %bb.5:
	s_cmp_ge_u32 s10, s16
	s_cbranch_scc1 .LBB93_7
.LBB93_6:                               ; =>This Inner Loop Header: Depth=1
	global_load_sshort v4, v[1:2], off
	v_add_co_u32 v1, s0, 0x200, v1
	v_add_co_ci_u32_e64 v2, null, 0, v2, s0
	s_add_i32 s10, s10, 1
	s_cmp_lt_u32 s10, s16
	s_waitcnt vmcnt(0)
	v_add_nc_u32_e32 v3, v3, v4
	s_cbranch_scc1 .LBB93_6
.LBB93_7:
	v_lshlrev_b32_e32 v1, 2, v0
	ds_write_b32 v1, v3 offset:1056
.LBB93_8:
	s_or_b32 exec_lo, exec_lo, s1
	s_load_dword s19, s[8:9], 0x0
	v_mov_b32_e32 v5, 0
	v_lshlrev_b32_e32 v1, 2, v0
	s_waitcnt lgkmcnt(0)
	s_barrier
	buffer_gl0_inv
	s_and_saveexec_b32 s0, vcc_lo
; %bb.9:
	ds_read_b32 v5, v1 offset:1056
; %bb.10:
	s_or_b32 exec_lo, exec_lo, s0
	v_lshrrev_b32_e32 v3, 5, v0
	v_cmp_gt_u32_e64 s0, 32, v0
	v_mbcnt_lo_u32_b32 v2, -1, 0
	v_lshl_add_u32 v4, v3, 2, v1
	s_waitcnt lgkmcnt(0)
	ds_write_b32 v4, v5
	s_waitcnt lgkmcnt(0)
	s_barrier
	buffer_gl0_inv
	s_and_saveexec_b32 s8, s0
	s_cbranch_execz .LBB93_12
; %bb.11:
	v_and_b32_e32 v6, 0xfc, v0
	v_lshl_add_u32 v14, v0, 5, v6
	ds_read2_b32 v[6:7], v14 offset1:1
	ds_read2_b32 v[8:9], v14 offset0:2 offset1:3
	ds_read2_b32 v[10:11], v14 offset0:4 offset1:5
	;; [unrolled: 1-line block ×3, first 2 shown]
	; wave barrier
	s_waitcnt lgkmcnt(3)
	v_add_nc_u32_e32 v7, v7, v6
	s_waitcnt lgkmcnt(2)
	v_add3_u32 v7, v7, v8, v9
	v_and_b32_e32 v8, 15, v2
	s_waitcnt lgkmcnt(1)
	v_add3_u32 v7, v7, v10, v11
	v_cmp_ne_u32_e64 s1, 0, v8
	v_bfe_i32 v10, v2, 4, 1
	s_waitcnt lgkmcnt(0)
	v_add3_u32 v7, v7, v12, v13
	v_mov_b32_dpp v9, v7 row_shr:1 row_mask:0xf bank_mask:0xf
	v_cndmask_b32_e64 v9, 0, v9, s1
	v_cmp_lt_u32_e64 s1, 1, v8
	v_add_nc_u32_e32 v7, v9, v7
	v_mov_b32_dpp v9, v7 row_shr:2 row_mask:0xf bank_mask:0xf
	v_cndmask_b32_e64 v9, 0, v9, s1
	v_cmp_lt_u32_e64 s1, 3, v8
	v_add_nc_u32_e32 v7, v7, v9
	;; [unrolled: 4-line block ×3, first 2 shown]
	v_mov_b32_dpp v9, v7 row_shr:8 row_mask:0xf bank_mask:0xf
	v_cndmask_b32_e64 v8, 0, v9, s1
	v_add_nc_u32_e32 v9, -1, v2
	v_add_nc_u32_e32 v7, v7, v8
	v_cmp_gt_i32_e64 s1, 0, v9
	ds_swizzle_b32 v8, v7 offset:swizzle(BROADCAST,32,15)
	v_cndmask_b32_e64 v9, v9, v2, s1
	v_cmp_eq_u32_e64 s1, 0, v0
	v_lshlrev_b32_e32 v9, 2, v9
	s_waitcnt lgkmcnt(0)
	v_and_b32_e32 v8, v10, v8
	v_add_nc_u32_e32 v7, v7, v8
	ds_bpermute_b32 v7, v9, v7
	s_waitcnt lgkmcnt(0)
	v_add_nc_u32_e32 v6, v7, v6
	v_cndmask_b32_e64 v11, v6, v5, s1
	ds_write_b32 v14, v11
	; wave barrier
	ds_read2_b32 v[5:6], v14 offset0:1 offset1:2
	ds_read2_b32 v[7:8], v14 offset0:3 offset1:4
	;; [unrolled: 1-line block ×3, first 2 shown]
	ds_read_b32 v12, v14 offset:28
	s_waitcnt lgkmcnt(3)
	v_add_nc_u32_e32 v5, v5, v11
	v_add_nc_u32_e32 v6, v6, v5
	s_waitcnt lgkmcnt(2)
	v_add_nc_u32_e32 v7, v7, v6
	v_add_nc_u32_e32 v8, v8, v7
	;; [unrolled: 3-line block ×3, first 2 shown]
	s_waitcnt lgkmcnt(0)
	v_add_nc_u32_e32 v11, v12, v10
	ds_write2_b32 v14, v5, v6 offset0:1 offset1:2
	ds_write2_b32 v14, v7, v8 offset0:3 offset1:4
	ds_write2_b32 v14, v9, v10 offset0:5 offset1:6
	ds_write_b32 v14, v11 offset:28
.LBB93_12:
	s_or_b32 exec_lo, exec_lo, s8
	s_waitcnt lgkmcnt(0)
	s_barrier
	buffer_gl0_inv
	ds_read_b32 v5, v4
	s_waitcnt lgkmcnt(0)
	s_barrier
	buffer_gl0_inv
	s_and_saveexec_b32 s1, vcc_lo
; %bb.13:
	ds_write_b32 v1, v5 offset:1056
; %bb.14:
	s_or_b32 exec_lo, exec_lo, s1
	s_clause 0x1
	s_load_dwordx8 s[8:15], s[4:5], 0x28
	s_load_dwordx2 s[4:5], s[4:5], 0x48
	s_waitcnt lgkmcnt(0)
	s_barrier
	buffer_gl0_inv
	s_and_saveexec_b32 s26, vcc_lo
	s_cbranch_execz .LBB93_23
; %bb.15:
	v_mov_b32_e32 v4, 0
	s_mov_b32 s1, exec_lo
	v_cmpx_ne_u32_e32 0, v0
; %bb.16:
	ds_read_b32 v4, v1 offset:1052
; %bb.17:
	s_or_b32 exec_lo, exec_lo, s1
	s_waitcnt lgkmcnt(0)
	v_cmp_gt_u32_e32 vcc_lo, s19, v4
	v_cmp_le_u32_e64 s1, s19, v5
	s_and_b32 s1, vcc_lo, s1
	s_and_b32 exec_lo, exec_lo, s1
	s_cbranch_execz .LBB93_23
; %bb.18:
	v_mov_b32_e32 v6, 0
	s_add_u32 s20, s20, s6
	s_addc_u32 s21, s21, s7
	s_lshl_b32 s1, 0xff, s17
	v_not_b32_e32 v7, s1
	global_load_dword v5, v6, s[20:21]
	s_mul_i32 s1, s24, s16
	s_cmp_lg_u32 s2, s1
	s_waitcnt vmcnt(0)
	v_and_b32_e32 v5, v5, v7
	v_lshl_or_b32 v5, v0, s17, v5
	ds_write_b32 v6, v5 offset:2112
	s_cbranch_scc1 .LBB93_23
; %bb.19:
	s_add_u32 s14, s14, s6
	s_addc_u32 s15, s15, s7
	s_cmp_lt_i32 s17, 1
	s_mov_b32 s1, -1
	global_store_dword v6, v5, s[14:15]
	s_cbranch_scc0 .LBB93_21
; %bb.20:
	v_and_b32_e32 v6, 0x8000, v5
	v_mov_b32_e32 v7, 0xffff
	s_lshl_b64 s[14:15], s[24:25], 1
	s_mov_b32 s1, 0
	s_add_u32 s10, s10, s14
	v_cmp_eq_u32_e32 vcc_lo, 0, v6
	s_addc_u32 s11, s11, s15
	v_cndmask_b32_e32 v6, 0x8000, v7, vcc_lo
	v_xor_b32_e32 v5, v6, v5
	v_mov_b32_e32 v6, 0
	global_store_short v6, v5, s[10:11]
.LBB93_21:
	s_andn2_b32 vcc_lo, exec_lo, s1
	s_cbranch_vccnz .LBB93_23
; %bb.22:
	v_sub_nc_u32_e32 v4, s19, v4
	v_mov_b32_e32 v5, 0
	s_add_u32 s6, s12, s6
	s_addc_u32 s7, s13, s7
	global_store_dword v5, v4, s[6:7]
.LBB93_23:
	s_or_b32 exec_lo, exec_lo, s26
	v_mov_b32_e32 v4, 0
	s_waitcnt lgkmcnt(0)
	s_waitcnt_vscnt null, 0x0
	s_barrier
	buffer_gl0_inv
	s_bitcmp0_b32 s18, 0
	ds_read_b32 v4, v4 offset:2112
	s_mov_b32 s1, 0
	s_waitcnt lgkmcnt(0)
	v_lshrrev_b32_e32 v4, s17, v4
	s_cbranch_scc0 .LBB93_25
; %bb.24:
	v_and_b32_e32 v5, 0xe0, v0
	v_cmp_lt_u32_sdwa s6, v0, v4 src0_sel:DWORD src1_sel:BYTE_0
	v_cmp_lt_u32_sdwa s7, v5, v4 src0_sel:DWORD src1_sel:BYTE_0
	s_andn2_b32 vcc_lo, exec_lo, s1
	s_cbranch_vccz .LBB93_26
	s_branch .LBB93_27
.LBB93_25:
                                        ; implicit-def: $sgpr6
                                        ; implicit-def: $sgpr7
.LBB93_26:
	v_or_b32_e32 v5, 31, v0
	v_cmp_gt_u32_sdwa s1, v0, v4 src0_sel:DWORD src1_sel:BYTE_0
	s_andn2_b32 s6, s6, exec_lo
	s_andn2_b32 s7, s7, exec_lo
	v_cmp_gt_u32_sdwa s10, v5, v4 src0_sel:DWORD src1_sel:BYTE_0
	s_and_b32 s1, s1, exec_lo
	s_or_b32 s6, s6, s1
	s_and_b32 s10, s10, exec_lo
	s_or_b32 s7, s7, s10
.LBB93_27:
	v_mov_b32_e32 v4, 0
	s_and_saveexec_b32 s1, s7
	s_cbranch_execz .LBB93_31
; %bb.28:
	v_mov_b32_e32 v4, 0
	s_and_saveexec_b32 s7, s6
	s_cbranch_execz .LBB93_30
; %bb.29:
	s_lshl_b32 s10, s2, 8
	s_mov_b32 s11, 0
	v_lshlrev_b32_e32 v4, 1, v0
	s_lshl_b64 s[10:11], s[10:11], 1
	s_add_u32 s10, s22, s10
	s_addc_u32 s11, s23, s11
	global_load_sshort v4, v4, s[10:11]
.LBB93_30:
	s_or_b32 exec_lo, exec_lo, s7
	v_lshl_or_b32 v5, v2, 2, 64
	v_cmp_gt_u32_e32 vcc_lo, 24, v2
	s_waitcnt vmcnt(0)
	ds_bpermute_b32 v5, v5, v4
	v_cndmask_b32_e64 v6, 0, 8, vcc_lo
	v_cmp_gt_u32_e32 vcc_lo, 28, v2
	v_add_lshl_u32 v6, v6, v2, 2
	s_waitcnt lgkmcnt(0)
	v_add_nc_u32_e32 v4, v5, v4
	ds_bpermute_b32 v5, v6, v4
	v_cndmask_b32_e64 v6, 0, 4, vcc_lo
	v_cmp_gt_u32_e32 vcc_lo, 30, v2
	v_add_lshl_u32 v6, v6, v2, 2
	s_waitcnt lgkmcnt(0)
	v_add_nc_u32_e32 v4, v5, v4
	ds_bpermute_b32 v5, v6, v4
	v_cndmask_b32_e64 v6, 0, 2, vcc_lo
	v_cmp_ne_u32_e32 vcc_lo, 31, v2
	v_add_lshl_u32 v6, v6, v2, 2
	s_waitcnt lgkmcnt(0)
	v_add_nc_u32_e32 v4, v5, v4
	ds_bpermute_b32 v5, v6, v4
	v_add_co_ci_u32_e64 v6, null, 0, v2, vcc_lo
	s_waitcnt lgkmcnt(0)
	v_add_nc_u32_e32 v4, v5, v4
	v_lshlrev_b32_e32 v5, 2, v6
	ds_bpermute_b32 v5, v5, v4
	s_waitcnt lgkmcnt(0)
	v_add_nc_u32_e32 v4, v5, v4
.LBB93_31:
	s_or_b32 exec_lo, exec_lo, s1
	v_and_b32_e32 v5, 31, v0
	s_mov_b32 s1, exec_lo
	v_cmpx_eq_u32_e32 0, v5
; %bb.32:
	v_lshlrev_b32_e32 v3, 2, v3
	ds_write_b32 v3, v4 offset:2080
; %bb.33:
	s_or_b32 exec_lo, exec_lo, s1
	s_waitcnt lgkmcnt(0)
	s_barrier
	buffer_gl0_inv
	s_and_saveexec_b32 s1, s0
	s_cbranch_execz .LBB93_40
; %bb.34:
	v_mov_b32_e32 v3, 0
	s_mov_b32 s0, exec_lo
	v_cmpx_gt_u32_e32 8, v0
; %bb.35:
	ds_read_b32 v3, v1 offset:2080
; %bb.36:
	s_or_b32 exec_lo, exec_lo, s0
	v_cmp_gt_u32_e32 vcc_lo, 28, v2
	s_mov_b32 s0, exec_lo
	v_cndmask_b32_e64 v1, 0, 4, vcc_lo
	v_cmp_gt_u32_e32 vcc_lo, 30, v2
	v_add_lshl_u32 v1, v1, v2, 2
	v_cndmask_b32_e64 v4, 0, 2, vcc_lo
	v_cmp_ne_u32_e32 vcc_lo, 31, v2
	s_waitcnt lgkmcnt(0)
	ds_bpermute_b32 v1, v1, v3
	v_add_lshl_u32 v4, v4, v2, 2
	v_add_co_ci_u32_e64 v2, null, 0, v2, vcc_lo
	v_lshlrev_b32_e32 v2, 2, v2
	s_waitcnt lgkmcnt(0)
	v_add_nc_u32_e32 v1, v1, v3
	ds_bpermute_b32 v3, v4, v1
	s_waitcnt lgkmcnt(0)
	v_add_nc_u32_e32 v1, v3, v1
	ds_bpermute_b32 v2, v2, v1
	v_cmpx_eq_u32_e32 0, v0
	s_cbranch_execz .LBB93_38
; %bb.37:
	s_lshl_b64 s[6:7], s[2:3], 2
	v_mov_b32_e32 v3, 0
	s_add_u32 s6, s8, s6
	s_addc_u32 s7, s9, s7
	global_load_dword v4, v3, s[6:7]
	s_waitcnt vmcnt(0) lgkmcnt(0)
	v_add3_u32 v1, v2, v1, v4
	global_store_dword v3, v1, s[6:7]
.LBB93_38:
	s_or_b32 exec_lo, exec_lo, s0
	v_or_b32_e32 v0, s17, v0
	v_cmp_eq_u32_e32 vcc_lo, 0, v0
	s_and_b32 exec_lo, exec_lo, vcc_lo
	s_cbranch_execz .LBB93_40
; %bb.39:
	v_mov_b32_e32 v0, 0
	s_waitcnt lgkmcnt(0)
	v_mov_b32_e32 v2, 1
	s_lshl_b32 s0, s2, 8
	s_mov_b32 s1, 0
	s_lshl_b64 s[0:1], s[0:1], 1
	ds_read_b32 v1, v0 offset:2112
	s_add_u32 s0, s22, s0
	s_addc_u32 s1, s23, s1
	s_waitcnt lgkmcnt(0)
	v_lshlrev_b32_sdwa v1, v2, v1 dst_sel:DWORD dst_unused:UNUSED_PAD src0_sel:DWORD src1_sel:BYTE_0
	global_load_sshort v1, v1, s[0:1]
	s_lshl_b64 s[0:1], s[2:3], 2
	s_add_u32 s0, s4, s0
	s_addc_u32 s1, s5, s1
	s_waitcnt vmcnt(0)
	global_store_dword v0, v1, s[0:1]
.LBB93_40:
	s_endpgm
.LBB93_41:
	s_mov_b32 s10, s3
	s_cmp_ge_u32 s10, s16
	s_cbranch_scc0 .LBB93_6
	s_branch .LBB93_7
	.section	.rodata,"a",@progbits
	.p2align	6, 0x0
	.amdhsa_kernel _ZN2at6native6mbtopk29computeBlockwiseWithinKCountsIjN3c104HalfEEEvPT_PsPjjibS8_PT0_S8_S6_S8_j
		.amdhsa_group_segment_fixed_size 2116
		.amdhsa_private_segment_fixed_size 0
		.amdhsa_kernarg_size 344
		.amdhsa_user_sgpr_count 6
		.amdhsa_user_sgpr_private_segment_buffer 1
		.amdhsa_user_sgpr_dispatch_ptr 0
		.amdhsa_user_sgpr_queue_ptr 0
		.amdhsa_user_sgpr_kernarg_segment_ptr 1
		.amdhsa_user_sgpr_dispatch_id 0
		.amdhsa_user_sgpr_flat_scratch_init 0
		.amdhsa_user_sgpr_private_segment_size 0
		.amdhsa_wavefront_size32 1
		.amdhsa_uses_dynamic_stack 0
		.amdhsa_system_sgpr_private_segment_wavefront_offset 0
		.amdhsa_system_sgpr_workgroup_id_x 1
		.amdhsa_system_sgpr_workgroup_id_y 1
		.amdhsa_system_sgpr_workgroup_id_z 1
		.amdhsa_system_sgpr_workgroup_info 0
		.amdhsa_system_vgpr_workitem_id 0
		.amdhsa_next_free_vgpr 15
		.amdhsa_next_free_sgpr 27
		.amdhsa_reserve_vcc 1
		.amdhsa_reserve_flat_scratch 0
		.amdhsa_float_round_mode_32 0
		.amdhsa_float_round_mode_16_64 0
		.amdhsa_float_denorm_mode_32 3
		.amdhsa_float_denorm_mode_16_64 3
		.amdhsa_dx10_clamp 1
		.amdhsa_ieee_mode 1
		.amdhsa_fp16_overflow 0
		.amdhsa_workgroup_processor_mode 1
		.amdhsa_memory_ordered 1
		.amdhsa_forward_progress 1
		.amdhsa_shared_vgpr_count 0
		.amdhsa_exception_fp_ieee_invalid_op 0
		.amdhsa_exception_fp_denorm_src 0
		.amdhsa_exception_fp_ieee_div_zero 0
		.amdhsa_exception_fp_ieee_overflow 0
		.amdhsa_exception_fp_ieee_underflow 0
		.amdhsa_exception_fp_ieee_inexact 0
		.amdhsa_exception_int_div_zero 0
	.end_amdhsa_kernel
	.section	.text._ZN2at6native6mbtopk29computeBlockwiseWithinKCountsIjN3c104HalfEEEvPT_PsPjjibS8_PT0_S8_S6_S8_j,"axG",@progbits,_ZN2at6native6mbtopk29computeBlockwiseWithinKCountsIjN3c104HalfEEEvPT_PsPjjibS8_PT0_S8_S6_S8_j,comdat
.Lfunc_end93:
	.size	_ZN2at6native6mbtopk29computeBlockwiseWithinKCountsIjN3c104HalfEEEvPT_PsPjjibS8_PT0_S8_S6_S8_j, .Lfunc_end93-_ZN2at6native6mbtopk29computeBlockwiseWithinKCountsIjN3c104HalfEEEvPT_PsPjjibS8_PT0_S8_S6_S8_j
                                        ; -- End function
	.set _ZN2at6native6mbtopk29computeBlockwiseWithinKCountsIjN3c104HalfEEEvPT_PsPjjibS8_PT0_S8_S6_S8_j.num_vgpr, 15
	.set _ZN2at6native6mbtopk29computeBlockwiseWithinKCountsIjN3c104HalfEEEvPT_PsPjjibS8_PT0_S8_S6_S8_j.num_agpr, 0
	.set _ZN2at6native6mbtopk29computeBlockwiseWithinKCountsIjN3c104HalfEEEvPT_PsPjjibS8_PT0_S8_S6_S8_j.numbered_sgpr, 27
	.set _ZN2at6native6mbtopk29computeBlockwiseWithinKCountsIjN3c104HalfEEEvPT_PsPjjibS8_PT0_S8_S6_S8_j.num_named_barrier, 0
	.set _ZN2at6native6mbtopk29computeBlockwiseWithinKCountsIjN3c104HalfEEEvPT_PsPjjibS8_PT0_S8_S6_S8_j.private_seg_size, 0
	.set _ZN2at6native6mbtopk29computeBlockwiseWithinKCountsIjN3c104HalfEEEvPT_PsPjjibS8_PT0_S8_S6_S8_j.uses_vcc, 1
	.set _ZN2at6native6mbtopk29computeBlockwiseWithinKCountsIjN3c104HalfEEEvPT_PsPjjibS8_PT0_S8_S6_S8_j.uses_flat_scratch, 0
	.set _ZN2at6native6mbtopk29computeBlockwiseWithinKCountsIjN3c104HalfEEEvPT_PsPjjibS8_PT0_S8_S6_S8_j.has_dyn_sized_stack, 0
	.set _ZN2at6native6mbtopk29computeBlockwiseWithinKCountsIjN3c104HalfEEEvPT_PsPjjibS8_PT0_S8_S6_S8_j.has_recursion, 0
	.set _ZN2at6native6mbtopk29computeBlockwiseWithinKCountsIjN3c104HalfEEEvPT_PsPjjibS8_PT0_S8_S6_S8_j.has_indirect_call, 0
	.section	.AMDGPU.csdata,"",@progbits
; Kernel info:
; codeLenInByte = 2076
; TotalNumSgprs: 29
; NumVgprs: 15
; ScratchSize: 0
; MemoryBound: 0
; FloatMode: 240
; IeeeMode: 1
; LDSByteSize: 2116 bytes/workgroup (compile time only)
; SGPRBlocks: 0
; VGPRBlocks: 1
; NumSGPRsForWavesPerEU: 29
; NumVGPRsForWavesPerEU: 15
; Occupancy: 16
; WaveLimiterHint : 1
; COMPUTE_PGM_RSRC2:SCRATCH_EN: 0
; COMPUTE_PGM_RSRC2:USER_SGPR: 6
; COMPUTE_PGM_RSRC2:TRAP_HANDLER: 0
; COMPUTE_PGM_RSRC2:TGID_X_EN: 1
; COMPUTE_PGM_RSRC2:TGID_Y_EN: 1
; COMPUTE_PGM_RSRC2:TGID_Z_EN: 1
; COMPUTE_PGM_RSRC2:TIDIG_COMP_CNT: 0
	.section	.text._ZN2at6native6mbtopk10gatherTopKIN3c104HalfEjLi1EEEvNS_4cuda6detail10TensorInfoIKT_T0_EESA_SA_bjSA_NS7_IS8_SA_EESA_NS7_IlSA_EESA_jjPS8_PjSF_j,"axG",@progbits,_ZN2at6native6mbtopk10gatherTopKIN3c104HalfEjLi1EEEvNS_4cuda6detail10TensorInfoIKT_T0_EESA_SA_bjSA_NS7_IS8_SA_EESA_NS7_IlSA_EESA_jjPS8_PjSF_j,comdat
	.protected	_ZN2at6native6mbtopk10gatherTopKIN3c104HalfEjLi1EEEvNS_4cuda6detail10TensorInfoIKT_T0_EESA_SA_bjSA_NS7_IS8_SA_EESA_NS7_IlSA_EESA_jjPS8_PjSF_j ; -- Begin function _ZN2at6native6mbtopk10gatherTopKIN3c104HalfEjLi1EEEvNS_4cuda6detail10TensorInfoIKT_T0_EESA_SA_bjSA_NS7_IS8_SA_EESA_NS7_IlSA_EESA_jjPS8_PjSF_j
	.globl	_ZN2at6native6mbtopk10gatherTopKIN3c104HalfEjLi1EEEvNS_4cuda6detail10TensorInfoIKT_T0_EESA_SA_bjSA_NS7_IS8_SA_EESA_NS7_IlSA_EESA_jjPS8_PjSF_j
	.p2align	8
	.type	_ZN2at6native6mbtopk10gatherTopKIN3c104HalfEjLi1EEEvNS_4cuda6detail10TensorInfoIKT_T0_EESA_SA_bjSA_NS7_IS8_SA_EESA_NS7_IlSA_EESA_jjPS8_PjSF_j,@function
_ZN2at6native6mbtopk10gatherTopKIN3c104HalfEjLi1EEEvNS_4cuda6detail10TensorInfoIKT_T0_EESA_SA_bjSA_NS7_IS8_SA_EESA_NS7_IlSA_EESA_jjPS8_PjSF_j: ; @_ZN2at6native6mbtopk10gatherTopKIN3c104HalfEjLi1EEEvNS_4cuda6detail10TensorInfoIKT_T0_EESA_SA_bjSA_NS7_IS8_SA_EESA_NS7_IlSA_EESA_jjPS8_PjSF_j
; %bb.0:
	s_clause 0x1
	s_load_dwordx2 s[0:1], s[4:5], 0x2d8
	s_load_dword s2, s[4:5], 0x2d0
	s_waitcnt lgkmcnt(0)
	s_mul_i32 s1, s1, s8
	s_add_i32 s1, s1, s7
	s_mul_i32 s0, s1, s0
	s_add_i32 s0, s0, s6
	s_cmp_ge_u32 s0, s2
	s_cbranch_scc1 .LBB94_40
; %bb.1:
	s_load_dwordx8 s[8:15], s[4:5], 0x2a8
	s_mov_b32 s21, 0
	s_waitcnt lgkmcnt(0)
	v_cvt_f32_u32_e32 v1, s10
	s_sub_i32 s2, 0, s10
	v_rcp_iflag_f32_e32 v1, v1
	v_mul_f32_e32 v1, 0x4f7ffffe, v1
	v_cvt_u32_f32_e32 v1, v1
	v_readfirstlane_b32 s1, v1
	v_mov_b32_e32 v1, 0
	s_mul_i32 s2, s2, s1
	s_mul_hi_u32 s2, s1, s2
	s_add_i32 s1, s1, s2
	s_mul_hi_u32 s1, s0, s1
	s_mul_i32 s2, s1, s10
	s_add_i32 s3, s1, 1
	s_sub_i32 s2, s0, s2
	s_sub_i32 s6, s2, s10
	s_cmp_ge_u32 s2, s10
	s_cselect_b32 s1, s3, s1
	s_cselect_b32 s2, s6, s2
	s_add_i32 s3, s1, 1
	s_cmp_ge_u32 s2, s10
	s_cselect_b32 s20, s3, s1
	s_mul_i32 s16, s20, s10
	s_lshl_b64 s[2:3], s[20:21], 1
	s_sub_i32 s11, s0, s16
	s_add_u32 s0, s12, s2
	s_addc_u32 s1, s13, s3
	global_load_ushort v1, v1, s[0:1]
	s_clause 0x2
	s_load_dwordx2 s[2:3], s[4:5], 0x1d0
	s_load_dwordx2 s[6:7], s[4:5], 0xf0
	;; [unrolled: 1-line block ×3, first 2 shown]
	v_cmp_ne_u32_e64 s0, 0, v0
	v_cmp_eq_u32_e64 s1, 0, v0
	s_waitcnt vmcnt(0)
	v_readfirstlane_b32 s28, v1
	s_and_saveexec_b32 s29, s1
	s_cbranch_execz .LBB94_17
; %bb.2:
	s_load_dwordx2 s[12:13], s[4:5], 0x2c8
	s_mov_b32 s17, s21
	s_lshl_b64 s[24:25], s[16:17], 2
	s_add_u32 s16, s14, s24
	s_addc_u32 s17, s15, s25
	s_waitcnt lgkmcnt(0)
	s_add_u32 s18, s12, s24
	s_addc_u32 s19, s13, s25
	s_cmp_lt_u32 s10, 4
	s_cbranch_scc1 .LBB94_14
; %bb.3:
	s_mov_b32 s30, s21
	s_mov_b32 s31, s21
	;; [unrolled: 1-line block ×3, first 2 shown]
.LBB94_4:                               ; =>This Inner Loop Header: Depth=1
	s_add_u32 s16, s14, s24
	s_addc_u32 s17, s15, s25
	s_add_u32 s26, s12, s24
	s_load_dwordx4 s[16:19], s[16:17], 0x0
	s_addc_u32 s27, s13, s25
	s_cmp_ge_u32 s33, s11
	s_cbranch_scc0 .LBB94_11
; %bb.5:                                ;   in Loop: Header=BB94_4 Depth=1
	s_add_i32 s34, s33, 1
	s_cmp_ge_u32 s34, s11
	s_cbranch_scc0 .LBB94_12
.LBB94_6:                               ;   in Loop: Header=BB94_4 Depth=1
	s_add_i32 s34, s34, 1
	s_cmp_ge_u32 s34, s11
	s_cbranch_scc0 .LBB94_13
.LBB94_7:                               ;   in Loop: Header=BB94_4 Depth=1
	s_add_i32 s34, s34, 1
	s_cmp_ge_u32 s34, s11
	s_cbranch_scc1 .LBB94_9
.LBB94_8:                               ;   in Loop: Header=BB94_4 Depth=1
	s_load_dword s26, s[26:27], 0xc
	s_waitcnt lgkmcnt(0)
	s_add_i32 s21, s21, s19
	s_add_i32 s30, s26, s30
.LBB94_9:                               ;   in Loop: Header=BB94_4 Depth=1
	s_waitcnt lgkmcnt(0)
	s_add_i32 s16, s16, s31
	s_add_i32 s16, s16, s17
	;; [unrolled: 1-line block ×4, first 2 shown]
	s_add_u32 s14, s14, 16
	s_addc_u32 s15, s15, 0
	s_add_u32 s12, s12, 16
	s_addc_u32 s13, s13, 0
	s_add_i32 s27, s34, 4
	s_add_u32 s18, s12, s24
	s_addc_u32 s19, s13, s25
	s_add_u32 s16, s14, s24
	s_addc_u32 s17, s15, s25
	s_add_i32 s26, s34, 1
	s_cmp_ge_u32 s27, s10
	s_cbranch_scc1 .LBB94_15
; %bb.10:                               ;   in Loop: Header=BB94_4 Depth=1
	s_mov_b32 s33, s26
	s_branch .LBB94_4
.LBB94_11:                              ;   in Loop: Header=BB94_4 Depth=1
	s_load_dword s34, s[26:27], 0x0
	s_waitcnt lgkmcnt(0)
	s_add_i32 s21, s16, s21
	s_add_i32 s30, s34, s30
	;; [unrolled: 1-line block ×3, first 2 shown]
	s_cmp_ge_u32 s34, s11
	s_cbranch_scc1 .LBB94_6
.LBB94_12:                              ;   in Loop: Header=BB94_4 Depth=1
	s_load_dword s35, s[26:27], 0x4
	s_waitcnt lgkmcnt(0)
	s_add_i32 s21, s21, s17
	s_add_i32 s30, s35, s30
	;; [unrolled: 1-line block ×3, first 2 shown]
	s_cmp_ge_u32 s34, s11
	s_cbranch_scc1 .LBB94_7
.LBB94_13:                              ;   in Loop: Header=BB94_4 Depth=1
	s_load_dword s35, s[26:27], 0x8
	s_waitcnt lgkmcnt(0)
	s_add_i32 s21, s21, s18
	s_add_i32 s30, s35, s30
	s_add_i32 s34, s34, 1
	s_cmp_ge_u32 s34, s11
	s_cbranch_scc0 .LBB94_8
	s_branch .LBB94_9
.LBB94_14:
	s_mov_b32 s30, 0
	s_mov_b32 s31, 0
	;; [unrolled: 1-line block ×3, first 2 shown]
	s_cmp_ge_u32 s12, s10
	s_cbranch_scc0 .LBB94_38
	s_branch .LBB94_16
.LBB94_15:
	s_add_i32 s12, s33, 4
	s_cmp_ge_u32 s12, s10
	s_cbranch_scc0 .LBB94_38
.LBB94_16:
	v_mov_b32_e32 v1, s30
	v_mov_b32_e32 v2, s31
	;; [unrolled: 1-line block ×4, first 2 shown]
	ds_write_b96 v4, v[1:3] offset:1056
.LBB94_17:
	s_or_b32 exec_lo, exec_lo, s29
	s_clause 0x3
	s_load_dword s16, s[4:5], 0x23c
	s_load_dword s17, s[4:5], 0x15c
	;; [unrolled: 1-line block ×3, first 2 shown]
	s_load_dwordx4 s[12:15], s[4:5], 0xd8
	s_waitcnt lgkmcnt(0)
	s_mul_i32 s15, s9, s11
	s_add_i32 s11, s11, 1
	s_lshl_b32 s18, s15, 8
	s_barrier
	buffer_gl0_inv
	s_sub_i32 s15, s12, s18
	s_add_u32 s24, s15, 0xff
	s_addc_u32 s25, 0, 0
	s_lshr_b64 s[24:25], s[24:25], 8
	s_cmp_lt_u32 s11, s10
	s_mov_b32 s11, 0
	s_cselect_b32 s9, s9, s24
	s_cmp_eq_u32 s9, 0
	s_cbranch_scc1 .LBB94_40
; %bb.18:
	v_mov_b32_e32 v5, 0
	s_mul_i32 s10, s20, s19
	s_load_dword s19, s[4:5], 0xe8
	s_lshl_b64 s[26:27], s[10:11], 1
	s_mul_i32 s24, s20, s17
	ds_read_b96 v[1:3], v5 offset:1056
	s_mov_b32 s25, s11
	v_lshrrev_b32_e32 v4, 3, v0
	v_add_nc_u32_e32 v9, -1, v0
	s_add_u32 s10, s22, s26
	s_mul_i32 s16, s20, s16
	s_addc_u32 s15, s23, s27
	s_lshl_b64 s[20:21], s[24:25], 1
	s_mov_b32 s17, s11
	s_load_dword s4, s[4:5], 0x1c8
	s_add_u32 s6, s6, s20
	s_addc_u32 s7, s7, s21
	s_lshl_b64 s[16:17], s[16:17], 3
	v_and_b32_e32 v4, 28, v4
	v_lshrrev_b32_e32 v8, 3, v9
	s_add_u32 s11, s2, s16
	s_sext_i32_i16 s2, s28
	s_addc_u32 s16, s3, s17
	s_and_b32 s3, 0xffff, s28
	s_cmp_gt_i32 s2, -1
	s_mov_b32 s2, 0x8000
	v_cmp_o_f16_e64 s17, s28, s28
	s_waitcnt lgkmcnt(0)
	v_add_nc_u32_e32 v6, v1, v2
	v_lshl_add_u32 v7, v0, 2, v4
	v_and_b32_e32 v4, 0x1ffffffc, v8
	v_add_nc_u32_e32 v1, s18, v0
	s_cselect_b32 s2, s2, 0xffff
	v_and_b32_e32 v2, 0xfc, v0
	s_xor_b32 s2, s2, s3
	v_lshlrev_b32_e32 v10, 5, v0
	v_mbcnt_lo_u32_b32 v8, -1, 0
	s_and_b32 s3, s17, exec_lo
	s_cselect_b32 s17, s2, 0xffff
	v_cmp_gt_u32_e64 s2, 32, v0
	v_lshl_add_u32 v0, v9, 2, v4
	v_mul_lo_u32 v4, s19, v1
	v_add_nc_u32_e32 v9, v2, v10
	v_and_b32_e32 v10, 15, v8
	v_bfe_i32 v11, v8, 4, 1
	v_add_nc_u32_e32 v12, -1, v8
	v_mov_b32_e32 v13, 0x8000
	s_bitcmp1_b32 s14, 0
                                        ; implicit-def: $vgpr14
	s_cselect_b32 s3, -1, 0
	s_lshl_b32 s5, s19, 8
	s_branch .LBB94_21
.LBB94_19:                              ;   in Loop: Header=BB94_21 Depth=1
	s_or_b32 exec_lo, exec_lo, s14
	v_add_nc_u32_e32 v6, v17, v6
.LBB94_20:                              ;   in Loop: Header=BB94_21 Depth=1
	v_add_nc_u32_e32 v3, v16, v3
	v_add_nc_u32_e32 v4, s5, v4
	;; [unrolled: 1-line block ×3, first 2 shown]
	s_add_i32 s9, s9, -1
	s_cmp_lg_u32 s9, 0
	s_cbranch_scc0 .LBB94_40
.LBB94_21:                              ; =>This Inner Loop Header: Depth=1
	v_mov_b32_e32 v2, 0
	v_mov_b32_e32 v15, 0
	s_mov_b32 s14, exec_lo
	v_cmpx_gt_u32_e64 s12, v1
	s_cbranch_execz .LBB94_23
; %bb.22:                               ;   in Loop: Header=BB94_21 Depth=1
	v_lshlrev_b64 v[14:15], 1, v[4:5]
	v_add_co_u32 v14, vcc_lo, s10, v14
	v_add_co_ci_u32_e64 v15, null, s15, v15, vcc_lo
	global_load_ushort v14, v[14:15], off
	s_waitcnt vmcnt(0)
	v_cmp_lt_i16_e32 vcc_lo, -1, v14
	v_cndmask_b32_e32 v2, 0xffff, v13, vcc_lo
	v_cmp_o_f16_e32 vcc_lo, v14, v14
	v_xor_b32_sdwa v2, v2, v14 dst_sel:DWORD dst_unused:UNUSED_PAD src0_sel:DWORD src1_sel:WORD_0
	v_cndmask_b32_e32 v15, 0xffff, v2, vcc_lo
	v_cmp_lt_u32_e32 vcc_lo, s17, v15
	v_cndmask_b32_e64 v2, 0, 1, vcc_lo
	v_cmp_gt_u32_e32 vcc_lo, s17, v15
	v_cndmask_b32_e64 v16, 0, 1, vcc_lo
	v_cmp_eq_u32_e32 vcc_lo, s17, v15
	v_cndmask_b32_e64 v2, v16, v2, s3
	v_cndmask_b32_e64 v15, 0, 1, vcc_lo
	v_and_b32_e32 v2, 1, v2
.LBB94_23:                              ;   in Loop: Header=BB94_21 Depth=1
	s_or_b32 exec_lo, exec_lo, s14
	ds_write_b32 v7, v2
	s_waitcnt lgkmcnt(0)
	s_barrier
	buffer_gl0_inv
	s_and_saveexec_b32 s14, s2
	s_cbranch_execz .LBB94_25
; %bb.24:                               ;   in Loop: Header=BB94_21 Depth=1
	ds_read2_b32 v[16:17], v9 offset1:1
	ds_read2_b32 v[18:19], v9 offset0:2 offset1:3
	ds_read2_b32 v[20:21], v9 offset0:4 offset1:5
	;; [unrolled: 1-line block ×3, first 2 shown]
	v_cmp_ne_u32_e32 vcc_lo, 0, v10
	; wave barrier
	s_waitcnt lgkmcnt(3)
	v_add_nc_u32_e32 v17, v17, v16
	s_waitcnt lgkmcnt(2)
	v_add3_u32 v17, v17, v18, v19
	s_waitcnt lgkmcnt(1)
	v_add3_u32 v17, v17, v20, v21
	;; [unrolled: 2-line block ×3, first 2 shown]
	v_mov_b32_dpp v18, v17 row_shr:1 row_mask:0xf bank_mask:0xf
	v_cndmask_b32_e32 v18, 0, v18, vcc_lo
	v_cmp_lt_u32_e32 vcc_lo, 1, v10
	v_add_nc_u32_e32 v17, v18, v17
	v_mov_b32_dpp v18, v17 row_shr:2 row_mask:0xf bank_mask:0xf
	v_cndmask_b32_e32 v18, 0, v18, vcc_lo
	v_cmp_lt_u32_e32 vcc_lo, 3, v10
	v_add_nc_u32_e32 v17, v17, v18
	v_mov_b32_dpp v18, v17 row_shr:4 row_mask:0xf bank_mask:0xf
	v_cndmask_b32_e32 v18, 0, v18, vcc_lo
	v_cmp_lt_u32_e32 vcc_lo, 7, v10
	v_add_nc_u32_e32 v17, v17, v18
	v_mov_b32_dpp v18, v17 row_shr:8 row_mask:0xf bank_mask:0xf
	v_cndmask_b32_e32 v18, 0, v18, vcc_lo
	v_cmp_gt_i32_e32 vcc_lo, 0, v12
	v_add_nc_u32_e32 v17, v17, v18
	v_cndmask_b32_e32 v19, v12, v8, vcc_lo
	ds_swizzle_b32 v18, v17 offset:swizzle(BROADCAST,32,15)
	v_lshlrev_b32_e32 v19, 2, v19
	s_waitcnt lgkmcnt(0)
	v_and_b32_e32 v18, v11, v18
	v_add_nc_u32_e32 v17, v17, v18
	ds_bpermute_b32 v17, v19, v17
	s_waitcnt lgkmcnt(0)
	v_add_nc_u32_e32 v16, v17, v16
	v_cndmask_b32_e64 v22, v16, v2, s1
	ds_write_b32 v9, v22
	; wave barrier
	ds_read2_b32 v[16:17], v9 offset0:1 offset1:2
	ds_read2_b32 v[18:19], v9 offset0:3 offset1:4
	;; [unrolled: 1-line block ×3, first 2 shown]
	ds_read_b32 v23, v9 offset:28
	s_waitcnt lgkmcnt(3)
	v_add_nc_u32_e32 v16, v16, v22
	v_add_nc_u32_e32 v17, v17, v16
	s_waitcnt lgkmcnt(2)
	v_add_nc_u32_e32 v18, v18, v17
	v_add_nc_u32_e32 v19, v19, v18
	;; [unrolled: 3-line block ×3, first 2 shown]
	s_waitcnt lgkmcnt(0)
	v_add_nc_u32_e32 v22, v23, v21
	ds_write2_b32 v9, v16, v17 offset0:1 offset1:2
	ds_write2_b32 v9, v18, v19 offset0:3 offset1:4
	;; [unrolled: 1-line block ×3, first 2 shown]
	ds_write_b32 v9, v22 offset:28
.LBB94_25:                              ;   in Loop: Header=BB94_21 Depth=1
	s_or_b32 exec_lo, exec_lo, s14
	v_mov_b32_e32 v17, 0
	s_waitcnt lgkmcnt(0)
	s_barrier
	buffer_gl0_inv
	s_and_saveexec_b32 s14, s0
; %bb.26:                               ;   in Loop: Header=BB94_21 Depth=1
	ds_read_b32 v17, v0
; %bb.27:                               ;   in Loop: Header=BB94_21 Depth=1
	s_or_b32 exec_lo, exec_lo, s14
	ds_read_b32 v16, v5 offset:1048
	s_mov_b32 s14, exec_lo
	s_waitcnt lgkmcnt(0)
	s_barrier
	buffer_gl0_inv
	v_cmpx_ne_u32_e32 0, v2
	s_cbranch_execz .LBB94_29
; %bb.28:                               ;   in Loop: Header=BB94_21 Depth=1
	v_add_nc_u32_e32 v2, v17, v3
	v_mov_b32_e32 v18, v5
	v_mov_b32_e32 v20, v5
	v_mul_lo_u32 v17, v2, s4
	v_mul_lo_u32 v19, v2, s8
	v_mov_b32_e32 v2, v5
	v_lshlrev_b64 v[17:18], 1, v[17:18]
	v_lshlrev_b64 v[19:20], 3, v[19:20]
	v_add_co_u32 v17, vcc_lo, s6, v17
	v_add_co_ci_u32_e64 v18, null, s7, v18, vcc_lo
	v_add_co_u32 v19, vcc_lo, s11, v19
	v_add_co_ci_u32_e64 v20, null, s16, v20, vcc_lo
	global_store_short v[17:18], v14, off
	global_store_dwordx2 v[19:20], v[1:2], off
.LBB94_29:                              ;   in Loop: Header=BB94_21 Depth=1
	s_or_b32 exec_lo, exec_lo, s14
	v_cmp_le_u32_e32 vcc_lo, s13, v6
	s_cbranch_vccnz .LBB94_20
; %bb.30:                               ;   in Loop: Header=BB94_21 Depth=1
	ds_write_b32 v7, v15
	s_waitcnt lgkmcnt(0)
	s_waitcnt_vscnt null, 0x0
	s_barrier
	buffer_gl0_inv
	s_and_saveexec_b32 s14, s2
	s_cbranch_execz .LBB94_32
; %bb.31:                               ;   in Loop: Header=BB94_21 Depth=1
	ds_read2_b32 v[17:18], v9 offset1:1
	ds_read2_b32 v[19:20], v9 offset0:2 offset1:3
	ds_read2_b32 v[21:22], v9 offset0:4 offset1:5
	;; [unrolled: 1-line block ×3, first 2 shown]
	v_cmp_ne_u32_e32 vcc_lo, 0, v10
	; wave barrier
	s_waitcnt lgkmcnt(3)
	v_add_nc_u32_e32 v2, v18, v17
	s_waitcnt lgkmcnt(2)
	v_add3_u32 v2, v2, v19, v20
	s_waitcnt lgkmcnt(1)
	v_add3_u32 v2, v2, v21, v22
	;; [unrolled: 2-line block ×3, first 2 shown]
	v_mov_b32_dpp v18, v2 row_shr:1 row_mask:0xf bank_mask:0xf
	v_cndmask_b32_e32 v18, 0, v18, vcc_lo
	v_cmp_lt_u32_e32 vcc_lo, 1, v10
	v_add_nc_u32_e32 v2, v18, v2
	v_mov_b32_dpp v18, v2 row_shr:2 row_mask:0xf bank_mask:0xf
	v_cndmask_b32_e32 v18, 0, v18, vcc_lo
	v_cmp_lt_u32_e32 vcc_lo, 3, v10
	v_add_nc_u32_e32 v2, v2, v18
	;; [unrolled: 4-line block ×3, first 2 shown]
	v_mov_b32_dpp v18, v2 row_shr:8 row_mask:0xf bank_mask:0xf
	v_cndmask_b32_e32 v18, 0, v18, vcc_lo
	v_cmp_gt_i32_e32 vcc_lo, 0, v12
	v_add_nc_u32_e32 v2, v2, v18
	v_cndmask_b32_e32 v19, v12, v8, vcc_lo
	ds_swizzle_b32 v18, v2 offset:swizzle(BROADCAST,32,15)
	v_lshlrev_b32_e32 v19, 2, v19
	s_waitcnt lgkmcnt(0)
	v_and_b32_e32 v18, v11, v18
	v_add_nc_u32_e32 v2, v2, v18
	ds_bpermute_b32 v2, v19, v2
	s_waitcnt lgkmcnt(0)
	v_add_nc_u32_e32 v2, v2, v17
	v_cndmask_b32_e64 v2, v2, v15, s1
	ds_write_b32 v9, v2
	; wave barrier
	ds_read2_b32 v[17:18], v9 offset0:1 offset1:2
	ds_read2_b32 v[19:20], v9 offset0:3 offset1:4
	;; [unrolled: 1-line block ×3, first 2 shown]
	ds_read_b32 v23, v9 offset:28
	s_waitcnt lgkmcnt(3)
	v_add_nc_u32_e32 v2, v17, v2
	v_add_nc_u32_e32 v17, v18, v2
	s_waitcnt lgkmcnt(2)
	v_add_nc_u32_e32 v18, v19, v17
	v_add_nc_u32_e32 v19, v20, v18
	;; [unrolled: 3-line block ×3, first 2 shown]
	s_waitcnt lgkmcnt(0)
	v_add_nc_u32_e32 v22, v23, v21
	ds_write2_b32 v9, v2, v17 offset0:1 offset1:2
	ds_write2_b32 v9, v18, v19 offset0:3 offset1:4
	;; [unrolled: 1-line block ×3, first 2 shown]
	ds_write_b32 v9, v22 offset:28
.LBB94_32:                              ;   in Loop: Header=BB94_21 Depth=1
	s_or_b32 exec_lo, exec_lo, s14
	v_mov_b32_e32 v2, 0
	s_waitcnt lgkmcnt(0)
	s_barrier
	buffer_gl0_inv
	s_and_saveexec_b32 s14, s0
; %bb.33:                               ;   in Loop: Header=BB94_21 Depth=1
	ds_read_b32 v2, v0
; %bb.34:                               ;   in Loop: Header=BB94_21 Depth=1
	s_or_b32 exec_lo, exec_lo, s14
	ds_read_b32 v17, v5 offset:1048
	s_mov_b32 s14, exec_lo
	s_waitcnt lgkmcnt(0)
	s_barrier
	buffer_gl0_inv
	v_cmpx_ne_u32_e32 0, v15
	s_cbranch_execz .LBB94_19
; %bb.35:                               ;   in Loop: Header=BB94_21 Depth=1
	v_add_nc_u32_e32 v2, v2, v6
	v_cmp_gt_u32_e32 vcc_lo, s13, v2
	s_and_b32 exec_lo, exec_lo, vcc_lo
	s_cbranch_execz .LBB94_19
; %bb.36:                               ;   in Loop: Header=BB94_21 Depth=1
	v_mul_lo_u32 v18, v2, s4
	v_mul_lo_u32 v20, v2, s8
	v_mov_b32_e32 v19, v5
	v_mov_b32_e32 v21, v5
	;; [unrolled: 1-line block ×3, first 2 shown]
	v_lshlrev_b64 v[18:19], 1, v[18:19]
	v_lshlrev_b64 v[20:21], 3, v[20:21]
	v_add_co_u32 v18, vcc_lo, s6, v18
	v_add_co_ci_u32_e64 v19, null, s7, v19, vcc_lo
	v_add_co_u32 v20, vcc_lo, s11, v20
	v_add_co_ci_u32_e64 v21, null, s16, v21, vcc_lo
	global_store_short v[18:19], v14, off
	global_store_dwordx2 v[20:21], v[1:2], off
	s_branch .LBB94_19
	.p2align	6
.LBB94_37:                              ;   in Loop: Header=BB94_38 Depth=1
	s_add_u32 s16, s16, 4
	s_addc_u32 s17, s17, 0
	s_waitcnt lgkmcnt(0)
	s_add_i32 s31, s13, s31
	s_add_u32 s18, s18, 4
	s_addc_u32 s19, s19, 0
	s_add_i32 s12, s12, 1
	s_cmp_lt_u32 s12, s10
	s_cbranch_scc0 .LBB94_16
.LBB94_38:                              ; =>This Inner Loop Header: Depth=1
	s_load_dword s13, s[16:17], 0x0
	s_cmp_ge_u32 s12, s11
	s_cbranch_scc1 .LBB94_37
; %bb.39:                               ;   in Loop: Header=BB94_38 Depth=1
	s_load_dword s14, s[18:19], 0x0
	s_waitcnt lgkmcnt(0)
	s_add_i32 s21, s13, s21
	s_add_i32 s30, s14, s30
	s_branch .LBB94_37
.LBB94_40:
	s_endpgm
	.section	.rodata,"a",@progbits
	.p2align	6, 0x0
	.amdhsa_kernel _ZN2at6native6mbtopk10gatherTopKIN3c104HalfEjLi1EEEvNS_4cuda6detail10TensorInfoIKT_T0_EESA_SA_bjSA_NS7_IS8_SA_EESA_NS7_IlSA_EESA_jjPS8_PjSF_j
		.amdhsa_group_segment_fixed_size 1068
		.amdhsa_private_segment_fixed_size 0
		.amdhsa_kernarg_size 984
		.amdhsa_user_sgpr_count 6
		.amdhsa_user_sgpr_private_segment_buffer 1
		.amdhsa_user_sgpr_dispatch_ptr 0
		.amdhsa_user_sgpr_queue_ptr 0
		.amdhsa_user_sgpr_kernarg_segment_ptr 1
		.amdhsa_user_sgpr_dispatch_id 0
		.amdhsa_user_sgpr_flat_scratch_init 0
		.amdhsa_user_sgpr_private_segment_size 0
		.amdhsa_wavefront_size32 1
		.amdhsa_uses_dynamic_stack 0
		.amdhsa_system_sgpr_private_segment_wavefront_offset 0
		.amdhsa_system_sgpr_workgroup_id_x 1
		.amdhsa_system_sgpr_workgroup_id_y 1
		.amdhsa_system_sgpr_workgroup_id_z 1
		.amdhsa_system_sgpr_workgroup_info 0
		.amdhsa_system_vgpr_workitem_id 0
		.amdhsa_next_free_vgpr 25
		.amdhsa_next_free_sgpr 36
		.amdhsa_reserve_vcc 1
		.amdhsa_reserve_flat_scratch 0
		.amdhsa_float_round_mode_32 0
		.amdhsa_float_round_mode_16_64 0
		.amdhsa_float_denorm_mode_32 3
		.amdhsa_float_denorm_mode_16_64 3
		.amdhsa_dx10_clamp 1
		.amdhsa_ieee_mode 1
		.amdhsa_fp16_overflow 0
		.amdhsa_workgroup_processor_mode 1
		.amdhsa_memory_ordered 1
		.amdhsa_forward_progress 1
		.amdhsa_shared_vgpr_count 0
		.amdhsa_exception_fp_ieee_invalid_op 0
		.amdhsa_exception_fp_denorm_src 0
		.amdhsa_exception_fp_ieee_div_zero 0
		.amdhsa_exception_fp_ieee_overflow 0
		.amdhsa_exception_fp_ieee_underflow 0
		.amdhsa_exception_fp_ieee_inexact 0
		.amdhsa_exception_int_div_zero 0
	.end_amdhsa_kernel
	.section	.text._ZN2at6native6mbtopk10gatherTopKIN3c104HalfEjLi1EEEvNS_4cuda6detail10TensorInfoIKT_T0_EESA_SA_bjSA_NS7_IS8_SA_EESA_NS7_IlSA_EESA_jjPS8_PjSF_j,"axG",@progbits,_ZN2at6native6mbtopk10gatherTopKIN3c104HalfEjLi1EEEvNS_4cuda6detail10TensorInfoIKT_T0_EESA_SA_bjSA_NS7_IS8_SA_EESA_NS7_IlSA_EESA_jjPS8_PjSF_j,comdat
.Lfunc_end94:
	.size	_ZN2at6native6mbtopk10gatherTopKIN3c104HalfEjLi1EEEvNS_4cuda6detail10TensorInfoIKT_T0_EESA_SA_bjSA_NS7_IS8_SA_EESA_NS7_IlSA_EESA_jjPS8_PjSF_j, .Lfunc_end94-_ZN2at6native6mbtopk10gatherTopKIN3c104HalfEjLi1EEEvNS_4cuda6detail10TensorInfoIKT_T0_EESA_SA_bjSA_NS7_IS8_SA_EESA_NS7_IlSA_EESA_jjPS8_PjSF_j
                                        ; -- End function
	.set _ZN2at6native6mbtopk10gatherTopKIN3c104HalfEjLi1EEEvNS_4cuda6detail10TensorInfoIKT_T0_EESA_SA_bjSA_NS7_IS8_SA_EESA_NS7_IlSA_EESA_jjPS8_PjSF_j.num_vgpr, 25
	.set _ZN2at6native6mbtopk10gatherTopKIN3c104HalfEjLi1EEEvNS_4cuda6detail10TensorInfoIKT_T0_EESA_SA_bjSA_NS7_IS8_SA_EESA_NS7_IlSA_EESA_jjPS8_PjSF_j.num_agpr, 0
	.set _ZN2at6native6mbtopk10gatherTopKIN3c104HalfEjLi1EEEvNS_4cuda6detail10TensorInfoIKT_T0_EESA_SA_bjSA_NS7_IS8_SA_EESA_NS7_IlSA_EESA_jjPS8_PjSF_j.numbered_sgpr, 36
	.set _ZN2at6native6mbtopk10gatherTopKIN3c104HalfEjLi1EEEvNS_4cuda6detail10TensorInfoIKT_T0_EESA_SA_bjSA_NS7_IS8_SA_EESA_NS7_IlSA_EESA_jjPS8_PjSF_j.num_named_barrier, 0
	.set _ZN2at6native6mbtopk10gatherTopKIN3c104HalfEjLi1EEEvNS_4cuda6detail10TensorInfoIKT_T0_EESA_SA_bjSA_NS7_IS8_SA_EESA_NS7_IlSA_EESA_jjPS8_PjSF_j.private_seg_size, 0
	.set _ZN2at6native6mbtopk10gatherTopKIN3c104HalfEjLi1EEEvNS_4cuda6detail10TensorInfoIKT_T0_EESA_SA_bjSA_NS7_IS8_SA_EESA_NS7_IlSA_EESA_jjPS8_PjSF_j.uses_vcc, 1
	.set _ZN2at6native6mbtopk10gatherTopKIN3c104HalfEjLi1EEEvNS_4cuda6detail10TensorInfoIKT_T0_EESA_SA_bjSA_NS7_IS8_SA_EESA_NS7_IlSA_EESA_jjPS8_PjSF_j.uses_flat_scratch, 0
	.set _ZN2at6native6mbtopk10gatherTopKIN3c104HalfEjLi1EEEvNS_4cuda6detail10TensorInfoIKT_T0_EESA_SA_bjSA_NS7_IS8_SA_EESA_NS7_IlSA_EESA_jjPS8_PjSF_j.has_dyn_sized_stack, 0
	.set _ZN2at6native6mbtopk10gatherTopKIN3c104HalfEjLi1EEEvNS_4cuda6detail10TensorInfoIKT_T0_EESA_SA_bjSA_NS7_IS8_SA_EESA_NS7_IlSA_EESA_jjPS8_PjSF_j.has_recursion, 0
	.set _ZN2at6native6mbtopk10gatherTopKIN3c104HalfEjLi1EEEvNS_4cuda6detail10TensorInfoIKT_T0_EESA_SA_bjSA_NS7_IS8_SA_EESA_NS7_IlSA_EESA_jjPS8_PjSF_j.has_indirect_call, 0
	.section	.AMDGPU.csdata,"",@progbits
; Kernel info:
; codeLenInByte = 2384
; TotalNumSgprs: 38
; NumVgprs: 25
; ScratchSize: 0
; MemoryBound: 0
; FloatMode: 240
; IeeeMode: 1
; LDSByteSize: 1068 bytes/workgroup (compile time only)
; SGPRBlocks: 0
; VGPRBlocks: 3
; NumSGPRsForWavesPerEU: 38
; NumVGPRsForWavesPerEU: 25
; Occupancy: 16
; WaveLimiterHint : 1
; COMPUTE_PGM_RSRC2:SCRATCH_EN: 0
; COMPUTE_PGM_RSRC2:USER_SGPR: 6
; COMPUTE_PGM_RSRC2:TRAP_HANDLER: 0
; COMPUTE_PGM_RSRC2:TGID_X_EN: 1
; COMPUTE_PGM_RSRC2:TGID_Y_EN: 1
; COMPUTE_PGM_RSRC2:TGID_Z_EN: 1
; COMPUTE_PGM_RSRC2:TIDIG_COMP_CNT: 0
	.section	.text._ZN2at6native6sbtopk10gatherTopKIN3c104HalfEjLi1ELb0EEEvNS_4cuda6detail10TensorInfoIKT_T0_EESA_SA_bSA_SA_NS7_IS8_SA_EESA_NS7_IlSA_EESA_PS8_,"axG",@progbits,_ZN2at6native6sbtopk10gatherTopKIN3c104HalfEjLi1ELb0EEEvNS_4cuda6detail10TensorInfoIKT_T0_EESA_SA_bSA_SA_NS7_IS8_SA_EESA_NS7_IlSA_EESA_PS8_,comdat
	.protected	_ZN2at6native6sbtopk10gatherTopKIN3c104HalfEjLi1ELb0EEEvNS_4cuda6detail10TensorInfoIKT_T0_EESA_SA_bSA_SA_NS7_IS8_SA_EESA_NS7_IlSA_EESA_PS8_ ; -- Begin function _ZN2at6native6sbtopk10gatherTopKIN3c104HalfEjLi1ELb0EEEvNS_4cuda6detail10TensorInfoIKT_T0_EESA_SA_bSA_SA_NS7_IS8_SA_EESA_NS7_IlSA_EESA_PS8_
	.globl	_ZN2at6native6sbtopk10gatherTopKIN3c104HalfEjLi1ELb0EEEvNS_4cuda6detail10TensorInfoIKT_T0_EESA_SA_bSA_SA_NS7_IS8_SA_EESA_NS7_IlSA_EESA_PS8_
	.p2align	8
	.type	_ZN2at6native6sbtopk10gatherTopKIN3c104HalfEjLi1ELb0EEEvNS_4cuda6detail10TensorInfoIKT_T0_EESA_SA_bSA_SA_NS7_IS8_SA_EESA_NS7_IlSA_EESA_PS8_,@function
_ZN2at6native6sbtopk10gatherTopKIN3c104HalfEjLi1ELb0EEEvNS_4cuda6detail10TensorInfoIKT_T0_EESA_SA_bSA_SA_NS7_IS8_SA_EESA_NS7_IlSA_EESA_PS8_: ; @_ZN2at6native6sbtopk10gatherTopKIN3c104HalfEjLi1ELb0EEEvNS_4cuda6detail10TensorInfoIKT_T0_EESA_SA_bSA_SA_NS7_IS8_SA_EESA_NS7_IlSA_EESA_PS8_
; %bb.0:
	s_clause 0x1
	s_load_dwordx2 s[12:13], s[4:5], 0x2b8
	s_load_dwordx4 s[36:39], s[4:5], 0xd8
	s_add_u32 s10, s4, 0x2b8
	s_addc_u32 s11, s5, 0
	s_waitcnt lgkmcnt(0)
	s_mul_i32 s0, s13, s8
	s_add_i32 s0, s0, s7
	s_mul_i32 s50, s0, s12
	s_add_i32 s50, s50, s6
	s_cmp_ge_u32 s50, s39
	s_cbranch_scc1 .LBB95_426
; %bb.1:
	s_clause 0x4
	s_load_dwordx2 s[42:43], s[4:5], 0x1d0
	s_load_dword s40, s[4:5], 0xe8
	s_load_dwordx2 s[44:45], s[4:5], 0xf0
	s_load_dword s2, s[4:5], 0x6c
	s_load_dwordx2 s[0:1], s[4:5], 0x0
	v_cmp_eq_u32_e64 s3, 0, v0
	s_mov_b32 s35, 0
	s_and_saveexec_b32 s7, s3
	s_cbranch_execz .LBB95_3
; %bb.2:
	v_mov_b32_e32 v1, 0
	v_mov_b32_e32 v2, s36
	;; [unrolled: 1-line block ×3, first 2 shown]
	ds_write_b96 v1, v[1:3] offset:4096
.LBB95_3:
	s_or_b32 exec_lo, exec_lo, s7
	s_waitcnt lgkmcnt(0)
	s_barrier
	buffer_gl0_inv
	s_load_dword s7, s[10:11], 0xc
	s_clause 0x1
	s_load_dword s51, s[4:5], 0x23c
	s_load_dword s52, s[4:5], 0x15c
	v_mov_b32_e32 v9, 0
	s_mul_i32 s34, s2, s50
	v_mul_lo_u32 v7, s40, v0
	s_lshl_b64 s[8:9], s[34:35], 1
	v_mbcnt_lo_u32_b32 v19, -1, 0
	v_mov_b32_e32 v8, v9
	s_add_u32 s46, s0, s8
	s_addc_u32 s47, s1, s9
	s_bitcmp1_b32 s38, 0
	v_cmp_gt_u32_e32 vcc_lo, 32, v0
	s_cselect_b32 s2, -1, 0
	v_lshlrev_b64 v[1:2], 1, v[7:8]
	v_cmp_gt_i32_e64 s0, 4, v19
	s_xor_b32 s53, s2, -1
	s_movk_i32 s8, 0x1f0
	v_lshlrev_b32_e32 v18, 2, v0
	v_lshlrev_b32_e32 v20, 1, v0
	s_waitcnt lgkmcnt(0)
	s_and_b32 s48, s7, 0xffff
	s_and_b32 s56, vcc_lo, s0
	s_lshl_b32 s54, s48, 2
	v_add_co_u32 v5, vcc_lo, s46, v1
	v_cvt_f32_u32_e32 v3, s54
	v_add_co_ci_u32_e64 v6, null, s47, v2, vcc_lo
	v_lshlrev_b64 v[1:2], v19, -1
	s_bfe_u32 s1, s48, 0x80008
	v_rcp_iflag_f32_e32 v2, v3
	s_bfe_u32 s7, s7, 0xb0005
	s_lshl_b32 s55, s1, 3
	s_cmpk_gt_u32 s36, 0x600
	v_add_nc_u32_e32 v3, 2, v0
	s_cselect_b32 s57, -1, 0
	s_cmp_gt_u32 s48, 31
	v_cvt_f32_u32_e32 v8, s48
	s_cselect_b32 s58, -1, 0
	s_add_i32 s59, s48, -1
	v_mul_f32_e32 v2, 0x4f7ffffe, v2
	s_add_i32 s13, s59, s36
	s_cmp_lt_u32 s6, s12
	v_max_u32_e32 v3, s36, v3
	s_cselect_b32 s6, 12, 18
	v_cvt_u32_f32_e32 v2, v2
	s_add_u32 s38, s10, s6
	s_addc_u32 s39, s11, 0
	s_add_i32 s7, s7, -1
	s_bfe_u32 s60, s48, 0x30005
	s_and_b32 s6, s7, 0xffff
	v_xad_u32 v3, v0, -1, v3
	s_cmp_gt_u32 s6, 6
	v_readfirstlane_b32 s6, v2
	s_cselect_b32 s61, -1, 0
	s_cmp_lg_u32 s60, 0
	v_not_b32_e32 v17, v1
	s_cselect_b32 s62, -1, 0
	s_sub_i32 s7, 0, s54
	v_lshrrev_b32_e32 v1, 1, v0
	s_mul_i32 s7, s7, s6
	v_add_nc_u32_e32 v4, -2, v3
	s_mul_hi_u32 s7, s6, s7
	v_rcp_iflag_f32_e32 v8, v8
	s_add_i32 s63, s6, s7
	v_and_or_b32 v22, v1, s8, 0xc00
	s_mul_hi_u32 s6, s36, s63
	v_lshrrev_b32_e32 v2, 1, v4
	s_mul_i32 s6, s6, s54
	v_and_b32_e32 v23, -2, v3
	s_sub_i32 s6, s36, s6
	v_cmp_lt_u32_e64 s7, 31, v3
	s_sub_i32 s8, s6, s54
	s_cmp_ge_u32 s6, s54
	v_add_nc_u32_e32 v1, 1, v2
	s_cselect_b32 s6, s8, s6
	v_mul_f32_e32 v2, 0x4f7ffffe, v8
	s_sub_i32 s8, s6, s54
	s_cmp_ge_u32 s6, s54
	v_and_b32_e32 v12, 7, v1
	s_cselect_b32 s6, s8, s6
	v_cvt_u32_f32_e32 v2, v2
	s_sub_i32 s64, s36, s6
	s_sub_i32 s8, 0, s48
	v_add_nc_u32_e32 v25, s64, v0
	v_and_b32_e32 v26, -8, v1
	v_readfirstlane_b32 s9, v2
	v_cmp_ne_u32_e64 s10, v3, v23
	v_or_b32_e32 v3, 3, v18
	v_mul_lo_u32 v8, v25, s40
	s_mov_b32 s41, s40
	s_mul_i32 s8, s8, s9
	v_lshlrev_b32_e32 v28, 2, v12
	s_mul_hi_u32 s8, s9, s8
	v_mul_lo_u32 v30, s40, v3
	s_add_i32 s65, s9, s8
	v_cmp_eq_u32_e64 s0, 0, v19
	v_lshlrev_b64 v[1:2], 1, v[8:9]
	s_mul_hi_u32 s9, s13, s65
	v_cmp_gt_u32_e64 s1, s36, v0
	s_mul_i32 s9, s9, s48
	v_cmp_gt_u32_e64 s15, 2, v0
	s_sub_i32 s11, s13, s9
	v_add_co_u32 v10, vcc_lo, s46, v1
	v_add3_u32 v1, s48, s36, v0
	s_sub_i32 s12, s11, s48
	s_cmp_ge_u32 s11, s48
	v_add_co_ci_u32_e64 v11, null, s47, v2, vcc_lo
	s_cselect_b32 s12, s12, s11
	v_or_b32_e32 v2, 2, v18
	v_subrev_nc_u32_e32 v1, s6, v1
	s_sub_i32 s14, s12, s48
	s_cmp_ge_u32 s12, s48
	v_cmp_ne_u32_e64 s9, 0, v12
	s_cselect_b32 s14, s14, s12
	v_mad_u64_u32 v[12:13], null, s40, v18, s[40:41]
	v_mul_lo_u32 v29, s40, v2
	v_mul_lo_u32 v32, s40, v1
	s_sub_i32 s66, s13, s14
	v_add_nc_u32_e32 v21, 0xc00, v20
	v_add_nc_u32_e32 v24, v0, v23
	v_cmp_lt_u32_e64 s8, 13, v4
	v_cmp_gt_u32_e64 s11, s64, v18
	v_cmp_gt_u32_e64 s12, s36, v25
	;; [unrolled: 1-line block ×3, first 2 shown]
	v_lshlrev_b32_e32 v31, 2, v7
	v_lshlrev_b32_e32 v33, 3, v0
	v_lshl_or_b32 v34, v19, 2, 0xc00
	v_mov_b32_e32 v39, s37
	v_mov_b32_e32 v35, 0x8000
	v_mov_b32_e32 v36, -1
	v_mov_b32_e32 v38, 0
	v_mov_b32_e32 v27, 0
	;; [unrolled: 1-line block ×3, first 2 shown]
	s_mul_i32 s49, s40, s48
	s_lshl_b32 s68, s48, 3
	s_lshl_b32 s67, s49, 2
	;; [unrolled: 1-line block ×3, first 2 shown]
	s_mov_b32 s76, 14
	s_movk_i32 s71, 0x3c00
	s_mov_b32 s72, 0
                                        ; implicit-def: $sgpr70
                                        ; implicit-def: $sgpr75
                                        ; implicit-def: $sgpr74
                                        ; implicit-def: $sgpr77
                                        ; implicit-def: $sgpr73
                                        ; implicit-def: $sgpr81
                                        ; implicit-def: $sgpr82
                                        ; implicit-def: $sgpr78
                                        ; implicit-def: $sgpr80
                                        ; implicit-def: $sgpr79
	s_branch .LBB95_6
.LBB95_4:                               ;   in Loop: Header=BB95_6 Depth=1
	s_or_b32 exec_lo, exec_lo, s17
	v_mov_b32_e32 v39, v4
	s_andn2_b32 s17, s79, exec_lo
	s_and_b32 s16, s16, exec_lo
	s_andn2_b32 s80, s80, exec_lo
	s_or_b32 s79, s17, s16
	s_andn2_b32 s78, s78, exec_lo
	s_andn2_b32 s82, s82, exec_lo
	;; [unrolled: 1-line block ×3, first 2 shown]
	s_orn2_b32 s17, s14, exec_lo
.LBB95_5:                               ;   in Loop: Header=BB95_6 Depth=1
	s_or_b32 exec_lo, exec_lo, s6
	s_and_b32 s6, exec_lo, s17
	s_or_b32 s35, s6, s35
	s_andn2_b32 s6, s73, exec_lo
	s_and_b32 s14, s79, exec_lo
	s_andn2_b32 s16, s77, exec_lo
	s_or_b32 s73, s6, s14
	s_and_b32 s6, s80, exec_lo
	s_andn2_b32 s14, s74, exec_lo
	s_and_b32 s17, s78, exec_lo
	s_or_b32 s77, s16, s6
	s_or_b32 s74, s14, s17
	s_andn2_b32 s6, s75, exec_lo
	s_and_b32 s14, s82, exec_lo
	s_andn2_b32 s16, s70, exec_lo
	s_and_b32 s17, s81, exec_lo
	s_or_b32 s75, s6, s14
	s_or_b32 s70, s16, s17
	s_andn2_b32 exec_lo, exec_lo, s35
	s_cbranch_execz .LBB95_422
.LBB95_6:                               ; =>This Loop Header: Depth=1
                                        ;     Child Loop BB95_11 Depth 2
                                        ;     Child Loop BB95_32 Depth 2
	;; [unrolled: 1-line block ×26, first 2 shown]
	ds_read_b64 v[1:2], v9 offset:4096
	s_waitcnt lgkmcnt(0)
	v_readfirstlane_b32 s83, v1
	s_cmp_lg_u32 s83, 0
	s_cbranch_scc1 .LBB95_51
; %bb.7:                                ;   in Loop: Header=BB95_6 Depth=1
	s_and_b32 vcc_lo, exec_lo, s57
	s_cbranch_vccz .LBB95_19
; %bb.8:                                ;   in Loop: Header=BB95_6 Depth=1
	v_cmp_gt_u32_e32 vcc_lo, 0x601, v2
	s_mov_b32 s16, 0
	s_mov_b32 s6, 0
	s_cbranch_vccz .LBB95_20
; %bb.9:                                ;   in Loop: Header=BB95_6 Depth=1
	global_load_ushort v1, v9, s[38:39]
	global_load_ushort v4, v[5:6], off
	v_mov_b32_e32 v3, v0
	s_mov_b32 s17, 0
	s_waitcnt vmcnt(1)
	v_add_nc_u32_e32 v2, v0, v1
	v_mul_lo_u32 v8, s40, v2
	v_mul_lo_u32 v2, s40, v1
	s_branch .LBB95_11
.LBB95_10:                              ;   in Loop: Header=BB95_11 Depth=2
	s_or_b32 exec_lo, exec_lo, s14
	v_add_nc_u32_e32 v8, v8, v2
	v_mov_b32_e32 v4, v13
	s_andn2_b32 exec_lo, exec_lo, s17
	s_cbranch_execz .LBB95_26
.LBB95_11:                              ;   Parent Loop BB95_6 Depth=1
                                        ; =>  This Inner Loop Header: Depth=2
	v_add_nc_u32_e32 v3, v3, v1
	s_waitcnt lgkmcnt(0)
	v_mov_b32_e32 v14, 0
	v_mov_b32_e32 v13, 0
	s_mov_b32 s14, exec_lo
	v_cmp_le_u32_e32 vcc_lo, s36, v3
	v_cmpx_gt_u32_e64 s36, v3
	s_cbranch_execz .LBB95_13
; %bb.12:                               ;   in Loop: Header=BB95_11 Depth=2
	v_lshlrev_b64 v[15:16], 1, v[8:9]
	v_add_co_u32 v15, s6, s46, v15
	v_add_co_ci_u32_e64 v16, null, s47, v16, s6
	global_load_ushort v13, v[15:16], off
.LBB95_13:                              ;   in Loop: Header=BB95_11 Depth=2
	s_or_b32 exec_lo, exec_lo, s14
	s_waitcnt vmcnt(0)
	v_cmp_lt_i16_e64 s6, -1, v4
	v_cndmask_b32_e64 v15, 0xffff, v35, s6
	v_cmp_o_f16_e64 s6, v4, v4
	v_xor_b32_sdwa v15, v15, v4 dst_sel:DWORD dst_unused:UNUSED_PAD src0_sel:DWORD src1_sel:WORD_0
	v_cndmask_b32_e64 v15, 0xffff, v15, s6
	v_and_b32_e32 v15, v15, v37
	v_cmp_eq_u32_e64 s6, v15, v27
	s_cmp_lg_u32 s6, 0
	s_cselect_b32 s14, -1, 0
	s_and_b32 s14, s0, s14
	s_and_saveexec_b32 s18, s14
	s_cbranch_execz .LBB95_17
; %bb.14:                               ;   in Loop: Header=BB95_11 Depth=2
	s_mov_b32 s21, exec_lo
	s_bcnt1_i32_b32 s19, s6
	v_mbcnt_lo_u32_b32 v14, s21, 0
	s_mov_b32 s20, exec_lo
                                        ; implicit-def: $vgpr15
	v_cmpx_eq_u32_e32 0, v14
; %bb.15:                               ;   in Loop: Header=BB95_11 Depth=2
	s_bcnt1_i32_b32 s14, s21
	s_mul_i32 s14, s19, s14
	v_mov_b32_e32 v15, s14
	ds_add_rtn_u32 v15, v9, v15 offset:4104
; %bb.16:                               ;   in Loop: Header=BB95_11 Depth=2
	s_or_b32 exec_lo, exec_lo, s20
	s_waitcnt lgkmcnt(0)
	v_readfirstlane_b32 s14, v15
	v_mad_u32_u24 v14, s19, v14, s14
.LBB95_17:                              ;   in Loop: Header=BB95_11 Depth=2
	s_or_b32 exec_lo, exec_lo, s18
	ds_bpermute_b32 v14, v9, v14
	s_and_b32 s14, exec_lo, vcc_lo
	s_or_b32 s17, s14, s17
	s_and_saveexec_b32 s14, s6
	s_cbranch_execz .LBB95_10
; %bb.18:                               ;   in Loop: Header=BB95_11 Depth=2
	v_and_b32_e32 v15, s6, v17
	v_bcnt_u32_b32 v15, v15, 0
	v_lshlrev_b32_e32 v15, 1, v15
	s_waitcnt lgkmcnt(0)
	v_lshl_add_u32 v14, v14, 1, v15
	ds_write_b16 v14, v4
	s_branch .LBB95_10
.LBB95_19:                              ;   in Loop: Header=BB95_6 Depth=1
	s_mov_b32 s16, -1
	s_mov_b32 s6, 0
.LBB95_20:                              ;   in Loop: Header=BB95_6 Depth=1
	s_and_b32 vcc_lo, exec_lo, s16
	s_cbranch_vccz .LBB95_49
.LBB95_21:                              ;   in Loop: Header=BB95_6 Depth=1
	s_and_saveexec_b32 s14, s1
	s_cbranch_execz .LBB95_46
; %bb.22:                               ;   in Loop: Header=BB95_6 Depth=1
	global_load_ushort v1, v9, s[38:39]
	global_load_ushort v40, v[5:6], off
	v_mov_b32_e32 v2, v0
	s_mov_b32 s16, exec_lo
	s_waitcnt vmcnt(1)
	v_add_nc_u32_e32 v13, v0, v1
	v_readfirstlane_b32 s17, v1
	v_cmpx_gt_u32_e64 s36, v13
	s_cbranch_execz .LBB95_45
; %bb.23:                               ;   in Loop: Header=BB95_6 Depth=1
	s_mov_b32 s6, 0
	s_mul_i32 s18, s40, s17
                                        ; implicit-def: $vgpr2
                                        ; implicit-def: $vgpr1
                                        ; implicit-def: $vgpr3
	s_and_saveexec_b32 s19, s7
	s_xor_b32 s19, exec_lo, s19
	s_cbranch_execnz .LBB95_29
; %bb.24:                               ;   in Loop: Header=BB95_6 Depth=1
	s_andn2_saveexec_b32 s19, s19
	s_cbranch_execnz .LBB95_40
.LBB95_25:                              ;   in Loop: Header=BB95_6 Depth=1
	s_or_b32 exec_lo, exec_lo, s19
	s_and_saveexec_b32 s18, s6
	s_cbranch_execnz .LBB95_41
	s_branch .LBB95_44
.LBB95_26:                              ;   in Loop: Header=BB95_6 Depth=1
	s_or_b32 exec_lo, exec_lo, s17
	s_waitcnt lgkmcnt(0)
	s_barrier
	buffer_gl0_inv
	s_and_saveexec_b32 s6, s3
	s_cbranch_execz .LBB95_28
; %bb.27:                               ;   in Loop: Header=BB95_6 Depth=1
	ds_read_b32 v1, v9 offset:4104
	s_waitcnt lgkmcnt(0)
	ds_write_b32 v9, v1 offset:4096
.LBB95_28:                              ;   in Loop: Header=BB95_6 Depth=1
	s_or_b32 exec_lo, exec_lo, s6
	s_waitcnt lgkmcnt(0)
	s_mov_b32 s6, -1
	s_barrier
	s_and_b32 vcc_lo, exec_lo, s16
	s_cbranch_vccnz .LBB95_21
	s_branch .LBB95_49
.LBB95_29:                              ;   in Loop: Header=BB95_6 Depth=1
	v_cvt_f32_u32_e32 v1, s17
	v_add_nc_u32_e32 v2, s17, v13
	s_sub_i32 s6, 0, s17
	s_not_b32 s20, s18
	v_rcp_iflag_f32_e32 v1, v1
	v_max_u32_e32 v2, s36, v2
	v_sub_nc_u32_e32 v2, v2, v0
	v_mul_f32_e32 v1, 0x4f7ffffe, v1
	v_cvt_u32_f32_e32 v1, v1
	v_mul_lo_u32 v3, s6, v1
	s_lshl_b32 s6, s17, 1
	v_cmp_ne_u32_e32 vcc_lo, s6, v2
	v_cndmask_b32_e64 v4, 0, 1, vcc_lo
	v_mul_hi_u32 v3, v1, v3
	v_or_b32_e32 v4, s6, v4
	v_add_nc_u32_e32 v1, v1, v3
	v_sub_nc_u32_e32 v2, v2, v4
	v_mul_hi_u32 v1, v2, v1
	v_mul_lo_u32 v3, v1, s17
	v_sub_nc_u32_e32 v2, v2, v3
	v_add_nc_u32_e32 v3, 1, v1
	v_subrev_nc_u32_e32 v4, s17, v2
	v_cmp_le_u32_e64 s6, s17, v2
	v_cndmask_b32_e64 v1, v1, v3, s6
	v_cndmask_b32_e64 v2, v2, v4, s6
	v_add_nc_u32_e32 v3, 1, v1
	v_cmp_le_u32_e64 s6, s17, v2
	v_mul_lo_u32 v2, s40, v13
	v_cndmask_b32_e64 v1, v1, v3, s6
	s_abs_i32 s6, s18
	v_add_co_ci_u32_e64 v1, null, 0, v1, vcc_lo
	v_mul_hi_u32 v3, s6, v1
	v_mul_lo_u32 v1, s6, v1
	s_ashr_i32 s6, s20, 31
	s_cmp_eq_u32 s17, 1
	v_xor_b32_e32 v2, s6, v2
	s_cselect_b32 s20, -1, 0
	v_cmp_eq_u32_e32 vcc_lo, 0, v3
	v_cmp_le_u32_e64 s6, v1, v2
	v_mov_b32_e32 v1, v0
                                        ; implicit-def: $vgpr2
	s_and_b32 s20, vcc_lo, s20
	s_and_b32 s21, s20, s6
	s_mov_b32 s20, -1
	s_and_saveexec_b32 s6, s21
	s_cbranch_execz .LBB95_39
; %bb.30:                               ;   in Loop: Header=BB95_6 Depth=1
	v_add_nc_u32_e32 v14, 1, v13
	s_waitcnt vmcnt(0)
	v_lshlrev_b32_e32 v1, 16, v40
	v_mov_b32_e32 v8, 0
                                        ; implicit-def: $vgpr40
	v_mov_b32_e32 v16, v14
	v_mov_b32_e32 v15, v13
	s_and_saveexec_b32 s20, s8
	s_cbranch_execz .LBB95_34
; %bb.31:                               ;   in Loop: Header=BB95_6 Depth=1
	v_mov_b32_e32 v16, v14
	v_mov_b32_e32 v41, v26
	;; [unrolled: 1-line block ×4, first 2 shown]
	s_mov_b32 s21, 0
	s_mov_b32 s22, 0
.LBB95_32:                              ;   Parent Loop BB95_6 Depth=1
                                        ; =>  This Inner Loop Header: Depth=2
	v_add_nc_u32_e32 v4, 2, v16
	v_mul_lo_u32 v8, v15, s40
	v_add_nc_u32_e32 v14, 4, v16
	v_mul_lo_u32 v2, v16, s41
	;; [unrolled: 2-line block ×3, first 2 shown]
	v_mov_b32_e32 v3, v9
	v_add_nc_u32_e32 v49, 8, v16
	v_mul_lo_u32 v45, v14, s41
	v_mov_b32_e32 v44, v9
	v_add_nc_u32_e32 v51, 10, v16
	v_mul_lo_u32 v47, v40, s41
	v_lshlrev_b64 v[53:54], 1, v[8:9]
	v_mov_b32_e32 v46, v9
	v_mul_lo_u32 v49, v49, s41
	v_lshlrev_b64 v[2:3], 1, v[2:3]
	v_mov_b32_e32 v48, v9
	;; [unrolled: 3-line block ×3, first 2 shown]
	v_lshlrev_b64 v[45:46], 1, v[45:46]
	v_add_co_u32 v53, vcc_lo, s46, v53
	v_mov_b32_e32 v52, v9
	v_lshlrev_b64 v[47:48], 1, v[47:48]
	v_add_co_ci_u32_e64 v54, null, s47, v54, vcc_lo
	v_add_co_u32 v2, vcc_lo, s46, v2
	v_lshlrev_b64 v[49:50], 1, v[49:50]
	v_add_co_ci_u32_e64 v3, null, s47, v3, vcc_lo
	v_add_co_u32 v43, vcc_lo, s46, v43
	;; [unrolled: 3-line block ×3, first 2 shown]
	v_add_co_ci_u32_e64 v46, null, s47, v46, vcc_lo
	v_add_co_u32 v47, vcc_lo, s46, v47
	v_lshrrev_b32_e32 v1, 16, v1
	v_add_co_ci_u32_e64 v48, null, s47, v48, vcc_lo
	v_add_co_u32 v49, vcc_lo, s46, v49
	v_add_co_ci_u32_e64 v50, null, s47, v50, vcc_lo
	v_add_co_u32 v51, vcc_lo, s46, v51
	v_add_co_ci_u32_e64 v52, null, s47, v52, vcc_lo
	s_clause 0x6
	global_load_short_d16_hi v1, v[53:54], off
	global_load_ushort v2, v[2:3], off
	global_load_ushort v3, v[43:44], off
	;; [unrolled: 1-line block ×6, first 2 shown]
	v_add_nc_u32_e32 v8, 2, v15
	v_add_nc_u32_e32 v46, 12, v16
	;; [unrolled: 1-line block ×4, first 2 shown]
	v_mov_b32_e32 v47, v9
	v_mul_lo_u32 v8, v8, s40
	v_mul_lo_u32 v46, v46, s41
	;; [unrolled: 1-line block ×3, first 2 shown]
	v_mov_b32_e32 v49, v9
	v_add_nc_u32_e32 v40, 6, v15
	v_add_nc_u32_e32 v54, 8, v15
	;; [unrolled: 1-line block ×4, first 2 shown]
	v_lshlrev_b64 v[50:51], 1, v[8:9]
	v_mul_lo_u32 v8, v14, s40
	v_lshlrev_b64 v[46:47], 1, v[46:47]
	v_lshlrev_b64 v[48:49], 1, v[48:49]
	v_add_nc_u32_e32 v60, 14, v15
	v_add_nc_u32_e32 v41, -8, v41
	s_add_i32 s22, s22, 16
	v_add_nc_u32_e32 v16, 16, v16
	v_add_co_u32 v46, vcc_lo, s46, v46
	v_lshlrev_b64 v[52:53], 1, v[8:9]
	v_mul_lo_u32 v8, v40, s40
	v_add_co_ci_u32_e64 v47, null, s47, v47, vcc_lo
	v_add_co_u32 v48, vcc_lo, s46, v48
	v_add_co_ci_u32_e64 v49, null, s47, v49, vcc_lo
	v_add_co_u32 v50, vcc_lo, s46, v50
	v_add_co_ci_u32_e64 v51, null, s47, v51, vcc_lo
	global_load_ushort v14, v[46:47], off
	v_add_co_u32 v46, vcc_lo, s46, v52
	v_add_co_ci_u32_e64 v47, null, s47, v53, vcc_lo
	v_lshlrev_b64 v[52:53], 1, v[8:9]
	v_mul_lo_u32 v8, v54, s40
	v_add_nc_u32_e32 v15, 16, v15
	v_add_co_u32 v52, vcc_lo, s46, v52
	v_add_co_ci_u32_e64 v53, null, s47, v53, vcc_lo
	v_lshlrev_b64 v[54:55], 1, v[8:9]
	v_mul_lo_u32 v8, v56, s40
	v_add_co_u32 v54, vcc_lo, s46, v54
	v_add_co_ci_u32_e64 v55, null, s47, v55, vcc_lo
	v_lshlrev_b64 v[56:57], 1, v[8:9]
	v_mul_lo_u32 v8, v58, s40
	;; [unrolled: 4-line block ×3, first 2 shown]
	v_add_co_u32 v58, vcc_lo, s46, v58
	v_add_co_ci_u32_e64 v59, null, s47, v59, vcc_lo
	v_lshlrev_b64 v[60:61], 1, v[8:9]
	v_mov_b32_e32 v8, s22
	v_add_co_u32 v60, vcc_lo, s46, v60
	v_add_co_ci_u32_e64 v61, null, s47, v61, vcc_lo
	v_cmp_eq_u32_e32 vcc_lo, 0, v41
	s_clause 0x7
	global_load_short_d16_hi v2, v[50:51], off
	global_load_short_d16_hi v3, v[46:47], off
	;; [unrolled: 1-line block ×3, first 2 shown]
	global_load_ushort v47, v[60:61], off
	global_load_short_d16_hi v43, v[54:55], off
	global_load_short_d16_hi v44, v[56:57], off
	;; [unrolled: 1-line block ×3, first 2 shown]
	global_load_ushort v40, v[48:49], off
	s_or_b32 s21, vcc_lo, s21
	s_waitcnt vmcnt(5)
	ds_write_b128 v42, v[1:4]
	s_waitcnt vmcnt(4)
	v_perm_b32 v46, v47, v14, 0x5040100
	s_waitcnt vmcnt(0)
	v_perm_b32 v1, v40, v47, 0x5040100
	ds_write_b128 v42, v[43:46] offset:16
	v_add_nc_u32_e32 v42, 32, v42
	s_andn2_b32 exec_lo, exec_lo, s21
	s_cbranch_execnz .LBB95_32
; %bb.33:                               ;   in Loop: Header=BB95_6 Depth=1
	s_or_b32 exec_lo, exec_lo, s21
.LBB95_34:                              ;   in Loop: Header=BB95_6 Depth=1
	s_or_b32 exec_lo, exec_lo, s20
	s_and_saveexec_b32 s20, s9
	s_cbranch_execz .LBB95_38
; %bb.35:                               ;   in Loop: Header=BB95_6 Depth=1
	v_lshl_add_u32 v2, v8, 1, v20
	v_mov_b32_e32 v3, v28
	s_mov_b32 s21, 0
	s_inst_prefetch 0x1
	.p2align	6
.LBB95_36:                              ;   Parent Loop BB95_6 Depth=1
                                        ; =>  This Inner Loop Header: Depth=2
	v_mul_lo_u32 v8, v15, s40
	v_mul_lo_u32 v40, v16, s41
	v_mov_b32_e32 v41, v9
	v_add_nc_u32_e32 v3, -4, v3
	v_add_nc_u32_e32 v16, 2, v16
	v_add_nc_u32_e32 v15, 2, v15
	v_lshlrev_b64 v[42:43], 1, v[8:9]
	v_lshlrev_b64 v[40:41], 1, v[40:41]
	v_add_co_u32 v42, vcc_lo, s46, v42
	v_add_co_ci_u32_e64 v43, null, s47, v43, vcc_lo
	v_add_co_u32 v40, vcc_lo, s46, v40
	v_add_co_ci_u32_e64 v41, null, s47, v41, vcc_lo
	s_clause 0x1
	global_load_ushort v4, v[42:43], off
	global_load_ushort v40, v[40:41], off
	v_cmp_eq_u32_e32 vcc_lo, 0, v3
	s_or_b32 s21, vcc_lo, s21
	s_waitcnt vmcnt(1)
	v_alignbit_b32 v1, v4, v1, 16
	s_waitcnt vmcnt(0)
	v_perm_b32 v4, v40, v4, 0x5040100
	ds_write_b32 v2, v1
	v_add_nc_u32_e32 v2, 4, v2
	v_mov_b32_e32 v1, v4
	s_andn2_b32 exec_lo, exec_lo, s21
	s_cbranch_execnz .LBB95_36
; %bb.37:                               ;   in Loop: Header=BB95_6 Depth=1
	s_inst_prefetch 0x2
	s_or_b32 exec_lo, exec_lo, s21
.LBB95_38:                              ;   in Loop: Header=BB95_6 Depth=1
	s_or_b32 exec_lo, exec_lo, s20
	v_add_nc_u32_e32 v13, v13, v23
	v_mov_b32_e32 v1, v24
	s_orn2_b32 s20, s10, exec_lo
	v_add_nc_u32_e32 v2, -1, v13
.LBB95_39:                              ;   in Loop: Header=BB95_6 Depth=1
	s_or_b32 exec_lo, exec_lo, s6
	v_mov_b32_e32 v3, s18
	s_and_b32 s6, s20, exec_lo
	s_andn2_saveexec_b32 s19, s19
	s_cbranch_execz .LBB95_25
.LBB95_40:                              ;   in Loop: Header=BB95_6 Depth=1
	v_mov_b32_e32 v3, s18
	v_mov_b32_e32 v1, v0
	s_or_b32 s6, s6, exec_lo
	s_or_b32 exec_lo, exec_lo, s19
	s_and_saveexec_b32 s18, s6
	s_cbranch_execz .LBB95_44
.LBB95_41:                              ;   in Loop: Header=BB95_6 Depth=1
	v_mul_lo_u32 v8, s40, v13
	s_mov_b32 s19, 0
	s_sub_i32 s6, 0, s17
	.p2align	6
.LBB95_42:                              ;   Parent Loop BB95_6 Depth=1
                                        ; =>  This Inner Loop Header: Depth=2
	v_lshlrev_b64 v[14:15], 1, v[8:9]
	s_waitcnt vmcnt(0)
	v_mov_b32_e32 v2, v40
	v_mov_b32_e32 v4, v13
	v_add_nc_u32_e32 v8, v8, v3
	v_add_co_u32 v14, vcc_lo, s46, v14
	v_add_co_ci_u32_e64 v15, null, s47, v15, vcc_lo
	v_add_nc_u32_e32 v13, s17, v4
	global_load_ushort v40, v[14:15], off
	v_lshlrev_b32_e32 v14, 1, v1
	v_cmp_le_u32_e32 vcc_lo, s36, v13
	v_mov_b32_e32 v1, v4
	ds_write_b16 v14, v2
	s_or_b32 s19, vcc_lo, s19
	s_andn2_b32 exec_lo, exec_lo, s19
	s_cbranch_execnz .LBB95_42
; %bb.43:                               ;   in Loop: Header=BB95_6 Depth=1
	s_or_b32 exec_lo, exec_lo, s19
	v_add_nc_u32_e32 v2, s6, v13
.LBB95_44:                              ;   in Loop: Header=BB95_6 Depth=1
	s_or_b32 exec_lo, exec_lo, s18
.LBB95_45:                              ;   in Loop: Header=BB95_6 Depth=1
	s_or_b32 exec_lo, exec_lo, s16
	v_lshlrev_b32_e32 v1, 1, v2
	s_waitcnt vmcnt(0)
	ds_write_b16 v1, v40
.LBB95_46:                              ;   in Loop: Header=BB95_6 Depth=1
	s_or_b32 exec_lo, exec_lo, s14
	s_waitcnt lgkmcnt(0)
	s_barrier
	buffer_gl0_inv
	s_and_saveexec_b32 s6, s3
; %bb.47:                               ;   in Loop: Header=BB95_6 Depth=1
	v_mov_b32_e32 v1, s36
	ds_write_b32 v9, v1 offset:4096
; %bb.48:                               ;   in Loop: Header=BB95_6 Depth=1
	s_or_b32 exec_lo, exec_lo, s6
	s_mov_b32 s6, -1
	s_waitcnt lgkmcnt(0)
	s_barrier
.LBB95_49:                              ;   in Loop: Header=BB95_6 Depth=1
	s_and_b32 vcc_lo, exec_lo, s6
	s_mov_b32 s83, 0
	s_cbranch_vccz .LBB95_51
; %bb.50:                               ;   in Loop: Header=BB95_6 Depth=1
	buffer_gl0_inv
	ds_read_b32 v1, v9 offset:4096
	s_waitcnt lgkmcnt(0)
	v_readfirstlane_b32 s83, v1
.LBB95_51:                              ;   in Loop: Header=BB95_6 Depth=1
	s_cmp_lt_i32 s83, 1
	s_mov_b32 s6, -1
                                        ; implicit-def: $vgpr1
	s_cbranch_scc1 .LBB95_61
; %bb.52:                               ;   in Loop: Header=BB95_6 Depth=1
	s_and_b32 vcc_lo, exec_lo, s6
	s_cbranch_vccnz .LBB95_72
.LBB95_53:                              ;   in Loop: Header=BB95_6 Depth=1
	s_lshl_b32 s6, s72, 7
	s_and_saveexec_b32 s14, s0
.LBB95_54:                              ;   in Loop: Header=BB95_6 Depth=1
	v_lshl_add_u32 v8, s6, 2, v22
	ds_write_b128 v8, v[1:4]
.LBB95_55:                              ;   in Loop: Header=BB95_6 Depth=1
	s_or_b32 exec_lo, exec_lo, s14
	s_waitcnt lgkmcnt(0)
	s_barrier
	buffer_gl0_inv
	s_and_saveexec_b32 s14, s56
	s_cbranch_execz .LBB95_85
; %bb.56:                               ;   in Loop: Header=BB95_6 Depth=1
	v_mov_b32_e32 v1, 0
	s_andn2_b32 vcc_lo, exec_lo, s58
	s_cbranch_vccnz .LBB95_84
; %bb.57:                               ;   in Loop: Header=BB95_6 Depth=1
	s_andn2_b32 vcc_lo, exec_lo, s61
	s_cbranch_vccnz .LBB95_81
; %bb.58:                               ;   in Loop: Header=BB95_6 Depth=1
	v_lshl_add_u32 v2, s72, 9, v34
	v_mov_b32_e32 v1, 0
	s_mov_b32 s16, 0
	.p2align	6
.LBB95_59:                              ;   Parent Loop BB95_6 Depth=1
                                        ; =>  This Inner Loop Header: Depth=2
	ds_read2_b32 v[3:4], v2 offset1:4
	ds_read2_b32 v[13:14], v2 offset0:8 offset1:12
	ds_read2_b32 v[15:16], v2 offset0:16 offset1:20
	;; [unrolled: 1-line block ×3, first 2 shown]
	v_add_nc_u32_e32 v2, 0x80, v2
	s_add_i32 s16, s16, 8
	s_cmp_eq_u32 s55, s16
	s_waitcnt lgkmcnt(3)
	v_add3_u32 v1, v3, v1, v4
	s_waitcnt lgkmcnt(2)
	v_add3_u32 v1, v13, v1, v14
	s_waitcnt lgkmcnt(1)
	v_add3_u32 v1, v15, v1, v16
	s_waitcnt lgkmcnt(0)
	v_add3_u32 v1, v40, v1, v41
	s_cbranch_scc0 .LBB95_59
; %bb.60:                               ;   in Loop: Header=BB95_6 Depth=1
	s_mov_b32 s16, s55
	s_andn2_b32 vcc_lo, exec_lo, s62
	s_cbranch_vccz .LBB95_82
	s_branch .LBB95_84
.LBB95_61:                              ;   in Loop: Header=BB95_6 Depth=1
	v_mov_b32_e32 v1, 0
	v_mov_b32_e32 v2, 0
	v_mov_b32_e32 v3, 0
	v_mov_b32_e32 v4, 0
	s_and_saveexec_b32 s25, s11
	s_cbranch_execz .LBB95_65
; %bb.62:                               ;   in Loop: Header=BB95_6 Depth=1
	v_mov_b32_e32 v13, v18
	s_mov_b32 s26, 0
	s_mov_b32 s27, 0
	;; [unrolled: 1-line block ×6, first 2 shown]
.LBB95_63:                              ;   Parent Loop BB95_6 Depth=1
                                        ; =>  This Inner Loop Header: Depth=2
	v_add_nc_u32_e32 v8, s27, v31
	v_add_nc_u32_e32 v13, s54, v13
	v_lshlrev_b64 v[1:2], 1, v[8:9]
	v_add_nc_u32_e32 v8, s27, v12
	v_lshlrev_b64 v[3:4], 1, v[8:9]
	v_add_nc_u32_e32 v8, s27, v29
	v_add_co_u32 v1, vcc_lo, s46, v1
	v_add_co_ci_u32_e64 v2, null, s47, v2, vcc_lo
	v_lshlrev_b64 v[14:15], 1, v[8:9]
	v_add_nc_u32_e32 v8, s27, v30
	s_add_i32 s27, s27, s67
	global_load_ushort v16, v[1:2], off
	v_add_co_u32 v1, vcc_lo, s46, v3
	v_add_co_ci_u32_e64 v2, null, s47, v4, vcc_lo
	v_add_co_u32 v14, vcc_lo, s46, v14
	v_add_co_ci_u32_e64 v15, null, s47, v15, vcc_lo
	v_lshlrev_b64 v[3:4], 1, v[8:9]
	s_clause 0x1
	global_load_ushort v8, v[1:2], off
	global_load_ushort v14, v[14:15], off
	v_add_co_u32 v1, vcc_lo, s46, v3
	v_add_co_ci_u32_e64 v2, null, s47, v4, vcc_lo
	v_cmp_le_u32_e32 vcc_lo, s64, v13
	global_load_ushort v1, v[1:2], off
	s_waitcnt vmcnt(3)
	v_cmp_lt_i16_e64 s6, -1, v16
	v_cndmask_b32_e64 v2, 0xffff, v35, s6
	s_waitcnt vmcnt(2)
	v_cmp_lt_i16_e64 s6, -1, v8
	v_xor_b32_sdwa v2, v2, v16 dst_sel:DWORD dst_unused:UNUSED_PAD src0_sel:DWORD src1_sel:WORD_0
	s_waitcnt vmcnt(1)
	v_cmp_lt_i16_e64 s14, -1, v14
	v_cndmask_b32_e64 v3, 0xffff, v35, s6
	v_cmp_o_f16_e64 s6, v16, v16
	v_cndmask_b32_e64 v4, 0xffff, v35, s14
	v_xor_b32_sdwa v3, v3, v8 dst_sel:DWORD dst_unused:UNUSED_PAD src0_sel:DWORD src1_sel:WORD_0
	v_cndmask_b32_e64 v2, 0xffff, v2, s6
	v_cmp_o_f16_e64 s6, v8, v8
	v_xor_b32_sdwa v4, v4, v14 dst_sel:DWORD dst_unused:UNUSED_PAD src0_sel:DWORD src1_sel:WORD_0
	s_waitcnt vmcnt(0)
	v_cmp_o_f16_e64 s19, v1, v1
	v_and_b32_e32 v15, v2, v37
	v_cndmask_b32_e64 v3, 0xffff, v3, s6
	v_cmp_lt_i16_e64 s6, -1, v1
	v_bfe_u32 v2, v2, s76, 2
	v_cndmask_b32_e64 v8, 0xffff, v35, s6
	v_cmp_o_f16_e64 s6, v14, v14
	v_cmp_eq_u32_e64 s14, 0, v2
	v_and_b32_e32 v14, v3, v37
	v_bfe_u32 v3, v3, s76, 2
	v_xor_b32_sdwa v8, v8, v1 dst_sel:DWORD dst_unused:UNUSED_PAD src0_sel:DWORD src1_sel:WORD_0
	v_cndmask_b32_e64 v4, 0xffff, v4, s6
	v_cmp_eq_u32_e64 s6, v15, v27
	v_cmp_eq_u32_e64 s16, 1, v2
	;; [unrolled: 1-line block ×4, first 2 shown]
	v_cndmask_b32_e64 v1, 0xffff, v8, s19
	s_and_b32 s14, s6, s14
	v_cmp_eq_u32_e64 s19, v14, v27
	v_cmp_eq_u32_e64 s20, 0, v3
	v_cndmask_b32_e64 v8, 0, 1, s14
	v_cmp_eq_u32_e64 s14, 1, v3
	s_and_b32 s16, s6, s16
	v_and_b32_e32 v2, v4, v37
	v_bfe_u32 v4, v4, s76, 2
	v_cndmask_b32_e64 v14, 0, 1, s16
	v_cmp_eq_u32_e64 s16, 2, v3
	s_and_b32 s17, s6, s17
	s_and_b32 s6, s6, s18
	v_cndmask_b32_e64 v15, 0, 1, s17
	s_and_b32 s20, s19, s20
	s_and_b32 s14, s19, s14
	v_cmp_eq_u32_e64 s17, 3, v3
	v_cndmask_b32_e64 v3, 0, 1, s6
	v_cmp_eq_u32_e64 s6, v2, v27
	v_cmp_eq_u32_e64 s18, 0, v4
	v_cmp_ne_u32_e64 s21, 0, v8
	v_cndmask_b32_e64 v8, 0, 1, s20
	v_cmp_eq_u32_e64 s20, 1, v4
	v_cmp_ne_u32_e64 s22, 0, v14
	v_cndmask_b32_e64 v14, 0, 1, s14
	v_cmp_eq_u32_e64 s14, 2, v4
	s_and_b32 s16, s19, s16
	v_and_b32_e32 v2, v1, v37
	v_bfe_u32 v1, v1, s76, 2
	v_cmp_ne_u32_e64 s23, 0, v15
	v_cndmask_b32_e64 v15, 0, 1, s16
	v_cmp_eq_u32_e64 s16, 3, v4
	s_and_b32 s17, s19, s17
	s_and_b32 s18, s6, s18
	;; [unrolled: 1-line block ×4, first 2 shown]
	v_cmp_ne_u32_e64 s24, 0, v3
	v_cndmask_b32_e64 v3, 0, 1, s17
	v_cmp_eq_u32_e64 s17, v2, v27
	v_cmp_eq_u32_e64 s19, 0, v1
	s_bcnt1_i32_b32 s33, s21
	v_cmp_ne_u32_e64 s21, 0, v8
	v_cndmask_b32_e64 v2, 0, 1, s18
	v_cmp_eq_u32_e64 s18, 1, v1
	v_cndmask_b32_e64 v4, 0, 1, s20
	v_cmp_eq_u32_e64 s20, 2, v1
	;; [unrolled: 2-line block ×3, first 2 shown]
	s_and_b32 s6, s6, s16
	s_bcnt1_i32_b32 s85, s24
	v_cndmask_b32_e64 v1, 0, 1, s6
	v_cmp_ne_u32_e64 s24, 0, v3
	s_and_b32 s16, s17, s19
	s_and_b32 s18, s17, s18
	;; [unrolled: 1-line block ×4, first 2 shown]
	v_cmp_ne_u32_e64 s6, 0, v2
	v_cndmask_b32_e64 v2, 0, 1, s16
	v_cmp_ne_u32_e64 s16, 0, v4
	v_cndmask_b32_e64 v3, 0, 1, s18
	v_cndmask_b32_e64 v4, 0, 1, s19
	v_cmp_ne_u32_e64 s19, 0, v1
	v_cndmask_b32_e64 v1, 0, 1, s14
	s_bcnt1_i32_b32 s34, s22
	v_cmp_ne_u32_e64 s22, 0, v14
	s_bcnt1_i32_b32 s84, s23
	v_cmp_ne_u32_e64 s23, 0, v15
	s_add_i32 s28, s85, s28
	v_cmp_ne_u32_e64 s18, 0, v8
	s_bcnt1_i32_b32 s20, s24
	s_bcnt1_i32_b32 s24, s6
	s_add_i32 s20, s28, s20
	v_cmp_ne_u32_e64 s6, 0, v2
	s_bcnt1_i32_b32 s28, s16
	v_cmp_ne_u32_e64 s14, 0, v3
	v_cmp_ne_u32_e64 s16, 0, v4
	;; [unrolled: 1-line block ×3, first 2 shown]
	s_add_i32 s31, s33, s31
	s_add_i32 s30, s34, s30
	s_add_i32 s29, s84, s29
	s_bcnt1_i32_b32 s21, s21
	s_bcnt1_i32_b32 s22, s22
	;; [unrolled: 1-line block ×3, first 2 shown]
	s_add_i32 s21, s31, s21
	s_add_i32 s22, s30, s22
	;; [unrolled: 1-line block ×3, first 2 shown]
	s_bcnt1_i32_b32 s18, s18
	s_bcnt1_i32_b32 s19, s19
	s_add_i32 s21, s21, s24
	s_add_i32 s22, s22, s28
	;; [unrolled: 1-line block ×4, first 2 shown]
	s_bcnt1_i32_b32 s6, s6
	s_bcnt1_i32_b32 s14, s14
	;; [unrolled: 1-line block ×4, first 2 shown]
	s_add_i32 s31, s21, s6
	s_add_i32 s30, s22, s14
	;; [unrolled: 1-line block ×4, first 2 shown]
	v_mov_b32_e32 v1, s31
	v_mov_b32_e32 v2, s30
	;; [unrolled: 1-line block ×4, first 2 shown]
	s_or_b32 s26, vcc_lo, s26
	s_andn2_b32 exec_lo, exec_lo, s26
	s_cbranch_execnz .LBB95_63
; %bb.64:                               ;   in Loop: Header=BB95_6 Depth=1
	s_or_b32 exec_lo, exec_lo, s26
.LBB95_65:                              ;   in Loop: Header=BB95_6 Depth=1
	s_or_b32 exec_lo, exec_lo, s25
	s_and_saveexec_b32 s18, s12
	s_cbranch_execz .LBB95_71
; %bb.66:                               ;   in Loop: Header=BB95_6 Depth=1
	global_load_ushort v15, v[10:11], off
	v_mov_b32_e32 v8, v32
	v_mov_b32_e32 v13, v25
	s_mov_b32 s19, 0
	s_branch .LBB95_68
.LBB95_67:                              ;   in Loop: Header=BB95_68 Depth=2
	s_or_b32 exec_lo, exec_lo, s14
	s_waitcnt vmcnt(0)
	v_cmp_lt_i16_e64 s6, -1, v15
	s_and_b32 s14, exec_lo, vcc_lo
	v_add_nc_u32_e32 v8, s49, v8
	s_or_b32 s19, s14, s19
	v_cndmask_b32_e64 v16, 0xffff, v35, s6
	v_cmp_o_f16_e64 s6, v15, v15
	v_xor_b32_sdwa v16, v16, v15 dst_sel:DWORD dst_unused:UNUSED_PAD src0_sel:DWORD src1_sel:WORD_0
	v_cndmask_b32_e64 v15, 0xffff, v16, s6
	v_and_b32_e32 v16, v15, v37
	v_bfe_u32 v15, v15, s76, 2
	v_cmp_eq_u32_e32 vcc_lo, v16, v27
	v_cmp_eq_u32_e64 s6, 0, v15
	v_cmp_eq_u32_e64 s14, 1, v15
	;; [unrolled: 1-line block ×4, first 2 shown]
	s_and_b32 s6, vcc_lo, s6
	v_cndmask_b32_e64 v15, 0, 1, s6
	s_and_b32 s6, vcc_lo, s14
	v_cndmask_b32_e64 v16, 0, 1, s6
	;; [unrolled: 2-line block ×3, first 2 shown]
	s_and_b32 s6, vcc_lo, s17
	v_cmp_ne_u32_e32 vcc_lo, 0, v15
	v_cndmask_b32_e64 v41, 0, 1, s6
	v_cmp_ne_u32_e64 s6, 0, v16
	v_cmp_ne_u32_e64 s14, 0, v40
	v_mov_b32_e32 v15, v14
	s_bcnt1_i32_b32 s17, vcc_lo
	v_cmp_ne_u32_e64 s16, 0, v41
	s_bcnt1_i32_b32 s6, s6
	s_bcnt1_i32_b32 s14, s14
	v_add_nc_u32_e32 v1, s17, v1
	v_add_nc_u32_e32 v2, s6, v2
	s_bcnt1_i32_b32 s16, s16
	v_add_nc_u32_e32 v3, s14, v3
	v_add_nc_u32_e32 v4, s16, v4
	s_andn2_b32 exec_lo, exec_lo, s19
	s_cbranch_execz .LBB95_70
.LBB95_68:                              ;   Parent Loop BB95_6 Depth=1
                                        ; =>  This Inner Loop Header: Depth=2
	v_add_nc_u32_e32 v13, s48, v13
	v_mov_b32_e32 v14, 0
	s_mov_b32 s14, exec_lo
	v_cmp_le_u32_e32 vcc_lo, s36, v13
	v_cmpx_gt_u32_e64 s36, v13
	s_cbranch_execz .LBB95_67
; %bb.69:                               ;   in Loop: Header=BB95_68 Depth=2
	v_lshlrev_b64 v[40:41], 1, v[8:9]
	v_add_co_u32 v40, s6, s46, v40
	v_add_co_ci_u32_e64 v41, null, s47, v41, s6
	global_load_ushort v14, v[40:41], off
	s_branch .LBB95_67
.LBB95_70:                              ;   in Loop: Header=BB95_6 Depth=1
	s_or_b32 exec_lo, exec_lo, s19
.LBB95_71:                              ;   in Loop: Header=BB95_6 Depth=1
	s_or_b32 exec_lo, exec_lo, s18
	s_branch .LBB95_53
.LBB95_72:                              ;   in Loop: Header=BB95_6 Depth=1
	s_mul_hi_u32 s6, s83, s63
	v_mov_b32_e32 v1, 0
	s_mul_i32 s6, s6, s54
	v_mov_b32_e32 v2, 0
	s_sub_i32 s6, s83, s6
	v_mov_b32_e32 v3, 0
	s_sub_i32 s14, s6, s54
	s_cmp_ge_u32 s6, s54
	v_mov_b32_e32 v4, 0
	s_cselect_b32 s6, s14, s6
	s_mov_b32 s85, exec_lo
	s_sub_i32 s14, s6, s54
	s_cmp_ge_u32 s6, s54
	s_cselect_b32 s6, s14, s6
	s_sub_i32 s84, s83, s6
	v_cmpx_gt_u32_e64 s84, v18
	s_cbranch_execz .LBB95_76
; %bb.73:                               ;   in Loop: Header=BB95_6 Depth=1
	v_mov_b32_e32 v8, v33
	v_mov_b32_e32 v13, v18
	s_mov_b32 s86, 0
	s_mov_b32 s87, 0
	;; [unrolled: 1-line block ×5, first 2 shown]
.LBB95_74:                              ;   Parent Loop BB95_6 Depth=1
                                        ; =>  This Inner Loop Header: Depth=2
	ds_read_b64 v[1:2], v8
	v_add_nc_u32_e32 v13, s54, v13
	v_add_nc_u32_e32 v8, s68, v8
	v_cmp_le_u32_e32 vcc_lo, s84, v13
	s_waitcnt lgkmcnt(0)
	v_cmp_lt_i16_e64 s6, -1, v1
	v_cmp_o_f16_e64 s17, v1, v1
	v_cmp_o_f16_e64 s14, v2, v2
	v_cmp_o_f16_sdwa s16, v2, v2 src0_sel:WORD_1 src1_sel:WORD_1
	v_cndmask_b32_e64 v3, 0xffff, v35, s6
	v_cmp_gt_i16_sdwa s6, v1, v36 src0_sel:WORD_1 src1_sel:DWORD
	v_xor_b32_sdwa v3, v3, v1 dst_sel:DWORD dst_unused:UNUSED_PAD src0_sel:DWORD src1_sel:WORD_0
	v_cndmask_b32_e64 v4, 0xffff, v35, s6
	v_cmp_lt_i16_e64 s6, -1, v2
	v_xor_b32_sdwa v4, v4, v1 dst_sel:DWORD dst_unused:UNUSED_PAD src0_sel:DWORD src1_sel:WORD_1
	v_cndmask_b32_e64 v14, 0xffff, v35, s6
	v_cmp_gt_i16_sdwa s6, v2, v36 src0_sel:WORD_1 src1_sel:DWORD
	v_xor_b32_sdwa v14, v14, v2 dst_sel:DWORD dst_unused:UNUSED_PAD src0_sel:DWORD src1_sel:WORD_0
	v_cndmask_b32_e64 v15, 0xffff, v35, s6
	v_cmp_o_f16_sdwa s6, v1, v1 src0_sel:WORD_1 src1_sel:WORD_1
	v_cndmask_b32_e64 v1, 0xffff, v3, s17
	v_cndmask_b32_e64 v3, 0xffff, v14, s14
	v_xor_b32_sdwa v15, v15, v2 dst_sel:DWORD dst_unused:UNUSED_PAD src0_sel:DWORD src1_sel:WORD_1
	v_cndmask_b32_e64 v2, 0xffff, v4, s6
	v_and_b32_e32 v14, v1, v37
	v_bfe_u32 v1, v1, s76, 2
	v_and_b32_e32 v16, v3, v37
	v_cndmask_b32_e64 v4, 0xffff, v15, s16
	v_and_b32_e32 v15, v2, v37
	v_bfe_u32 v2, v2, s76, 2
	v_bfe_u32 v3, v3, s76, 2
	v_cmp_eq_u32_e64 s6, v14, v27
	v_cmp_eq_u32_e64 s18, 0, v1
	v_and_b32_e32 v40, v4, v37
	v_bfe_u32 v4, v4, s76, 2
	v_cmp_eq_u32_e64 s14, v15, v27
	v_cmp_eq_u32_e64 s19, 0, v2
	;; [unrolled: 1-line block ×4, first 2 shown]
	s_and_b32 s18, s6, s18
	v_cmp_eq_u32_e64 s17, v40, v27
	v_cmp_eq_u32_e64 s21, 0, v4
	;; [unrolled: 1-line block ×5, first 2 shown]
	v_cndmask_b32_e64 v1, 0, 1, s18
	s_and_b32 s18, s14, s19
	v_cmp_eq_u32_e64 s23, 1, v2
	v_cmp_eq_u32_e64 s27, 2, v2
	v_cmp_eq_u32_e64 s31, 3, v2
	v_cndmask_b32_e64 v2, 0, 1, s18
	s_and_b32 s18, s16, s20
	v_cmp_eq_u32_e64 s24, 1, v3
	v_cmp_eq_u32_e64 s28, 2, v3
	v_cmp_eq_u32_e64 s33, 3, v3
	;; [unrolled: 5-line block ×3, first 2 shown]
	v_cndmask_b32_e64 v4, 0, 1, s18
	s_and_b32 s18, s6, s22
	v_cndmask_b32_e64 v14, 0, 1, s18
	s_and_b32 s18, s14, s23
	;; [unrolled: 2-line block ×4, first 2 shown]
	v_cmp_ne_u32_e64 s19, 0, v15
	v_cndmask_b32_e64 v40, 0, 1, s18
	s_and_b32 s18, s6, s26
	s_and_b32 s6, s6, s30
	v_cndmask_b32_e64 v41, 0, 1, s18
	s_and_b32 s18, s14, s27
	v_cndmask_b32_e64 v45, 0, 1, s6
	;; [unrolled: 2-line block ×7, first 2 shown]
	v_cndmask_b32_e64 v48, 0, 1, s6
	v_cmp_ne_u32_e64 s6, 0, v1
	v_cmp_ne_u32_e64 s18, 0, v14
	;; [unrolled: 1-line block ×11, first 2 shown]
	s_bcnt1_i32_b32 s6, s6
	s_bcnt1_i32_b32 s18, s18
	;; [unrolled: 1-line block ×4, first 2 shown]
	v_cmp_ne_u32_e64 s17, 0, v4
	v_cmp_ne_u32_e64 s21, 0, v40
	;; [unrolled: 1-line block ×4, first 2 shown]
	s_bcnt1_i32_b32 s14, s14
	s_bcnt1_i32_b32 s19, s19
	s_bcnt1_i32_b32 s23, s23
	s_bcnt1_i32_b32 s27, s27
	s_add_i32 s6, s6, s90
	s_add_i32 s18, s18, s89
	s_add_i32 s22, s22, s88
	s_add_i32 s26, s26, s87
	s_bcnt1_i32_b32 s16, s16
	s_bcnt1_i32_b32 s20, s20
	s_bcnt1_i32_b32 s24, s24
	s_bcnt1_i32_b32 s28, s28
	s_add_i32 s6, s6, s14
	s_add_i32 s14, s18, s19
	s_add_i32 s18, s22, s23
	s_add_i32 s19, s26, s27
	;; [unrolled: 8-line block ×3, first 2 shown]
	s_add_i32 s90, s6, s17
	s_add_i32 s89, s14, s21
	;; [unrolled: 1-line block ×4, first 2 shown]
	v_mov_b32_e32 v1, s90
	v_mov_b32_e32 v2, s89
	;; [unrolled: 1-line block ×4, first 2 shown]
	s_or_b32 s86, vcc_lo, s86
	s_andn2_b32 exec_lo, exec_lo, s86
	s_cbranch_execnz .LBB95_74
; %bb.75:                               ;   in Loop: Header=BB95_6 Depth=1
	s_or_b32 exec_lo, exec_lo, s86
.LBB95_76:                              ;   in Loop: Header=BB95_6 Depth=1
	s_or_b32 exec_lo, exec_lo, s85
	v_add_nc_u32_e32 v8, s84, v0
	s_mov_b32 s19, exec_lo
	v_cmpx_gt_u32_e64 s83, v8
	s_cbranch_execz .LBB95_80
; %bb.77:                               ;   in Loop: Header=BB95_6 Depth=1
	v_lshlrev_b32_e32 v13, 1, v8
	s_mov_b32 s20, 0
.LBB95_78:                              ;   Parent Loop BB95_6 Depth=1
                                        ; =>  This Inner Loop Header: Depth=2
	ds_read_u16 v14, v13
	v_add_nc_u32_e32 v8, s48, v8
	v_add_nc_u32_e32 v13, s69, v13
	v_cmp_le_u32_e32 vcc_lo, s83, v8
	s_waitcnt lgkmcnt(0)
	v_cmp_lt_i16_e64 s6, -1, v14
	v_cndmask_b32_e64 v15, 0xffff, v35, s6
	v_cmp_o_f16_e64 s6, v14, v14
	v_xor_b32_sdwa v15, v15, v14 dst_sel:DWORD dst_unused:UNUSED_PAD src0_sel:DWORD src1_sel:WORD_0
	v_cndmask_b32_e64 v14, 0xffff, v15, s6
	v_and_b32_e32 v15, v14, v37
	v_bfe_u32 v14, v14, s76, 2
	v_cmp_eq_u32_e64 s6, v15, v27
	v_cmp_eq_u32_e64 s14, 0, v14
	;; [unrolled: 1-line block ×5, first 2 shown]
	s_and_b32 s14, s6, s14
	v_cndmask_b32_e64 v14, 0, 1, s14
	s_and_b32 s14, s6, s16
	v_cndmask_b32_e64 v15, 0, 1, s14
	s_and_b32 s14, s6, s17
	s_and_b32 s6, s6, s18
	v_cndmask_b32_e64 v16, 0, 1, s14
	v_cndmask_b32_e64 v40, 0, 1, s6
	v_cmp_ne_u32_e64 s6, 0, v14
	v_cmp_ne_u32_e64 s14, 0, v15
	;; [unrolled: 1-line block ×4, first 2 shown]
	s_bcnt1_i32_b32 s6, s6
	s_bcnt1_i32_b32 s14, s14
	v_add_nc_u32_e32 v1, s6, v1
	s_bcnt1_i32_b32 s16, s16
	s_bcnt1_i32_b32 s17, s17
	v_add_nc_u32_e32 v2, s14, v2
	v_add_nc_u32_e32 v3, s16, v3
	;; [unrolled: 1-line block ×3, first 2 shown]
	s_or_b32 s20, vcc_lo, s20
	s_andn2_b32 exec_lo, exec_lo, s20
	s_cbranch_execnz .LBB95_78
; %bb.79:                               ;   in Loop: Header=BB95_6 Depth=1
	s_or_b32 exec_lo, exec_lo, s20
.LBB95_80:                              ;   in Loop: Header=BB95_6 Depth=1
	s_or_b32 exec_lo, exec_lo, s19
	s_lshl_b32 s6, s72, 7
	s_and_saveexec_b32 s14, s0
	s_cbranch_execnz .LBB95_54
	s_branch .LBB95_55
.LBB95_81:                              ;   in Loop: Header=BB95_6 Depth=1
	v_mov_b32_e32 v1, 0
	s_mov_b32 s16, 0
	s_andn2_b32 vcc_lo, exec_lo, s62
	s_cbranch_vccnz .LBB95_84
.LBB95_82:                              ;   in Loop: Header=BB95_6 Depth=1
	s_lshl_b32 s17, s72, 9
	s_lshl_b32 s16, s16, 4
	v_add3_u32 v2, s17, s16, v34
	s_mov_b32 s16, s60
.LBB95_83:                              ;   Parent Loop BB95_6 Depth=1
                                        ; =>  This Inner Loop Header: Depth=2
	ds_read_b32 v3, v2
	v_add_nc_u32_e32 v2, 16, v2
	s_add_i32 s16, s16, -1
	s_cmp_lg_u32 s16, 0
	s_waitcnt lgkmcnt(0)
	v_add_nc_u32_e32 v1, v3, v1
	s_cbranch_scc1 .LBB95_83
.LBB95_84:                              ;   in Loop: Header=BB95_6 Depth=1
	v_add_lshl_u32 v2, s6, v19, 2
	ds_write_b32 v2, v1 offset:3072
.LBB95_85:                              ;   in Loop: Header=BB95_6 Depth=1
	s_or_b32 exec_lo, exec_lo, s14
	s_lshl_b32 s6, s6, 2
	s_waitcnt lgkmcnt(0)
	v_mov_b32_e32 v1, s6
	s_barrier
	buffer_gl0_inv
	v_cmp_eq_u32_e64 s14, 1, v39
	s_lshl_b32 s18, 3, s76
	ds_read_b128 v[1:4], v1 offset:3072
	s_mov_b32 s27, -1
	s_not_b32 s19, s18
	s_mov_b32 s16, 0
	s_andn2_b32 vcc_lo, exec_lo, s53
	s_mov_b32 s24, 0
	s_mov_b32 s23, 0
                                        ; implicit-def: $sgpr25
                                        ; implicit-def: $sgpr26
                                        ; implicit-def: $vgpr8
	s_waitcnt lgkmcnt(0)
	v_readfirstlane_b32 s17, v1
	v_readfirstlane_b32 s20, v2
	;; [unrolled: 1-line block ×4, first 2 shown]
                                        ; implicit-def: $vgpr4
                                        ; implicit-def: $vgpr1
                                        ; implicit-def: $vgpr2
                                        ; implicit-def: $vgpr3
	s_cbranch_vccnz .LBB95_251
; %bb.86:                               ;   in Loop: Header=BB95_6 Depth=1
	s_cmp_eq_u32 s17, 1
	v_mov_b32_e32 v2, v27
	v_mov_b32_e32 v3, v37
	;; [unrolled: 1-line block ×3, first 2 shown]
	s_cselect_b32 s6, -1, 0
	s_mov_b32 s29, -1
	s_and_b32 s6, s6, s14
                                        ; implicit-def: $sgpr26
                                        ; implicit-def: $sgpr25
	s_and_saveexec_b32 s23, s6
	s_cbranch_execz .LBB95_114
; %bb.87:                               ;   in Loop: Header=BB95_6 Depth=1
	ds_read_b32 v1, v9 offset:4096
	s_waitcnt lgkmcnt(0)
	s_barrier
	buffer_gl0_inv
	v_readfirstlane_b32 s27, v1
	s_and_saveexec_b32 s24, s15
; %bb.88:                               ;   in Loop: Header=BB95_6 Depth=1
	ds_write_b16 v21, v9
; %bb.89:                               ;   in Loop: Header=BB95_6 Depth=1
	s_or_b32 exec_lo, exec_lo, s24
	v_and_b32_e32 v2, s19, v27
	v_or_b32_e32 v3, s18, v37
	s_mov_b32 s25, -1
	s_mov_b32 s26, 0
	s_cmp_eq_u32 s27, 0
	s_mov_b32 s24, 0
	s_mov_b32 s28, -1
	s_waitcnt lgkmcnt(0)
	s_barrier
	buffer_gl0_inv
                                        ; implicit-def: $vgpr8
	s_cbranch_scc1 .LBB95_101
; %bb.90:                               ;   in Loop: Header=BB95_6 Depth=1
	s_add_i32 s24, s27, s59
                                        ; implicit-def: $vgpr8
	s_mul_hi_u32 s28, s24, s65
	s_mul_i32 s28, s28, s48
	s_sub_i32 s28, s24, s28
	s_sub_i32 s29, s28, s48
	s_cmp_ge_u32 s28, s48
	s_cselect_b32 s28, s29, s28
	s_sub_i32 s29, s28, s48
	s_cmp_ge_u32 s28, s48
	s_cselect_b32 s28, s29, s28
	s_mov_b32 s29, exec_lo
	s_sub_i32 s30, s24, s28
	s_mov_b32 s28, 0
	s_mov_b32 s24, 0
	v_cmpx_gt_u32_e64 s30, v0
	s_cbranch_execz .LBB95_100
; %bb.91:                               ;   in Loop: Header=BB95_6 Depth=1
	v_mov_b32_e32 v1, v20
	v_mov_b32_e32 v4, v0
                                        ; implicit-def: $sgpr31
	s_inst_prefetch 0x1
	s_branch .LBB95_95
	.p2align	6
.LBB95_92:                              ;   in Loop: Header=BB95_95 Depth=2
	s_or_b32 exec_lo, exec_lo, s33
	s_waitcnt lgkmcnt(0)
	s_barrier
	buffer_gl0_inv
	ds_read_b32 v8, v9 offset:3072
	s_waitcnt lgkmcnt(0)
	s_barrier
	buffer_gl0_inv
	v_cmp_neq_f16_e32 vcc_lo, 0, v8
	s_cbranch_vccnz .LBB95_98
; %bb.93:                               ;   in Loop: Header=BB95_95 Depth=2
	v_add_nc_u32_e32 v4, s48, v4
	v_add_nc_u32_e32 v1, s69, v1
	s_mov_b32 s33, 0
	v_cmp_le_u32_e32 vcc_lo, s30, v4
	s_orn2_b32 s34, vcc_lo, exec_lo
.LBB95_94:                              ;   in Loop: Header=BB95_95 Depth=2
	s_and_b32 s34, exec_lo, s34
	s_or_b32 s24, s34, s24
	s_andn2_b32 s31, s31, exec_lo
	s_and_b32 s33, s33, exec_lo
	s_or_b32 s31, s31, s33
	s_andn2_b32 exec_lo, exec_lo, s24
	s_cbranch_execz .LBB95_99
.LBB95_95:                              ;   Parent Loop BB95_6 Depth=1
                                        ; =>  This Inner Loop Header: Depth=2
	s_mov_b32 s33, exec_lo
	v_cmpx_gt_u32_e64 s27, v4
	s_cbranch_execz .LBB95_92
; %bb.96:                               ;   in Loop: Header=BB95_95 Depth=2
	ds_read_u16 v8, v1
	s_waitcnt lgkmcnt(0)
	v_cmp_lt_i16_e32 vcc_lo, -1, v8
	v_cndmask_b32_e32 v13, 0xffff, v35, vcc_lo
	v_cmp_o_f16_e32 vcc_lo, v8, v8
	v_xor_b32_sdwa v13, v13, v8 dst_sel:DWORD dst_unused:UNUSED_PAD src0_sel:DWORD src1_sel:WORD_0
	v_cndmask_b32_e32 v13, 0xffff, v13, vcc_lo
	v_and_b32_e32 v13, v13, v3
	v_cmp_eq_u32_e32 vcc_lo, v13, v2
	s_and_b32 exec_lo, exec_lo, vcc_lo
	s_cbranch_execz .LBB95_92
; %bb.97:                               ;   in Loop: Header=BB95_95 Depth=2
	v_perm_b32 v8, v8, s71, 0x5040100
	ds_write_b32 v9, v8 offset:3072
	s_branch .LBB95_92
.LBB95_98:                              ;   in Loop: Header=BB95_95 Depth=2
	s_mov_b32 s34, -1
	s_mov_b32 s33, -1
                                        ; implicit-def: $vgpr4
                                        ; implicit-def: $vgpr1
	s_branch .LBB95_94
.LBB95_99:                              ;   in Loop: Header=BB95_6 Depth=1
	s_inst_prefetch 0x2
	s_or_b32 exec_lo, exec_lo, s24
	v_lshrrev_b32_e32 v8, 16, v8
	s_and_b32 s24, s31, exec_lo
.LBB95_100:                             ;   in Loop: Header=BB95_6 Depth=1
	s_or_b32 exec_lo, exec_lo, s29
.LBB95_101:                             ;   in Loop: Header=BB95_6 Depth=1
	s_and_b32 vcc_lo, exec_lo, s28
	s_cbranch_vccz .LBB95_113
; %bb.102:                              ;   in Loop: Header=BB95_6 Depth=1
                                        ; implicit-def: $vgpr8
	s_and_saveexec_b32 s25, s13
	s_cbranch_execz .LBB95_112
; %bb.103:                              ;   in Loop: Header=BB95_6 Depth=1
	v_mov_b32_e32 v8, v7
	v_mov_b32_e32 v1, v0
	s_mov_b32 s26, 0
                                        ; implicit-def: $sgpr27
	s_branch .LBB95_107
.LBB95_104:                             ;   in Loop: Header=BB95_107 Depth=2
	s_or_b32 exec_lo, exec_lo, s28
	s_waitcnt lgkmcnt(0)
	s_barrier
	buffer_gl0_inv
	ds_read_b32 v4, v9 offset:3072
	s_waitcnt lgkmcnt(0)
	s_barrier
	buffer_gl0_inv
	v_cmp_neq_f16_e32 vcc_lo, 0, v4
	s_cbranch_vccnz .LBB95_110
; %bb.105:                              ;   in Loop: Header=BB95_107 Depth=2
	v_add_nc_u32_e32 v1, s48, v1
	v_add_nc_u32_e32 v8, s49, v8
	s_mov_b32 s28, 0
	v_cmp_le_u32_e32 vcc_lo, s66, v1
	s_orn2_b32 s29, vcc_lo, exec_lo
.LBB95_106:                             ;   in Loop: Header=BB95_107 Depth=2
	s_and_b32 s29, exec_lo, s29
	s_or_b32 s26, s29, s26
	s_andn2_b32 s27, s27, exec_lo
	s_and_b32 s28, s28, exec_lo
	s_or_b32 s27, s27, s28
	s_andn2_b32 exec_lo, exec_lo, s26
	s_cbranch_execz .LBB95_111
.LBB95_107:                             ;   Parent Loop BB95_6 Depth=1
                                        ; =>  This Inner Loop Header: Depth=2
	s_mov_b32 s28, exec_lo
	v_cmpx_gt_u32_e64 s36, v1
	s_cbranch_execz .LBB95_104
; %bb.108:                              ;   in Loop: Header=BB95_107 Depth=2
	v_lshlrev_b64 v[13:14], 1, v[8:9]
	v_add_co_u32 v13, vcc_lo, s46, v13
	v_add_co_ci_u32_e64 v14, null, s47, v14, vcc_lo
	global_load_ushort v4, v[13:14], off
	s_waitcnt vmcnt(0)
	v_cmp_lt_i16_e32 vcc_lo, -1, v4
	v_cndmask_b32_e32 v13, 0xffff, v35, vcc_lo
	v_cmp_o_f16_e32 vcc_lo, v4, v4
	v_xor_b32_sdwa v13, v13, v4 dst_sel:DWORD dst_unused:UNUSED_PAD src0_sel:DWORD src1_sel:WORD_0
	v_cndmask_b32_e32 v13, 0xffff, v13, vcc_lo
	v_and_b32_e32 v13, v13, v3
	v_cmp_eq_u32_e32 vcc_lo, v13, v2
	s_and_b32 exec_lo, exec_lo, vcc_lo
	s_cbranch_execz .LBB95_104
; %bb.109:                              ;   in Loop: Header=BB95_107 Depth=2
	v_perm_b32 v4, v4, s71, 0x5040100
	ds_write_b32 v9, v4 offset:3072
	s_branch .LBB95_104
.LBB95_110:                             ;   in Loop: Header=BB95_107 Depth=2
	s_mov_b32 s29, -1
	s_mov_b32 s28, -1
                                        ; implicit-def: $vgpr1
	s_branch .LBB95_106
.LBB95_111:                             ;   in Loop: Header=BB95_6 Depth=1
	s_or_b32 exec_lo, exec_lo, s26
	v_lshrrev_b32_e32 v8, 16, v4
	s_andn2_b32 s24, s24, exec_lo
	s_and_b32 s26, s27, exec_lo
	s_or_b32 s24, s24, s26
.LBB95_112:                             ;   in Loop: Header=BB95_6 Depth=1
	s_or_b32 exec_lo, exec_lo, s25
	s_mov_b32 s25, 0
	s_mov_b32 s26, -1
.LBB95_113:                             ;   in Loop: Header=BB95_6 Depth=1
	s_orn2_b32 s29, s24, exec_lo
.LBB95_114:                             ;   in Loop: Header=BB95_6 Depth=1
	s_or_b32 exec_lo, exec_lo, s23
	s_mov_b32 s27, 0
	s_mov_b32 s24, 0
	;; [unrolled: 1-line block ×3, first 2 shown]
                                        ; implicit-def: $vgpr4
                                        ; implicit-def: $vgpr1
	s_and_saveexec_b32 s28, s29
	s_cbranch_execz .LBB95_250
; %bb.115:                              ;   in Loop: Header=BB95_6 Depth=1
	v_mov_b32_e32 v4, 1
	v_mov_b32_e32 v1, 1
	s_xor_b32 s23, s6, -1
	s_mov_b32 s30, 0
	s_and_saveexec_b32 s6, s23
	s_cbranch_execz .LBB95_124
; %bb.116:                              ;   in Loop: Header=BB95_6 Depth=1
	s_mov_b32 s23, exec_lo
	v_cmpx_ge_u32_e64 s17, v39
	s_xor_b32 s23, exec_lo, s23
	s_cbranch_execz .LBB95_121
; %bb.117:                              ;   in Loop: Header=BB95_6 Depth=1
	ds_read_b32 v1, v9 offset:4096
	v_and_b32_e32 v2, s19, v2
	v_or_b32_e32 v3, s18, v3
	s_waitcnt lgkmcnt(0)
	v_cmp_ne_u32_e32 vcc_lo, 0, v1
	s_cbranch_vccnz .LBB95_121
; %bb.118:                              ;   in Loop: Header=BB95_6 Depth=1
	s_and_saveexec_b32 s24, s3
; %bb.119:                              ;   in Loop: Header=BB95_6 Depth=1
	v_mov_b32_e32 v1, s17
	ds_write_b32 v9, v1 offset:4100
; %bb.120:                              ;   in Loop: Header=BB95_6 Depth=1
	s_or_b32 exec_lo, exec_lo, s24
	s_waitcnt lgkmcnt(0)
	s_barrier
	buffer_gl0_inv
.LBB95_121:                             ;   in Loop: Header=BB95_6 Depth=1
	s_or_saveexec_b32 s23, s23
	v_mov_b32_e32 v1, 8
	v_mov_b32_e32 v4, v39
	s_mov_b32 s24, 0
	s_xor_b32 exec_lo, exec_lo, s23
; %bb.122:                              ;   in Loop: Header=BB95_6 Depth=1
	v_subrev_nc_u32_e32 v4, s17, v39
	v_mov_b32_e32 v1, 0
	s_mov_b32 s24, exec_lo
; %bb.123:                              ;   in Loop: Header=BB95_6 Depth=1
	s_or_b32 exec_lo, exec_lo, s23
	s_and_b32 s30, s24, exec_lo
.LBB95_124:                             ;   in Loop: Header=BB95_6 Depth=1
	s_or_b32 exec_lo, exec_lo, s6
	s_mov_b32 s29, -1
                                        ; implicit-def: $sgpr23
                                        ; implicit-def: $sgpr24
	s_and_saveexec_b32 s6, s30
	s_xor_b32 s6, exec_lo, s6
	s_cbranch_execz .LBB95_247
; %bb.125:                              ;   in Loop: Header=BB95_6 Depth=1
	v_cmp_eq_u32_e32 vcc_lo, 1, v4
	s_cmp_eq_u32 s20, 1
	s_mov_b32 s31, -1
	s_cselect_b32 s23, -1, 0
                                        ; implicit-def: $sgpr24
	s_and_b32 s30, s23, vcc_lo
                                        ; implicit-def: $sgpr23
	s_and_saveexec_b32 s29, s30
	s_cbranch_execz .LBB95_153
; %bb.126:                              ;   in Loop: Header=BB95_6 Depth=1
	ds_read_b32 v8, v9 offset:4096
	s_waitcnt lgkmcnt(0)
	s_barrier
	buffer_gl0_inv
	v_readfirstlane_b32 s33, v8
	s_and_saveexec_b32 s23, s15
; %bb.127:                              ;   in Loop: Header=BB95_6 Depth=1
	ds_write_b16 v21, v9
; %bb.128:                              ;   in Loop: Header=BB95_6 Depth=1
	s_or_b32 exec_lo, exec_lo, s23
	s_lshl_b32 s23, 1, s76
	v_or_b32_e32 v3, s18, v3
	v_and_or_b32 v2, v2, s19, s23
	s_mov_b32 s23, -1
	s_mov_b32 s24, 0
	s_cmp_eq_u32 s33, 0
	s_mov_b32 s31, 0
	s_mov_b32 s34, -1
	s_waitcnt lgkmcnt(0)
	s_barrier
	buffer_gl0_inv
                                        ; implicit-def: $vgpr8
	s_cbranch_scc1 .LBB95_140
; %bb.129:                              ;   in Loop: Header=BB95_6 Depth=1
	s_add_i32 s31, s33, s59
                                        ; implicit-def: $vgpr8
	s_mul_hi_u32 s34, s31, s65
	s_mul_i32 s34, s34, s48
	s_sub_i32 s34, s31, s34
	s_sub_i32 s83, s34, s48
	s_cmp_ge_u32 s34, s48
	s_cselect_b32 s34, s83, s34
	s_sub_i32 s83, s34, s48
	s_cmp_ge_u32 s34, s48
	s_cselect_b32 s34, s83, s34
	s_mov_b32 s83, exec_lo
	s_sub_i32 s84, s31, s34
	s_mov_b32 s34, 0
	s_mov_b32 s31, 0
	v_cmpx_gt_u32_e64 s84, v0
	s_cbranch_execz .LBB95_139
; %bb.130:                              ;   in Loop: Header=BB95_6 Depth=1
	v_mov_b32_e32 v8, v20
	v_mov_b32_e32 v13, v0
                                        ; implicit-def: $sgpr85
	s_inst_prefetch 0x1
	s_branch .LBB95_134
	.p2align	6
.LBB95_131:                             ;   in Loop: Header=BB95_134 Depth=2
	s_or_b32 exec_lo, exec_lo, s86
	s_waitcnt lgkmcnt(0)
	s_barrier
	buffer_gl0_inv
	ds_read_b32 v14, v9 offset:3072
	s_waitcnt lgkmcnt(0)
	s_barrier
	buffer_gl0_inv
	v_cmp_neq_f16_e32 vcc_lo, 0, v14
	s_cbranch_vccnz .LBB95_137
; %bb.132:                              ;   in Loop: Header=BB95_134 Depth=2
	v_add_nc_u32_e32 v13, s48, v13
	v_add_nc_u32_e32 v8, s69, v8
	s_mov_b32 s86, 0
	v_cmp_le_u32_e32 vcc_lo, s84, v13
	s_orn2_b32 s87, vcc_lo, exec_lo
.LBB95_133:                             ;   in Loop: Header=BB95_134 Depth=2
	s_and_b32 s87, exec_lo, s87
	s_or_b32 s31, s87, s31
	s_andn2_b32 s85, s85, exec_lo
	s_and_b32 s86, s86, exec_lo
	s_or_b32 s85, s85, s86
	s_andn2_b32 exec_lo, exec_lo, s31
	s_cbranch_execz .LBB95_138
.LBB95_134:                             ;   Parent Loop BB95_6 Depth=1
                                        ; =>  This Inner Loop Header: Depth=2
	s_mov_b32 s86, exec_lo
	v_cmpx_gt_u32_e64 s33, v13
	s_cbranch_execz .LBB95_131
; %bb.135:                              ;   in Loop: Header=BB95_134 Depth=2
	ds_read_u16 v14, v8
	s_waitcnt lgkmcnt(0)
	v_cmp_lt_i16_e32 vcc_lo, -1, v14
	v_cndmask_b32_e32 v15, 0xffff, v35, vcc_lo
	v_cmp_o_f16_e32 vcc_lo, v14, v14
	v_xor_b32_sdwa v15, v15, v14 dst_sel:DWORD dst_unused:UNUSED_PAD src0_sel:DWORD src1_sel:WORD_0
	v_cndmask_b32_e32 v15, 0xffff, v15, vcc_lo
	v_and_b32_e32 v15, v15, v3
	v_cmp_eq_u32_e32 vcc_lo, v15, v2
	s_and_b32 exec_lo, exec_lo, vcc_lo
	s_cbranch_execz .LBB95_131
; %bb.136:                              ;   in Loop: Header=BB95_134 Depth=2
	v_perm_b32 v14, v14, s71, 0x5040100
	ds_write_b32 v9, v14 offset:3072
	s_branch .LBB95_131
.LBB95_137:                             ;   in Loop: Header=BB95_134 Depth=2
	s_mov_b32 s87, -1
	s_mov_b32 s86, -1
                                        ; implicit-def: $vgpr13
                                        ; implicit-def: $vgpr8
	s_branch .LBB95_133
.LBB95_138:                             ;   in Loop: Header=BB95_6 Depth=1
	s_inst_prefetch 0x2
	s_or_b32 exec_lo, exec_lo, s31
	v_lshrrev_b32_e32 v8, 16, v14
	s_and_b32 s31, s85, exec_lo
.LBB95_139:                             ;   in Loop: Header=BB95_6 Depth=1
	s_or_b32 exec_lo, exec_lo, s83
.LBB95_140:                             ;   in Loop: Header=BB95_6 Depth=1
	s_and_b32 vcc_lo, exec_lo, s34
	s_cbranch_vccz .LBB95_152
; %bb.141:                              ;   in Loop: Header=BB95_6 Depth=1
                                        ; implicit-def: $vgpr8
	s_and_saveexec_b32 s23, s13
	s_cbranch_execz .LBB95_151
; %bb.142:                              ;   in Loop: Header=BB95_6 Depth=1
	v_mov_b32_e32 v8, v7
	v_mov_b32_e32 v13, v0
	s_mov_b32 s24, 0
                                        ; implicit-def: $sgpr33
	s_branch .LBB95_146
.LBB95_143:                             ;   in Loop: Header=BB95_146 Depth=2
	s_or_b32 exec_lo, exec_lo, s34
	s_waitcnt lgkmcnt(0)
	s_barrier
	buffer_gl0_inv
	ds_read_b32 v14, v9 offset:3072
	s_waitcnt lgkmcnt(0)
	s_barrier
	buffer_gl0_inv
	v_cmp_eq_f16_e32 vcc_lo, 0, v14
	s_cbranch_vccz .LBB95_149
; %bb.144:                              ;   in Loop: Header=BB95_146 Depth=2
	v_add_nc_u32_e32 v13, s48, v13
	v_add_nc_u32_e32 v8, s49, v8
	s_mov_b32 s34, 0
	v_cmp_le_u32_e32 vcc_lo, s66, v13
	s_orn2_b32 s83, vcc_lo, exec_lo
.LBB95_145:                             ;   in Loop: Header=BB95_146 Depth=2
	s_and_b32 s83, exec_lo, s83
	s_or_b32 s24, s83, s24
	s_andn2_b32 s33, s33, exec_lo
	s_and_b32 s34, s34, exec_lo
	s_or_b32 s33, s33, s34
	s_andn2_b32 exec_lo, exec_lo, s24
	s_cbranch_execz .LBB95_150
.LBB95_146:                             ;   Parent Loop BB95_6 Depth=1
                                        ; =>  This Inner Loop Header: Depth=2
	s_mov_b32 s34, exec_lo
	v_cmpx_gt_u32_e64 s36, v13
	s_cbranch_execz .LBB95_143
; %bb.147:                              ;   in Loop: Header=BB95_146 Depth=2
	v_lshlrev_b64 v[14:15], 1, v[8:9]
	v_add_co_u32 v14, vcc_lo, s46, v14
	v_add_co_ci_u32_e64 v15, null, s47, v15, vcc_lo
	global_load_ushort v14, v[14:15], off
	s_waitcnt vmcnt(0)
	v_cmp_lt_i16_e32 vcc_lo, -1, v14
	v_cndmask_b32_e32 v15, 0xffff, v35, vcc_lo
	v_cmp_o_f16_e32 vcc_lo, v14, v14
	v_xor_b32_sdwa v15, v15, v14 dst_sel:DWORD dst_unused:UNUSED_PAD src0_sel:DWORD src1_sel:WORD_0
	v_cndmask_b32_e32 v15, 0xffff, v15, vcc_lo
	v_and_b32_e32 v15, v15, v3
	v_cmp_eq_u32_e32 vcc_lo, v15, v2
	s_and_b32 exec_lo, exec_lo, vcc_lo
	s_cbranch_execz .LBB95_143
; %bb.148:                              ;   in Loop: Header=BB95_146 Depth=2
	v_perm_b32 v14, v14, s71, 0x5040100
	ds_write_b32 v9, v14 offset:3072
	s_branch .LBB95_143
.LBB95_149:                             ;   in Loop: Header=BB95_146 Depth=2
	s_mov_b32 s83, -1
	s_mov_b32 s34, -1
                                        ; implicit-def: $vgpr13
	s_branch .LBB95_145
.LBB95_150:                             ;   in Loop: Header=BB95_6 Depth=1
	s_or_b32 exec_lo, exec_lo, s24
	v_lshrrev_b32_e32 v8, 16, v14
	s_andn2_b32 s24, s31, exec_lo
	s_and_b32 s31, s33, exec_lo
	s_or_b32 s31, s24, s31
.LBB95_151:                             ;   in Loop: Header=BB95_6 Depth=1
	s_or_b32 exec_lo, exec_lo, s23
	s_mov_b32 s23, 0
	s_mov_b32 s24, -1
.LBB95_152:                             ;   in Loop: Header=BB95_6 Depth=1
	s_orn2_b32 s31, s31, exec_lo
.LBB95_153:                             ;   in Loop: Header=BB95_6 Depth=1
	s_or_b32 exec_lo, exec_lo, s29
	s_mov_b32 s33, 0
	s_and_saveexec_b32 s29, s31
	s_cbranch_execz .LBB95_246
; %bb.154:                              ;   in Loop: Header=BB95_6 Depth=1
	v_mov_b32_e32 v13, 1
	v_mov_b32_e32 v1, 1
	s_xor_b32 s31, s30, -1
	s_mov_b32 s83, 0
	s_and_saveexec_b32 s30, s31
	s_cbranch_execz .LBB95_163
; %bb.155:                              ;   in Loop: Header=BB95_6 Depth=1
	s_mov_b32 s31, exec_lo
	v_cmpx_ge_u32_e64 s20, v4
	s_xor_b32 s31, exec_lo, s31
	s_cbranch_execz .LBB95_160
; %bb.156:                              ;   in Loop: Header=BB95_6 Depth=1
	ds_read_b32 v1, v9 offset:4096
	s_lshl_b32 s33, 1, s76
	v_or_b32_e32 v3, s18, v3
	v_and_or_b32 v2, v2, s19, s33
	s_waitcnt lgkmcnt(0)
	v_cmp_ne_u32_e32 vcc_lo, 0, v1
	s_cbranch_vccnz .LBB95_160
; %bb.157:                              ;   in Loop: Header=BB95_6 Depth=1
	s_and_saveexec_b32 s33, s3
; %bb.158:                              ;   in Loop: Header=BB95_6 Depth=1
	v_mov_b32_e32 v1, s20
	ds_write_b32 v9, v1 offset:4100
; %bb.159:                              ;   in Loop: Header=BB95_6 Depth=1
	s_or_b32 exec_lo, exec_lo, s33
	s_waitcnt lgkmcnt(0)
	s_barrier
	buffer_gl0_inv
.LBB95_160:                             ;   in Loop: Header=BB95_6 Depth=1
	s_or_saveexec_b32 s31, s31
	v_mov_b32_e32 v1, 8
	s_mov_b32 s33, 0
	s_xor_b32 exec_lo, exec_lo, s31
; %bb.161:                              ;   in Loop: Header=BB95_6 Depth=1
	v_subrev_nc_u32_e32 v4, s20, v4
	v_mov_b32_e32 v1, 0
	s_mov_b32 s33, exec_lo
; %bb.162:                              ;   in Loop: Header=BB95_6 Depth=1
	s_or_b32 exec_lo, exec_lo, s31
	v_mov_b32_e32 v13, v4
	s_and_b32 s83, s33, exec_lo
.LBB95_163:                             ;   in Loop: Header=BB95_6 Depth=1
	s_or_b32 exec_lo, exec_lo, s30
	s_mov_b32 s34, -1
                                        ; implicit-def: $sgpr31
                                        ; implicit-def: $sgpr33
	s_and_saveexec_b32 s30, s83
	s_cbranch_execz .LBB95_245
; %bb.164:                              ;   in Loop: Header=BB95_6 Depth=1
	v_cmp_eq_u32_e32 vcc_lo, 1, v13
	s_cmp_eq_u32 s21, 1
	s_mov_b32 s84, -1
	s_cselect_b32 s31, -1, 0
                                        ; implicit-def: $sgpr33
	s_and_b32 s83, s31, vcc_lo
                                        ; implicit-def: $sgpr31
	s_and_saveexec_b32 s34, s83
	s_cbranch_execz .LBB95_192
; %bb.165:                              ;   in Loop: Header=BB95_6 Depth=1
	ds_read_b32 v4, v9 offset:4096
	s_waitcnt lgkmcnt(0)
	s_barrier
	buffer_gl0_inv
	v_readfirstlane_b32 s85, v4
	s_and_saveexec_b32 s31, s15
; %bb.166:                              ;   in Loop: Header=BB95_6 Depth=1
	ds_write_b16 v21, v9
; %bb.167:                              ;   in Loop: Header=BB95_6 Depth=1
	s_or_b32 exec_lo, exec_lo, s31
	s_lshl_b32 s31, 2, s76
	v_or_b32_e32 v3, s18, v3
	v_and_or_b32 v2, v2, s19, s31
	s_mov_b32 s31, -1
	s_mov_b32 s33, 0
	s_cmp_eq_u32 s85, 0
	s_mov_b32 s84, 0
	s_mov_b32 s86, -1
	s_waitcnt lgkmcnt(0)
	s_barrier
	buffer_gl0_inv
                                        ; implicit-def: $vgpr8
	s_cbranch_scc1 .LBB95_179
; %bb.168:                              ;   in Loop: Header=BB95_6 Depth=1
	s_add_i32 s84, s85, s59
                                        ; implicit-def: $vgpr8
	s_mul_hi_u32 s86, s84, s65
	s_mul_i32 s86, s86, s48
	s_sub_i32 s86, s84, s86
	s_sub_i32 s87, s86, s48
	s_cmp_ge_u32 s86, s48
	s_cselect_b32 s86, s87, s86
	s_sub_i32 s87, s86, s48
	s_cmp_ge_u32 s86, s48
	s_cselect_b32 s86, s87, s86
	s_mov_b32 s87, exec_lo
	s_sub_i32 s88, s84, s86
	s_mov_b32 s86, 0
	s_mov_b32 s84, 0
	v_cmpx_gt_u32_e64 s88, v0
	s_cbranch_execz .LBB95_178
; %bb.169:                              ;   in Loop: Header=BB95_6 Depth=1
	v_mov_b32_e32 v4, v20
	v_mov_b32_e32 v8, v0
                                        ; implicit-def: $sgpr89
	s_inst_prefetch 0x1
	s_branch .LBB95_173
	.p2align	6
.LBB95_170:                             ;   in Loop: Header=BB95_173 Depth=2
	s_or_b32 exec_lo, exec_lo, s90
	s_waitcnt lgkmcnt(0)
	s_barrier
	buffer_gl0_inv
	ds_read_b32 v14, v9 offset:3072
	s_waitcnt lgkmcnt(0)
	s_barrier
	buffer_gl0_inv
	v_cmp_neq_f16_e32 vcc_lo, 0, v14
	s_cbranch_vccnz .LBB95_176
; %bb.171:                              ;   in Loop: Header=BB95_173 Depth=2
	v_add_nc_u32_e32 v8, s48, v8
	v_add_nc_u32_e32 v4, s69, v4
	s_mov_b32 s90, 0
	v_cmp_le_u32_e32 vcc_lo, s88, v8
	s_orn2_b32 s91, vcc_lo, exec_lo
.LBB95_172:                             ;   in Loop: Header=BB95_173 Depth=2
	s_and_b32 s91, exec_lo, s91
	s_or_b32 s84, s91, s84
	s_andn2_b32 s89, s89, exec_lo
	s_and_b32 s90, s90, exec_lo
	s_or_b32 s89, s89, s90
	s_andn2_b32 exec_lo, exec_lo, s84
	s_cbranch_execz .LBB95_177
.LBB95_173:                             ;   Parent Loop BB95_6 Depth=1
                                        ; =>  This Inner Loop Header: Depth=2
	s_mov_b32 s90, exec_lo
	v_cmpx_gt_u32_e64 s85, v8
	s_cbranch_execz .LBB95_170
; %bb.174:                              ;   in Loop: Header=BB95_173 Depth=2
	ds_read_u16 v14, v4
	s_waitcnt lgkmcnt(0)
	v_cmp_lt_i16_e32 vcc_lo, -1, v14
	v_cndmask_b32_e32 v15, 0xffff, v35, vcc_lo
	v_cmp_o_f16_e32 vcc_lo, v14, v14
	v_xor_b32_sdwa v15, v15, v14 dst_sel:DWORD dst_unused:UNUSED_PAD src0_sel:DWORD src1_sel:WORD_0
	v_cndmask_b32_e32 v15, 0xffff, v15, vcc_lo
	v_and_b32_e32 v15, v15, v3
	v_cmp_eq_u32_e32 vcc_lo, v15, v2
	s_and_b32 exec_lo, exec_lo, vcc_lo
	s_cbranch_execz .LBB95_170
; %bb.175:                              ;   in Loop: Header=BB95_173 Depth=2
	v_perm_b32 v14, v14, s71, 0x5040100
	ds_write_b32 v9, v14 offset:3072
	s_branch .LBB95_170
.LBB95_176:                             ;   in Loop: Header=BB95_173 Depth=2
	s_mov_b32 s91, -1
	s_mov_b32 s90, -1
                                        ; implicit-def: $vgpr8
                                        ; implicit-def: $vgpr4
	s_branch .LBB95_172
.LBB95_177:                             ;   in Loop: Header=BB95_6 Depth=1
	s_inst_prefetch 0x2
	s_or_b32 exec_lo, exec_lo, s84
	v_lshrrev_b32_e32 v8, 16, v14
	s_and_b32 s84, s89, exec_lo
.LBB95_178:                             ;   in Loop: Header=BB95_6 Depth=1
	s_or_b32 exec_lo, exec_lo, s87
.LBB95_179:                             ;   in Loop: Header=BB95_6 Depth=1
	s_and_b32 vcc_lo, exec_lo, s86
	s_cbranch_vccz .LBB95_191
; %bb.180:                              ;   in Loop: Header=BB95_6 Depth=1
                                        ; implicit-def: $vgpr8
	s_and_saveexec_b32 s31, s13
	s_cbranch_execz .LBB95_190
; %bb.181:                              ;   in Loop: Header=BB95_6 Depth=1
	v_mov_b32_e32 v8, v7
	v_mov_b32_e32 v4, v0
	s_mov_b32 s33, 0
                                        ; implicit-def: $sgpr85
	s_branch .LBB95_185
.LBB95_182:                             ;   in Loop: Header=BB95_185 Depth=2
	s_or_b32 exec_lo, exec_lo, s86
	s_waitcnt lgkmcnt(0)
	s_barrier
	buffer_gl0_inv
	ds_read_b32 v14, v9 offset:3072
	s_waitcnt lgkmcnt(0)
	s_barrier
	buffer_gl0_inv
	v_cmp_eq_f16_e32 vcc_lo, 0, v14
	s_cbranch_vccz .LBB95_188
; %bb.183:                              ;   in Loop: Header=BB95_185 Depth=2
	v_add_nc_u32_e32 v4, s48, v4
	v_add_nc_u32_e32 v8, s49, v8
	s_mov_b32 s86, 0
	v_cmp_le_u32_e32 vcc_lo, s66, v4
	s_orn2_b32 s87, vcc_lo, exec_lo
.LBB95_184:                             ;   in Loop: Header=BB95_185 Depth=2
	s_and_b32 s87, exec_lo, s87
	s_or_b32 s33, s87, s33
	s_andn2_b32 s85, s85, exec_lo
	s_and_b32 s86, s86, exec_lo
	s_or_b32 s85, s85, s86
	s_andn2_b32 exec_lo, exec_lo, s33
	s_cbranch_execz .LBB95_189
.LBB95_185:                             ;   Parent Loop BB95_6 Depth=1
                                        ; =>  This Inner Loop Header: Depth=2
	s_mov_b32 s86, exec_lo
	v_cmpx_gt_u32_e64 s36, v4
	s_cbranch_execz .LBB95_182
; %bb.186:                              ;   in Loop: Header=BB95_185 Depth=2
	v_lshlrev_b64 v[14:15], 1, v[8:9]
	v_add_co_u32 v14, vcc_lo, s46, v14
	v_add_co_ci_u32_e64 v15, null, s47, v15, vcc_lo
	global_load_ushort v14, v[14:15], off
	s_waitcnt vmcnt(0)
	v_cmp_lt_i16_e32 vcc_lo, -1, v14
	v_cndmask_b32_e32 v15, 0xffff, v35, vcc_lo
	v_cmp_o_f16_e32 vcc_lo, v14, v14
	v_xor_b32_sdwa v15, v15, v14 dst_sel:DWORD dst_unused:UNUSED_PAD src0_sel:DWORD src1_sel:WORD_0
	v_cndmask_b32_e32 v15, 0xffff, v15, vcc_lo
	v_and_b32_e32 v15, v15, v3
	v_cmp_eq_u32_e32 vcc_lo, v15, v2
	s_and_b32 exec_lo, exec_lo, vcc_lo
	s_cbranch_execz .LBB95_182
; %bb.187:                              ;   in Loop: Header=BB95_185 Depth=2
	v_perm_b32 v14, v14, s71, 0x5040100
	ds_write_b32 v9, v14 offset:3072
	s_branch .LBB95_182
.LBB95_188:                             ;   in Loop: Header=BB95_185 Depth=2
	s_mov_b32 s87, -1
	s_mov_b32 s86, -1
                                        ; implicit-def: $vgpr4
	s_branch .LBB95_184
.LBB95_189:                             ;   in Loop: Header=BB95_6 Depth=1
	s_or_b32 exec_lo, exec_lo, s33
	v_lshrrev_b32_e32 v8, 16, v14
	s_andn2_b32 s33, s84, exec_lo
	s_and_b32 s84, s85, exec_lo
	s_or_b32 s84, s33, s84
.LBB95_190:                             ;   in Loop: Header=BB95_6 Depth=1
	s_or_b32 exec_lo, exec_lo, s31
	s_mov_b32 s31, 0
	s_mov_b32 s33, -1
.LBB95_191:                             ;   in Loop: Header=BB95_6 Depth=1
	s_orn2_b32 s84, s84, exec_lo
.LBB95_192:                             ;   in Loop: Header=BB95_6 Depth=1
	s_or_b32 exec_lo, exec_lo, s34
	s_mov_b32 s85, 0
	s_and_saveexec_b32 s34, s84
	s_cbranch_execz .LBB95_244
; %bb.193:                              ;   in Loop: Header=BB95_6 Depth=1
	v_mov_b32_e32 v4, 1
	v_mov_b32_e32 v1, 1
	s_xor_b32 s84, s83, -1
	s_mov_b32 s87, 0
	s_and_saveexec_b32 s83, s84
	s_cbranch_execz .LBB95_202
; %bb.194:                              ;   in Loop: Header=BB95_6 Depth=1
	s_mov_b32 s84, exec_lo
	v_cmpx_ge_u32_e64 s21, v13
	s_xor_b32 s84, exec_lo, s84
	s_cbranch_execz .LBB95_199
; %bb.195:                              ;   in Loop: Header=BB95_6 Depth=1
	ds_read_b32 v1, v9 offset:4096
	s_lshl_b32 s85, 2, s76
	v_or_b32_e32 v3, s18, v3
	v_and_or_b32 v2, v2, s19, s85
	s_waitcnt lgkmcnt(0)
	v_cmp_ne_u32_e32 vcc_lo, 0, v1
	s_cbranch_vccnz .LBB95_199
; %bb.196:                              ;   in Loop: Header=BB95_6 Depth=1
	s_and_saveexec_b32 s85, s3
; %bb.197:                              ;   in Loop: Header=BB95_6 Depth=1
	v_mov_b32_e32 v1, s21
	ds_write_b32 v9, v1 offset:4100
; %bb.198:                              ;   in Loop: Header=BB95_6 Depth=1
	s_or_b32 exec_lo, exec_lo, s85
	s_waitcnt lgkmcnt(0)
	s_barrier
	buffer_gl0_inv
.LBB95_199:                             ;   in Loop: Header=BB95_6 Depth=1
	s_or_saveexec_b32 s84, s84
	v_mov_b32_e32 v1, 8
	s_mov_b32 s85, 0
	s_xor_b32 exec_lo, exec_lo, s84
; %bb.200:                              ;   in Loop: Header=BB95_6 Depth=1
	v_subrev_nc_u32_e32 v13, s21, v13
	v_mov_b32_e32 v1, 0
	s_mov_b32 s85, exec_lo
; %bb.201:                              ;   in Loop: Header=BB95_6 Depth=1
	s_or_b32 exec_lo, exec_lo, s84
	v_mov_b32_e32 v4, v13
	s_and_b32 s87, s85, exec_lo
.LBB95_202:                             ;   in Loop: Header=BB95_6 Depth=1
	s_or_b32 exec_lo, exec_lo, s83
	s_mov_b32 s84, -1
                                        ; implicit-def: $sgpr86
                                        ; implicit-def: $sgpr85
	s_and_saveexec_b32 s83, s87
	s_cbranch_execz .LBB95_243
; %bb.203:                              ;   in Loop: Header=BB95_6 Depth=1
	v_cmp_eq_u32_e32 vcc_lo, 1, v4
	s_cmp_eq_u32 s22, 1
	s_mov_b32 s88, -1
	s_cselect_b32 s84, -1, 0
                                        ; implicit-def: $sgpr86
                                        ; implicit-def: $sgpr85
	s_and_b32 s84, s84, vcc_lo
	s_and_saveexec_b32 s87, s84
	s_cbranch_execz .LBB95_231
; %bb.204:                              ;   in Loop: Header=BB95_6 Depth=1
	ds_read_b32 v8, v9 offset:4096
	s_waitcnt lgkmcnt(0)
	s_barrier
	buffer_gl0_inv
	v_readfirstlane_b32 s89, v8
	s_and_saveexec_b32 s85, s15
; %bb.205:                              ;   in Loop: Header=BB95_6 Depth=1
	ds_write_b16 v21, v9
; %bb.206:                              ;   in Loop: Header=BB95_6 Depth=1
	s_or_b32 exec_lo, exec_lo, s85
	v_or_b32_e32 v2, s18, v2
	v_or_b32_e32 v3, s18, v3
	s_mov_b32 s85, -1
	s_mov_b32 s86, 0
	s_cmp_eq_u32 s89, 0
	s_mov_b32 s88, 0
	s_mov_b32 s90, -1
	s_waitcnt lgkmcnt(0)
	s_barrier
	buffer_gl0_inv
                                        ; implicit-def: $vgpr8
	s_cbranch_scc1 .LBB95_218
; %bb.207:                              ;   in Loop: Header=BB95_6 Depth=1
	s_add_i32 s88, s89, s59
                                        ; implicit-def: $vgpr8
	s_mul_hi_u32 s90, s88, s65
	s_mul_i32 s90, s90, s48
	s_sub_i32 s90, s88, s90
	s_sub_i32 s91, s90, s48
	s_cmp_ge_u32 s90, s48
	s_cselect_b32 s90, s91, s90
	s_sub_i32 s91, s90, s48
	s_cmp_ge_u32 s90, s48
	s_cselect_b32 s90, s91, s90
	s_mov_b32 s91, exec_lo
	s_sub_i32 s92, s88, s90
	s_mov_b32 s90, 0
	s_mov_b32 s88, 0
	v_cmpx_gt_u32_e64 s92, v0
	s_cbranch_execz .LBB95_217
; %bb.208:                              ;   in Loop: Header=BB95_6 Depth=1
	v_mov_b32_e32 v8, v20
	v_mov_b32_e32 v13, v0
                                        ; implicit-def: $sgpr93
	s_inst_prefetch 0x1
	s_branch .LBB95_212
	.p2align	6
.LBB95_209:                             ;   in Loop: Header=BB95_212 Depth=2
	s_or_b32 exec_lo, exec_lo, s94
	s_waitcnt lgkmcnt(0)
	s_barrier
	buffer_gl0_inv
	ds_read_b32 v14, v9 offset:3072
	s_waitcnt lgkmcnt(0)
	s_barrier
	buffer_gl0_inv
	v_cmp_neq_f16_e32 vcc_lo, 0, v14
	s_cbranch_vccnz .LBB95_215
; %bb.210:                              ;   in Loop: Header=BB95_212 Depth=2
	v_add_nc_u32_e32 v13, s48, v13
	v_add_nc_u32_e32 v8, s69, v8
	s_mov_b32 s94, 0
	v_cmp_le_u32_e32 vcc_lo, s92, v13
	s_orn2_b32 s95, vcc_lo, exec_lo
.LBB95_211:                             ;   in Loop: Header=BB95_212 Depth=2
	s_and_b32 s95, exec_lo, s95
	s_or_b32 s88, s95, s88
	s_andn2_b32 s93, s93, exec_lo
	s_and_b32 s94, s94, exec_lo
	s_or_b32 s93, s93, s94
	s_andn2_b32 exec_lo, exec_lo, s88
	s_cbranch_execz .LBB95_216
.LBB95_212:                             ;   Parent Loop BB95_6 Depth=1
                                        ; =>  This Inner Loop Header: Depth=2
	s_mov_b32 s94, exec_lo
	v_cmpx_gt_u32_e64 s89, v13
	s_cbranch_execz .LBB95_209
; %bb.213:                              ;   in Loop: Header=BB95_212 Depth=2
	ds_read_u16 v14, v8
	s_waitcnt lgkmcnt(0)
	v_cmp_lt_i16_e32 vcc_lo, -1, v14
	v_cndmask_b32_e32 v15, 0xffff, v35, vcc_lo
	v_cmp_o_f16_e32 vcc_lo, v14, v14
	v_xor_b32_sdwa v15, v15, v14 dst_sel:DWORD dst_unused:UNUSED_PAD src0_sel:DWORD src1_sel:WORD_0
	v_cndmask_b32_e32 v15, 0xffff, v15, vcc_lo
	v_and_b32_e32 v15, v15, v3
	v_cmp_eq_u32_e32 vcc_lo, v15, v2
	s_and_b32 exec_lo, exec_lo, vcc_lo
	s_cbranch_execz .LBB95_209
; %bb.214:                              ;   in Loop: Header=BB95_212 Depth=2
	v_perm_b32 v14, v14, s71, 0x5040100
	ds_write_b32 v9, v14 offset:3072
	s_branch .LBB95_209
.LBB95_215:                             ;   in Loop: Header=BB95_212 Depth=2
	s_mov_b32 s95, -1
	s_mov_b32 s94, -1
                                        ; implicit-def: $vgpr13
                                        ; implicit-def: $vgpr8
	s_branch .LBB95_211
.LBB95_216:                             ;   in Loop: Header=BB95_6 Depth=1
	s_inst_prefetch 0x2
	s_or_b32 exec_lo, exec_lo, s88
	v_lshrrev_b32_e32 v8, 16, v14
	s_and_b32 s88, s93, exec_lo
.LBB95_217:                             ;   in Loop: Header=BB95_6 Depth=1
	s_or_b32 exec_lo, exec_lo, s91
.LBB95_218:                             ;   in Loop: Header=BB95_6 Depth=1
	s_and_b32 vcc_lo, exec_lo, s90
	s_cbranch_vccz .LBB95_230
; %bb.219:                              ;   in Loop: Header=BB95_6 Depth=1
                                        ; implicit-def: $vgpr8
	s_and_saveexec_b32 s85, s13
	s_cbranch_execz .LBB95_229
; %bb.220:                              ;   in Loop: Header=BB95_6 Depth=1
	v_mov_b32_e32 v8, v7
	v_mov_b32_e32 v13, v0
	s_mov_b32 s86, 0
                                        ; implicit-def: $sgpr89
	s_branch .LBB95_224
.LBB95_221:                             ;   in Loop: Header=BB95_224 Depth=2
	s_or_b32 exec_lo, exec_lo, s90
	s_waitcnt lgkmcnt(0)
	s_barrier
	buffer_gl0_inv
	ds_read_b32 v14, v9 offset:3072
	s_waitcnt lgkmcnt(0)
	s_barrier
	buffer_gl0_inv
	v_cmp_eq_f16_e32 vcc_lo, 0, v14
	s_cbranch_vccz .LBB95_227
; %bb.222:                              ;   in Loop: Header=BB95_224 Depth=2
	v_add_nc_u32_e32 v13, s48, v13
	v_add_nc_u32_e32 v8, s49, v8
	s_mov_b32 s90, 0
	v_cmp_le_u32_e32 vcc_lo, s66, v13
	s_orn2_b32 s91, vcc_lo, exec_lo
.LBB95_223:                             ;   in Loop: Header=BB95_224 Depth=2
	s_and_b32 s91, exec_lo, s91
	s_or_b32 s86, s91, s86
	s_andn2_b32 s89, s89, exec_lo
	s_and_b32 s90, s90, exec_lo
	s_or_b32 s89, s89, s90
	s_andn2_b32 exec_lo, exec_lo, s86
	s_cbranch_execz .LBB95_228
.LBB95_224:                             ;   Parent Loop BB95_6 Depth=1
                                        ; =>  This Inner Loop Header: Depth=2
	s_mov_b32 s90, exec_lo
	v_cmpx_gt_u32_e64 s36, v13
	s_cbranch_execz .LBB95_221
; %bb.225:                              ;   in Loop: Header=BB95_224 Depth=2
	v_lshlrev_b64 v[14:15], 1, v[8:9]
	v_add_co_u32 v14, vcc_lo, s46, v14
	v_add_co_ci_u32_e64 v15, null, s47, v15, vcc_lo
	global_load_ushort v14, v[14:15], off
	s_waitcnt vmcnt(0)
	v_cmp_lt_i16_e32 vcc_lo, -1, v14
	v_cndmask_b32_e32 v15, 0xffff, v35, vcc_lo
	v_cmp_o_f16_e32 vcc_lo, v14, v14
	v_xor_b32_sdwa v15, v15, v14 dst_sel:DWORD dst_unused:UNUSED_PAD src0_sel:DWORD src1_sel:WORD_0
	v_cndmask_b32_e32 v15, 0xffff, v15, vcc_lo
	v_and_b32_e32 v15, v15, v3
	v_cmp_eq_u32_e32 vcc_lo, v15, v2
	s_and_b32 exec_lo, exec_lo, vcc_lo
	s_cbranch_execz .LBB95_221
; %bb.226:                              ;   in Loop: Header=BB95_224 Depth=2
	v_perm_b32 v14, v14, s71, 0x5040100
	ds_write_b32 v9, v14 offset:3072
	s_branch .LBB95_221
.LBB95_227:                             ;   in Loop: Header=BB95_224 Depth=2
	s_mov_b32 s91, -1
	s_mov_b32 s90, -1
                                        ; implicit-def: $vgpr13
	s_branch .LBB95_223
.LBB95_228:                             ;   in Loop: Header=BB95_6 Depth=1
	s_or_b32 exec_lo, exec_lo, s86
	v_lshrrev_b32_e32 v8, 16, v14
	s_andn2_b32 s86, s88, exec_lo
	s_and_b32 s88, s89, exec_lo
	s_or_b32 s88, s86, s88
.LBB95_229:                             ;   in Loop: Header=BB95_6 Depth=1
	s_or_b32 exec_lo, exec_lo, s85
	s_mov_b32 s85, 0
	s_mov_b32 s86, -1
.LBB95_230:                             ;   in Loop: Header=BB95_6 Depth=1
	s_orn2_b32 s88, s88, exec_lo
.LBB95_231:                             ;   in Loop: Header=BB95_6 Depth=1
	s_or_b32 exec_lo, exec_lo, s87
	s_mov_b32 s89, 0
	s_and_saveexec_b32 s87, s88
	s_cbranch_execz .LBB95_242
; %bb.232:                              ;   in Loop: Header=BB95_6 Depth=1
	v_mov_b32_e32 v1, 1
	v_mov_b32_e32 v13, 1
	s_xor_b32 s88, s84, -1
	s_and_saveexec_b32 s84, s88
	s_cbranch_execz .LBB95_241
; %bb.233:                              ;   in Loop: Header=BB95_6 Depth=1
	s_mov_b32 s88, exec_lo
	v_cmpx_ge_u32_e64 s22, v4
	s_xor_b32 s88, exec_lo, s88
	s_cbranch_execz .LBB95_238
; %bb.234:                              ;   in Loop: Header=BB95_6 Depth=1
	ds_read_b32 v1, v9 offset:4096
	v_or_b32_e32 v2, s18, v2
	v_or_b32_e32 v3, s18, v3
	s_waitcnt lgkmcnt(0)
	v_cmp_ne_u32_e32 vcc_lo, 0, v1
	s_cbranch_vccnz .LBB95_238
; %bb.235:                              ;   in Loop: Header=BB95_6 Depth=1
	s_and_saveexec_b32 s89, s3
; %bb.236:                              ;   in Loop: Header=BB95_6 Depth=1
	v_mov_b32_e32 v1, s22
	ds_write_b32 v9, v1 offset:4100
; %bb.237:                              ;   in Loop: Header=BB95_6 Depth=1
	s_or_b32 exec_lo, exec_lo, s89
	s_waitcnt lgkmcnt(0)
	s_barrier
	buffer_gl0_inv
.LBB95_238:                             ;   in Loop: Header=BB95_6 Depth=1
	s_andn2_saveexec_b32 s88, s88
; %bb.239:                              ;   in Loop: Header=BB95_6 Depth=1
	v_subrev_nc_u32_e32 v4, s22, v4
; %bb.240:                              ;   in Loop: Header=BB95_6 Depth=1
	s_or_b32 exec_lo, exec_lo, s88
	v_mov_b32_e32 v1, 8
	v_mov_b32_e32 v13, v4
.LBB95_241:                             ;   in Loop: Header=BB95_6 Depth=1
	s_or_b32 exec_lo, exec_lo, s84
	v_mov_b32_e32 v4, v13
	s_mov_b32 s89, exec_lo
.LBB95_242:                             ;   in Loop: Header=BB95_6 Depth=1
	s_or_b32 exec_lo, exec_lo, s87
	s_orn2_b32 s84, s89, exec_lo
.LBB95_243:                             ;   in Loop: Header=BB95_6 Depth=1
	s_or_b32 exec_lo, exec_lo, s83
	v_mov_b32_e32 v13, v4
	s_andn2_b32 s33, s33, exec_lo
	s_and_b32 s83, s86, exec_lo
	s_andn2_b32 s31, s31, exec_lo
	s_and_b32 s85, s85, exec_lo
	s_or_b32 s33, s33, s83
	s_or_b32 s31, s31, s85
	s_and_b32 s85, s84, exec_lo
.LBB95_244:                             ;   in Loop: Header=BB95_6 Depth=1
	s_or_b32 exec_lo, exec_lo, s34
	s_orn2_b32 s34, s85, exec_lo
.LBB95_245:                             ;   in Loop: Header=BB95_6 Depth=1
	s_or_b32 exec_lo, exec_lo, s30
	v_mov_b32_e32 v4, v13
	s_andn2_b32 s24, s24, exec_lo
	s_and_b32 s30, s33, exec_lo
	s_andn2_b32 s23, s23, exec_lo
	s_and_b32 s31, s31, exec_lo
	s_or_b32 s24, s24, s30
	s_or_b32 s23, s23, s31
	s_and_b32 s33, s34, exec_lo
.LBB95_246:                             ;   in Loop: Header=BB95_6 Depth=1
	s_or_b32 exec_lo, exec_lo, s29
	s_orn2_b32 s29, s33, exec_lo
.LBB95_247:                             ;   in Loop: Header=BB95_6 Depth=1
	s_or_b32 exec_lo, exec_lo, s6
	s_mov_b32 s6, 0
	s_mov_b32 s30, 0
	s_and_saveexec_b32 s31, s29
	s_xor_b32 s29, exec_lo, s31
; %bb.248:                              ;   in Loop: Header=BB95_6 Depth=1
	v_cmp_ne_u32_e32 vcc_lo, 8, v1
	v_cmp_eq_u32_e64 s6, 8, v1
	s_and_b32 s30, vcc_lo, exec_lo
	s_and_b32 s6, s6, exec_lo
; %bb.249:                              ;   in Loop: Header=BB95_6 Depth=1
	s_or_b32 exec_lo, exec_lo, s29
	s_andn2_b32 s26, s26, exec_lo
	s_and_b32 s24, s24, exec_lo
	s_andn2_b32 s25, s25, exec_lo
	s_and_b32 s23, s23, exec_lo
	s_or_b32 s26, s26, s24
	s_or_b32 s25, s25, s23
	s_and_b32 s23, s30, exec_lo
	s_and_b32 s24, s6, exec_lo
.LBB95_250:                             ;   in Loop: Header=BB95_6 Depth=1
	s_or_b32 exec_lo, exec_lo, s28
.LBB95_251:                             ;   in Loop: Header=BB95_6 Depth=1
	s_and_b32 vcc_lo, exec_lo, s27
	s_cbranch_vccz .LBB95_265
; %bb.252:                              ;   in Loop: Header=BB95_6 Depth=1
	s_cmp_eq_u32 s22, 1
	s_mov_b32 s26, -1
	s_cselect_b32 s6, -1, 0
                                        ; implicit-def: $sgpr16
	s_and_b32 s6, s6, s14
                                        ; implicit-def: $sgpr14
	s_and_saveexec_b32 s25, s6
	s_cbranch_execz .LBB95_281
; %bb.253:                              ;   in Loop: Header=BB95_6 Depth=1
	ds_read_b32 v1, v9 offset:4096
	s_waitcnt lgkmcnt(0)
	s_barrier
	buffer_gl0_inv
	v_readfirstlane_b32 s27, v1
	s_and_saveexec_b32 s14, s15
; %bb.254:                              ;   in Loop: Header=BB95_6 Depth=1
	ds_write_b16 v21, v9
; %bb.255:                              ;   in Loop: Header=BB95_6 Depth=1
	s_or_b32 exec_lo, exec_lo, s14
	v_or_b32_e32 v27, s18, v27
	v_or_b32_e32 v37, s18, v37
	s_mov_b32 s16, -1
	s_mov_b32 s14, 0
	s_cmp_eq_u32 s27, 0
	s_mov_b32 s26, 0
	s_mov_b32 s28, -1
	s_waitcnt lgkmcnt(0)
	s_barrier
	buffer_gl0_inv
                                        ; implicit-def: $vgpr38
	s_cbranch_scc1 .LBB95_268
; %bb.256:                              ;   in Loop: Header=BB95_6 Depth=1
	s_add_i32 s26, s27, s59
                                        ; implicit-def: $vgpr38
	s_mul_hi_u32 s28, s26, s65
	s_mul_i32 s28, s28, s48
	s_sub_i32 s28, s26, s28
	s_sub_i32 s29, s28, s48
	s_cmp_ge_u32 s28, s48
	s_cselect_b32 s28, s29, s28
	s_sub_i32 s29, s28, s48
	s_cmp_ge_u32 s28, s48
	s_cselect_b32 s28, s29, s28
	s_mov_b32 s29, exec_lo
	s_sub_i32 s30, s26, s28
	s_mov_b32 s28, 0
	s_mov_b32 s26, 0
	v_cmpx_gt_u32_e64 s30, v0
	s_cbranch_execz .LBB95_267
; %bb.257:                              ;   in Loop: Header=BB95_6 Depth=1
	v_mov_b32_e32 v1, v20
	v_mov_b32_e32 v2, v0
                                        ; implicit-def: $sgpr31
	s_inst_prefetch 0x1
	s_branch .LBB95_261
	.p2align	6
.LBB95_258:                             ;   in Loop: Header=BB95_261 Depth=2
	s_or_b32 exec_lo, exec_lo, s33
	s_waitcnt lgkmcnt(0)
	s_barrier
	buffer_gl0_inv
	ds_read_b32 v3, v9 offset:3072
	s_waitcnt lgkmcnt(0)
	s_barrier
	buffer_gl0_inv
	v_cmp_neq_f16_e32 vcc_lo, 0, v3
	s_cbranch_vccnz .LBB95_264
; %bb.259:                              ;   in Loop: Header=BB95_261 Depth=2
	v_add_nc_u32_e32 v2, s48, v2
	v_add_nc_u32_e32 v1, s69, v1
	s_mov_b32 s33, 0
	v_cmp_le_u32_e32 vcc_lo, s30, v2
	s_orn2_b32 s34, vcc_lo, exec_lo
.LBB95_260:                             ;   in Loop: Header=BB95_261 Depth=2
	s_and_b32 s34, exec_lo, s34
	s_or_b32 s26, s34, s26
	s_andn2_b32 s31, s31, exec_lo
	s_and_b32 s33, s33, exec_lo
	s_or_b32 s31, s31, s33
	s_andn2_b32 exec_lo, exec_lo, s26
	s_cbranch_execz .LBB95_266
.LBB95_261:                             ;   Parent Loop BB95_6 Depth=1
                                        ; =>  This Inner Loop Header: Depth=2
	s_mov_b32 s33, exec_lo
	v_cmpx_gt_u32_e64 s27, v2
	s_cbranch_execz .LBB95_258
; %bb.262:                              ;   in Loop: Header=BB95_261 Depth=2
	ds_read_u16 v3, v1
	s_waitcnt lgkmcnt(0)
	v_cmp_lt_i16_e32 vcc_lo, -1, v3
	v_cndmask_b32_e32 v4, 0xffff, v35, vcc_lo
	v_cmp_o_f16_e32 vcc_lo, v3, v3
	v_xor_b32_sdwa v4, v4, v3 dst_sel:DWORD dst_unused:UNUSED_PAD src0_sel:DWORD src1_sel:WORD_0
	v_cndmask_b32_e32 v4, 0xffff, v4, vcc_lo
	v_and_b32_e32 v4, v4, v37
	v_cmp_eq_u32_e32 vcc_lo, v4, v27
	s_and_b32 exec_lo, exec_lo, vcc_lo
	s_cbranch_execz .LBB95_258
; %bb.263:                              ;   in Loop: Header=BB95_261 Depth=2
	v_perm_b32 v3, v3, s71, 0x5040100
	ds_write_b32 v9, v3 offset:3072
	s_branch .LBB95_258
.LBB95_264:                             ;   in Loop: Header=BB95_261 Depth=2
	s_mov_b32 s34, -1
	s_mov_b32 s33, -1
                                        ; implicit-def: $vgpr2
                                        ; implicit-def: $vgpr1
	s_branch .LBB95_260
.LBB95_265:                             ;   in Loop: Header=BB95_6 Depth=1
	v_mov_b32_e32 v27, v2
	v_mov_b32_e32 v37, v3
	;; [unrolled: 1-line block ×3, first 2 shown]
	s_mov_b32 s14, 0
	s_and_saveexec_b32 s6, s24
	s_cbranch_execnz .LBB95_418
	s_branch .LBB95_419
.LBB95_266:                             ;   in Loop: Header=BB95_6 Depth=1
	s_inst_prefetch 0x2
	s_or_b32 exec_lo, exec_lo, s26
	v_lshrrev_b32_e32 v38, 16, v3
	s_and_b32 s26, s31, exec_lo
.LBB95_267:                             ;   in Loop: Header=BB95_6 Depth=1
	s_or_b32 exec_lo, exec_lo, s29
.LBB95_268:                             ;   in Loop: Header=BB95_6 Depth=1
	s_and_b32 vcc_lo, exec_lo, s28
	s_cbranch_vccz .LBB95_280
; %bb.269:                              ;   in Loop: Header=BB95_6 Depth=1
                                        ; implicit-def: $vgpr38
	s_and_saveexec_b32 s14, s13
	s_cbranch_execz .LBB95_279
; %bb.270:                              ;   in Loop: Header=BB95_6 Depth=1
	v_mov_b32_e32 v8, v7
	v_mov_b32_e32 v1, v0
	s_mov_b32 s16, 0
                                        ; implicit-def: $sgpr27
	s_branch .LBB95_274
.LBB95_271:                             ;   in Loop: Header=BB95_274 Depth=2
	s_or_b32 exec_lo, exec_lo, s28
	s_waitcnt lgkmcnt(0)
	s_barrier
	buffer_gl0_inv
	ds_read_b32 v2, v9 offset:3072
	s_waitcnt lgkmcnt(0)
	s_barrier
	buffer_gl0_inv
	v_cmp_neq_f16_e32 vcc_lo, 0, v2
	s_cbranch_vccnz .LBB95_277
; %bb.272:                              ;   in Loop: Header=BB95_274 Depth=2
	v_add_nc_u32_e32 v1, s48, v1
	v_add_nc_u32_e32 v8, s49, v8
	s_mov_b32 s28, 0
	v_cmp_le_u32_e32 vcc_lo, s66, v1
	s_orn2_b32 s29, vcc_lo, exec_lo
.LBB95_273:                             ;   in Loop: Header=BB95_274 Depth=2
	s_and_b32 s29, exec_lo, s29
	s_or_b32 s16, s29, s16
	s_andn2_b32 s27, s27, exec_lo
	s_and_b32 s28, s28, exec_lo
	s_or_b32 s27, s27, s28
	s_andn2_b32 exec_lo, exec_lo, s16
	s_cbranch_execz .LBB95_278
.LBB95_274:                             ;   Parent Loop BB95_6 Depth=1
                                        ; =>  This Inner Loop Header: Depth=2
	s_mov_b32 s28, exec_lo
	v_cmpx_gt_u32_e64 s36, v1
	s_cbranch_execz .LBB95_271
; %bb.275:                              ;   in Loop: Header=BB95_274 Depth=2
	v_lshlrev_b64 v[2:3], 1, v[8:9]
	v_add_co_u32 v2, vcc_lo, s46, v2
	v_add_co_ci_u32_e64 v3, null, s47, v3, vcc_lo
	global_load_ushort v2, v[2:3], off
	s_waitcnt vmcnt(0)
	v_cmp_lt_i16_e32 vcc_lo, -1, v2
	v_cndmask_b32_e32 v3, 0xffff, v35, vcc_lo
	v_cmp_o_f16_e32 vcc_lo, v2, v2
	v_xor_b32_sdwa v3, v3, v2 dst_sel:DWORD dst_unused:UNUSED_PAD src0_sel:DWORD src1_sel:WORD_0
	v_cndmask_b32_e32 v3, 0xffff, v3, vcc_lo
	v_and_b32_e32 v3, v3, v37
	v_cmp_eq_u32_e32 vcc_lo, v3, v27
	s_and_b32 exec_lo, exec_lo, vcc_lo
	s_cbranch_execz .LBB95_271
; %bb.276:                              ;   in Loop: Header=BB95_274 Depth=2
	v_perm_b32 v2, v2, s71, 0x5040100
	ds_write_b32 v9, v2 offset:3072
	s_branch .LBB95_271
.LBB95_277:                             ;   in Loop: Header=BB95_274 Depth=2
	s_mov_b32 s29, -1
	s_mov_b32 s28, -1
                                        ; implicit-def: $vgpr1
	s_branch .LBB95_273
.LBB95_278:                             ;   in Loop: Header=BB95_6 Depth=1
	s_or_b32 exec_lo, exec_lo, s16
	s_andn2_b32 s16, s26, exec_lo
	s_and_b32 s26, s27, exec_lo
	v_lshrrev_b32_e32 v38, 16, v2
	s_or_b32 s26, s16, s26
.LBB95_279:                             ;   in Loop: Header=BB95_6 Depth=1
	s_or_b32 exec_lo, exec_lo, s14
	s_mov_b32 s16, 0
	s_mov_b32 s14, -1
.LBB95_280:                             ;   in Loop: Header=BB95_6 Depth=1
	s_orn2_b32 s26, s26, exec_lo
.LBB95_281:                             ;   in Loop: Header=BB95_6 Depth=1
	s_or_b32 exec_lo, exec_lo, s25
                                        ; implicit-def: $vgpr4
                                        ; implicit-def: $vgpr1
	s_and_saveexec_b32 s25, s26
	s_cbranch_execz .LBB95_417
; %bb.282:                              ;   in Loop: Header=BB95_6 Depth=1
	v_mov_b32_e32 v4, 1
	v_mov_b32_e32 v1, 1
	s_xor_b32 s26, s6, -1
	s_mov_b32 s28, 0
	s_and_saveexec_b32 s6, s26
	s_cbranch_execz .LBB95_291
; %bb.283:                              ;   in Loop: Header=BB95_6 Depth=1
	s_mov_b32 s26, exec_lo
	v_cmpx_ge_u32_e64 s22, v39
	s_xor_b32 s26, exec_lo, s26
	s_cbranch_execz .LBB95_288
; %bb.284:                              ;   in Loop: Header=BB95_6 Depth=1
	ds_read_b32 v1, v9 offset:4096
	v_or_b32_e32 v27, s18, v27
	v_or_b32_e32 v37, s18, v37
	s_waitcnt lgkmcnt(0)
	v_cmp_ne_u32_e32 vcc_lo, 0, v1
	s_cbranch_vccnz .LBB95_288
; %bb.285:                              ;   in Loop: Header=BB95_6 Depth=1
	s_and_saveexec_b32 s27, s3
; %bb.286:                              ;   in Loop: Header=BB95_6 Depth=1
	v_mov_b32_e32 v1, s22
	ds_write_b32 v9, v1 offset:4100
; %bb.287:                              ;   in Loop: Header=BB95_6 Depth=1
	s_or_b32 exec_lo, exec_lo, s27
	s_waitcnt lgkmcnt(0)
	s_barrier
	buffer_gl0_inv
.LBB95_288:                             ;   in Loop: Header=BB95_6 Depth=1
	s_or_saveexec_b32 s26, s26
	v_mov_b32_e32 v1, 5
	s_mov_b32 s27, 0
	s_xor_b32 exec_lo, exec_lo, s26
; %bb.289:                              ;   in Loop: Header=BB95_6 Depth=1
	v_subrev_nc_u32_e32 v39, s22, v39
	v_mov_b32_e32 v1, 0
	s_mov_b32 s27, exec_lo
; %bb.290:                              ;   in Loop: Header=BB95_6 Depth=1
	s_or_b32 exec_lo, exec_lo, s26
	v_mov_b32_e32 v4, v39
	s_and_b32 s28, s27, exec_lo
.LBB95_291:                             ;   in Loop: Header=BB95_6 Depth=1
	s_or_b32 exec_lo, exec_lo, s6
	s_mov_b32 s27, -1
                                        ; implicit-def: $sgpr22
                                        ; implicit-def: $sgpr26
	s_and_saveexec_b32 s6, s28
	s_xor_b32 s6, exec_lo, s6
	s_cbranch_execz .LBB95_414
; %bb.292:                              ;   in Loop: Header=BB95_6 Depth=1
	v_cmp_eq_u32_e32 vcc_lo, 1, v4
	s_cmp_eq_u32 s21, 1
	s_mov_b32 s29, -1
	s_cselect_b32 s22, -1, 0
                                        ; implicit-def: $sgpr26
	s_and_b32 s28, s22, vcc_lo
                                        ; implicit-def: $sgpr22
	s_and_saveexec_b32 s27, s28
	s_cbranch_execz .LBB95_320
; %bb.293:                              ;   in Loop: Header=BB95_6 Depth=1
	ds_read_b32 v2, v9 offset:4096
	s_waitcnt lgkmcnt(0)
	s_barrier
	buffer_gl0_inv
	v_readfirstlane_b32 s30, v2
	s_and_saveexec_b32 s22, s15
; %bb.294:                              ;   in Loop: Header=BB95_6 Depth=1
	ds_write_b16 v21, v9
; %bb.295:                              ;   in Loop: Header=BB95_6 Depth=1
	s_or_b32 exec_lo, exec_lo, s22
	s_lshl_b32 s22, 2, s76
	v_or_b32_e32 v37, s18, v37
	v_and_or_b32 v27, v27, s19, s22
	s_mov_b32 s22, -1
	s_mov_b32 s26, 0
	s_cmp_eq_u32 s30, 0
	s_mov_b32 s29, 0
	s_mov_b32 s31, -1
	s_waitcnt lgkmcnt(0)
	s_barrier
	buffer_gl0_inv
                                        ; implicit-def: $vgpr38
	s_cbranch_scc1 .LBB95_307
; %bb.296:                              ;   in Loop: Header=BB95_6 Depth=1
	s_add_i32 s29, s30, s59
                                        ; implicit-def: $vgpr38
	s_mul_hi_u32 s31, s29, s65
	s_mul_i32 s31, s31, s48
	s_sub_i32 s31, s29, s31
	s_sub_i32 s33, s31, s48
	s_cmp_ge_u32 s31, s48
	s_cselect_b32 s31, s33, s31
	s_sub_i32 s33, s31, s48
	s_cmp_ge_u32 s31, s48
	s_cselect_b32 s31, s33, s31
	s_mov_b32 s33, exec_lo
	s_sub_i32 s34, s29, s31
	s_mov_b32 s31, 0
	s_mov_b32 s29, 0
	v_cmpx_gt_u32_e64 s34, v0
	s_cbranch_execz .LBB95_306
; %bb.297:                              ;   in Loop: Header=BB95_6 Depth=1
	v_mov_b32_e32 v2, v20
	v_mov_b32_e32 v3, v0
                                        ; implicit-def: $sgpr83
	s_inst_prefetch 0x1
	s_branch .LBB95_301
	.p2align	6
.LBB95_298:                             ;   in Loop: Header=BB95_301 Depth=2
	s_or_b32 exec_lo, exec_lo, s84
	s_waitcnt lgkmcnt(0)
	s_barrier
	buffer_gl0_inv
	ds_read_b32 v8, v9 offset:3072
	s_waitcnt lgkmcnt(0)
	s_barrier
	buffer_gl0_inv
	v_cmp_neq_f16_e32 vcc_lo, 0, v8
	s_cbranch_vccnz .LBB95_304
; %bb.299:                              ;   in Loop: Header=BB95_301 Depth=2
	v_add_nc_u32_e32 v3, s48, v3
	v_add_nc_u32_e32 v2, s69, v2
	s_mov_b32 s84, 0
	v_cmp_le_u32_e32 vcc_lo, s34, v3
	s_orn2_b32 s85, vcc_lo, exec_lo
.LBB95_300:                             ;   in Loop: Header=BB95_301 Depth=2
	s_and_b32 s85, exec_lo, s85
	s_or_b32 s29, s85, s29
	s_andn2_b32 s83, s83, exec_lo
	s_and_b32 s84, s84, exec_lo
	s_or_b32 s83, s83, s84
	s_andn2_b32 exec_lo, exec_lo, s29
	s_cbranch_execz .LBB95_305
.LBB95_301:                             ;   Parent Loop BB95_6 Depth=1
                                        ; =>  This Inner Loop Header: Depth=2
	s_mov_b32 s84, exec_lo
	v_cmpx_gt_u32_e64 s30, v3
	s_cbranch_execz .LBB95_298
; %bb.302:                              ;   in Loop: Header=BB95_301 Depth=2
	ds_read_u16 v8, v2
	s_waitcnt lgkmcnt(0)
	v_cmp_lt_i16_e32 vcc_lo, -1, v8
	v_cndmask_b32_e32 v13, 0xffff, v35, vcc_lo
	v_cmp_o_f16_e32 vcc_lo, v8, v8
	v_xor_b32_sdwa v13, v13, v8 dst_sel:DWORD dst_unused:UNUSED_PAD src0_sel:DWORD src1_sel:WORD_0
	v_cndmask_b32_e32 v13, 0xffff, v13, vcc_lo
	v_and_b32_e32 v13, v13, v37
	v_cmp_eq_u32_e32 vcc_lo, v13, v27
	s_and_b32 exec_lo, exec_lo, vcc_lo
	s_cbranch_execz .LBB95_298
; %bb.303:                              ;   in Loop: Header=BB95_301 Depth=2
	v_perm_b32 v8, v8, s71, 0x5040100
	ds_write_b32 v9, v8 offset:3072
	s_branch .LBB95_298
.LBB95_304:                             ;   in Loop: Header=BB95_301 Depth=2
	s_mov_b32 s85, -1
	s_mov_b32 s84, -1
                                        ; implicit-def: $vgpr3
                                        ; implicit-def: $vgpr2
	s_branch .LBB95_300
.LBB95_305:                             ;   in Loop: Header=BB95_6 Depth=1
	s_inst_prefetch 0x2
	s_or_b32 exec_lo, exec_lo, s29
	v_lshrrev_b32_e32 v38, 16, v8
	s_and_b32 s29, s83, exec_lo
.LBB95_306:                             ;   in Loop: Header=BB95_6 Depth=1
	s_or_b32 exec_lo, exec_lo, s33
.LBB95_307:                             ;   in Loop: Header=BB95_6 Depth=1
	s_and_b32 vcc_lo, exec_lo, s31
	s_cbranch_vccz .LBB95_319
; %bb.308:                              ;   in Loop: Header=BB95_6 Depth=1
                                        ; implicit-def: $vgpr38
	s_and_saveexec_b32 s22, s13
	s_cbranch_execz .LBB95_318
; %bb.309:                              ;   in Loop: Header=BB95_6 Depth=1
	v_mov_b32_e32 v8, v7
	v_mov_b32_e32 v2, v0
	s_mov_b32 s26, 0
                                        ; implicit-def: $sgpr30
	s_branch .LBB95_313
.LBB95_310:                             ;   in Loop: Header=BB95_313 Depth=2
	s_or_b32 exec_lo, exec_lo, s31
	s_waitcnt lgkmcnt(0)
	s_barrier
	buffer_gl0_inv
	ds_read_b32 v3, v9 offset:3072
	s_waitcnt lgkmcnt(0)
	s_barrier
	buffer_gl0_inv
	v_cmp_eq_f16_e32 vcc_lo, 0, v3
	s_cbranch_vccz .LBB95_316
; %bb.311:                              ;   in Loop: Header=BB95_313 Depth=2
	v_add_nc_u32_e32 v2, s48, v2
	v_add_nc_u32_e32 v8, s49, v8
	s_mov_b32 s31, 0
	v_cmp_le_u32_e32 vcc_lo, s66, v2
	s_orn2_b32 s33, vcc_lo, exec_lo
.LBB95_312:                             ;   in Loop: Header=BB95_313 Depth=2
	s_and_b32 s33, exec_lo, s33
	s_or_b32 s26, s33, s26
	s_andn2_b32 s30, s30, exec_lo
	s_and_b32 s31, s31, exec_lo
	s_or_b32 s30, s30, s31
	s_andn2_b32 exec_lo, exec_lo, s26
	s_cbranch_execz .LBB95_317
.LBB95_313:                             ;   Parent Loop BB95_6 Depth=1
                                        ; =>  This Inner Loop Header: Depth=2
	s_mov_b32 s31, exec_lo
	v_cmpx_gt_u32_e64 s36, v2
	s_cbranch_execz .LBB95_310
; %bb.314:                              ;   in Loop: Header=BB95_313 Depth=2
	v_lshlrev_b64 v[13:14], 1, v[8:9]
	v_add_co_u32 v13, vcc_lo, s46, v13
	v_add_co_ci_u32_e64 v14, null, s47, v14, vcc_lo
	global_load_ushort v3, v[13:14], off
	s_waitcnt vmcnt(0)
	v_cmp_lt_i16_e32 vcc_lo, -1, v3
	v_cndmask_b32_e32 v13, 0xffff, v35, vcc_lo
	v_cmp_o_f16_e32 vcc_lo, v3, v3
	v_xor_b32_sdwa v13, v13, v3 dst_sel:DWORD dst_unused:UNUSED_PAD src0_sel:DWORD src1_sel:WORD_0
	v_cndmask_b32_e32 v13, 0xffff, v13, vcc_lo
	v_and_b32_e32 v13, v13, v37
	v_cmp_eq_u32_e32 vcc_lo, v13, v27
	s_and_b32 exec_lo, exec_lo, vcc_lo
	s_cbranch_execz .LBB95_310
; %bb.315:                              ;   in Loop: Header=BB95_313 Depth=2
	v_perm_b32 v3, v3, s71, 0x5040100
	ds_write_b32 v9, v3 offset:3072
	s_branch .LBB95_310
.LBB95_316:                             ;   in Loop: Header=BB95_313 Depth=2
	s_mov_b32 s33, -1
	s_mov_b32 s31, -1
                                        ; implicit-def: $vgpr2
	s_branch .LBB95_312
.LBB95_317:                             ;   in Loop: Header=BB95_6 Depth=1
	s_or_b32 exec_lo, exec_lo, s26
	v_lshrrev_b32_e32 v38, 16, v3
	s_andn2_b32 s26, s29, exec_lo
	s_and_b32 s29, s30, exec_lo
	s_or_b32 s29, s26, s29
.LBB95_318:                             ;   in Loop: Header=BB95_6 Depth=1
	s_or_b32 exec_lo, exec_lo, s22
	s_mov_b32 s22, 0
	s_mov_b32 s26, -1
.LBB95_319:                             ;   in Loop: Header=BB95_6 Depth=1
	s_orn2_b32 s29, s29, exec_lo
.LBB95_320:                             ;   in Loop: Header=BB95_6 Depth=1
	s_or_b32 exec_lo, exec_lo, s27
	s_mov_b32 s30, 0
	s_and_saveexec_b32 s27, s29
	s_cbranch_execz .LBB95_413
; %bb.321:                              ;   in Loop: Header=BB95_6 Depth=1
	v_mov_b32_e32 v2, 1
	v_mov_b32_e32 v1, 1
	s_xor_b32 s29, s28, -1
	s_mov_b32 s31, 0
	s_and_saveexec_b32 s28, s29
	s_cbranch_execz .LBB95_330
; %bb.322:                              ;   in Loop: Header=BB95_6 Depth=1
	s_mov_b32 s29, exec_lo
	v_cmpx_ge_u32_e64 s21, v4
	s_xor_b32 s29, exec_lo, s29
	s_cbranch_execz .LBB95_327
; %bb.323:                              ;   in Loop: Header=BB95_6 Depth=1
	ds_read_b32 v1, v9 offset:4096
	s_lshl_b32 s30, 2, s76
	v_or_b32_e32 v37, s18, v37
	v_and_or_b32 v27, v27, s19, s30
	s_waitcnt lgkmcnt(0)
	v_cmp_ne_u32_e32 vcc_lo, 0, v1
	s_cbranch_vccnz .LBB95_327
; %bb.324:                              ;   in Loop: Header=BB95_6 Depth=1
	s_and_saveexec_b32 s30, s3
; %bb.325:                              ;   in Loop: Header=BB95_6 Depth=1
	v_mov_b32_e32 v1, s21
	ds_write_b32 v9, v1 offset:4100
; %bb.326:                              ;   in Loop: Header=BB95_6 Depth=1
	s_or_b32 exec_lo, exec_lo, s30
	s_waitcnt lgkmcnt(0)
	s_barrier
	buffer_gl0_inv
.LBB95_327:                             ;   in Loop: Header=BB95_6 Depth=1
	s_or_saveexec_b32 s29, s29
	v_mov_b32_e32 v1, 5
	s_mov_b32 s30, 0
	s_xor_b32 exec_lo, exec_lo, s29
; %bb.328:                              ;   in Loop: Header=BB95_6 Depth=1
	v_subrev_nc_u32_e32 v4, s21, v4
	v_mov_b32_e32 v1, 0
	s_mov_b32 s30, exec_lo
; %bb.329:                              ;   in Loop: Header=BB95_6 Depth=1
	s_or_b32 exec_lo, exec_lo, s29
	v_mov_b32_e32 v2, v4
	s_and_b32 s31, s30, exec_lo
.LBB95_330:                             ;   in Loop: Header=BB95_6 Depth=1
	s_or_b32 exec_lo, exec_lo, s28
	s_mov_b32 s30, -1
                                        ; implicit-def: $sgpr28
                                        ; implicit-def: $sgpr29
	s_and_saveexec_b32 s21, s31
	s_cbranch_execz .LBB95_412
; %bb.331:                              ;   in Loop: Header=BB95_6 Depth=1
	v_cmp_eq_u32_e32 vcc_lo, 1, v2
	s_cmp_eq_u32 s20, 1
	s_mov_b32 s33, -1
	s_cselect_b32 s28, -1, 0
                                        ; implicit-def: $sgpr29
	s_and_b32 s31, s28, vcc_lo
                                        ; implicit-def: $sgpr28
	s_and_saveexec_b32 s30, s31
	s_cbranch_execz .LBB95_359
; %bb.332:                              ;   in Loop: Header=BB95_6 Depth=1
	ds_read_b32 v3, v9 offset:4096
	s_waitcnt lgkmcnt(0)
	s_barrier
	buffer_gl0_inv
	v_readfirstlane_b32 s34, v3
	s_and_saveexec_b32 s28, s15
; %bb.333:                              ;   in Loop: Header=BB95_6 Depth=1
	ds_write_b16 v21, v9
; %bb.334:                              ;   in Loop: Header=BB95_6 Depth=1
	s_or_b32 exec_lo, exec_lo, s28
	s_lshl_b32 s28, 1, s76
	v_or_b32_e32 v37, s18, v37
	v_and_or_b32 v27, v27, s19, s28
	s_mov_b32 s28, -1
	s_mov_b32 s29, 0
	s_cmp_eq_u32 s34, 0
	s_mov_b32 s33, 0
	s_mov_b32 s83, -1
	s_waitcnt lgkmcnt(0)
	s_barrier
	buffer_gl0_inv
                                        ; implicit-def: $vgpr38
	s_cbranch_scc1 .LBB95_346
; %bb.335:                              ;   in Loop: Header=BB95_6 Depth=1
	s_add_i32 s33, s34, s59
                                        ; implicit-def: $vgpr38
	s_mul_hi_u32 s83, s33, s65
	s_mul_i32 s83, s83, s48
	s_sub_i32 s83, s33, s83
	s_sub_i32 s84, s83, s48
	s_cmp_ge_u32 s83, s48
	s_cselect_b32 s83, s84, s83
	s_sub_i32 s84, s83, s48
	s_cmp_ge_u32 s83, s48
	s_cselect_b32 s83, s84, s83
	s_mov_b32 s84, exec_lo
	s_sub_i32 s85, s33, s83
	s_mov_b32 s83, 0
	s_mov_b32 s33, 0
	v_cmpx_gt_u32_e64 s85, v0
	s_cbranch_execz .LBB95_345
; %bb.336:                              ;   in Loop: Header=BB95_6 Depth=1
	v_mov_b32_e32 v3, v20
	v_mov_b32_e32 v4, v0
                                        ; implicit-def: $sgpr86
	s_inst_prefetch 0x1
	s_branch .LBB95_340
	.p2align	6
.LBB95_337:                             ;   in Loop: Header=BB95_340 Depth=2
	s_or_b32 exec_lo, exec_lo, s87
	s_waitcnt lgkmcnt(0)
	s_barrier
	buffer_gl0_inv
	ds_read_b32 v8, v9 offset:3072
	s_waitcnt lgkmcnt(0)
	s_barrier
	buffer_gl0_inv
	v_cmp_neq_f16_e32 vcc_lo, 0, v8
	s_cbranch_vccnz .LBB95_343
; %bb.338:                              ;   in Loop: Header=BB95_340 Depth=2
	v_add_nc_u32_e32 v4, s48, v4
	v_add_nc_u32_e32 v3, s69, v3
	s_mov_b32 s87, 0
	v_cmp_le_u32_e32 vcc_lo, s85, v4
	s_orn2_b32 s88, vcc_lo, exec_lo
.LBB95_339:                             ;   in Loop: Header=BB95_340 Depth=2
	s_and_b32 s88, exec_lo, s88
	s_or_b32 s33, s88, s33
	s_andn2_b32 s86, s86, exec_lo
	s_and_b32 s87, s87, exec_lo
	s_or_b32 s86, s86, s87
	s_andn2_b32 exec_lo, exec_lo, s33
	s_cbranch_execz .LBB95_344
.LBB95_340:                             ;   Parent Loop BB95_6 Depth=1
                                        ; =>  This Inner Loop Header: Depth=2
	s_mov_b32 s87, exec_lo
	v_cmpx_gt_u32_e64 s34, v4
	s_cbranch_execz .LBB95_337
; %bb.341:                              ;   in Loop: Header=BB95_340 Depth=2
	ds_read_u16 v8, v3
	s_waitcnt lgkmcnt(0)
	v_cmp_lt_i16_e32 vcc_lo, -1, v8
	v_cndmask_b32_e32 v13, 0xffff, v35, vcc_lo
	v_cmp_o_f16_e32 vcc_lo, v8, v8
	v_xor_b32_sdwa v13, v13, v8 dst_sel:DWORD dst_unused:UNUSED_PAD src0_sel:DWORD src1_sel:WORD_0
	v_cndmask_b32_e32 v13, 0xffff, v13, vcc_lo
	v_and_b32_e32 v13, v13, v37
	v_cmp_eq_u32_e32 vcc_lo, v13, v27
	s_and_b32 exec_lo, exec_lo, vcc_lo
	s_cbranch_execz .LBB95_337
; %bb.342:                              ;   in Loop: Header=BB95_340 Depth=2
	v_perm_b32 v8, v8, s71, 0x5040100
	ds_write_b32 v9, v8 offset:3072
	s_branch .LBB95_337
.LBB95_343:                             ;   in Loop: Header=BB95_340 Depth=2
	s_mov_b32 s88, -1
	s_mov_b32 s87, -1
                                        ; implicit-def: $vgpr4
                                        ; implicit-def: $vgpr3
	s_branch .LBB95_339
.LBB95_344:                             ;   in Loop: Header=BB95_6 Depth=1
	s_inst_prefetch 0x2
	s_or_b32 exec_lo, exec_lo, s33
	v_lshrrev_b32_e32 v38, 16, v8
	s_and_b32 s33, s86, exec_lo
.LBB95_345:                             ;   in Loop: Header=BB95_6 Depth=1
	s_or_b32 exec_lo, exec_lo, s84
.LBB95_346:                             ;   in Loop: Header=BB95_6 Depth=1
	s_and_b32 vcc_lo, exec_lo, s83
	s_cbranch_vccz .LBB95_358
; %bb.347:                              ;   in Loop: Header=BB95_6 Depth=1
                                        ; implicit-def: $vgpr38
	s_and_saveexec_b32 s28, s13
	s_cbranch_execz .LBB95_357
; %bb.348:                              ;   in Loop: Header=BB95_6 Depth=1
	v_mov_b32_e32 v8, v7
	v_mov_b32_e32 v3, v0
	s_mov_b32 s29, 0
                                        ; implicit-def: $sgpr34
	s_branch .LBB95_352
.LBB95_349:                             ;   in Loop: Header=BB95_352 Depth=2
	s_or_b32 exec_lo, exec_lo, s83
	s_waitcnt lgkmcnt(0)
	s_barrier
	buffer_gl0_inv
	ds_read_b32 v4, v9 offset:3072
	s_waitcnt lgkmcnt(0)
	s_barrier
	buffer_gl0_inv
	v_cmp_eq_f16_e32 vcc_lo, 0, v4
	s_cbranch_vccz .LBB95_355
; %bb.350:                              ;   in Loop: Header=BB95_352 Depth=2
	v_add_nc_u32_e32 v3, s48, v3
	v_add_nc_u32_e32 v8, s49, v8
	s_mov_b32 s83, 0
	v_cmp_le_u32_e32 vcc_lo, s66, v3
	s_orn2_b32 s84, vcc_lo, exec_lo
.LBB95_351:                             ;   in Loop: Header=BB95_352 Depth=2
	s_and_b32 s84, exec_lo, s84
	s_or_b32 s29, s84, s29
	s_andn2_b32 s34, s34, exec_lo
	s_and_b32 s83, s83, exec_lo
	s_or_b32 s34, s34, s83
	s_andn2_b32 exec_lo, exec_lo, s29
	s_cbranch_execz .LBB95_356
.LBB95_352:                             ;   Parent Loop BB95_6 Depth=1
                                        ; =>  This Inner Loop Header: Depth=2
	s_mov_b32 s83, exec_lo
	v_cmpx_gt_u32_e64 s36, v3
	s_cbranch_execz .LBB95_349
; %bb.353:                              ;   in Loop: Header=BB95_352 Depth=2
	v_lshlrev_b64 v[13:14], 1, v[8:9]
	v_add_co_u32 v13, vcc_lo, s46, v13
	v_add_co_ci_u32_e64 v14, null, s47, v14, vcc_lo
	global_load_ushort v4, v[13:14], off
	s_waitcnt vmcnt(0)
	v_cmp_lt_i16_e32 vcc_lo, -1, v4
	v_cndmask_b32_e32 v13, 0xffff, v35, vcc_lo
	v_cmp_o_f16_e32 vcc_lo, v4, v4
	v_xor_b32_sdwa v13, v13, v4 dst_sel:DWORD dst_unused:UNUSED_PAD src0_sel:DWORD src1_sel:WORD_0
	v_cndmask_b32_e32 v13, 0xffff, v13, vcc_lo
	v_and_b32_e32 v13, v13, v37
	v_cmp_eq_u32_e32 vcc_lo, v13, v27
	s_and_b32 exec_lo, exec_lo, vcc_lo
	s_cbranch_execz .LBB95_349
; %bb.354:                              ;   in Loop: Header=BB95_352 Depth=2
	v_perm_b32 v4, v4, s71, 0x5040100
	ds_write_b32 v9, v4 offset:3072
	s_branch .LBB95_349
.LBB95_355:                             ;   in Loop: Header=BB95_352 Depth=2
	s_mov_b32 s84, -1
	s_mov_b32 s83, -1
                                        ; implicit-def: $vgpr3
	s_branch .LBB95_351
.LBB95_356:                             ;   in Loop: Header=BB95_6 Depth=1
	s_or_b32 exec_lo, exec_lo, s29
	v_lshrrev_b32_e32 v38, 16, v4
	s_andn2_b32 s29, s33, exec_lo
	s_and_b32 s33, s34, exec_lo
	s_or_b32 s33, s29, s33
.LBB95_357:                             ;   in Loop: Header=BB95_6 Depth=1
	s_or_b32 exec_lo, exec_lo, s28
	s_mov_b32 s28, 0
	s_mov_b32 s29, -1
.LBB95_358:                             ;   in Loop: Header=BB95_6 Depth=1
	s_orn2_b32 s33, s33, exec_lo
.LBB95_359:                             ;   in Loop: Header=BB95_6 Depth=1
	s_or_b32 exec_lo, exec_lo, s30
	s_mov_b32 s34, 0
	s_and_saveexec_b32 s30, s33
	s_cbranch_execz .LBB95_411
; %bb.360:                              ;   in Loop: Header=BB95_6 Depth=1
	v_mov_b32_e32 v3, 1
	v_mov_b32_e32 v1, 1
	s_xor_b32 s33, s31, -1
	s_mov_b32 s83, 0
	s_and_saveexec_b32 s31, s33
	s_cbranch_execz .LBB95_369
; %bb.361:                              ;   in Loop: Header=BB95_6 Depth=1
	s_mov_b32 s33, exec_lo
	v_cmpx_ge_u32_e64 s20, v2
	s_xor_b32 s33, exec_lo, s33
	s_cbranch_execz .LBB95_366
; %bb.362:                              ;   in Loop: Header=BB95_6 Depth=1
	ds_read_b32 v1, v9 offset:4096
	s_lshl_b32 s34, 1, s76
	v_or_b32_e32 v37, s18, v37
	v_and_or_b32 v27, v27, s19, s34
	s_waitcnt lgkmcnt(0)
	v_cmp_ne_u32_e32 vcc_lo, 0, v1
	s_cbranch_vccnz .LBB95_366
; %bb.363:                              ;   in Loop: Header=BB95_6 Depth=1
	s_and_saveexec_b32 s34, s3
; %bb.364:                              ;   in Loop: Header=BB95_6 Depth=1
	v_mov_b32_e32 v1, s20
	ds_write_b32 v9, v1 offset:4100
; %bb.365:                              ;   in Loop: Header=BB95_6 Depth=1
	s_or_b32 exec_lo, exec_lo, s34
	s_waitcnt lgkmcnt(0)
	s_barrier
	buffer_gl0_inv
.LBB95_366:                             ;   in Loop: Header=BB95_6 Depth=1
	s_or_saveexec_b32 s33, s33
	v_mov_b32_e32 v1, 5
	s_mov_b32 s34, 0
	s_xor_b32 exec_lo, exec_lo, s33
; %bb.367:                              ;   in Loop: Header=BB95_6 Depth=1
	v_subrev_nc_u32_e32 v2, s20, v2
	v_mov_b32_e32 v1, 0
	s_mov_b32 s34, exec_lo
; %bb.368:                              ;   in Loop: Header=BB95_6 Depth=1
	s_or_b32 exec_lo, exec_lo, s33
	v_mov_b32_e32 v3, v2
	s_and_b32 s83, s34, exec_lo
.LBB95_369:                             ;   in Loop: Header=BB95_6 Depth=1
	s_or_b32 exec_lo, exec_lo, s31
	s_mov_b32 s31, -1
                                        ; implicit-def: $sgpr34
                                        ; implicit-def: $sgpr33
	s_and_saveexec_b32 s20, s83
	s_cbranch_execz .LBB95_410
; %bb.370:                              ;   in Loop: Header=BB95_6 Depth=1
	v_cmp_eq_u32_e32 vcc_lo, 1, v3
	s_cmp_eq_u32 s17, 1
	s_mov_b32 s84, -1
	s_cselect_b32 s31, -1, 0
                                        ; implicit-def: $sgpr34
                                        ; implicit-def: $sgpr33
	s_and_b32 s31, s31, vcc_lo
	s_and_saveexec_b32 s83, s31
	s_cbranch_execz .LBB95_398
; %bb.371:                              ;   in Loop: Header=BB95_6 Depth=1
	ds_read_b32 v2, v9 offset:4096
	s_waitcnt lgkmcnt(0)
	s_barrier
	buffer_gl0_inv
	v_readfirstlane_b32 s85, v2
	s_and_saveexec_b32 s33, s15
; %bb.372:                              ;   in Loop: Header=BB95_6 Depth=1
	ds_write_b16 v21, v9
; %bb.373:                              ;   in Loop: Header=BB95_6 Depth=1
	s_or_b32 exec_lo, exec_lo, s33
	v_and_b32_e32 v27, s19, v27
	v_or_b32_e32 v37, s18, v37
	s_mov_b32 s33, -1
	s_mov_b32 s34, 0
	s_cmp_eq_u32 s85, 0
	s_mov_b32 s84, 0
	s_mov_b32 s86, -1
	s_waitcnt lgkmcnt(0)
	s_barrier
	buffer_gl0_inv
                                        ; implicit-def: $vgpr38
	s_cbranch_scc1 .LBB95_385
; %bb.374:                              ;   in Loop: Header=BB95_6 Depth=1
	s_add_i32 s84, s85, s59
                                        ; implicit-def: $vgpr38
	s_mul_hi_u32 s86, s84, s65
	s_mul_i32 s86, s86, s48
	s_sub_i32 s86, s84, s86
	s_sub_i32 s87, s86, s48
	s_cmp_ge_u32 s86, s48
	s_cselect_b32 s86, s87, s86
	s_sub_i32 s87, s86, s48
	s_cmp_ge_u32 s86, s48
	s_cselect_b32 s86, s87, s86
	s_mov_b32 s87, exec_lo
	s_sub_i32 s88, s84, s86
	s_mov_b32 s86, 0
	s_mov_b32 s84, 0
	v_cmpx_gt_u32_e64 s88, v0
	s_cbranch_execz .LBB95_384
; %bb.375:                              ;   in Loop: Header=BB95_6 Depth=1
	v_mov_b32_e32 v2, v20
	v_mov_b32_e32 v4, v0
                                        ; implicit-def: $sgpr89
	s_inst_prefetch 0x1
	s_branch .LBB95_379
	.p2align	6
.LBB95_376:                             ;   in Loop: Header=BB95_379 Depth=2
	s_or_b32 exec_lo, exec_lo, s90
	s_waitcnt lgkmcnt(0)
	s_barrier
	buffer_gl0_inv
	ds_read_b32 v8, v9 offset:3072
	s_waitcnt lgkmcnt(0)
	s_barrier
	buffer_gl0_inv
	v_cmp_neq_f16_e32 vcc_lo, 0, v8
	s_cbranch_vccnz .LBB95_382
; %bb.377:                              ;   in Loop: Header=BB95_379 Depth=2
	v_add_nc_u32_e32 v4, s48, v4
	v_add_nc_u32_e32 v2, s69, v2
	s_mov_b32 s90, 0
	v_cmp_le_u32_e32 vcc_lo, s88, v4
	s_orn2_b32 s91, vcc_lo, exec_lo
.LBB95_378:                             ;   in Loop: Header=BB95_379 Depth=2
	s_and_b32 s91, exec_lo, s91
	s_or_b32 s84, s91, s84
	s_andn2_b32 s89, s89, exec_lo
	s_and_b32 s90, s90, exec_lo
	s_or_b32 s89, s89, s90
	s_andn2_b32 exec_lo, exec_lo, s84
	s_cbranch_execz .LBB95_383
.LBB95_379:                             ;   Parent Loop BB95_6 Depth=1
                                        ; =>  This Inner Loop Header: Depth=2
	s_mov_b32 s90, exec_lo
	v_cmpx_gt_u32_e64 s85, v4
	s_cbranch_execz .LBB95_376
; %bb.380:                              ;   in Loop: Header=BB95_379 Depth=2
	ds_read_u16 v8, v2
	s_waitcnt lgkmcnt(0)
	v_cmp_lt_i16_e32 vcc_lo, -1, v8
	v_cndmask_b32_e32 v13, 0xffff, v35, vcc_lo
	v_cmp_o_f16_e32 vcc_lo, v8, v8
	v_xor_b32_sdwa v13, v13, v8 dst_sel:DWORD dst_unused:UNUSED_PAD src0_sel:DWORD src1_sel:WORD_0
	v_cndmask_b32_e32 v13, 0xffff, v13, vcc_lo
	v_and_b32_e32 v13, v13, v37
	v_cmp_eq_u32_e32 vcc_lo, v13, v27
	s_and_b32 exec_lo, exec_lo, vcc_lo
	s_cbranch_execz .LBB95_376
; %bb.381:                              ;   in Loop: Header=BB95_379 Depth=2
	v_perm_b32 v8, v8, s71, 0x5040100
	ds_write_b32 v9, v8 offset:3072
	s_branch .LBB95_376
.LBB95_382:                             ;   in Loop: Header=BB95_379 Depth=2
	s_mov_b32 s91, -1
	s_mov_b32 s90, -1
                                        ; implicit-def: $vgpr4
                                        ; implicit-def: $vgpr2
	s_branch .LBB95_378
.LBB95_383:                             ;   in Loop: Header=BB95_6 Depth=1
	s_inst_prefetch 0x2
	s_or_b32 exec_lo, exec_lo, s84
	v_lshrrev_b32_e32 v38, 16, v8
	s_and_b32 s84, s89, exec_lo
.LBB95_384:                             ;   in Loop: Header=BB95_6 Depth=1
	s_or_b32 exec_lo, exec_lo, s87
.LBB95_385:                             ;   in Loop: Header=BB95_6 Depth=1
	s_and_b32 vcc_lo, exec_lo, s86
	s_cbranch_vccz .LBB95_397
; %bb.386:                              ;   in Loop: Header=BB95_6 Depth=1
                                        ; implicit-def: $vgpr38
	s_and_saveexec_b32 s33, s13
	s_cbranch_execz .LBB95_396
; %bb.387:                              ;   in Loop: Header=BB95_6 Depth=1
	v_mov_b32_e32 v8, v7
	v_mov_b32_e32 v2, v0
	s_mov_b32 s34, 0
                                        ; implicit-def: $sgpr85
	s_branch .LBB95_391
.LBB95_388:                             ;   in Loop: Header=BB95_391 Depth=2
	s_or_b32 exec_lo, exec_lo, s86
	s_waitcnt lgkmcnt(0)
	s_barrier
	buffer_gl0_inv
	ds_read_b32 v4, v9 offset:3072
	s_waitcnt lgkmcnt(0)
	s_barrier
	buffer_gl0_inv
	v_cmp_eq_f16_e32 vcc_lo, 0, v4
	s_cbranch_vccz .LBB95_394
; %bb.389:                              ;   in Loop: Header=BB95_391 Depth=2
	v_add_nc_u32_e32 v2, s48, v2
	v_add_nc_u32_e32 v8, s49, v8
	s_mov_b32 s86, 0
	v_cmp_le_u32_e32 vcc_lo, s66, v2
	s_orn2_b32 s87, vcc_lo, exec_lo
.LBB95_390:                             ;   in Loop: Header=BB95_391 Depth=2
	s_and_b32 s87, exec_lo, s87
	s_or_b32 s34, s87, s34
	s_andn2_b32 s85, s85, exec_lo
	s_and_b32 s86, s86, exec_lo
	s_or_b32 s85, s85, s86
	s_andn2_b32 exec_lo, exec_lo, s34
	s_cbranch_execz .LBB95_395
.LBB95_391:                             ;   Parent Loop BB95_6 Depth=1
                                        ; =>  This Inner Loop Header: Depth=2
	s_mov_b32 s86, exec_lo
	v_cmpx_gt_u32_e64 s36, v2
	s_cbranch_execz .LBB95_388
; %bb.392:                              ;   in Loop: Header=BB95_391 Depth=2
	v_lshlrev_b64 v[13:14], 1, v[8:9]
	v_add_co_u32 v13, vcc_lo, s46, v13
	v_add_co_ci_u32_e64 v14, null, s47, v14, vcc_lo
	global_load_ushort v4, v[13:14], off
	s_waitcnt vmcnt(0)
	v_cmp_lt_i16_e32 vcc_lo, -1, v4
	v_cndmask_b32_e32 v13, 0xffff, v35, vcc_lo
	v_cmp_o_f16_e32 vcc_lo, v4, v4
	v_xor_b32_sdwa v13, v13, v4 dst_sel:DWORD dst_unused:UNUSED_PAD src0_sel:DWORD src1_sel:WORD_0
	v_cndmask_b32_e32 v13, 0xffff, v13, vcc_lo
	v_and_b32_e32 v13, v13, v37
	v_cmp_eq_u32_e32 vcc_lo, v13, v27
	s_and_b32 exec_lo, exec_lo, vcc_lo
	s_cbranch_execz .LBB95_388
; %bb.393:                              ;   in Loop: Header=BB95_391 Depth=2
	v_perm_b32 v4, v4, s71, 0x5040100
	ds_write_b32 v9, v4 offset:3072
	s_branch .LBB95_388
.LBB95_394:                             ;   in Loop: Header=BB95_391 Depth=2
	s_mov_b32 s87, -1
	s_mov_b32 s86, -1
                                        ; implicit-def: $vgpr2
	s_branch .LBB95_390
.LBB95_395:                             ;   in Loop: Header=BB95_6 Depth=1
	s_or_b32 exec_lo, exec_lo, s34
	v_lshrrev_b32_e32 v38, 16, v4
	s_andn2_b32 s34, s84, exec_lo
	s_and_b32 s84, s85, exec_lo
	s_or_b32 s84, s34, s84
.LBB95_396:                             ;   in Loop: Header=BB95_6 Depth=1
	s_or_b32 exec_lo, exec_lo, s33
	s_mov_b32 s33, 0
	s_mov_b32 s34, -1
.LBB95_397:                             ;   in Loop: Header=BB95_6 Depth=1
	s_orn2_b32 s84, s84, exec_lo
.LBB95_398:                             ;   in Loop: Header=BB95_6 Depth=1
	s_or_b32 exec_lo, exec_lo, s83
	s_mov_b32 s85, 0
	s_and_saveexec_b32 s83, s84
	s_cbranch_execz .LBB95_409
; %bb.399:                              ;   in Loop: Header=BB95_6 Depth=1
	v_mov_b32_e32 v1, 1
	v_mov_b32_e32 v2, 1
	s_xor_b32 s84, s31, -1
	s_and_saveexec_b32 s31, s84
	s_cbranch_execz .LBB95_408
; %bb.400:                              ;   in Loop: Header=BB95_6 Depth=1
	s_mov_b32 s84, exec_lo
	v_cmpx_ge_u32_e64 s17, v3
	s_xor_b32 s84, exec_lo, s84
	s_cbranch_execz .LBB95_405
; %bb.401:                              ;   in Loop: Header=BB95_6 Depth=1
	ds_read_b32 v1, v9 offset:4096
	v_and_b32_e32 v27, s19, v27
	v_or_b32_e32 v37, s18, v37
	s_waitcnt lgkmcnt(0)
	v_cmp_ne_u32_e32 vcc_lo, 0, v1
	s_cbranch_vccnz .LBB95_405
; %bb.402:                              ;   in Loop: Header=BB95_6 Depth=1
	s_and_saveexec_b32 s18, s3
; %bb.403:                              ;   in Loop: Header=BB95_6 Depth=1
	v_mov_b32_e32 v1, s17
	ds_write_b32 v9, v1 offset:4100
; %bb.404:                              ;   in Loop: Header=BB95_6 Depth=1
	s_or_b32 exec_lo, exec_lo, s18
	s_waitcnt lgkmcnt(0)
	s_barrier
	buffer_gl0_inv
.LBB95_405:                             ;   in Loop: Header=BB95_6 Depth=1
	s_andn2_saveexec_b32 s18, s84
; %bb.406:                              ;   in Loop: Header=BB95_6 Depth=1
	v_subrev_nc_u32_e32 v3, s17, v3
; %bb.407:                              ;   in Loop: Header=BB95_6 Depth=1
	s_or_b32 exec_lo, exec_lo, s18
	v_mov_b32_e32 v1, 5
	v_mov_b32_e32 v2, v3
.LBB95_408:                             ;   in Loop: Header=BB95_6 Depth=1
	s_or_b32 exec_lo, exec_lo, s31
	v_mov_b32_e32 v3, v2
	s_mov_b32 s85, exec_lo
.LBB95_409:                             ;   in Loop: Header=BB95_6 Depth=1
	s_or_b32 exec_lo, exec_lo, s83
	s_orn2_b32 s31, s85, exec_lo
.LBB95_410:                             ;   in Loop: Header=BB95_6 Depth=1
	s_or_b32 exec_lo, exec_lo, s20
	s_andn2_b32 s17, s29, exec_lo
	s_and_b32 s18, s34, exec_lo
	s_andn2_b32 s19, s28, exec_lo
	s_and_b32 s20, s33, exec_lo
	v_mov_b32_e32 v2, v3
	s_or_b32 s29, s17, s18
	s_or_b32 s28, s19, s20
	s_and_b32 s34, s31, exec_lo
.LBB95_411:                             ;   in Loop: Header=BB95_6 Depth=1
	s_or_b32 exec_lo, exec_lo, s30
	s_orn2_b32 s30, s34, exec_lo
.LBB95_412:                             ;   in Loop: Header=BB95_6 Depth=1
	s_or_b32 exec_lo, exec_lo, s21
	s_andn2_b32 s17, s26, exec_lo
	s_and_b32 s18, s29, exec_lo
	s_andn2_b32 s19, s22, exec_lo
	s_and_b32 s20, s28, exec_lo
	v_mov_b32_e32 v4, v2
	s_or_b32 s26, s17, s18
	s_or_b32 s22, s19, s20
	s_and_b32 s30, s30, exec_lo
.LBB95_413:                             ;   in Loop: Header=BB95_6 Depth=1
	s_or_b32 exec_lo, exec_lo, s27
	s_orn2_b32 s27, s30, exec_lo
.LBB95_414:                             ;   in Loop: Header=BB95_6 Depth=1
	s_or_b32 exec_lo, exec_lo, s6
	s_mov_b32 s6, s24
	s_mov_b32 s17, s23
	s_and_saveexec_b32 s18, s27
; %bb.415:                              ;   in Loop: Header=BB95_6 Depth=1
	v_cmp_ne_u32_e32 vcc_lo, 5, v1
	v_cmp_eq_u32_e64 s6, 5, v1
	s_andn2_b32 s17, s23, exec_lo
	s_andn2_b32 s19, s24, exec_lo
	s_and_b32 s20, vcc_lo, exec_lo
	s_and_b32 s6, s6, exec_lo
	s_or_b32 s17, s17, s20
	s_or_b32 s6, s19, s6
; %bb.416:                              ;   in Loop: Header=BB95_6 Depth=1
	s_or_b32 exec_lo, exec_lo, s18
	s_andn2_b32 s14, s14, exec_lo
	s_and_b32 s18, s26, exec_lo
	s_andn2_b32 s16, s16, exec_lo
	s_and_b32 s19, s22, exec_lo
	s_or_b32 s14, s14, s18
	s_or_b32 s16, s16, s19
	s_andn2_b32 s18, s23, exec_lo
	s_and_b32 s17, s17, exec_lo
	s_andn2_b32 s19, s24, exec_lo
	s_and_b32 s6, s6, exec_lo
	s_or_b32 s23, s18, s17
	s_or_b32 s24, s19, s6
.LBB95_417:                             ;   in Loop: Header=BB95_6 Depth=1
	s_or_b32 exec_lo, exec_lo, s25
	s_mov_b32 s25, 0
	s_mov_b32 s26, 0
	s_and_saveexec_b32 s6, s24
.LBB95_418:                             ;   in Loop: Header=BB95_6 Depth=1
	v_mov_b32_e32 v1, 0
	s_or_b32 s23, s23, exec_lo
.LBB95_419:                             ;   in Loop: Header=BB95_6 Depth=1
	s_or_b32 exec_lo, exec_lo, s6
	s_andn2_b32 s6, s80, exec_lo
	s_and_b32 s14, s14, exec_lo
	s_andn2_b32 s18, s78, exec_lo
	s_and_b32 s16, s16, exec_lo
	v_mov_b32_e32 v39, v4
	s_or_b32 s80, s6, s14
	s_or_b32 s78, s18, s16
	s_andn2_b32 s6, s82, exec_lo
	s_and_b32 s14, s26, exec_lo
	s_andn2_b32 s16, s81, exec_lo
	s_and_b32 s18, s25, exec_lo
	s_mov_b32 s17, -1
	s_andn2_b32 s79, s79, exec_lo
	s_or_b32 s82, s6, s14
	s_or_b32 s81, s16, s18
	s_and_saveexec_b32 s6, s23
	s_xor_b32 s6, exec_lo, s6
	s_cbranch_execz .LBB95_5
; %bb.420:                              ;   in Loop: Header=BB95_6 Depth=1
	s_mov_b32 s14, -1
	s_mov_b32 s16, -1
	s_mov_b32 s17, exec_lo
	v_cmpx_eq_u32_e32 0, v1
	s_cbranch_execz .LBB95_4
; %bb.421:                              ;   in Loop: Header=BB95_6 Depth=1
	s_xor_b32 s72, s72, 1
	s_add_i32 s18, s76, -2
	s_cmp_eq_u32 s76, 0
	s_mov_b32 s76, s18
	s_cselect_b32 s14, -1, 0
	s_xor_b32 s16, exec_lo, -1
	s_orn2_b32 s14, s14, exec_lo
	s_branch .LBB95_4
.LBB95_422:
	s_or_b32 exec_lo, exec_lo, s35
	s_xor_b32 s9, s77, -1
	s_xor_b32 s12, s74, -1
	;; [unrolled: 1-line block ×5, first 2 shown]
	s_mov_b32 s7, 0
	s_and_saveexec_b32 s8, s6
	s_xor_b32 s6, exec_lo, s8
	s_cbranch_execnz .LBB95_427
; %bb.423:
	s_andn2_saveexec_b32 s0, s6
	s_cbranch_execnz .LBB95_446
.LBB95_424:
	s_or_b32 exec_lo, exec_lo, s0
	s_and_saveexec_b32 s0, s7
.LBB95_425:
	; divergent unreachable
.LBB95_426:
	s_endpgm
.LBB95_427:
	s_mov_b32 s8, 0
	s_and_saveexec_b32 s7, s11
	s_xor_b32 s7, exec_lo, s7
	s_cbranch_execz .LBB95_444
; %bb.428:
	s_mov_b32 s11, 0
	s_and_saveexec_b32 s8, s12
	s_xor_b32 s8, exec_lo, s8
	s_cbranch_execz .LBB95_442
; %bb.429:
	s_and_saveexec_b32 s12, s9
	s_xor_b32 s9, exec_lo, s12
	s_cbranch_execz .LBB95_440
; %bb.430:
	s_and_saveexec_b32 s11, s10
	s_xor_b32 s10, exec_lo, s11
; %bb.431:
	v_and_b32_e32 v1, 0x8000, v27
	v_mov_b32_e32 v2, 0xffff
	v_cmp_eq_u32_e32 vcc_lo, 0, v1
	v_cndmask_b32_e32 v1, 0x8000, v2, vcc_lo
	v_xor_b32_e32 v38, v1, v27
; %bb.432:
	s_or_b32 exec_lo, exec_lo, s10
	s_and_saveexec_b32 s10, s3
; %bb.433:
	v_mov_b32_e32 v1, 0
	ds_write_b32 v1, v1 offset:4108
; %bb.434:
	s_or_b32 exec_lo, exec_lo, s10
	v_mov_b32_e32 v9, 0
	s_waitcnt lgkmcnt(0)
	s_barrier
	buffer_gl0_inv
	s_and_saveexec_b32 s3, s1
	s_cbranch_execz .LBB95_436
; %bb.435:
	global_load_ushort v9, v[5:6], off
.LBB95_436:
	s_or_b32 exec_lo, exec_lo, s3
	v_mov_b32_e32 v8, 0x8000
	s_clause 0x1
	s_load_dword s10, s[4:5], 0x1c8
	s_load_dword s11, s[4:5], 0x2a8
	v_cmp_lt_i16_e32 vcc_lo, -1, v38
	s_mul_i32 s4, s52, s50
	s_mov_b32 s5, 0
	s_add_i32 s12, s36, 31
	s_lshl_b64 s[14:15], s[4:5], 1
	v_cndmask_b32_e32 v1, 0xffff, v8, vcc_lo
	v_cmp_o_f16_e32 vcc_lo, v38, v38
	s_mul_i32 s16, s51, s50
	s_andn2_b32 s12, s12, 31
	s_mov_b32 s17, s5
	v_xor_b32_sdwa v1, v1, v38 dst_sel:DWORD dst_unused:UNUSED_PAD src0_sel:DWORD src1_sel:WORD_0
	s_add_u32 s13, s44, s14
	s_addc_u32 s14, s45, s15
	s_lshl_b64 s[16:17], s[16:17], 3
	s_mov_b32 s18, -1
	v_cndmask_b32_e32 v7, 0xffff, v1, vcc_lo
	v_cmp_gt_u32_e32 vcc_lo, s12, v0
	s_add_u32 s15, s42, s16
	s_addc_u32 s16, s43, s17
	s_mov_b32 s3, 0
	s_and_saveexec_b32 s17, vcc_lo
	s_cbranch_execnz .LBB95_447
; %bb.437:
	s_or_b32 exec_lo, exec_lo, s17
	s_and_saveexec_b32 s2, s18
	s_cbranch_execnz .LBB95_464
.LBB95_438:
	s_or_b32 exec_lo, exec_lo, s2
	s_and_saveexec_b32 s0, s3
	s_xor_b32 s0, exec_lo, s0
	s_cbranch_execnz .LBB95_487
.LBB95_439:
	s_or_b32 exec_lo, exec_lo, s0
	s_waitcnt lgkmcnt(0)
	s_and_b32 s11, s5, exec_lo
.LBB95_440:
	s_andn2_saveexec_b32 s0, s9
	s_cbranch_execnz .LBB95_489
.LBB95_441:
	s_or_b32 exec_lo, exec_lo, s0
	s_and_b32 s11, s11, exec_lo
.LBB95_442:
	s_andn2_saveexec_b32 s0, s8
	s_cbranch_execnz .LBB95_488
.LBB95_443:
	s_or_b32 exec_lo, exec_lo, s0
	s_and_b32 s8, s11, exec_lo
.LBB95_444:
	s_andn2_saveexec_b32 s0, s7
	s_cbranch_execnz .LBB95_483
.LBB95_445:
	s_or_b32 exec_lo, exec_lo, s0
	s_and_b32 s7, s8, exec_lo
	s_andn2_saveexec_b32 s0, s6
	s_cbranch_execz .LBB95_424
.LBB95_446:
	s_or_b32 s7, s7, exec_lo
	s_trap 2
	s_or_b32 exec_lo, exec_lo, s0
	s_and_saveexec_b32 s0, s7
	s_cbranch_execnz .LBB95_425
	s_branch .LBB95_426
.LBB95_447:
	v_add_nc_u32_e32 v1, s48, v0
	v_mov_b32_e32 v2, 0
	v_mov_b32_e32 v3, v0
	s_mov_b32 s18, 0
                                        ; implicit-def: $sgpr19
                                        ; implicit-def: $vgpr11
	v_mul_lo_u32 v1, s40, v1
	s_branch .LBB95_449
.LBB95_448:                             ;   in Loop: Header=BB95_449 Depth=1
	s_or_b32 exec_lo, exec_lo, s21
	s_xor_b32 s3, s20, -1
	s_and_b32 s4, exec_lo, s4
	v_mov_b32_e32 v3, v10
	s_or_b32 s18, s4, s18
	s_waitcnt vmcnt(0)
	v_mov_b32_e32 v9, v12
	s_andn2_b32 s4, s19, exec_lo
	s_and_b32 s3, s3, exec_lo
	s_or_b32 s19, s4, s3
	s_andn2_b32 exec_lo, exec_lo, s18
	s_cbranch_execz .LBB95_463
.LBB95_449:                             ; =>This Inner Loop Header: Depth=1
	v_add_nc_u32_e32 v10, s48, v3
	v_mov_b32_e32 v12, 0
	s_mov_b32 s4, exec_lo
	v_cmpx_gt_u32_e64 s36, v10
	s_cbranch_execz .LBB95_451
; %bb.450:                              ;   in Loop: Header=BB95_449 Depth=1
	v_lshlrev_b64 v[12:13], 1, v[1:2]
	v_add_co_u32 v12, s3, s46, v12
	v_add_co_ci_u32_e64 v13, null, s47, v13, s3
	global_load_ushort v12, v[12:13], off
.LBB95_451:                             ;   in Loop: Header=BB95_449 Depth=1
	s_or_b32 exec_lo, exec_lo, s4
	s_mov_b32 s20, 0
	s_mov_b32 s4, exec_lo
	v_cmpx_gt_u32_e64 s36, v3
	s_cbranch_execz .LBB95_453
; %bb.452:                              ;   in Loop: Header=BB95_449 Depth=1
	s_waitcnt vmcnt(0)
	v_cmp_lt_i16_e64 s3, -1, v9
	v_cndmask_b32_e64 v4, 0xffff, v8, s3
	v_cmp_o_f16_e64 s3, v9, v9
	v_xor_b32_sdwa v4, v4, v9 dst_sel:DWORD dst_unused:UNUSED_PAD src0_sel:DWORD src1_sel:WORD_0
	v_cndmask_b32_e64 v4, 0xffff, v4, s3
	v_cmp_gt_u32_e64 s3, v4, v7
	v_cndmask_b32_e64 v13, 0, 1, s3
	v_cmp_lt_u32_e64 s3, v4, v7
	v_cndmask_b32_e64 v4, 0, 1, s3
	v_cndmask_b32_e64 v4, v4, v13, s2
	v_and_b32_e32 v4, 1, v4
	v_cmp_eq_u32_e64 s3, 1, v4
	s_and_b32 s20, s3, exec_lo
.LBB95_453:                             ;   in Loop: Header=BB95_449 Depth=1
	s_or_b32 exec_lo, exec_lo, s4
	v_cndmask_b32_e64 v4, 0, 1, s20
	v_cmp_ne_u32_e64 s3, 0, v4
	s_cmp_lg_u32 s3, 0
	s_cselect_b32 s4, -1, 0
	s_and_b32 s4, s0, s4
	s_and_saveexec_b32 s21, s4
	s_cbranch_execz .LBB95_457
; %bb.454:                              ;   in Loop: Header=BB95_449 Depth=1
	s_mov_b32 s24, exec_lo
	s_bcnt1_i32_b32 s22, s3
	v_mbcnt_lo_u32_b32 v4, s24, 0
	s_mov_b32 s23, exec_lo
                                        ; implicit-def: $vgpr11
	v_cmpx_eq_u32_e32 0, v4
	s_cbranch_execz .LBB95_456
; %bb.455:                              ;   in Loop: Header=BB95_449 Depth=1
	s_bcnt1_i32_b32 s4, s24
	s_mul_i32 s4, s22, s4
	s_waitcnt lgkmcnt(0)
	v_mov_b32_e32 v11, s4
	ds_add_rtn_u32 v11, v2, v11 offset:4108
.LBB95_456:                             ;   in Loop: Header=BB95_449 Depth=1
	s_or_b32 exec_lo, exec_lo, s23
	s_waitcnt lgkmcnt(0)
	v_readfirstlane_b32 s4, v11
	v_mad_u32_u24 v11, s22, v4, s4
.LBB95_457:                             ;   in Loop: Header=BB95_449 Depth=1
	s_or_b32 exec_lo, exec_lo, s21
	s_waitcnt lgkmcnt(0)
	ds_bpermute_b32 v11, v2, v11
	s_mov_b32 s4, -1
	s_mov_b32 s22, -1
	s_and_saveexec_b32 s21, s20
	s_cbranch_execz .LBB95_461
; %bb.458:                              ;   in Loop: Header=BB95_449 Depth=1
	v_and_b32_e32 v4, s3, v17
	s_mov_b32 s20, 0
	s_mov_b32 s22, exec_lo
	s_waitcnt lgkmcnt(0)
	v_bcnt_u32_b32 v4, v4, v11
	v_cmpx_gt_u32_e64 s37, v4
	s_cbranch_execz .LBB95_460
; %bb.459:                              ;   in Loop: Header=BB95_449 Depth=1
	v_mul_lo_u32 v13, v4, s10
	v_mul_lo_u32 v15, v4, s11
	v_mov_b32_e32 v14, v2
	v_mov_b32_e32 v16, v2
	;; [unrolled: 1-line block ×3, first 2 shown]
	s_mov_b32 s20, exec_lo
	v_lshlrev_b64 v[13:14], 1, v[13:14]
	v_lshlrev_b64 v[15:16], 3, v[15:16]
	v_add_co_u32 v13, s3, s13, v13
	v_add_co_ci_u32_e64 v14, null, s14, v14, s3
	v_add_co_u32 v15, s3, s15, v15
	v_add_co_ci_u32_e64 v16, null, s16, v16, s3
	s_waitcnt vmcnt(0)
	global_store_short v[13:14], v9, off
	global_store_dwordx2 v[15:16], v[3:4], off
.LBB95_460:                             ;   in Loop: Header=BB95_449 Depth=1
	s_or_b32 exec_lo, exec_lo, s22
	s_orn2_b32 s22, s20, exec_lo
.LBB95_461:                             ;   in Loop: Header=BB95_449 Depth=1
	s_or_b32 exec_lo, exec_lo, s21
	s_mov_b32 s20, -1
	s_and_saveexec_b32 s21, s22
	s_cbranch_execz .LBB95_448
; %bb.462:                              ;   in Loop: Header=BB95_449 Depth=1
	v_cmp_le_u32_e64 s3, s12, v10
	v_add_nc_u32_e32 v1, s49, v1
	s_xor_b32 s20, exec_lo, -1
	s_orn2_b32 s4, s3, exec_lo
	s_branch .LBB95_448
.LBB95_463:
	s_or_b32 exec_lo, exec_lo, s18
	s_mov_b32 s3, exec_lo
	s_orn2_b32 s18, s19, exec_lo
	s_or_b32 exec_lo, exec_lo, s17
	s_and_saveexec_b32 s2, s18
	s_cbranch_execz .LBB95_438
.LBB95_464:
	s_waitcnt vmcnt(0)
	v_mov_b32_e32 v9, 0
	s_waitcnt lgkmcnt(0)
	s_waitcnt_vscnt null, 0x0
	s_barrier
	buffer_gl0_inv
	s_and_saveexec_b32 s4, s1
	s_cbranch_execz .LBB95_466
; %bb.465:
	global_load_ushort v9, v[5:6], off
.LBB95_466:
	s_or_b32 exec_lo, exec_lo, s4
	s_mov_b32 s1, 0
	s_and_saveexec_b32 s4, vcc_lo
	s_cbranch_execz .LBB95_486
; %bb.467:
	v_add_nc_u32_e32 v1, s48, v0
	v_mov_b32_e32 v3, 0
	v_mov_b32_e32 v4, 0x8000
	s_mov_b32 s5, 0
                                        ; implicit-def: $sgpr17
                                        ; implicit-def: $vgpr6
	v_mul_lo_u32 v2, s40, v1
	s_branch .LBB95_470
.LBB95_468:                             ;   in Loop: Header=BB95_470 Depth=1
	s_or_b32 exec_lo, exec_lo, s19
	s_orn2_b32 s20, s21, exec_lo
	s_orn2_b32 s18, s18, exec_lo
.LBB95_469:                             ;   in Loop: Header=BB95_470 Depth=1
	s_or_b32 exec_lo, exec_lo, s1
	s_xor_b32 s1, s20, -1
	s_and_b32 s18, exec_lo, s18
	v_mov_b32_e32 v0, v5
	s_or_b32 s5, s18, s5
	v_mov_b32_e32 v9, v8
	s_andn2_b32 s17, s17, exec_lo
	s_and_b32 s1, s1, exec_lo
	s_or_b32 s17, s17, s1
	s_andn2_b32 exec_lo, exec_lo, s5
	s_cbranch_execz .LBB95_484
.LBB95_470:                             ; =>This Inner Loop Header: Depth=1
	v_add_nc_u32_e32 v5, s48, v0
	v_mov_b32_e32 v8, 0
	s_mov_b32 s1, exec_lo
	v_cmpx_gt_u32_e64 s36, v5
	s_cbranch_execz .LBB95_472
; %bb.471:                              ;   in Loop: Header=BB95_470 Depth=1
	v_lshlrev_b64 v[10:11], 1, v[2:3]
	v_add_co_u32 v10, vcc_lo, s46, v10
	v_add_co_ci_u32_e64 v11, null, s47, v11, vcc_lo
	global_load_ushort v8, v[10:11], off
.LBB95_472:                             ;   in Loop: Header=BB95_470 Depth=1
	s_or_b32 exec_lo, exec_lo, s1
	s_waitcnt vmcnt(0)
	v_cmp_lt_i16_e32 vcc_lo, -1, v9
	v_cndmask_b32_e32 v1, 0xffff, v4, vcc_lo
	v_cmp_o_f16_e32 vcc_lo, v9, v9
	v_xor_b32_sdwa v1, v1, v9 dst_sel:DWORD dst_unused:UNUSED_PAD src0_sel:DWORD src1_sel:WORD_0
	v_cndmask_b32_e32 v1, 0xffff, v1, vcc_lo
	v_cmp_gt_u32_e32 vcc_lo, s36, v0
	v_cmp_eq_u32_e64 s1, v1, v7
	s_and_b32 s19, vcc_lo, s1
	v_cndmask_b32_e64 v1, 0, 1, s19
	v_cmp_ne_u32_e32 vcc_lo, 0, v1
	s_cmp_lg_u32 vcc_lo, 0
	s_cselect_b32 s1, -1, 0
	s_and_b32 s1, s0, s1
	s_and_saveexec_b32 s18, s1
	s_cbranch_execz .LBB95_476
; %bb.473:                              ;   in Loop: Header=BB95_470 Depth=1
	s_mov_b32 s22, exec_lo
	s_bcnt1_i32_b32 s20, vcc_lo
	v_mbcnt_lo_u32_b32 v1, s22, 0
	s_mov_b32 s21, exec_lo
                                        ; implicit-def: $vgpr6
	v_cmpx_eq_u32_e32 0, v1
; %bb.474:                              ;   in Loop: Header=BB95_470 Depth=1
	s_bcnt1_i32_b32 s1, s22
	s_mul_i32 s1, s20, s1
	v_mov_b32_e32 v6, s1
	ds_add_rtn_u32 v6, v3, v6 offset:4108
; %bb.475:                              ;   in Loop: Header=BB95_470 Depth=1
	s_or_b32 exec_lo, exec_lo, s21
	s_waitcnt lgkmcnt(0)
	v_readfirstlane_b32 s1, v6
	v_mad_u32_u24 v6, s20, v1, s1
.LBB95_476:                             ;   in Loop: Header=BB95_470 Depth=1
	s_or_b32 exec_lo, exec_lo, s18
	ds_bpermute_b32 v6, v3, v6
	s_cmp_eq_u32 vcc_lo, 0
	s_mov_b32 s18, -1
	s_cselect_b32 s20, -1, 0
	s_waitcnt lgkmcnt(0)
	v_cmp_gt_u32_e64 s1, s37, v6
	s_or_b32 s21, s20, s1
	s_mov_b32 s20, -1
	s_and_saveexec_b32 s1, s21
	s_cbranch_execz .LBB95_469
; %bb.477:                              ;   in Loop: Header=BB95_470 Depth=1
	v_and_b32_e32 v1, vcc_lo, v17
	v_sub_nc_u32_e32 v10, s37, v6
	s_mov_b32 s21, -1
	v_bcnt_u32_b32 v1, v1, 0
	v_bcnt_u32_b32 v1, 0, v1
	v_cmp_gt_u32_e32 vcc_lo, v10, v1
	s_and_b32 s22, s19, vcc_lo
	s_and_saveexec_b32 s19, s22
	s_cbranch_execz .LBB95_481
; %bb.478:                              ;   in Loop: Header=BB95_470 Depth=1
	v_add_nc_u32_e32 v1, v6, v1
	s_mov_b32 s20, 0
	s_mov_b32 s21, exec_lo
	v_cmpx_gt_u32_e64 s37, v1
; %bb.479:                              ;   in Loop: Header=BB95_470 Depth=1
	v_mul_lo_u32 v10, v1, s10
	v_mul_lo_u32 v12, v1, s11
	v_mov_b32_e32 v11, v3
	v_mov_b32_e32 v13, v3
	v_mov_b32_e32 v1, v3
	s_mov_b32 s20, exec_lo
	v_lshlrev_b64 v[10:11], 1, v[10:11]
	v_lshlrev_b64 v[12:13], 3, v[12:13]
	v_add_co_u32 v10, vcc_lo, s13, v10
	v_add_co_ci_u32_e64 v11, null, s14, v11, vcc_lo
	v_add_co_u32 v12, vcc_lo, s15, v12
	v_add_co_ci_u32_e64 v13, null, s16, v13, vcc_lo
	global_store_short v[10:11], v9, off
	global_store_dwordx2 v[12:13], v[0:1], off
; %bb.480:                              ;   in Loop: Header=BB95_470 Depth=1
	s_or_b32 exec_lo, exec_lo, s21
	s_xor_b32 s21, exec_lo, -1
	s_orn2_b32 s20, s20, exec_lo
.LBB95_481:                             ;   in Loop: Header=BB95_470 Depth=1
	s_or_b32 exec_lo, exec_lo, s19
	s_and_saveexec_b32 s19, s20
	s_cbranch_execz .LBB95_468
; %bb.482:                              ;   in Loop: Header=BB95_470 Depth=1
	v_cmp_le_u32_e32 vcc_lo, s12, v5
	v_add_nc_u32_e32 v2, s49, v2
	s_or_b32 s21, s21, exec_lo
	s_orn2_b32 s18, vcc_lo, exec_lo
	s_branch .LBB95_468
.LBB95_483:
	s_or_b32 s8, s8, exec_lo
	s_trap 2
	s_branch .LBB95_445
.LBB95_484:
	s_or_b32 exec_lo, exec_lo, s5
	s_mov_b32 s0, 0
	s_and_saveexec_b32 s1, s17
	s_xor_b32 s1, exec_lo, s1
	s_cbranch_execnz .LBB95_490
.LBB95_485:
	s_or_b32 exec_lo, exec_lo, s1
	s_and_b32 s1, s0, exec_lo
.LBB95_486:
	s_or_b32 exec_lo, exec_lo, s4
	s_and_b32 s5, s1, exec_lo
	s_andn2_b32 s3, s3, exec_lo
	s_or_b32 exec_lo, exec_lo, s2
	s_and_saveexec_b32 s0, s3
	s_xor_b32 s0, exec_lo, s0
	s_cbranch_execz .LBB95_439
.LBB95_487:
	s_or_b32 s5, s5, exec_lo
	s_trap 2
	s_branch .LBB95_439
.LBB95_488:
	s_or_b32 s11, s11, exec_lo
	s_trap 2
	s_branch .LBB95_443
.LBB95_489:
	s_or_b32 s11, s11, exec_lo
	s_trap 2
	s_branch .LBB95_441
.LBB95_490:
	s_mov_b32 s0, exec_lo
	s_trap 2
	s_branch .LBB95_485
	.section	.rodata,"a",@progbits
	.p2align	6, 0x0
	.amdhsa_kernel _ZN2at6native6sbtopk10gatherTopKIN3c104HalfEjLi1ELb0EEEvNS_4cuda6detail10TensorInfoIKT_T0_EESA_SA_bSA_SA_NS7_IS8_SA_EESA_NS7_IlSA_EESA_PS8_
		.amdhsa_group_segment_fixed_size 4112
		.amdhsa_private_segment_fixed_size 0
		.amdhsa_kernarg_size 952
		.amdhsa_user_sgpr_count 6
		.amdhsa_user_sgpr_private_segment_buffer 1
		.amdhsa_user_sgpr_dispatch_ptr 0
		.amdhsa_user_sgpr_queue_ptr 0
		.amdhsa_user_sgpr_kernarg_segment_ptr 1
		.amdhsa_user_sgpr_dispatch_id 0
		.amdhsa_user_sgpr_flat_scratch_init 0
		.amdhsa_user_sgpr_private_segment_size 0
		.amdhsa_wavefront_size32 1
		.amdhsa_uses_dynamic_stack 0
		.amdhsa_system_sgpr_private_segment_wavefront_offset 0
		.amdhsa_system_sgpr_workgroup_id_x 1
		.amdhsa_system_sgpr_workgroup_id_y 1
		.amdhsa_system_sgpr_workgroup_id_z 1
		.amdhsa_system_sgpr_workgroup_info 0
		.amdhsa_system_vgpr_workitem_id 0
		.amdhsa_next_free_vgpr 62
		.amdhsa_next_free_sgpr 96
		.amdhsa_reserve_vcc 1
		.amdhsa_reserve_flat_scratch 0
		.amdhsa_float_round_mode_32 0
		.amdhsa_float_round_mode_16_64 0
		.amdhsa_float_denorm_mode_32 3
		.amdhsa_float_denorm_mode_16_64 3
		.amdhsa_dx10_clamp 1
		.amdhsa_ieee_mode 1
		.amdhsa_fp16_overflow 0
		.amdhsa_workgroup_processor_mode 1
		.amdhsa_memory_ordered 1
		.amdhsa_forward_progress 1
		.amdhsa_shared_vgpr_count 0
		.amdhsa_exception_fp_ieee_invalid_op 0
		.amdhsa_exception_fp_denorm_src 0
		.amdhsa_exception_fp_ieee_div_zero 0
		.amdhsa_exception_fp_ieee_overflow 0
		.amdhsa_exception_fp_ieee_underflow 0
		.amdhsa_exception_fp_ieee_inexact 0
		.amdhsa_exception_int_div_zero 0
	.end_amdhsa_kernel
	.section	.text._ZN2at6native6sbtopk10gatherTopKIN3c104HalfEjLi1ELb0EEEvNS_4cuda6detail10TensorInfoIKT_T0_EESA_SA_bSA_SA_NS7_IS8_SA_EESA_NS7_IlSA_EESA_PS8_,"axG",@progbits,_ZN2at6native6sbtopk10gatherTopKIN3c104HalfEjLi1ELb0EEEvNS_4cuda6detail10TensorInfoIKT_T0_EESA_SA_bSA_SA_NS7_IS8_SA_EESA_NS7_IlSA_EESA_PS8_,comdat
.Lfunc_end95:
	.size	_ZN2at6native6sbtopk10gatherTopKIN3c104HalfEjLi1ELb0EEEvNS_4cuda6detail10TensorInfoIKT_T0_EESA_SA_bSA_SA_NS7_IS8_SA_EESA_NS7_IlSA_EESA_PS8_, .Lfunc_end95-_ZN2at6native6sbtopk10gatherTopKIN3c104HalfEjLi1ELb0EEEvNS_4cuda6detail10TensorInfoIKT_T0_EESA_SA_bSA_SA_NS7_IS8_SA_EESA_NS7_IlSA_EESA_PS8_
                                        ; -- End function
	.set _ZN2at6native6sbtopk10gatherTopKIN3c104HalfEjLi1ELb0EEEvNS_4cuda6detail10TensorInfoIKT_T0_EESA_SA_bSA_SA_NS7_IS8_SA_EESA_NS7_IlSA_EESA_PS8_.num_vgpr, 62
	.set _ZN2at6native6sbtopk10gatherTopKIN3c104HalfEjLi1ELb0EEEvNS_4cuda6detail10TensorInfoIKT_T0_EESA_SA_bSA_SA_NS7_IS8_SA_EESA_NS7_IlSA_EESA_PS8_.num_agpr, 0
	.set _ZN2at6native6sbtopk10gatherTopKIN3c104HalfEjLi1ELb0EEEvNS_4cuda6detail10TensorInfoIKT_T0_EESA_SA_bSA_SA_NS7_IS8_SA_EESA_NS7_IlSA_EESA_PS8_.numbered_sgpr, 96
	.set _ZN2at6native6sbtopk10gatherTopKIN3c104HalfEjLi1ELb0EEEvNS_4cuda6detail10TensorInfoIKT_T0_EESA_SA_bSA_SA_NS7_IS8_SA_EESA_NS7_IlSA_EESA_PS8_.num_named_barrier, 0
	.set _ZN2at6native6sbtopk10gatherTopKIN3c104HalfEjLi1ELb0EEEvNS_4cuda6detail10TensorInfoIKT_T0_EESA_SA_bSA_SA_NS7_IS8_SA_EESA_NS7_IlSA_EESA_PS8_.private_seg_size, 0
	.set _ZN2at6native6sbtopk10gatherTopKIN3c104HalfEjLi1ELb0EEEvNS_4cuda6detail10TensorInfoIKT_T0_EESA_SA_bSA_SA_NS7_IS8_SA_EESA_NS7_IlSA_EESA_PS8_.uses_vcc, 1
	.set _ZN2at6native6sbtopk10gatherTopKIN3c104HalfEjLi1ELb0EEEvNS_4cuda6detail10TensorInfoIKT_T0_EESA_SA_bSA_SA_NS7_IS8_SA_EESA_NS7_IlSA_EESA_PS8_.uses_flat_scratch, 0
	.set _ZN2at6native6sbtopk10gatherTopKIN3c104HalfEjLi1ELb0EEEvNS_4cuda6detail10TensorInfoIKT_T0_EESA_SA_bSA_SA_NS7_IS8_SA_EESA_NS7_IlSA_EESA_PS8_.has_dyn_sized_stack, 0
	.set _ZN2at6native6sbtopk10gatherTopKIN3c104HalfEjLi1ELb0EEEvNS_4cuda6detail10TensorInfoIKT_T0_EESA_SA_bSA_SA_NS7_IS8_SA_EESA_NS7_IlSA_EESA_PS8_.has_recursion, 0
	.set _ZN2at6native6sbtopk10gatherTopKIN3c104HalfEjLi1ELb0EEEvNS_4cuda6detail10TensorInfoIKT_T0_EESA_SA_bSA_SA_NS7_IS8_SA_EESA_NS7_IlSA_EESA_PS8_.has_indirect_call, 0
	.section	.AMDGPU.csdata,"",@progbits
; Kernel info:
; codeLenInByte = 16408
; TotalNumSgprs: 98
; NumVgprs: 62
; ScratchSize: 0
; MemoryBound: 0
; FloatMode: 240
; IeeeMode: 1
; LDSByteSize: 4112 bytes/workgroup (compile time only)
; SGPRBlocks: 0
; VGPRBlocks: 7
; NumSGPRsForWavesPerEU: 98
; NumVGPRsForWavesPerEU: 62
; Occupancy: 16
; WaveLimiterHint : 1
; COMPUTE_PGM_RSRC2:SCRATCH_EN: 0
; COMPUTE_PGM_RSRC2:USER_SGPR: 6
; COMPUTE_PGM_RSRC2:TRAP_HANDLER: 0
; COMPUTE_PGM_RSRC2:TGID_X_EN: 1
; COMPUTE_PGM_RSRC2:TGID_Y_EN: 1
; COMPUTE_PGM_RSRC2:TGID_Z_EN: 1
; COMPUTE_PGM_RSRC2:TIDIG_COMP_CNT: 0
	.section	.text._ZN2at6native6mbtopk23computeBlockDigitCountsIN3c104HalfEjjLi2EEEvNS_4cuda6detail10TensorInfoIKT_T0_EEjPjjSA_iijT1_PSD_Ps,"axG",@progbits,_ZN2at6native6mbtopk23computeBlockDigitCountsIN3c104HalfEjjLi2EEEvNS_4cuda6detail10TensorInfoIKT_T0_EEjPjjSA_iijT1_PSD_Ps,comdat
	.protected	_ZN2at6native6mbtopk23computeBlockDigitCountsIN3c104HalfEjjLi2EEEvNS_4cuda6detail10TensorInfoIKT_T0_EEjPjjSA_iijT1_PSD_Ps ; -- Begin function _ZN2at6native6mbtopk23computeBlockDigitCountsIN3c104HalfEjjLi2EEEvNS_4cuda6detail10TensorInfoIKT_T0_EEjPjjSA_iijT1_PSD_Ps
	.globl	_ZN2at6native6mbtopk23computeBlockDigitCountsIN3c104HalfEjjLi2EEEvNS_4cuda6detail10TensorInfoIKT_T0_EEjPjjSA_iijT1_PSD_Ps
	.p2align	8
	.type	_ZN2at6native6mbtopk23computeBlockDigitCountsIN3c104HalfEjjLi2EEEvNS_4cuda6detail10TensorInfoIKT_T0_EEjPjjSA_iijT1_PSD_Ps,@function
_ZN2at6native6mbtopk23computeBlockDigitCountsIN3c104HalfEjjLi2EEEvNS_4cuda6detail10TensorInfoIKT_T0_EEjPjjSA_iijT1_PSD_Ps: ; @_ZN2at6native6mbtopk23computeBlockDigitCountsIN3c104HalfEjjLi2EEEvNS_4cuda6detail10TensorInfoIKT_T0_EEjPjjSA_iijT1_PSD_Ps
; %bb.0:
	s_clause 0x2
	s_load_dwordx2 s[10:11], s[4:5], 0xf8
	s_load_dwordx4 s[12:15], s[4:5], 0xe8
	s_load_dwordx2 s[0:1], s[4:5], 0x110
	s_waitcnt lgkmcnt(0)
	v_cvt_f32_u32_e32 v1, s10
	s_sub_i32 s3, 0, s10
	s_mul_i32 s1, s1, s8
	s_add_i32 s1, s1, s7
	v_rcp_iflag_f32_e32 v1, v1
	s_mul_i32 s16, s1, s0
	s_mov_b32 s7, 0
	s_add_i32 s16, s16, s6
	v_mul_f32_e32 v1, 0x4f7ffffe, v1
	v_cvt_u32_f32_e32 v1, v1
	v_readfirstlane_b32 s2, v1
	s_mul_i32 s3, s3, s2
	s_mul_hi_u32 s0, s2, s3
	s_add_i32 s2, s2, s0
	s_mul_hi_u32 s0, s16, s2
	s_mul_i32 s1, s0, s10
	s_add_i32 s2, s0, 1
	s_sub_i32 s1, s16, s1
	s_sub_i32 s3, s1, s10
	s_cmp_ge_u32 s1, s10
	s_cselect_b32 s0, s2, s0
	s_cselect_b32 s1, s3, s1
	s_add_i32 s2, s0, 1
	s_cmp_ge_u32 s1, s10
	s_cselect_b32 s6, s2, s0
	s_cmp_ge_u32 s6, s12
	s_cbranch_scc1 .LBB96_27
; %bb.1:
	s_clause 0x1
	s_load_dword s17, s[4:5], 0xc
	s_load_dwordx4 s[0:3], s[4:5], 0x100
	s_lshl_b64 s[8:9], s[6:7], 2
	v_cmp_gt_u32_e32 vcc_lo, 0x100, v0
	v_lshlrev_b32_e32 v3, 2, v0
	s_waitcnt lgkmcnt(0)
	v_cvt_f32_u32_e32 v1, s17
	s_add_u32 s8, s0, s8
	s_addc_u32 s9, s1, s9
	v_rcp_iflag_f32_e32 v1, v1
	v_mul_f32_e32 v1, 0x4f7ffffe, v1
	v_cvt_u32_f32_e32 v1, v1
	v_readfirstlane_b32 s18, v1
	s_and_saveexec_b32 s0, vcc_lo
; %bb.2:
	v_mov_b32_e32 v1, 0
	ds_write_b32 v3, v1
; %bb.3:
	s_or_b32 exec_lo, exec_lo, s0
	s_load_dword s7, s[4:5], 0xd8
	s_mul_i32 s0, s6, s10
	s_waitcnt lgkmcnt(0)
	s_sub_i32 s0, s16, s0
	s_barrier
	s_mul_i32 s1, s15, s0
	s_add_i32 s19, s0, 1
	s_lshl_b32 s12, s1, 8
	buffer_gl0_inv
	s_sub_i32 s1, s7, s12
	s_add_u32 s0, s1, 0xff
	s_addc_u32 s1, 0, 0
	s_lshr_b64 s[0:1], s[0:1], 8
	s_cmp_lt_u32 s19, s10
	s_mov_b32 s1, 0
	s_cselect_b32 s10, s15, s0
	s_cmp_lt_i32 s10, 1
	s_cbranch_scc1 .LBB96_25
; %bb.4:
	s_sub_i32 s0, 0, s17
	s_load_dwordx2 s[20:21], s[4:5], 0x0
	s_mul_i32 s0, s0, s18
	s_mul_hi_u32 s0, s18, s0
	s_add_i32 s0, s18, s0
	s_load_dwordx2 s[18:19], s[4:5], 0x6c
	s_mul_hi_u32 s0, s6, s0
	s_load_dword s4, s[8:9], 0x0
	s_mul_i32 s15, s0, s17
	s_sub_i32 s5, s6, s15
	s_add_i32 s15, s0, 1
	s_sub_i32 s22, s5, s17
	s_cmp_ge_u32 s5, s17
	s_cselect_b32 s0, s15, s0
	s_cselect_b32 s5, s22, s5
	s_add_i32 s8, s0, 1
	s_cmp_ge_u32 s5, s17
	s_cselect_b32 s0, s8, s0
	s_mul_i32 s5, s0, s17
	s_sub_i32 s5, s6, s5
	s_waitcnt lgkmcnt(0)
	s_mul_i32 s0, s0, s18
	s_mul_i32 s5, s5, s19
	s_add_i32 s0, s0, s5
	s_lshl_b64 s[8:9], s[0:1], 1
	s_add_u32 s5, s20, s8
	s_addc_u32 s6, s21, s9
	s_and_b32 s8, s14, 0xff
	s_cmp_lt_u32 s10, 4
	s_cbranch_scc1 .LBB96_19
; %bb.5:
	v_add_nc_u32_e32 v1, s12, v0
	v_mov_b32_e32 v9, 1
	v_mov_b32_e32 v10, 0x8000
	s_and_b32 s1, s10, 0x7ffffffc
	s_lshl_b32 s9, s13, 10
	v_add_nc_u32_e32 v4, 0x300, v1
	v_add_nc_u32_e32 v2, 0x200, v1
	;; [unrolled: 1-line block ×3, first 2 shown]
	v_mul_lo_u32 v8, s13, v1
	s_mov_b32 s14, 0
	v_mul_lo_u32 v5, s13, v4
	v_mul_lo_u32 v6, s13, v2
	;; [unrolled: 1-line block ×3, first 2 shown]
	v_mov_b32_e32 v2, 0
	s_mov_b32 s15, 0
	s_branch .LBB96_7
.LBB96_6:                               ;   in Loop: Header=BB96_7 Depth=1
	s_or_b32 exec_lo, exec_lo, s17
	v_add_nc_u32_e32 v4, 0x400, v4
	s_add_i32 s15, s15, 4
	s_add_i32 s14, s14, s9
	s_cmp_eq_u32 s1, s15
	s_cbranch_scc1 .LBB96_19
.LBB96_7:                               ; =>This Inner Loop Header: Depth=1
	v_add_nc_u32_e32 v1, 0xfffffd00, v4
	s_mov_b32 s17, exec_lo
	v_cmpx_gt_u32_e64 s7, v1
	s_cbranch_execz .LBB96_10
; %bb.8:                                ;   in Loop: Header=BB96_7 Depth=1
	v_add_nc_u32_e32 v1, s14, v8
	v_lshlrev_b64 v[11:12], 1, v[1:2]
	v_add_co_u32 v11, s0, s5, v11
	v_add_co_ci_u32_e64 v12, null, s6, v12, s0
	global_load_ushort v1, v[11:12], off
	s_waitcnt vmcnt(0)
	v_cmp_lt_i16_e64 s0, -1, v1
	v_cndmask_b32_e64 v11, 0xffff, v10, s0
	v_cmp_o_f16_e64 s0, v1, v1
	v_xor_b32_sdwa v11, v11, v1 dst_sel:DWORD dst_unused:UNUSED_PAD src0_sel:DWORD src1_sel:WORD_0
	v_cndmask_b32_e64 v1, 0xffff, v11, s0
	v_xor_b32_e32 v11, s4, v1
	v_and_b32_e32 v11, s11, v11
	v_cmp_eq_u32_e64 s0, 0, v11
	s_and_b32 exec_lo, exec_lo, s0
; %bb.9:                                ;   in Loop: Header=BB96_7 Depth=1
	v_bfe_u32 v1, v1, s8, 8
	v_lshlrev_b32_e32 v1, 2, v1
	ds_add_u32 v1, v9
.LBB96_10:                              ;   in Loop: Header=BB96_7 Depth=1
	s_or_b32 exec_lo, exec_lo, s17
	v_add_nc_u32_e32 v1, 0xfffffe00, v4
	s_mov_b32 s17, exec_lo
	v_cmpx_gt_u32_e64 s7, v1
	s_cbranch_execz .LBB96_13
; %bb.11:                               ;   in Loop: Header=BB96_7 Depth=1
	v_add_nc_u32_e32 v1, s14, v7
	v_lshlrev_b64 v[11:12], 1, v[1:2]
	v_add_co_u32 v11, s0, s5, v11
	v_add_co_ci_u32_e64 v12, null, s6, v12, s0
	global_load_ushort v1, v[11:12], off
	s_waitcnt vmcnt(0)
	v_cmp_lt_i16_e64 s0, -1, v1
	v_cndmask_b32_e64 v11, 0xffff, v10, s0
	v_cmp_o_f16_e64 s0, v1, v1
	v_xor_b32_sdwa v11, v11, v1 dst_sel:DWORD dst_unused:UNUSED_PAD src0_sel:DWORD src1_sel:WORD_0
	v_cndmask_b32_e64 v1, 0xffff, v11, s0
	v_xor_b32_e32 v11, s4, v1
	v_and_b32_e32 v11, s11, v11
	v_cmp_eq_u32_e64 s0, 0, v11
	s_and_b32 exec_lo, exec_lo, s0
; %bb.12:                               ;   in Loop: Header=BB96_7 Depth=1
	v_bfe_u32 v1, v1, s8, 8
	v_lshlrev_b32_e32 v1, 2, v1
	ds_add_u32 v1, v9
.LBB96_13:                              ;   in Loop: Header=BB96_7 Depth=1
	s_or_b32 exec_lo, exec_lo, s17
	v_add_nc_u32_e32 v1, 0xffffff00, v4
	s_mov_b32 s17, exec_lo
	v_cmpx_gt_u32_e64 s7, v1
	s_cbranch_execz .LBB96_16
; %bb.14:                               ;   in Loop: Header=BB96_7 Depth=1
	v_add_nc_u32_e32 v1, s14, v6
	v_lshlrev_b64 v[11:12], 1, v[1:2]
	v_add_co_u32 v11, s0, s5, v11
	v_add_co_ci_u32_e64 v12, null, s6, v12, s0
	global_load_ushort v1, v[11:12], off
	s_waitcnt vmcnt(0)
	v_cmp_lt_i16_e64 s0, -1, v1
	v_cndmask_b32_e64 v11, 0xffff, v10, s0
	v_cmp_o_f16_e64 s0, v1, v1
	v_xor_b32_sdwa v11, v11, v1 dst_sel:DWORD dst_unused:UNUSED_PAD src0_sel:DWORD src1_sel:WORD_0
	v_cndmask_b32_e64 v1, 0xffff, v11, s0
	v_xor_b32_e32 v11, s4, v1
	v_and_b32_e32 v11, s11, v11
	v_cmp_eq_u32_e64 s0, 0, v11
	s_and_b32 exec_lo, exec_lo, s0
; %bb.15:                               ;   in Loop: Header=BB96_7 Depth=1
	v_bfe_u32 v1, v1, s8, 8
	v_lshlrev_b32_e32 v1, 2, v1
	ds_add_u32 v1, v9
.LBB96_16:                              ;   in Loop: Header=BB96_7 Depth=1
	s_or_b32 exec_lo, exec_lo, s17
	s_mov_b32 s17, exec_lo
	v_cmpx_gt_u32_e64 s7, v4
	s_cbranch_execz .LBB96_6
; %bb.17:                               ;   in Loop: Header=BB96_7 Depth=1
	v_add_nc_u32_e32 v1, s14, v5
	v_lshlrev_b64 v[11:12], 1, v[1:2]
	v_add_co_u32 v11, s0, s5, v11
	v_add_co_ci_u32_e64 v12, null, s6, v12, s0
	global_load_ushort v1, v[11:12], off
	s_waitcnt vmcnt(0)
	v_cmp_lt_i16_e64 s0, -1, v1
	v_cndmask_b32_e64 v11, 0xffff, v10, s0
	v_cmp_o_f16_e64 s0, v1, v1
	v_xor_b32_sdwa v11, v11, v1 dst_sel:DWORD dst_unused:UNUSED_PAD src0_sel:DWORD src1_sel:WORD_0
	v_cndmask_b32_e64 v1, 0xffff, v11, s0
	v_xor_b32_e32 v11, s4, v1
	v_and_b32_e32 v11, s11, v11
	v_cmp_eq_u32_e64 s0, 0, v11
	s_and_b32 exec_lo, exec_lo, s0
	s_cbranch_execz .LBB96_6
; %bb.18:                               ;   in Loop: Header=BB96_7 Depth=1
	v_bfe_u32 v1, v1, s8, 8
	v_lshlrev_b32_e32 v1, 2, v1
	ds_add_u32 v1, v9
	s_branch .LBB96_6
.LBB96_19:
	s_and_b32 s9, s10, 3
	s_cmp_eq_u32 s9, 0
	s_cbranch_scc1 .LBB96_25
; %bb.20:
	s_lshl_b32 s0, s1, 8
	v_mov_b32_e32 v2, 0
	v_add3_u32 v4, s0, s12, v0
	v_mov_b32_e32 v5, 1
	v_mov_b32_e32 v6, 0x8000
	s_lshl_b32 s1, s13, 8
	v_mul_lo_u32 v1, s13, v4
	s_inst_prefetch 0x1
	s_branch .LBB96_22
	.p2align	6
.LBB96_21:                              ;   in Loop: Header=BB96_22 Depth=1
	s_or_b32 exec_lo, exec_lo, s10
	v_add_nc_u32_e32 v1, s1, v1
	v_add_nc_u32_e32 v4, 0x100, v4
	s_add_i32 s9, s9, -1
	s_cmp_lg_u32 s9, 0
	s_cbranch_scc0 .LBB96_25
.LBB96_22:                              ; =>This Inner Loop Header: Depth=1
	s_mov_b32 s10, exec_lo
	v_cmpx_gt_u32_e64 s7, v4
	s_cbranch_execz .LBB96_21
; %bb.23:                               ;   in Loop: Header=BB96_22 Depth=1
	v_lshlrev_b64 v[7:8], 1, v[1:2]
	v_add_co_u32 v7, s0, s5, v7
	v_add_co_ci_u32_e64 v8, null, s6, v8, s0
	global_load_ushort v7, v[7:8], off
	s_waitcnt vmcnt(0)
	v_cmp_lt_i16_e64 s0, -1, v7
	v_cndmask_b32_e64 v8, 0xffff, v6, s0
	v_cmp_o_f16_e64 s0, v7, v7
	v_xor_b32_sdwa v8, v8, v7 dst_sel:DWORD dst_unused:UNUSED_PAD src0_sel:DWORD src1_sel:WORD_0
	v_cndmask_b32_e64 v7, 0xffff, v8, s0
	v_xor_b32_e32 v8, s4, v7
	v_and_b32_e32 v8, s11, v8
	v_cmp_eq_u32_e64 s0, 0, v8
	s_and_b32 exec_lo, exec_lo, s0
	s_cbranch_execz .LBB96_21
; %bb.24:                               ;   in Loop: Header=BB96_22 Depth=1
	v_bfe_u32 v7, v7, s8, 8
	v_lshlrev_b32_e32 v7, 2, v7
	ds_add_u32 v7, v5
	s_branch .LBB96_21
.LBB96_25:
	s_inst_prefetch 0x2
	s_waitcnt lgkmcnt(0)
	s_barrier
	buffer_gl0_inv
	s_and_saveexec_b32 s0, vcc_lo
	s_cbranch_execz .LBB96_27
; %bb.26:
	ds_read_b32 v2, v3
	v_lshl_or_b32 v0, s16, 8, v0
	v_mov_b32_e32 v1, 0
	v_lshlrev_b64 v[0:1], 1, v[0:1]
	v_add_co_u32 v0, vcc_lo, s2, v0
	v_add_co_ci_u32_e64 v1, null, s3, v1, vcc_lo
	s_waitcnt lgkmcnt(0)
	global_store_short v[0:1], v2, off
.LBB96_27:
	s_endpgm
	.section	.rodata,"a",@progbits
	.p2align	6, 0x0
	.amdhsa_kernel _ZN2at6native6mbtopk23computeBlockDigitCountsIN3c104HalfEjjLi2EEEvNS_4cuda6detail10TensorInfoIKT_T0_EEjPjjSA_iijT1_PSD_Ps
		.amdhsa_group_segment_fixed_size 1024
		.amdhsa_private_segment_fixed_size 0
		.amdhsa_kernarg_size 528
		.amdhsa_user_sgpr_count 6
		.amdhsa_user_sgpr_private_segment_buffer 1
		.amdhsa_user_sgpr_dispatch_ptr 0
		.amdhsa_user_sgpr_queue_ptr 0
		.amdhsa_user_sgpr_kernarg_segment_ptr 1
		.amdhsa_user_sgpr_dispatch_id 0
		.amdhsa_user_sgpr_flat_scratch_init 0
		.amdhsa_user_sgpr_private_segment_size 0
		.amdhsa_wavefront_size32 1
		.amdhsa_uses_dynamic_stack 0
		.amdhsa_system_sgpr_private_segment_wavefront_offset 0
		.amdhsa_system_sgpr_workgroup_id_x 1
		.amdhsa_system_sgpr_workgroup_id_y 1
		.amdhsa_system_sgpr_workgroup_id_z 1
		.amdhsa_system_sgpr_workgroup_info 0
		.amdhsa_system_vgpr_workitem_id 0
		.amdhsa_next_free_vgpr 13
		.amdhsa_next_free_sgpr 23
		.amdhsa_reserve_vcc 1
		.amdhsa_reserve_flat_scratch 0
		.amdhsa_float_round_mode_32 0
		.amdhsa_float_round_mode_16_64 0
		.amdhsa_float_denorm_mode_32 3
		.amdhsa_float_denorm_mode_16_64 3
		.amdhsa_dx10_clamp 1
		.amdhsa_ieee_mode 1
		.amdhsa_fp16_overflow 0
		.amdhsa_workgroup_processor_mode 1
		.amdhsa_memory_ordered 1
		.amdhsa_forward_progress 1
		.amdhsa_shared_vgpr_count 0
		.amdhsa_exception_fp_ieee_invalid_op 0
		.amdhsa_exception_fp_denorm_src 0
		.amdhsa_exception_fp_ieee_div_zero 0
		.amdhsa_exception_fp_ieee_overflow 0
		.amdhsa_exception_fp_ieee_underflow 0
		.amdhsa_exception_fp_ieee_inexact 0
		.amdhsa_exception_int_div_zero 0
	.end_amdhsa_kernel
	.section	.text._ZN2at6native6mbtopk23computeBlockDigitCountsIN3c104HalfEjjLi2EEEvNS_4cuda6detail10TensorInfoIKT_T0_EEjPjjSA_iijT1_PSD_Ps,"axG",@progbits,_ZN2at6native6mbtopk23computeBlockDigitCountsIN3c104HalfEjjLi2EEEvNS_4cuda6detail10TensorInfoIKT_T0_EEjPjjSA_iijT1_PSD_Ps,comdat
.Lfunc_end96:
	.size	_ZN2at6native6mbtopk23computeBlockDigitCountsIN3c104HalfEjjLi2EEEvNS_4cuda6detail10TensorInfoIKT_T0_EEjPjjSA_iijT1_PSD_Ps, .Lfunc_end96-_ZN2at6native6mbtopk23computeBlockDigitCountsIN3c104HalfEjjLi2EEEvNS_4cuda6detail10TensorInfoIKT_T0_EEjPjjSA_iijT1_PSD_Ps
                                        ; -- End function
	.set _ZN2at6native6mbtopk23computeBlockDigitCountsIN3c104HalfEjjLi2EEEvNS_4cuda6detail10TensorInfoIKT_T0_EEjPjjSA_iijT1_PSD_Ps.num_vgpr, 13
	.set _ZN2at6native6mbtopk23computeBlockDigitCountsIN3c104HalfEjjLi2EEEvNS_4cuda6detail10TensorInfoIKT_T0_EEjPjjSA_iijT1_PSD_Ps.num_agpr, 0
	.set _ZN2at6native6mbtopk23computeBlockDigitCountsIN3c104HalfEjjLi2EEEvNS_4cuda6detail10TensorInfoIKT_T0_EEjPjjSA_iijT1_PSD_Ps.numbered_sgpr, 23
	.set _ZN2at6native6mbtopk23computeBlockDigitCountsIN3c104HalfEjjLi2EEEvNS_4cuda6detail10TensorInfoIKT_T0_EEjPjjSA_iijT1_PSD_Ps.num_named_barrier, 0
	.set _ZN2at6native6mbtopk23computeBlockDigitCountsIN3c104HalfEjjLi2EEEvNS_4cuda6detail10TensorInfoIKT_T0_EEjPjjSA_iijT1_PSD_Ps.private_seg_size, 0
	.set _ZN2at6native6mbtopk23computeBlockDigitCountsIN3c104HalfEjjLi2EEEvNS_4cuda6detail10TensorInfoIKT_T0_EEjPjjSA_iijT1_PSD_Ps.uses_vcc, 1
	.set _ZN2at6native6mbtopk23computeBlockDigitCountsIN3c104HalfEjjLi2EEEvNS_4cuda6detail10TensorInfoIKT_T0_EEjPjjSA_iijT1_PSD_Ps.uses_flat_scratch, 0
	.set _ZN2at6native6mbtopk23computeBlockDigitCountsIN3c104HalfEjjLi2EEEvNS_4cuda6detail10TensorInfoIKT_T0_EEjPjjSA_iijT1_PSD_Ps.has_dyn_sized_stack, 0
	.set _ZN2at6native6mbtopk23computeBlockDigitCountsIN3c104HalfEjjLi2EEEvNS_4cuda6detail10TensorInfoIKT_T0_EEjPjjSA_iijT1_PSD_Ps.has_recursion, 0
	.set _ZN2at6native6mbtopk23computeBlockDigitCountsIN3c104HalfEjjLi2EEEvNS_4cuda6detail10TensorInfoIKT_T0_EEjPjjSA_iijT1_PSD_Ps.has_indirect_call, 0
	.section	.AMDGPU.csdata,"",@progbits
; Kernel info:
; codeLenInByte = 1544
; TotalNumSgprs: 25
; NumVgprs: 13
; ScratchSize: 0
; MemoryBound: 0
; FloatMode: 240
; IeeeMode: 1
; LDSByteSize: 1024 bytes/workgroup (compile time only)
; SGPRBlocks: 0
; VGPRBlocks: 1
; NumSGPRsForWavesPerEU: 25
; NumVGPRsForWavesPerEU: 13
; Occupancy: 16
; WaveLimiterHint : 1
; COMPUTE_PGM_RSRC2:SCRATCH_EN: 0
; COMPUTE_PGM_RSRC2:USER_SGPR: 6
; COMPUTE_PGM_RSRC2:TRAP_HANDLER: 0
; COMPUTE_PGM_RSRC2:TGID_X_EN: 1
; COMPUTE_PGM_RSRC2:TGID_Y_EN: 1
; COMPUTE_PGM_RSRC2:TGID_Z_EN: 1
; COMPUTE_PGM_RSRC2:TIDIG_COMP_CNT: 0
	.section	.text._ZN2at6native6mbtopk10gatherTopKIN3c104HalfEjLi2EEEvNS_4cuda6detail10TensorInfoIKT_T0_EESA_SA_bjSA_NS7_IS8_SA_EESA_NS7_IlSA_EESA_jjPS8_PjSF_j,"axG",@progbits,_ZN2at6native6mbtopk10gatherTopKIN3c104HalfEjLi2EEEvNS_4cuda6detail10TensorInfoIKT_T0_EESA_SA_bjSA_NS7_IS8_SA_EESA_NS7_IlSA_EESA_jjPS8_PjSF_j,comdat
	.protected	_ZN2at6native6mbtopk10gatherTopKIN3c104HalfEjLi2EEEvNS_4cuda6detail10TensorInfoIKT_T0_EESA_SA_bjSA_NS7_IS8_SA_EESA_NS7_IlSA_EESA_jjPS8_PjSF_j ; -- Begin function _ZN2at6native6mbtopk10gatherTopKIN3c104HalfEjLi2EEEvNS_4cuda6detail10TensorInfoIKT_T0_EESA_SA_bjSA_NS7_IS8_SA_EESA_NS7_IlSA_EESA_jjPS8_PjSF_j
	.globl	_ZN2at6native6mbtopk10gatherTopKIN3c104HalfEjLi2EEEvNS_4cuda6detail10TensorInfoIKT_T0_EESA_SA_bjSA_NS7_IS8_SA_EESA_NS7_IlSA_EESA_jjPS8_PjSF_j
	.p2align	8
	.type	_ZN2at6native6mbtopk10gatherTopKIN3c104HalfEjLi2EEEvNS_4cuda6detail10TensorInfoIKT_T0_EESA_SA_bjSA_NS7_IS8_SA_EESA_NS7_IlSA_EESA_jjPS8_PjSF_j,@function
_ZN2at6native6mbtopk10gatherTopKIN3c104HalfEjLi2EEEvNS_4cuda6detail10TensorInfoIKT_T0_EESA_SA_bjSA_NS7_IS8_SA_EESA_NS7_IlSA_EESA_jjPS8_PjSF_j: ; @_ZN2at6native6mbtopk10gatherTopKIN3c104HalfEjLi2EEEvNS_4cuda6detail10TensorInfoIKT_T0_EESA_SA_bjSA_NS7_IS8_SA_EESA_NS7_IlSA_EESA_jjPS8_PjSF_j
; %bb.0:
	s_clause 0x1
	s_load_dwordx2 s[0:1], s[4:5], 0x2d8
	s_load_dword s2, s[4:5], 0x2d0
	s_waitcnt lgkmcnt(0)
	s_mul_i32 s1, s1, s8
	s_add_i32 s1, s1, s7
	s_mul_i32 s0, s1, s0
	s_add_i32 s0, s0, s6
	s_cmp_ge_u32 s0, s2
	s_cbranch_scc1 .LBB97_40
; %bb.1:
	s_clause 0x3
	s_load_dwordx8 s[8:15], s[4:5], 0x2a8
	s_load_dword s37, s[4:5], 0xc
	s_load_dword s36, s[4:5], 0xfc
	s_load_dword s33, s[4:5], 0x1dc
	s_mov_b32 s7, 0
	s_load_dwordx2 s[2:3], s[4:5], 0x1d0
	s_waitcnt lgkmcnt(0)
	v_cvt_f32_u32_e32 v1, s10
	v_cvt_f32_u32_e32 v2, s37
	;; [unrolled: 1-line block ×4, first 2 shown]
	s_sub_i32 s6, 0, s10
	v_rcp_iflag_f32_e32 v1, v1
	v_rcp_iflag_f32_e32 v2, v2
	;; [unrolled: 1-line block ×4, first 2 shown]
	v_mul_f32_e32 v1, 0x4f7ffffe, v1
	v_mul_f32_e32 v2, 0x4f7ffffe, v2
	;; [unrolled: 1-line block ×4, first 2 shown]
	v_cvt_u32_f32_e32 v1, v1
	v_cvt_u32_f32_e32 v2, v2
	;; [unrolled: 1-line block ×4, first 2 shown]
	v_readfirstlane_b32 s1, v1
	v_readfirstlane_b32 s17, v2
	;; [unrolled: 1-line block ×4, first 2 shown]
	v_mov_b32_e32 v1, 0
	s_mul_i32 s6, s6, s1
	s_mul_hi_u32 s6, s1, s6
	s_add_i32 s1, s1, s6
	s_mul_hi_u32 s1, s0, s1
	s_mul_i32 s6, s1, s10
	s_add_i32 s11, s1, 1
	s_sub_i32 s6, s0, s6
	s_sub_i32 s16, s6, s10
	s_cmp_ge_u32 s6, s10
	s_cselect_b32 s1, s11, s1
	s_cselect_b32 s6, s16, s6
	s_add_i32 s11, s1, 1
	s_cmp_ge_u32 s6, s10
	s_cselect_b32 s6, s11, s1
	s_sub_i32 s1, 0, s37
	s_sub_i32 s11, 0, s36
	;; [unrolled: 1-line block ×3, first 2 shown]
	s_mul_i32 s16, s6, s10
	s_mul_i32 s1, s1, s17
	;; [unrolled: 1-line block ×4, first 2 shown]
	s_sub_i32 s11, s0, s16
	s_mul_hi_u32 s0, s17, s1
	s_mul_hi_u32 s1, s20, s22
	;; [unrolled: 1-line block ×3, first 2 shown]
	s_lshl_b64 s[18:19], s[6:7], 1
	s_add_i32 s17, s17, s0
	s_add_i32 s30, s20, s1
	s_add_i32 s31, s21, s22
	s_add_u32 s0, s12, s18
	s_addc_u32 s1, s13, s19
	s_mul_hi_u32 s41, s6, s17
	global_load_ushort v1, v1, s[0:1]
	s_clause 0x4
	s_load_dwordx2 s[26:27], s[4:5], 0x15c
	s_load_dwordx2 s[20:21], s[4:5], 0xf0
	;; [unrolled: 1-line block ×5, first 2 shown]
	v_cmp_ne_u32_e64 s0, 0, v0
	v_cmp_eq_u32_e64 s1, 0, v0
	s_mul_hi_u32 s40, s6, s30
	s_mul_hi_u32 s39, s6, s31
	s_waitcnt vmcnt(0)
	v_readfirstlane_b32 s38, v1
	s_and_saveexec_b32 s42, s1
	s_cbranch_execz .LBB97_17
; %bb.2:
	s_load_dwordx2 s[12:13], s[4:5], 0x2c8
	s_mov_b32 s17, s7
	s_lshl_b64 s[30:31], s[16:17], 2
	s_add_u32 s16, s14, s30
	s_addc_u32 s17, s15, s31
	s_waitcnt lgkmcnt(0)
	s_add_u32 s18, s12, s30
	s_addc_u32 s19, s13, s31
	s_cmp_lt_u32 s10, 4
	s_cbranch_scc1 .LBB97_14
; %bb.3:
	s_mov_b32 s43, s7
	s_mov_b32 s44, s7
	;; [unrolled: 1-line block ×3, first 2 shown]
.LBB97_4:                               ; =>This Inner Loop Header: Depth=1
	s_add_u32 s16, s14, s30
	s_addc_u32 s17, s15, s31
	s_add_u32 s34, s12, s30
	s_load_dwordx4 s[16:19], s[16:17], 0x0
	s_addc_u32 s35, s13, s31
	s_cmp_ge_u32 s45, s11
	s_cbranch_scc0 .LBB97_11
; %bb.5:                                ;   in Loop: Header=BB97_4 Depth=1
	s_add_i32 s46, s45, 1
	s_cmp_ge_u32 s46, s11
	s_cbranch_scc0 .LBB97_12
.LBB97_6:                               ;   in Loop: Header=BB97_4 Depth=1
	s_add_i32 s46, s46, 1
	s_cmp_ge_u32 s46, s11
	s_cbranch_scc0 .LBB97_13
.LBB97_7:                               ;   in Loop: Header=BB97_4 Depth=1
	s_add_i32 s46, s46, 1
	s_cmp_ge_u32 s46, s11
	s_cbranch_scc1 .LBB97_9
.LBB97_8:                               ;   in Loop: Header=BB97_4 Depth=1
	s_load_dword s34, s[34:35], 0xc
	s_waitcnt lgkmcnt(0)
	s_add_i32 s7, s7, s19
	s_add_i32 s43, s34, s43
.LBB97_9:                               ;   in Loop: Header=BB97_4 Depth=1
	s_waitcnt lgkmcnt(0)
	s_add_i32 s16, s16, s44
	s_add_i32 s16, s16, s17
	;; [unrolled: 1-line block ×4, first 2 shown]
	s_add_u32 s14, s14, 16
	s_addc_u32 s15, s15, 0
	s_add_u32 s12, s12, 16
	s_addc_u32 s13, s13, 0
	s_add_i32 s35, s46, 4
	s_add_u32 s18, s12, s30
	s_addc_u32 s19, s13, s31
	s_add_u32 s16, s14, s30
	s_addc_u32 s17, s15, s31
	s_add_i32 s34, s46, 1
	s_cmp_ge_u32 s35, s10
	s_cbranch_scc1 .LBB97_15
; %bb.10:                               ;   in Loop: Header=BB97_4 Depth=1
	s_mov_b32 s45, s34
	s_branch .LBB97_4
.LBB97_11:                              ;   in Loop: Header=BB97_4 Depth=1
	s_load_dword s46, s[34:35], 0x0
	s_waitcnt lgkmcnt(0)
	s_add_i32 s7, s16, s7
	s_add_i32 s43, s46, s43
	;; [unrolled: 1-line block ×3, first 2 shown]
	s_cmp_ge_u32 s46, s11
	s_cbranch_scc1 .LBB97_6
.LBB97_12:                              ;   in Loop: Header=BB97_4 Depth=1
	s_load_dword s47, s[34:35], 0x4
	s_waitcnt lgkmcnt(0)
	s_add_i32 s7, s7, s17
	s_add_i32 s43, s47, s43
	;; [unrolled: 1-line block ×3, first 2 shown]
	s_cmp_ge_u32 s46, s11
	s_cbranch_scc1 .LBB97_7
.LBB97_13:                              ;   in Loop: Header=BB97_4 Depth=1
	s_load_dword s47, s[34:35], 0x8
	s_waitcnt lgkmcnt(0)
	s_add_i32 s7, s7, s18
	s_add_i32 s43, s47, s43
	;; [unrolled: 1-line block ×3, first 2 shown]
	s_cmp_ge_u32 s46, s11
	s_cbranch_scc0 .LBB97_8
	s_branch .LBB97_9
.LBB97_14:
	s_mov_b32 s43, 0
	s_mov_b32 s44, 0
	;; [unrolled: 1-line block ×3, first 2 shown]
	s_cmp_ge_u32 s12, s10
	s_cbranch_scc0 .LBB97_38
	s_branch .LBB97_16
.LBB97_15:
	s_add_i32 s12, s45, 4
	s_cmp_ge_u32 s12, s10
	s_cbranch_scc0 .LBB97_38
.LBB97_16:
	v_mov_b32_e32 v1, s43
	v_mov_b32_e32 v2, s44
	;; [unrolled: 1-line block ×4, first 2 shown]
	ds_write_b96 v4, v[1:3] offset:1056
.LBB97_17:
	s_or_b32 exec_lo, exec_lo, s42
	s_load_dwordx4 s[12:15], s[4:5], 0xd8
	s_mul_i32 s7, s9, s11
	s_add_i32 s11, s11, 1
	s_lshl_b32 s18, s7, 8
	s_waitcnt lgkmcnt(0)
	s_barrier
	buffer_gl0_inv
	s_sub_i32 s7, s12, s18
	s_add_u32 s16, s7, 0xff
	s_addc_u32 s17, 0, 0
	s_lshr_b64 s[16:17], s[16:17], 8
	s_cmp_lt_u32 s11, s10
	s_mov_b32 s11, 0
	s_cselect_b32 s7, s9, s16
	s_cmp_eq_u32 s7, 0
	s_cbranch_scc1 .LBB97_40
; %bb.18:
	s_mul_i32 s9, s41, s37
	s_add_i32 s10, s41, 1
	s_sub_i32 s9, s6, s9
	v_mov_b32_e32 v5, 0
	s_sub_i32 s15, s9, s37
	s_cmp_ge_u32 s9, s37
	v_lshrrev_b32_e32 v4, 3, v0
	s_cselect_b32 s10, s10, s41
	s_cselect_b32 s9, s15, s9
	s_add_i32 s15, s10, 1
	s_cmp_ge_u32 s9, s37
	s_mul_i32 s9, s40, s36
	s_cselect_b32 s10, s15, s10
	s_sub_i32 s9, s6, s9
	s_mul_i32 s15, s10, s37
	s_mul_i32 s10, s10, s28
	s_sub_i32 s15, s6, s15
	s_add_i32 s16, s40, 1
	s_mul_i32 s15, s15, s29
	s_sub_i32 s17, s9, s36
	s_add_i32 s10, s10, s15
	s_cmp_ge_u32 s9, s36
	ds_read_b96 v[1:3], v5 offset:1056
	s_cselect_b32 s15, s16, s40
	s_cselect_b32 s9, s17, s9
	s_add_i32 s16, s15, 1
	s_cmp_ge_u32 s9, s36
	s_mul_i32 s9, s39, s33
	s_cselect_b32 s15, s16, s15
	s_sub_i32 s9, s6, s9
	s_mul_i32 s16, s15, s36
	s_mul_i32 s15, s15, s26
	s_sub_i32 s16, s6, s16
	s_add_i32 s19, s39, 1
	s_mul_i32 s16, s16, s27
	s_sub_i32 s26, s9, s33
	s_add_i32 s16, s15, s16
	s_cmp_ge_u32 s9, s33
	s_mov_b32 s17, s11
	s_cselect_b32 s15, s19, s39
	s_cselect_b32 s9, s26, s9
	s_add_i32 s19, s15, 1
	s_cmp_ge_u32 s9, s33
	s_mov_b32 s27, s11
	s_cselect_b32 s9, s19, s15
	s_lshl_b64 s[10:11], s[10:11], 1
	s_mul_i32 s15, s9, s33
	s_mul_i32 s9, s9, s24
	s_sub_i32 s6, s6, s15
	s_sext_i32_i16 s19, s38
	s_mul_i32 s6, s6, s25
	v_add_nc_u32_e32 v9, -1, v0
	s_add_i32 s26, s9, s6
	s_add_u32 s6, s22, s10
	s_addc_u32 s9, s23, s11
	s_lshl_b64 s[10:11], s[16:17], 1
	v_and_b32_e32 v4, 28, v4
	s_add_u32 s10, s20, s10
	s_addc_u32 s11, s21, s11
	s_lshl_b64 s[16:17], s[26:27], 3
	v_lshrrev_b32_e32 v8, 3, v9
	s_add_u32 s15, s2, s16
	s_addc_u32 s16, s3, s17
	s_and_b32 s2, 0xffff, s38
	s_cmp_gt_i32 s19, -1
	s_clause 0x1
	s_load_dword s19, s[4:5], 0xe8
	s_load_dword s4, s[4:5], 0x1c8
	s_mov_b32 s20, 0x8000
	v_cmp_o_f16_e64 s3, s38, s38
	s_waitcnt lgkmcnt(0)
	v_add_nc_u32_e32 v6, v1, v2
	v_lshl_add_u32 v7, v0, 2, v4
	v_and_b32_e32 v4, 0x1ffffffc, v8
	v_add_nc_u32_e32 v1, s18, v0
	s_cselect_b32 s17, s20, 0xffff
	v_and_b32_e32 v2, 0xfc, v0
	s_xor_b32 s2, s17, s2
	v_lshlrev_b32_e32 v10, 5, v0
	v_mbcnt_lo_u32_b32 v8, -1, 0
	s_and_b32 s3, s3, exec_lo
	s_cselect_b32 s17, s2, 0xffff
	v_cmp_gt_u32_e64 s2, 32, v0
	v_lshl_add_u32 v0, v9, 2, v4
	v_add_nc_u32_e32 v9, v2, v10
	v_and_b32_e32 v10, 15, v8
	v_bfe_i32 v11, v8, 4, 1
	v_mul_lo_u32 v4, s19, v1
	v_add_nc_u32_e32 v12, -1, v8
	v_mov_b32_e32 v13, 0x8000
	s_bitcmp1_b32 s14, 0
                                        ; implicit-def: $vgpr14
	s_cselect_b32 s3, -1, 0
	s_lshl_b32 s5, s19, 8
	s_branch .LBB97_21
.LBB97_19:                              ;   in Loop: Header=BB97_21 Depth=1
	s_or_b32 exec_lo, exec_lo, s14
	v_add_nc_u32_e32 v6, v17, v6
.LBB97_20:                              ;   in Loop: Header=BB97_21 Depth=1
	v_add_nc_u32_e32 v3, v16, v3
	v_add_nc_u32_e32 v4, s5, v4
	;; [unrolled: 1-line block ×3, first 2 shown]
	s_add_i32 s7, s7, -1
	s_cmp_lg_u32 s7, 0
	s_cbranch_scc0 .LBB97_40
.LBB97_21:                              ; =>This Inner Loop Header: Depth=1
	v_mov_b32_e32 v2, 0
	v_mov_b32_e32 v15, 0
	s_mov_b32 s14, exec_lo
	v_cmpx_gt_u32_e64 s12, v1
	s_cbranch_execz .LBB97_23
; %bb.22:                               ;   in Loop: Header=BB97_21 Depth=1
	v_lshlrev_b64 v[14:15], 1, v[4:5]
	v_add_co_u32 v14, vcc_lo, s6, v14
	v_add_co_ci_u32_e64 v15, null, s9, v15, vcc_lo
	global_load_ushort v14, v[14:15], off
	s_waitcnt vmcnt(0)
	v_cmp_lt_i16_e32 vcc_lo, -1, v14
	v_cndmask_b32_e32 v2, 0xffff, v13, vcc_lo
	v_cmp_o_f16_e32 vcc_lo, v14, v14
	v_xor_b32_sdwa v2, v2, v14 dst_sel:DWORD dst_unused:UNUSED_PAD src0_sel:DWORD src1_sel:WORD_0
	v_cndmask_b32_e32 v15, 0xffff, v2, vcc_lo
	v_cmp_lt_u32_e32 vcc_lo, s17, v15
	v_cndmask_b32_e64 v2, 0, 1, vcc_lo
	v_cmp_gt_u32_e32 vcc_lo, s17, v15
	v_cndmask_b32_e64 v16, 0, 1, vcc_lo
	v_cmp_eq_u32_e32 vcc_lo, s17, v15
	v_cndmask_b32_e64 v2, v16, v2, s3
	v_cndmask_b32_e64 v15, 0, 1, vcc_lo
	v_and_b32_e32 v2, 1, v2
.LBB97_23:                              ;   in Loop: Header=BB97_21 Depth=1
	s_or_b32 exec_lo, exec_lo, s14
	ds_write_b32 v7, v2
	s_waitcnt lgkmcnt(0)
	s_barrier
	buffer_gl0_inv
	s_and_saveexec_b32 s14, s2
	s_cbranch_execz .LBB97_25
; %bb.24:                               ;   in Loop: Header=BB97_21 Depth=1
	ds_read2_b32 v[16:17], v9 offset1:1
	ds_read2_b32 v[18:19], v9 offset0:2 offset1:3
	ds_read2_b32 v[20:21], v9 offset0:4 offset1:5
	;; [unrolled: 1-line block ×3, first 2 shown]
	v_cmp_ne_u32_e32 vcc_lo, 0, v10
	; wave barrier
	s_waitcnt lgkmcnt(3)
	v_add_nc_u32_e32 v17, v17, v16
	s_waitcnt lgkmcnt(2)
	v_add3_u32 v17, v17, v18, v19
	s_waitcnt lgkmcnt(1)
	v_add3_u32 v17, v17, v20, v21
	;; [unrolled: 2-line block ×3, first 2 shown]
	v_mov_b32_dpp v18, v17 row_shr:1 row_mask:0xf bank_mask:0xf
	v_cndmask_b32_e32 v18, 0, v18, vcc_lo
	v_cmp_lt_u32_e32 vcc_lo, 1, v10
	v_add_nc_u32_e32 v17, v18, v17
	v_mov_b32_dpp v18, v17 row_shr:2 row_mask:0xf bank_mask:0xf
	v_cndmask_b32_e32 v18, 0, v18, vcc_lo
	v_cmp_lt_u32_e32 vcc_lo, 3, v10
	v_add_nc_u32_e32 v17, v17, v18
	;; [unrolled: 4-line block ×3, first 2 shown]
	v_mov_b32_dpp v18, v17 row_shr:8 row_mask:0xf bank_mask:0xf
	v_cndmask_b32_e32 v18, 0, v18, vcc_lo
	v_cmp_gt_i32_e32 vcc_lo, 0, v12
	v_add_nc_u32_e32 v17, v17, v18
	v_cndmask_b32_e32 v19, v12, v8, vcc_lo
	ds_swizzle_b32 v18, v17 offset:swizzle(BROADCAST,32,15)
	v_lshlrev_b32_e32 v19, 2, v19
	s_waitcnt lgkmcnt(0)
	v_and_b32_e32 v18, v11, v18
	v_add_nc_u32_e32 v17, v17, v18
	ds_bpermute_b32 v17, v19, v17
	s_waitcnt lgkmcnt(0)
	v_add_nc_u32_e32 v16, v17, v16
	v_cndmask_b32_e64 v22, v16, v2, s1
	ds_write_b32 v9, v22
	; wave barrier
	ds_read2_b32 v[16:17], v9 offset0:1 offset1:2
	ds_read2_b32 v[18:19], v9 offset0:3 offset1:4
	;; [unrolled: 1-line block ×3, first 2 shown]
	ds_read_b32 v23, v9 offset:28
	s_waitcnt lgkmcnt(3)
	v_add_nc_u32_e32 v16, v16, v22
	v_add_nc_u32_e32 v17, v17, v16
	s_waitcnt lgkmcnt(2)
	v_add_nc_u32_e32 v18, v18, v17
	v_add_nc_u32_e32 v19, v19, v18
	;; [unrolled: 3-line block ×3, first 2 shown]
	s_waitcnt lgkmcnt(0)
	v_add_nc_u32_e32 v22, v23, v21
	ds_write2_b32 v9, v16, v17 offset0:1 offset1:2
	ds_write2_b32 v9, v18, v19 offset0:3 offset1:4
	;; [unrolled: 1-line block ×3, first 2 shown]
	ds_write_b32 v9, v22 offset:28
.LBB97_25:                              ;   in Loop: Header=BB97_21 Depth=1
	s_or_b32 exec_lo, exec_lo, s14
	v_mov_b32_e32 v17, 0
	s_waitcnt lgkmcnt(0)
	s_barrier
	buffer_gl0_inv
	s_and_saveexec_b32 s14, s0
; %bb.26:                               ;   in Loop: Header=BB97_21 Depth=1
	ds_read_b32 v17, v0
; %bb.27:                               ;   in Loop: Header=BB97_21 Depth=1
	s_or_b32 exec_lo, exec_lo, s14
	ds_read_b32 v16, v5 offset:1048
	s_mov_b32 s14, exec_lo
	s_waitcnt lgkmcnt(0)
	s_barrier
	buffer_gl0_inv
	v_cmpx_ne_u32_e32 0, v2
	s_cbranch_execz .LBB97_29
; %bb.28:                               ;   in Loop: Header=BB97_21 Depth=1
	v_add_nc_u32_e32 v2, v17, v3
	v_mov_b32_e32 v18, v5
	v_mov_b32_e32 v20, v5
	v_mul_lo_u32 v17, v2, s4
	v_mul_lo_u32 v19, v2, s8
	v_mov_b32_e32 v2, v5
	v_lshlrev_b64 v[17:18], 1, v[17:18]
	v_lshlrev_b64 v[19:20], 3, v[19:20]
	v_add_co_u32 v17, vcc_lo, s10, v17
	v_add_co_ci_u32_e64 v18, null, s11, v18, vcc_lo
	v_add_co_u32 v19, vcc_lo, s15, v19
	v_add_co_ci_u32_e64 v20, null, s16, v20, vcc_lo
	global_store_short v[17:18], v14, off
	global_store_dwordx2 v[19:20], v[1:2], off
.LBB97_29:                              ;   in Loop: Header=BB97_21 Depth=1
	s_or_b32 exec_lo, exec_lo, s14
	v_cmp_le_u32_e32 vcc_lo, s13, v6
	s_cbranch_vccnz .LBB97_20
; %bb.30:                               ;   in Loop: Header=BB97_21 Depth=1
	ds_write_b32 v7, v15
	s_waitcnt lgkmcnt(0)
	s_waitcnt_vscnt null, 0x0
	s_barrier
	buffer_gl0_inv
	s_and_saveexec_b32 s14, s2
	s_cbranch_execz .LBB97_32
; %bb.31:                               ;   in Loop: Header=BB97_21 Depth=1
	ds_read2_b32 v[17:18], v9 offset1:1
	ds_read2_b32 v[19:20], v9 offset0:2 offset1:3
	ds_read2_b32 v[21:22], v9 offset0:4 offset1:5
	;; [unrolled: 1-line block ×3, first 2 shown]
	v_cmp_ne_u32_e32 vcc_lo, 0, v10
	; wave barrier
	s_waitcnt lgkmcnt(3)
	v_add_nc_u32_e32 v2, v18, v17
	s_waitcnt lgkmcnt(2)
	v_add3_u32 v2, v2, v19, v20
	s_waitcnt lgkmcnt(1)
	v_add3_u32 v2, v2, v21, v22
	;; [unrolled: 2-line block ×3, first 2 shown]
	v_mov_b32_dpp v18, v2 row_shr:1 row_mask:0xf bank_mask:0xf
	v_cndmask_b32_e32 v18, 0, v18, vcc_lo
	v_cmp_lt_u32_e32 vcc_lo, 1, v10
	v_add_nc_u32_e32 v2, v18, v2
	v_mov_b32_dpp v18, v2 row_shr:2 row_mask:0xf bank_mask:0xf
	v_cndmask_b32_e32 v18, 0, v18, vcc_lo
	v_cmp_lt_u32_e32 vcc_lo, 3, v10
	v_add_nc_u32_e32 v2, v2, v18
	;; [unrolled: 4-line block ×3, first 2 shown]
	v_mov_b32_dpp v18, v2 row_shr:8 row_mask:0xf bank_mask:0xf
	v_cndmask_b32_e32 v18, 0, v18, vcc_lo
	v_cmp_gt_i32_e32 vcc_lo, 0, v12
	v_add_nc_u32_e32 v2, v2, v18
	v_cndmask_b32_e32 v19, v12, v8, vcc_lo
	ds_swizzle_b32 v18, v2 offset:swizzle(BROADCAST,32,15)
	v_lshlrev_b32_e32 v19, 2, v19
	s_waitcnt lgkmcnt(0)
	v_and_b32_e32 v18, v11, v18
	v_add_nc_u32_e32 v2, v2, v18
	ds_bpermute_b32 v2, v19, v2
	s_waitcnt lgkmcnt(0)
	v_add_nc_u32_e32 v2, v2, v17
	v_cndmask_b32_e64 v2, v2, v15, s1
	ds_write_b32 v9, v2
	; wave barrier
	ds_read2_b32 v[17:18], v9 offset0:1 offset1:2
	ds_read2_b32 v[19:20], v9 offset0:3 offset1:4
	;; [unrolled: 1-line block ×3, first 2 shown]
	ds_read_b32 v23, v9 offset:28
	s_waitcnt lgkmcnt(3)
	v_add_nc_u32_e32 v2, v17, v2
	v_add_nc_u32_e32 v17, v18, v2
	s_waitcnt lgkmcnt(2)
	v_add_nc_u32_e32 v18, v19, v17
	v_add_nc_u32_e32 v19, v20, v18
	;; [unrolled: 3-line block ×3, first 2 shown]
	s_waitcnt lgkmcnt(0)
	v_add_nc_u32_e32 v22, v23, v21
	ds_write2_b32 v9, v2, v17 offset0:1 offset1:2
	ds_write2_b32 v9, v18, v19 offset0:3 offset1:4
	;; [unrolled: 1-line block ×3, first 2 shown]
	ds_write_b32 v9, v22 offset:28
.LBB97_32:                              ;   in Loop: Header=BB97_21 Depth=1
	s_or_b32 exec_lo, exec_lo, s14
	v_mov_b32_e32 v2, 0
	s_waitcnt lgkmcnt(0)
	s_barrier
	buffer_gl0_inv
	s_and_saveexec_b32 s14, s0
; %bb.33:                               ;   in Loop: Header=BB97_21 Depth=1
	ds_read_b32 v2, v0
; %bb.34:                               ;   in Loop: Header=BB97_21 Depth=1
	s_or_b32 exec_lo, exec_lo, s14
	ds_read_b32 v17, v5 offset:1048
	s_mov_b32 s14, exec_lo
	s_waitcnt lgkmcnt(0)
	s_barrier
	buffer_gl0_inv
	v_cmpx_ne_u32_e32 0, v15
	s_cbranch_execz .LBB97_19
; %bb.35:                               ;   in Loop: Header=BB97_21 Depth=1
	v_add_nc_u32_e32 v2, v2, v6
	v_cmp_gt_u32_e32 vcc_lo, s13, v2
	s_and_b32 exec_lo, exec_lo, vcc_lo
	s_cbranch_execz .LBB97_19
; %bb.36:                               ;   in Loop: Header=BB97_21 Depth=1
	v_mul_lo_u32 v18, v2, s4
	v_mul_lo_u32 v20, v2, s8
	v_mov_b32_e32 v19, v5
	v_mov_b32_e32 v21, v5
	;; [unrolled: 1-line block ×3, first 2 shown]
	v_lshlrev_b64 v[18:19], 1, v[18:19]
	v_lshlrev_b64 v[20:21], 3, v[20:21]
	v_add_co_u32 v18, vcc_lo, s10, v18
	v_add_co_ci_u32_e64 v19, null, s11, v19, vcc_lo
	v_add_co_u32 v20, vcc_lo, s15, v20
	v_add_co_ci_u32_e64 v21, null, s16, v21, vcc_lo
	global_store_short v[18:19], v14, off
	global_store_dwordx2 v[20:21], v[1:2], off
	s_branch .LBB97_19
	.p2align	6
.LBB97_37:                              ;   in Loop: Header=BB97_38 Depth=1
	s_add_u32 s16, s16, 4
	s_addc_u32 s17, s17, 0
	s_waitcnt lgkmcnt(0)
	s_add_i32 s44, s13, s44
	s_add_u32 s18, s18, 4
	s_addc_u32 s19, s19, 0
	s_add_i32 s12, s12, 1
	s_cmp_lt_u32 s12, s10
	s_cbranch_scc0 .LBB97_16
.LBB97_38:                              ; =>This Inner Loop Header: Depth=1
	s_load_dword s13, s[16:17], 0x0
	s_cmp_ge_u32 s12, s11
	s_cbranch_scc1 .LBB97_37
; %bb.39:                               ;   in Loop: Header=BB97_38 Depth=1
	s_load_dword s14, s[18:19], 0x0
	s_waitcnt lgkmcnt(0)
	s_add_i32 s7, s13, s7
	s_add_i32 s43, s14, s43
	s_branch .LBB97_37
.LBB97_40:
	s_endpgm
	.section	.rodata,"a",@progbits
	.p2align	6, 0x0
	.amdhsa_kernel _ZN2at6native6mbtopk10gatherTopKIN3c104HalfEjLi2EEEvNS_4cuda6detail10TensorInfoIKT_T0_EESA_SA_bjSA_NS7_IS8_SA_EESA_NS7_IlSA_EESA_jjPS8_PjSF_j
		.amdhsa_group_segment_fixed_size 1068
		.amdhsa_private_segment_fixed_size 0
		.amdhsa_kernarg_size 984
		.amdhsa_user_sgpr_count 6
		.amdhsa_user_sgpr_private_segment_buffer 1
		.amdhsa_user_sgpr_dispatch_ptr 0
		.amdhsa_user_sgpr_queue_ptr 0
		.amdhsa_user_sgpr_kernarg_segment_ptr 1
		.amdhsa_user_sgpr_dispatch_id 0
		.amdhsa_user_sgpr_flat_scratch_init 0
		.amdhsa_user_sgpr_private_segment_size 0
		.amdhsa_wavefront_size32 1
		.amdhsa_uses_dynamic_stack 0
		.amdhsa_system_sgpr_private_segment_wavefront_offset 0
		.amdhsa_system_sgpr_workgroup_id_x 1
		.amdhsa_system_sgpr_workgroup_id_y 1
		.amdhsa_system_sgpr_workgroup_id_z 1
		.amdhsa_system_sgpr_workgroup_info 0
		.amdhsa_system_vgpr_workitem_id 0
		.amdhsa_next_free_vgpr 25
		.amdhsa_next_free_sgpr 48
		.amdhsa_reserve_vcc 1
		.amdhsa_reserve_flat_scratch 0
		.amdhsa_float_round_mode_32 0
		.amdhsa_float_round_mode_16_64 0
		.amdhsa_float_denorm_mode_32 3
		.amdhsa_float_denorm_mode_16_64 3
		.amdhsa_dx10_clamp 1
		.amdhsa_ieee_mode 1
		.amdhsa_fp16_overflow 0
		.amdhsa_workgroup_processor_mode 1
		.amdhsa_memory_ordered 1
		.amdhsa_forward_progress 1
		.amdhsa_shared_vgpr_count 0
		.amdhsa_exception_fp_ieee_invalid_op 0
		.amdhsa_exception_fp_denorm_src 0
		.amdhsa_exception_fp_ieee_div_zero 0
		.amdhsa_exception_fp_ieee_overflow 0
		.amdhsa_exception_fp_ieee_underflow 0
		.amdhsa_exception_fp_ieee_inexact 0
		.amdhsa_exception_int_div_zero 0
	.end_amdhsa_kernel
	.section	.text._ZN2at6native6mbtopk10gatherTopKIN3c104HalfEjLi2EEEvNS_4cuda6detail10TensorInfoIKT_T0_EESA_SA_bjSA_NS7_IS8_SA_EESA_NS7_IlSA_EESA_jjPS8_PjSF_j,"axG",@progbits,_ZN2at6native6mbtopk10gatherTopKIN3c104HalfEjLi2EEEvNS_4cuda6detail10TensorInfoIKT_T0_EESA_SA_bjSA_NS7_IS8_SA_EESA_NS7_IlSA_EESA_jjPS8_PjSF_j,comdat
.Lfunc_end97:
	.size	_ZN2at6native6mbtopk10gatherTopKIN3c104HalfEjLi2EEEvNS_4cuda6detail10TensorInfoIKT_T0_EESA_SA_bjSA_NS7_IS8_SA_EESA_NS7_IlSA_EESA_jjPS8_PjSF_j, .Lfunc_end97-_ZN2at6native6mbtopk10gatherTopKIN3c104HalfEjLi2EEEvNS_4cuda6detail10TensorInfoIKT_T0_EESA_SA_bjSA_NS7_IS8_SA_EESA_NS7_IlSA_EESA_jjPS8_PjSF_j
                                        ; -- End function
	.set _ZN2at6native6mbtopk10gatherTopKIN3c104HalfEjLi2EEEvNS_4cuda6detail10TensorInfoIKT_T0_EESA_SA_bjSA_NS7_IS8_SA_EESA_NS7_IlSA_EESA_jjPS8_PjSF_j.num_vgpr, 25
	.set _ZN2at6native6mbtopk10gatherTopKIN3c104HalfEjLi2EEEvNS_4cuda6detail10TensorInfoIKT_T0_EESA_SA_bjSA_NS7_IS8_SA_EESA_NS7_IlSA_EESA_jjPS8_PjSF_j.num_agpr, 0
	.set _ZN2at6native6mbtopk10gatherTopKIN3c104HalfEjLi2EEEvNS_4cuda6detail10TensorInfoIKT_T0_EESA_SA_bjSA_NS7_IS8_SA_EESA_NS7_IlSA_EESA_jjPS8_PjSF_j.numbered_sgpr, 48
	.set _ZN2at6native6mbtopk10gatherTopKIN3c104HalfEjLi2EEEvNS_4cuda6detail10TensorInfoIKT_T0_EESA_SA_bjSA_NS7_IS8_SA_EESA_NS7_IlSA_EESA_jjPS8_PjSF_j.num_named_barrier, 0
	.set _ZN2at6native6mbtopk10gatherTopKIN3c104HalfEjLi2EEEvNS_4cuda6detail10TensorInfoIKT_T0_EESA_SA_bjSA_NS7_IS8_SA_EESA_NS7_IlSA_EESA_jjPS8_PjSF_j.private_seg_size, 0
	.set _ZN2at6native6mbtopk10gatherTopKIN3c104HalfEjLi2EEEvNS_4cuda6detail10TensorInfoIKT_T0_EESA_SA_bjSA_NS7_IS8_SA_EESA_NS7_IlSA_EESA_jjPS8_PjSF_j.uses_vcc, 1
	.set _ZN2at6native6mbtopk10gatherTopKIN3c104HalfEjLi2EEEvNS_4cuda6detail10TensorInfoIKT_T0_EESA_SA_bjSA_NS7_IS8_SA_EESA_NS7_IlSA_EESA_jjPS8_PjSF_j.uses_flat_scratch, 0
	.set _ZN2at6native6mbtopk10gatherTopKIN3c104HalfEjLi2EEEvNS_4cuda6detail10TensorInfoIKT_T0_EESA_SA_bjSA_NS7_IS8_SA_EESA_NS7_IlSA_EESA_jjPS8_PjSF_j.has_dyn_sized_stack, 0
	.set _ZN2at6native6mbtopk10gatherTopKIN3c104HalfEjLi2EEEvNS_4cuda6detail10TensorInfoIKT_T0_EESA_SA_bjSA_NS7_IS8_SA_EESA_NS7_IlSA_EESA_jjPS8_PjSF_j.has_recursion, 0
	.set _ZN2at6native6mbtopk10gatherTopKIN3c104HalfEjLi2EEEvNS_4cuda6detail10TensorInfoIKT_T0_EESA_SA_bjSA_NS7_IS8_SA_EESA_NS7_IlSA_EESA_jjPS8_PjSF_j.has_indirect_call, 0
	.section	.AMDGPU.csdata,"",@progbits
; Kernel info:
; codeLenInByte = 2704
; TotalNumSgprs: 50
; NumVgprs: 25
; ScratchSize: 0
; MemoryBound: 0
; FloatMode: 240
; IeeeMode: 1
; LDSByteSize: 1068 bytes/workgroup (compile time only)
; SGPRBlocks: 0
; VGPRBlocks: 3
; NumSGPRsForWavesPerEU: 50
; NumVGPRsForWavesPerEU: 25
; Occupancy: 16
; WaveLimiterHint : 1
; COMPUTE_PGM_RSRC2:SCRATCH_EN: 0
; COMPUTE_PGM_RSRC2:USER_SGPR: 6
; COMPUTE_PGM_RSRC2:TRAP_HANDLER: 0
; COMPUTE_PGM_RSRC2:TGID_X_EN: 1
; COMPUTE_PGM_RSRC2:TGID_Y_EN: 1
; COMPUTE_PGM_RSRC2:TGID_Z_EN: 1
; COMPUTE_PGM_RSRC2:TIDIG_COMP_CNT: 0
	.section	.text._ZN2at6native6sbtopk10gatherTopKIN3c104HalfEjLi2ELb0EEEvNS_4cuda6detail10TensorInfoIKT_T0_EESA_SA_bSA_SA_NS7_IS8_SA_EESA_NS7_IlSA_EESA_PS8_,"axG",@progbits,_ZN2at6native6sbtopk10gatherTopKIN3c104HalfEjLi2ELb0EEEvNS_4cuda6detail10TensorInfoIKT_T0_EESA_SA_bSA_SA_NS7_IS8_SA_EESA_NS7_IlSA_EESA_PS8_,comdat
	.protected	_ZN2at6native6sbtopk10gatherTopKIN3c104HalfEjLi2ELb0EEEvNS_4cuda6detail10TensorInfoIKT_T0_EESA_SA_bSA_SA_NS7_IS8_SA_EESA_NS7_IlSA_EESA_PS8_ ; -- Begin function _ZN2at6native6sbtopk10gatherTopKIN3c104HalfEjLi2ELb0EEEvNS_4cuda6detail10TensorInfoIKT_T0_EESA_SA_bSA_SA_NS7_IS8_SA_EESA_NS7_IlSA_EESA_PS8_
	.globl	_ZN2at6native6sbtopk10gatherTopKIN3c104HalfEjLi2ELb0EEEvNS_4cuda6detail10TensorInfoIKT_T0_EESA_SA_bSA_SA_NS7_IS8_SA_EESA_NS7_IlSA_EESA_PS8_
	.p2align	8
	.type	_ZN2at6native6sbtopk10gatherTopKIN3c104HalfEjLi2ELb0EEEvNS_4cuda6detail10TensorInfoIKT_T0_EESA_SA_bSA_SA_NS7_IS8_SA_EESA_NS7_IlSA_EESA_PS8_,@function
_ZN2at6native6sbtopk10gatherTopKIN3c104HalfEjLi2ELb0EEEvNS_4cuda6detail10TensorInfoIKT_T0_EESA_SA_bSA_SA_NS7_IS8_SA_EESA_NS7_IlSA_EESA_PS8_: ; @_ZN2at6native6sbtopk10gatherTopKIN3c104HalfEjLi2ELb0EEEvNS_4cuda6detail10TensorInfoIKT_T0_EESA_SA_bSA_SA_NS7_IS8_SA_EESA_NS7_IlSA_EESA_PS8_
; %bb.0:
	s_clause 0x1
	s_load_dwordx2 s[12:13], s[4:5], 0x2b8
	s_load_dwordx4 s[36:39], s[4:5], 0xd8
	s_add_u32 s10, s4, 0x2b8
	s_addc_u32 s11, s5, 0
	s_waitcnt lgkmcnt(0)
	s_mul_i32 s0, s13, s8
	s_add_i32 s0, s0, s7
	s_mul_i32 s54, s0, s12
	s_add_i32 s54, s54, s6
	s_cmp_ge_u32 s54, s39
	s_cbranch_scc1 .LBB98_426
; %bb.1:
	s_clause 0x9
	s_load_dword s2, s[4:5], 0xc
	s_load_dword s56, s[4:5], 0xfc
	s_load_dword s55, s[4:5], 0x1dc
	s_load_dwordx2 s[42:43], s[4:5], 0xf0
	s_load_dwordx2 s[46:47], s[4:5], 0x23c
	;; [unrolled: 1-line block ×4, first 2 shown]
	s_load_dword s40, s[4:5], 0xe8
	s_load_dwordx2 s[8:9], s[4:5], 0x6c
	s_load_dwordx2 s[0:1], s[4:5], 0x0
	v_cmp_eq_u32_e64 s3, 0, v0
	s_mov_b32 s35, 0
	s_waitcnt lgkmcnt(0)
	v_cvt_f32_u32_e32 v1, s2
	v_cvt_f32_u32_e32 v2, s56
	;; [unrolled: 1-line block ×3, first 2 shown]
	s_sub_i32 s7, 0, s2
	s_sub_i32 s16, 0, s56
	v_rcp_iflag_f32_e32 v1, v1
	v_rcp_iflag_f32_e32 v2, v2
	;; [unrolled: 1-line block ×3, first 2 shown]
	s_sub_i32 s17, 0, s55
	v_mul_f32_e32 v1, 0x4f7ffffe, v1
	v_mul_f32_e32 v2, 0x4f7ffffe, v2
	;; [unrolled: 1-line block ×3, first 2 shown]
	v_cvt_u32_f32_e32 v1, v1
	v_cvt_u32_f32_e32 v2, v2
	v_cvt_u32_f32_e32 v3, v3
	v_readfirstlane_b32 s13, v1
	v_readfirstlane_b32 s14, v2
	;; [unrolled: 1-line block ×3, first 2 shown]
	s_mul_i32 s7, s7, s13
	s_mul_i32 s16, s16, s14
	;; [unrolled: 1-line block ×3, first 2 shown]
	s_mul_hi_u32 s7, s13, s7
	s_mul_hi_u32 s16, s14, s16
	;; [unrolled: 1-line block ×3, first 2 shown]
	s_add_i32 s13, s13, s7
	s_add_i32 s14, s14, s16
	;; [unrolled: 1-line block ×3, first 2 shown]
	s_mul_hi_u32 s7, s54, s13
	s_mul_hi_u32 s58, s54, s14
	;; [unrolled: 1-line block ×3, first 2 shown]
	s_and_saveexec_b32 s13, s3
	s_cbranch_execz .LBB98_3
; %bb.2:
	v_mov_b32_e32 v1, 0
	v_mov_b32_e32 v2, s36
	v_mov_b32_e32 v3, v1
	ds_write_b96 v1, v[1:3] offset:4096
.LBB98_3:
	s_or_b32 exec_lo, exec_lo, s13
	s_mul_i32 s13, s7, s2
	s_add_i32 s14, s7, 1
	s_sub_i32 s13, s54, s13
	s_waitcnt lgkmcnt(0)
	s_sub_i32 s15, s13, s2
	s_cmp_ge_u32 s13, s2
	s_barrier
	s_cselect_b32 s7, s14, s7
	s_cselect_b32 s13, s15, s13
	buffer_gl0_inv
	s_load_dword s15, s[10:11], 0xc
	s_add_i32 s14, s7, 1
	s_cmp_ge_u32 s13, s2
	v_mov_b32_e32 v9, 0
	s_cselect_b32 s7, s14, s7
	v_mul_lo_u32 v7, s40, v0
	s_mul_i32 s2, s7, s2
	s_mul_i32 s7, s7, s8
	s_sub_i32 s2, s54, s2
	v_mov_b32_e32 v8, v9
	s_mul_i32 s2, s2, s9
	v_mbcnt_lo_u32_b32 v18, -1, 0
	s_add_i32 s34, s7, s2
	v_cmp_gt_u32_e32 vcc_lo, 32, v0
	s_lshl_b64 s[8:9], s[34:35], 1
	v_lshlrev_b64 v[1:2], 1, v[7:8]
	s_add_u32 s50, s0, s8
	s_addc_u32 s51, s1, s9
	s_bitcmp1_b32 s38, 0
	v_cmp_gt_i32_e64 s0, 4, v18
	s_cselect_b32 s2, -1, 0
	s_waitcnt lgkmcnt(0)
	s_and_b32 s52, s15, 0xffff
	s_xor_b32 s59, s2, -1
	s_lshl_b32 s60, s52, 2
	s_and_b32 s62, vcc_lo, s0
	v_cvt_f32_u32_e32 v3, s60
	v_add_co_u32 v5, vcc_lo, s50, v1
	v_add_co_ci_u32_e64 v6, null, s51, v2, vcc_lo
	v_lshlrev_b64 v[1:2], v18, -1
	s_bfe_u32 s1, s52, 0x80008
	v_rcp_iflag_f32_e32 v2, v3
	s_lshl_b32 s61, s1, 3
	s_bfe_u32 s7, s15, 0xb0005
	s_cmpk_gt_u32 s36, 0x600
	v_add_nc_u32_e32 v3, 2, v0
	s_cselect_b32 s63, -1, 0
	s_cmp_gt_u32 s52, 31
	v_cvt_f32_u32_e32 v8, s52
	s_cselect_b32 s64, -1, 0
	s_add_i32 s65, s52, -1
	v_mul_f32_e32 v2, 0x4f7ffffe, v2
	s_add_i32 s13, s65, s36
	s_cmp_lt_u32 s6, s12
	v_max_u32_e32 v3, s36, v3
	s_cselect_b32 s6, 12, 18
	v_cvt_u32_f32_e32 v2, v2
	s_add_u32 s38, s10, s6
	s_addc_u32 s39, s11, 0
	s_add_i32 s7, s7, -1
	s_bfe_u32 s66, s52, 0x30005
	s_and_b32 s6, s7, 0xffff
	v_xad_u32 v3, v0, -1, v3
	s_cmp_gt_u32 s6, 6
	v_readfirstlane_b32 s6, v2
	s_cselect_b32 s67, -1, 0
	s_cmp_lg_u32 s66, 0
	v_not_b32_e32 v17, v1
	s_cselect_b32 s68, -1, 0
	s_sub_i32 s7, 0, s60
	v_lshrrev_b32_e32 v1, 1, v0
	s_mul_i32 s7, s7, s6
	v_add_nc_u32_e32 v4, -2, v3
	s_mul_hi_u32 s7, s6, s7
	v_rcp_iflag_f32_e32 v8, v8
	s_add_i32 s69, s6, s7
	s_movk_i32 s8, 0x1f0
	s_mul_hi_u32 s6, s36, s69
	v_lshrrev_b32_e32 v2, 1, v4
	s_mul_i32 s6, s6, s60
	v_and_or_b32 v22, v1, s8, 0xc00
	s_sub_i32 s6, s36, s6
	v_lshlrev_b32_e32 v19, 2, v0
	s_sub_i32 s8, s6, s60
	s_cmp_ge_u32 s6, s60
	v_add_nc_u32_e32 v1, 1, v2
	s_cselect_b32 s6, s8, s6
	v_mul_f32_e32 v2, 0x4f7ffffe, v8
	s_sub_i32 s8, s6, s60
	s_cmp_ge_u32 s6, s60
	v_and_b32_e32 v12, 7, v1
	s_cselect_b32 s6, s8, s6
	v_cvt_u32_f32_e32 v2, v2
	s_sub_i32 s70, s36, s6
	s_sub_i32 s8, 0, s52
	v_add_nc_u32_e32 v25, s70, v0
	v_and_b32_e32 v26, -8, v1
	v_readfirstlane_b32 s9, v2
	v_and_b32_e32 v23, -2, v3
	v_cmp_lt_u32_e64 s7, 31, v3
	v_mul_lo_u32 v8, v25, s40
	v_lshlrev_b32_e32 v20, 1, v0
	s_mul_i32 s8, s8, s9
	v_cmp_ne_u32_e64 s10, v3, v23
	s_mul_hi_u32 s8, s9, s8
	v_or_b32_e32 v3, 3, v19
	s_add_i32 s71, s9, s8
	s_mov_b32 s41, s40
	v_lshlrev_b64 v[1:2], 1, v[8:9]
	s_mul_hi_u32 s9, s13, s71
	v_lshlrev_b32_e32 v28, 2, v12
	s_mul_i32 s9, s9, s52
	v_mul_lo_u32 v30, s40, v3
	s_sub_i32 s11, s13, s9
	v_add_co_u32 v10, vcc_lo, s50, v1
	v_add3_u32 v1, s52, s36, v0
	s_sub_i32 s12, s11, s52
	s_cmp_ge_u32 s11, s52
	v_add_co_ci_u32_e64 v11, null, s51, v2, vcc_lo
	s_cselect_b32 s12, s12, s11
	v_or_b32_e32 v2, 2, v19
	v_subrev_nc_u32_e32 v1, s6, v1
	s_sub_i32 s14, s12, s52
	s_cmp_ge_u32 s12, s52
	v_cmp_ne_u32_e64 s9, 0, v12
	s_cselect_b32 s14, s14, s12
	v_mad_u64_u32 v[12:13], null, s40, v19, s[40:41]
	v_mul_lo_u32 v29, s40, v2
	v_mul_lo_u32 v32, s40, v1
	s_sub_i32 s72, s13, s14
	v_cmp_eq_u32_e64 s0, 0, v18
	v_cmp_gt_u32_e64 s1, s36, v0
	v_cmp_gt_u32_e64 s15, 2, v0
	v_add_nc_u32_e32 v21, 0xc00, v20
	v_add_nc_u32_e32 v24, v0, v23
	v_cmp_lt_u32_e64 s8, 13, v4
	v_cmp_gt_u32_e64 s11, s70, v19
	v_cmp_gt_u32_e64 s12, s36, v25
	;; [unrolled: 1-line block ×3, first 2 shown]
	v_lshlrev_b32_e32 v31, 2, v7
	v_lshlrev_b32_e32 v33, 3, v0
	v_lshl_or_b32 v34, v18, 2, 0xc00
	v_mov_b32_e32 v39, s37
	v_mov_b32_e32 v35, 0x8000
	v_mov_b32_e32 v36, -1
	v_mov_b32_e32 v38, 0
	v_mov_b32_e32 v27, 0
	;; [unrolled: 1-line block ×3, first 2 shown]
	s_mul_i32 s53, s40, s52
	s_lshl_b32 s74, s52, 3
	s_lshl_b32 s73, s53, 2
	;; [unrolled: 1-line block ×3, first 2 shown]
	s_mov_b32 s82, 14
	s_movk_i32 s77, 0x3c00
	s_mov_b32 s78, 0
                                        ; implicit-def: $sgpr76
                                        ; implicit-def: $sgpr81
                                        ; implicit-def: $sgpr80
                                        ; implicit-def: $sgpr83
                                        ; implicit-def: $sgpr79
                                        ; implicit-def: $sgpr87
                                        ; implicit-def: $sgpr88
                                        ; implicit-def: $sgpr84
                                        ; implicit-def: $sgpr86
                                        ; implicit-def: $sgpr85
	s_branch .LBB98_6
.LBB98_4:                               ;   in Loop: Header=BB98_6 Depth=1
	s_or_b32 exec_lo, exec_lo, s17
	v_mov_b32_e32 v39, v4
	s_andn2_b32 s17, s85, exec_lo
	s_and_b32 s16, s16, exec_lo
	s_andn2_b32 s86, s86, exec_lo
	s_or_b32 s85, s17, s16
	s_andn2_b32 s84, s84, exec_lo
	s_andn2_b32 s88, s88, exec_lo
	;; [unrolled: 1-line block ×3, first 2 shown]
	s_orn2_b32 s17, s14, exec_lo
.LBB98_5:                               ;   in Loop: Header=BB98_6 Depth=1
	s_or_b32 exec_lo, exec_lo, s6
	s_and_b32 s6, exec_lo, s17
	s_or_b32 s35, s6, s35
	s_andn2_b32 s6, s79, exec_lo
	s_and_b32 s14, s85, exec_lo
	s_andn2_b32 s16, s83, exec_lo
	s_or_b32 s79, s6, s14
	s_and_b32 s6, s86, exec_lo
	s_andn2_b32 s14, s80, exec_lo
	s_and_b32 s17, s84, exec_lo
	s_or_b32 s83, s16, s6
	s_or_b32 s80, s14, s17
	s_andn2_b32 s6, s81, exec_lo
	s_and_b32 s14, s88, exec_lo
	s_andn2_b32 s16, s76, exec_lo
	s_and_b32 s17, s87, exec_lo
	s_or_b32 s81, s6, s14
	s_or_b32 s76, s16, s17
	s_andn2_b32 exec_lo, exec_lo, s35
	s_cbranch_execz .LBB98_422
.LBB98_6:                               ; =>This Loop Header: Depth=1
                                        ;     Child Loop BB98_11 Depth 2
                                        ;     Child Loop BB98_32 Depth 2
	;; [unrolled: 1-line block ×26, first 2 shown]
	ds_read_b64 v[1:2], v9 offset:4096
	s_waitcnt lgkmcnt(0)
	v_readfirstlane_b32 s89, v1
	s_cmp_lg_u32 s89, 0
	s_cbranch_scc1 .LBB98_51
; %bb.7:                                ;   in Loop: Header=BB98_6 Depth=1
	s_and_b32 vcc_lo, exec_lo, s63
	s_cbranch_vccz .LBB98_19
; %bb.8:                                ;   in Loop: Header=BB98_6 Depth=1
	v_cmp_gt_u32_e32 vcc_lo, 0x601, v2
	s_mov_b32 s16, 0
	s_mov_b32 s6, 0
	s_cbranch_vccz .LBB98_20
; %bb.9:                                ;   in Loop: Header=BB98_6 Depth=1
	global_load_ushort v1, v9, s[38:39]
	global_load_ushort v4, v[5:6], off
	v_mov_b32_e32 v3, v0
	s_mov_b32 s17, 0
	s_waitcnt vmcnt(1)
	v_add_nc_u32_e32 v2, v0, v1
	v_mul_lo_u32 v8, s40, v2
	v_mul_lo_u32 v2, s40, v1
	s_branch .LBB98_11
.LBB98_10:                              ;   in Loop: Header=BB98_11 Depth=2
	s_or_b32 exec_lo, exec_lo, s14
	v_add_nc_u32_e32 v8, v8, v2
	v_mov_b32_e32 v4, v13
	s_andn2_b32 exec_lo, exec_lo, s17
	s_cbranch_execz .LBB98_26
.LBB98_11:                              ;   Parent Loop BB98_6 Depth=1
                                        ; =>  This Inner Loop Header: Depth=2
	v_add_nc_u32_e32 v3, v3, v1
	s_waitcnt lgkmcnt(0)
	v_mov_b32_e32 v14, 0
	v_mov_b32_e32 v13, 0
	s_mov_b32 s14, exec_lo
	v_cmp_le_u32_e32 vcc_lo, s36, v3
	v_cmpx_gt_u32_e64 s36, v3
	s_cbranch_execz .LBB98_13
; %bb.12:                               ;   in Loop: Header=BB98_11 Depth=2
	v_lshlrev_b64 v[15:16], 1, v[8:9]
	v_add_co_u32 v15, s6, s50, v15
	v_add_co_ci_u32_e64 v16, null, s51, v16, s6
	global_load_ushort v13, v[15:16], off
.LBB98_13:                              ;   in Loop: Header=BB98_11 Depth=2
	s_or_b32 exec_lo, exec_lo, s14
	s_waitcnt vmcnt(0)
	v_cmp_lt_i16_e64 s6, -1, v4
	v_cndmask_b32_e64 v15, 0xffff, v35, s6
	v_cmp_o_f16_e64 s6, v4, v4
	v_xor_b32_sdwa v15, v15, v4 dst_sel:DWORD dst_unused:UNUSED_PAD src0_sel:DWORD src1_sel:WORD_0
	v_cndmask_b32_e64 v15, 0xffff, v15, s6
	v_and_b32_e32 v15, v15, v37
	v_cmp_eq_u32_e64 s6, v15, v27
	s_cmp_lg_u32 s6, 0
	s_cselect_b32 s14, -1, 0
	s_and_b32 s14, s0, s14
	s_and_saveexec_b32 s18, s14
	s_cbranch_execz .LBB98_17
; %bb.14:                               ;   in Loop: Header=BB98_11 Depth=2
	s_mov_b32 s21, exec_lo
	s_bcnt1_i32_b32 s19, s6
	v_mbcnt_lo_u32_b32 v14, s21, 0
	s_mov_b32 s20, exec_lo
                                        ; implicit-def: $vgpr15
	v_cmpx_eq_u32_e32 0, v14
; %bb.15:                               ;   in Loop: Header=BB98_11 Depth=2
	s_bcnt1_i32_b32 s14, s21
	s_mul_i32 s14, s19, s14
	v_mov_b32_e32 v15, s14
	ds_add_rtn_u32 v15, v9, v15 offset:4104
; %bb.16:                               ;   in Loop: Header=BB98_11 Depth=2
	s_or_b32 exec_lo, exec_lo, s20
	s_waitcnt lgkmcnt(0)
	v_readfirstlane_b32 s14, v15
	v_mad_u32_u24 v14, s19, v14, s14
.LBB98_17:                              ;   in Loop: Header=BB98_11 Depth=2
	s_or_b32 exec_lo, exec_lo, s18
	ds_bpermute_b32 v14, v9, v14
	s_and_b32 s14, exec_lo, vcc_lo
	s_or_b32 s17, s14, s17
	s_and_saveexec_b32 s14, s6
	s_cbranch_execz .LBB98_10
; %bb.18:                               ;   in Loop: Header=BB98_11 Depth=2
	v_and_b32_e32 v15, s6, v17
	v_bcnt_u32_b32 v15, v15, 0
	v_lshlrev_b32_e32 v15, 1, v15
	s_waitcnt lgkmcnt(0)
	v_lshl_add_u32 v14, v14, 1, v15
	ds_write_b16 v14, v4
	s_branch .LBB98_10
.LBB98_19:                              ;   in Loop: Header=BB98_6 Depth=1
	s_mov_b32 s16, -1
	s_mov_b32 s6, 0
.LBB98_20:                              ;   in Loop: Header=BB98_6 Depth=1
	s_and_b32 vcc_lo, exec_lo, s16
	s_cbranch_vccz .LBB98_49
.LBB98_21:                              ;   in Loop: Header=BB98_6 Depth=1
	s_and_saveexec_b32 s14, s1
	s_cbranch_execz .LBB98_46
; %bb.22:                               ;   in Loop: Header=BB98_6 Depth=1
	global_load_ushort v1, v9, s[38:39]
	global_load_ushort v40, v[5:6], off
	v_mov_b32_e32 v2, v0
	s_mov_b32 s16, exec_lo
	s_waitcnt vmcnt(1)
	v_add_nc_u32_e32 v13, v0, v1
	v_readfirstlane_b32 s17, v1
	v_cmpx_gt_u32_e64 s36, v13
	s_cbranch_execz .LBB98_45
; %bb.23:                               ;   in Loop: Header=BB98_6 Depth=1
	s_mov_b32 s6, 0
	s_mul_i32 s18, s40, s17
                                        ; implicit-def: $vgpr2
                                        ; implicit-def: $vgpr1
                                        ; implicit-def: $vgpr3
	s_and_saveexec_b32 s19, s7
	s_xor_b32 s19, exec_lo, s19
	s_cbranch_execnz .LBB98_29
; %bb.24:                               ;   in Loop: Header=BB98_6 Depth=1
	s_andn2_saveexec_b32 s19, s19
	s_cbranch_execnz .LBB98_40
.LBB98_25:                              ;   in Loop: Header=BB98_6 Depth=1
	s_or_b32 exec_lo, exec_lo, s19
	s_and_saveexec_b32 s18, s6
	s_cbranch_execnz .LBB98_41
	s_branch .LBB98_44
.LBB98_26:                              ;   in Loop: Header=BB98_6 Depth=1
	s_or_b32 exec_lo, exec_lo, s17
	s_waitcnt lgkmcnt(0)
	s_barrier
	buffer_gl0_inv
	s_and_saveexec_b32 s6, s3
	s_cbranch_execz .LBB98_28
; %bb.27:                               ;   in Loop: Header=BB98_6 Depth=1
	ds_read_b32 v1, v9 offset:4104
	s_waitcnt lgkmcnt(0)
	ds_write_b32 v9, v1 offset:4096
.LBB98_28:                              ;   in Loop: Header=BB98_6 Depth=1
	s_or_b32 exec_lo, exec_lo, s6
	s_waitcnt lgkmcnt(0)
	s_mov_b32 s6, -1
	s_barrier
	s_and_b32 vcc_lo, exec_lo, s16
	s_cbranch_vccnz .LBB98_21
	s_branch .LBB98_49
.LBB98_29:                              ;   in Loop: Header=BB98_6 Depth=1
	v_cvt_f32_u32_e32 v1, s17
	v_add_nc_u32_e32 v2, s17, v13
	s_sub_i32 s6, 0, s17
	s_not_b32 s20, s18
	v_rcp_iflag_f32_e32 v1, v1
	v_max_u32_e32 v2, s36, v2
	v_sub_nc_u32_e32 v2, v2, v0
	v_mul_f32_e32 v1, 0x4f7ffffe, v1
	v_cvt_u32_f32_e32 v1, v1
	v_mul_lo_u32 v3, s6, v1
	s_lshl_b32 s6, s17, 1
	v_cmp_ne_u32_e32 vcc_lo, s6, v2
	v_cndmask_b32_e64 v4, 0, 1, vcc_lo
	v_mul_hi_u32 v3, v1, v3
	v_or_b32_e32 v4, s6, v4
	v_add_nc_u32_e32 v1, v1, v3
	v_sub_nc_u32_e32 v2, v2, v4
	v_mul_hi_u32 v1, v2, v1
	v_mul_lo_u32 v3, v1, s17
	v_sub_nc_u32_e32 v2, v2, v3
	v_add_nc_u32_e32 v3, 1, v1
	v_subrev_nc_u32_e32 v4, s17, v2
	v_cmp_le_u32_e64 s6, s17, v2
	v_cndmask_b32_e64 v1, v1, v3, s6
	v_cndmask_b32_e64 v2, v2, v4, s6
	v_add_nc_u32_e32 v3, 1, v1
	v_cmp_le_u32_e64 s6, s17, v2
	v_mul_lo_u32 v2, s40, v13
	v_cndmask_b32_e64 v1, v1, v3, s6
	s_abs_i32 s6, s18
	v_add_co_ci_u32_e64 v1, null, 0, v1, vcc_lo
	v_mul_hi_u32 v3, s6, v1
	v_mul_lo_u32 v1, s6, v1
	s_ashr_i32 s6, s20, 31
	s_cmp_eq_u32 s17, 1
	v_xor_b32_e32 v2, s6, v2
	s_cselect_b32 s20, -1, 0
	v_cmp_eq_u32_e32 vcc_lo, 0, v3
	v_cmp_le_u32_e64 s6, v1, v2
	v_mov_b32_e32 v1, v0
                                        ; implicit-def: $vgpr2
	s_and_b32 s20, vcc_lo, s20
	s_and_b32 s21, s20, s6
	s_mov_b32 s20, -1
	s_and_saveexec_b32 s6, s21
	s_cbranch_execz .LBB98_39
; %bb.30:                               ;   in Loop: Header=BB98_6 Depth=1
	v_add_nc_u32_e32 v14, 1, v13
	s_waitcnt vmcnt(0)
	v_lshlrev_b32_e32 v1, 16, v40
	v_mov_b32_e32 v8, 0
                                        ; implicit-def: $vgpr40
	v_mov_b32_e32 v16, v14
	v_mov_b32_e32 v15, v13
	s_and_saveexec_b32 s20, s8
	s_cbranch_execz .LBB98_34
; %bb.31:                               ;   in Loop: Header=BB98_6 Depth=1
	v_mov_b32_e32 v16, v14
	v_mov_b32_e32 v41, v26
	;; [unrolled: 1-line block ×4, first 2 shown]
	s_mov_b32 s21, 0
	s_mov_b32 s22, 0
.LBB98_32:                              ;   Parent Loop BB98_6 Depth=1
                                        ; =>  This Inner Loop Header: Depth=2
	v_add_nc_u32_e32 v4, 2, v16
	v_mul_lo_u32 v8, v15, s40
	v_add_nc_u32_e32 v14, 4, v16
	v_mul_lo_u32 v2, v16, s41
	;; [unrolled: 2-line block ×3, first 2 shown]
	v_mov_b32_e32 v3, v9
	v_add_nc_u32_e32 v49, 8, v16
	v_mul_lo_u32 v45, v14, s41
	v_mov_b32_e32 v44, v9
	v_add_nc_u32_e32 v51, 10, v16
	v_mul_lo_u32 v47, v40, s41
	v_lshlrev_b64 v[53:54], 1, v[8:9]
	v_mov_b32_e32 v46, v9
	v_mul_lo_u32 v49, v49, s41
	v_lshlrev_b64 v[2:3], 1, v[2:3]
	v_mov_b32_e32 v48, v9
	;; [unrolled: 3-line block ×3, first 2 shown]
	v_lshlrev_b64 v[45:46], 1, v[45:46]
	v_add_co_u32 v53, vcc_lo, s50, v53
	v_mov_b32_e32 v52, v9
	v_lshlrev_b64 v[47:48], 1, v[47:48]
	v_add_co_ci_u32_e64 v54, null, s51, v54, vcc_lo
	v_add_co_u32 v2, vcc_lo, s50, v2
	v_lshlrev_b64 v[49:50], 1, v[49:50]
	v_add_co_ci_u32_e64 v3, null, s51, v3, vcc_lo
	v_add_co_u32 v43, vcc_lo, s50, v43
	;; [unrolled: 3-line block ×3, first 2 shown]
	v_add_co_ci_u32_e64 v46, null, s51, v46, vcc_lo
	v_add_co_u32 v47, vcc_lo, s50, v47
	v_lshrrev_b32_e32 v1, 16, v1
	v_add_co_ci_u32_e64 v48, null, s51, v48, vcc_lo
	v_add_co_u32 v49, vcc_lo, s50, v49
	v_add_co_ci_u32_e64 v50, null, s51, v50, vcc_lo
	v_add_co_u32 v51, vcc_lo, s50, v51
	v_add_co_ci_u32_e64 v52, null, s51, v52, vcc_lo
	s_clause 0x6
	global_load_short_d16_hi v1, v[53:54], off
	global_load_ushort v2, v[2:3], off
	global_load_ushort v3, v[43:44], off
	;; [unrolled: 1-line block ×6, first 2 shown]
	v_add_nc_u32_e32 v8, 2, v15
	v_add_nc_u32_e32 v46, 12, v16
	;; [unrolled: 1-line block ×4, first 2 shown]
	v_mov_b32_e32 v47, v9
	v_mul_lo_u32 v8, v8, s40
	v_mul_lo_u32 v46, v46, s41
	;; [unrolled: 1-line block ×3, first 2 shown]
	v_mov_b32_e32 v49, v9
	v_add_nc_u32_e32 v40, 6, v15
	v_add_nc_u32_e32 v54, 8, v15
	;; [unrolled: 1-line block ×4, first 2 shown]
	v_lshlrev_b64 v[50:51], 1, v[8:9]
	v_mul_lo_u32 v8, v14, s40
	v_lshlrev_b64 v[46:47], 1, v[46:47]
	v_lshlrev_b64 v[48:49], 1, v[48:49]
	v_add_nc_u32_e32 v60, 14, v15
	v_add_nc_u32_e32 v41, -8, v41
	s_add_i32 s22, s22, 16
	v_add_nc_u32_e32 v16, 16, v16
	v_add_co_u32 v46, vcc_lo, s50, v46
	v_lshlrev_b64 v[52:53], 1, v[8:9]
	v_mul_lo_u32 v8, v40, s40
	v_add_co_ci_u32_e64 v47, null, s51, v47, vcc_lo
	v_add_co_u32 v48, vcc_lo, s50, v48
	v_add_co_ci_u32_e64 v49, null, s51, v49, vcc_lo
	v_add_co_u32 v50, vcc_lo, s50, v50
	v_add_co_ci_u32_e64 v51, null, s51, v51, vcc_lo
	global_load_ushort v14, v[46:47], off
	v_add_co_u32 v46, vcc_lo, s50, v52
	v_add_co_ci_u32_e64 v47, null, s51, v53, vcc_lo
	v_lshlrev_b64 v[52:53], 1, v[8:9]
	v_mul_lo_u32 v8, v54, s40
	v_add_nc_u32_e32 v15, 16, v15
	v_add_co_u32 v52, vcc_lo, s50, v52
	v_add_co_ci_u32_e64 v53, null, s51, v53, vcc_lo
	v_lshlrev_b64 v[54:55], 1, v[8:9]
	v_mul_lo_u32 v8, v56, s40
	v_add_co_u32 v54, vcc_lo, s50, v54
	v_add_co_ci_u32_e64 v55, null, s51, v55, vcc_lo
	v_lshlrev_b64 v[56:57], 1, v[8:9]
	v_mul_lo_u32 v8, v58, s40
	;; [unrolled: 4-line block ×3, first 2 shown]
	v_add_co_u32 v58, vcc_lo, s50, v58
	v_add_co_ci_u32_e64 v59, null, s51, v59, vcc_lo
	v_lshlrev_b64 v[60:61], 1, v[8:9]
	v_mov_b32_e32 v8, s22
	v_add_co_u32 v60, vcc_lo, s50, v60
	v_add_co_ci_u32_e64 v61, null, s51, v61, vcc_lo
	v_cmp_eq_u32_e32 vcc_lo, 0, v41
	s_clause 0x7
	global_load_short_d16_hi v2, v[50:51], off
	global_load_short_d16_hi v3, v[46:47], off
	;; [unrolled: 1-line block ×3, first 2 shown]
	global_load_ushort v47, v[60:61], off
	global_load_short_d16_hi v43, v[54:55], off
	global_load_short_d16_hi v44, v[56:57], off
	;; [unrolled: 1-line block ×3, first 2 shown]
	global_load_ushort v40, v[48:49], off
	s_or_b32 s21, vcc_lo, s21
	s_waitcnt vmcnt(5)
	ds_write_b128 v42, v[1:4]
	s_waitcnt vmcnt(4)
	v_perm_b32 v46, v47, v14, 0x5040100
	s_waitcnt vmcnt(0)
	v_perm_b32 v1, v40, v47, 0x5040100
	ds_write_b128 v42, v[43:46] offset:16
	v_add_nc_u32_e32 v42, 32, v42
	s_andn2_b32 exec_lo, exec_lo, s21
	s_cbranch_execnz .LBB98_32
; %bb.33:                               ;   in Loop: Header=BB98_6 Depth=1
	s_or_b32 exec_lo, exec_lo, s21
.LBB98_34:                              ;   in Loop: Header=BB98_6 Depth=1
	s_or_b32 exec_lo, exec_lo, s20
	s_and_saveexec_b32 s20, s9
	s_cbranch_execz .LBB98_38
; %bb.35:                               ;   in Loop: Header=BB98_6 Depth=1
	v_lshl_add_u32 v2, v8, 1, v20
	v_mov_b32_e32 v3, v28
	s_mov_b32 s21, 0
	s_inst_prefetch 0x1
	.p2align	6
.LBB98_36:                              ;   Parent Loop BB98_6 Depth=1
                                        ; =>  This Inner Loop Header: Depth=2
	v_mul_lo_u32 v8, v15, s40
	v_mul_lo_u32 v40, v16, s41
	v_mov_b32_e32 v41, v9
	v_add_nc_u32_e32 v3, -4, v3
	v_add_nc_u32_e32 v16, 2, v16
	v_add_nc_u32_e32 v15, 2, v15
	v_lshlrev_b64 v[42:43], 1, v[8:9]
	v_lshlrev_b64 v[40:41], 1, v[40:41]
	v_add_co_u32 v42, vcc_lo, s50, v42
	v_add_co_ci_u32_e64 v43, null, s51, v43, vcc_lo
	v_add_co_u32 v40, vcc_lo, s50, v40
	v_add_co_ci_u32_e64 v41, null, s51, v41, vcc_lo
	s_clause 0x1
	global_load_ushort v4, v[42:43], off
	global_load_ushort v40, v[40:41], off
	v_cmp_eq_u32_e32 vcc_lo, 0, v3
	s_or_b32 s21, vcc_lo, s21
	s_waitcnt vmcnt(1)
	v_alignbit_b32 v1, v4, v1, 16
	s_waitcnt vmcnt(0)
	v_perm_b32 v4, v40, v4, 0x5040100
	ds_write_b32 v2, v1
	v_add_nc_u32_e32 v2, 4, v2
	v_mov_b32_e32 v1, v4
	s_andn2_b32 exec_lo, exec_lo, s21
	s_cbranch_execnz .LBB98_36
; %bb.37:                               ;   in Loop: Header=BB98_6 Depth=1
	s_inst_prefetch 0x2
	s_or_b32 exec_lo, exec_lo, s21
.LBB98_38:                              ;   in Loop: Header=BB98_6 Depth=1
	s_or_b32 exec_lo, exec_lo, s20
	v_add_nc_u32_e32 v13, v13, v23
	v_mov_b32_e32 v1, v24
	s_orn2_b32 s20, s10, exec_lo
	v_add_nc_u32_e32 v2, -1, v13
.LBB98_39:                              ;   in Loop: Header=BB98_6 Depth=1
	s_or_b32 exec_lo, exec_lo, s6
	v_mov_b32_e32 v3, s18
	s_and_b32 s6, s20, exec_lo
	s_andn2_saveexec_b32 s19, s19
	s_cbranch_execz .LBB98_25
.LBB98_40:                              ;   in Loop: Header=BB98_6 Depth=1
	v_mov_b32_e32 v3, s18
	v_mov_b32_e32 v1, v0
	s_or_b32 s6, s6, exec_lo
	s_or_b32 exec_lo, exec_lo, s19
	s_and_saveexec_b32 s18, s6
	s_cbranch_execz .LBB98_44
.LBB98_41:                              ;   in Loop: Header=BB98_6 Depth=1
	v_mul_lo_u32 v8, s40, v13
	s_mov_b32 s19, 0
	s_sub_i32 s6, 0, s17
	.p2align	6
.LBB98_42:                              ;   Parent Loop BB98_6 Depth=1
                                        ; =>  This Inner Loop Header: Depth=2
	v_lshlrev_b64 v[14:15], 1, v[8:9]
	s_waitcnt vmcnt(0)
	v_mov_b32_e32 v2, v40
	v_mov_b32_e32 v4, v13
	v_add_nc_u32_e32 v8, v8, v3
	v_add_co_u32 v14, vcc_lo, s50, v14
	v_add_co_ci_u32_e64 v15, null, s51, v15, vcc_lo
	v_add_nc_u32_e32 v13, s17, v4
	global_load_ushort v40, v[14:15], off
	v_lshlrev_b32_e32 v14, 1, v1
	v_cmp_le_u32_e32 vcc_lo, s36, v13
	v_mov_b32_e32 v1, v4
	ds_write_b16 v14, v2
	s_or_b32 s19, vcc_lo, s19
	s_andn2_b32 exec_lo, exec_lo, s19
	s_cbranch_execnz .LBB98_42
; %bb.43:                               ;   in Loop: Header=BB98_6 Depth=1
	s_or_b32 exec_lo, exec_lo, s19
	v_add_nc_u32_e32 v2, s6, v13
.LBB98_44:                              ;   in Loop: Header=BB98_6 Depth=1
	s_or_b32 exec_lo, exec_lo, s18
.LBB98_45:                              ;   in Loop: Header=BB98_6 Depth=1
	s_or_b32 exec_lo, exec_lo, s16
	v_lshlrev_b32_e32 v1, 1, v2
	s_waitcnt vmcnt(0)
	ds_write_b16 v1, v40
.LBB98_46:                              ;   in Loop: Header=BB98_6 Depth=1
	s_or_b32 exec_lo, exec_lo, s14
	s_waitcnt lgkmcnt(0)
	s_barrier
	buffer_gl0_inv
	s_and_saveexec_b32 s6, s3
; %bb.47:                               ;   in Loop: Header=BB98_6 Depth=1
	v_mov_b32_e32 v1, s36
	ds_write_b32 v9, v1 offset:4096
; %bb.48:                               ;   in Loop: Header=BB98_6 Depth=1
	s_or_b32 exec_lo, exec_lo, s6
	s_mov_b32 s6, -1
	s_waitcnt lgkmcnt(0)
	s_barrier
.LBB98_49:                              ;   in Loop: Header=BB98_6 Depth=1
	s_and_b32 vcc_lo, exec_lo, s6
	s_mov_b32 s89, 0
	s_cbranch_vccz .LBB98_51
; %bb.50:                               ;   in Loop: Header=BB98_6 Depth=1
	buffer_gl0_inv
	ds_read_b32 v1, v9 offset:4096
	s_waitcnt lgkmcnt(0)
	v_readfirstlane_b32 s89, v1
.LBB98_51:                              ;   in Loop: Header=BB98_6 Depth=1
	s_cmp_lt_i32 s89, 1
	s_mov_b32 s6, -1
                                        ; implicit-def: $vgpr1
	s_cbranch_scc1 .LBB98_61
; %bb.52:                               ;   in Loop: Header=BB98_6 Depth=1
	s_and_b32 vcc_lo, exec_lo, s6
	s_cbranch_vccnz .LBB98_72
.LBB98_53:                              ;   in Loop: Header=BB98_6 Depth=1
	s_lshl_b32 s6, s78, 7
	s_and_saveexec_b32 s14, s0
.LBB98_54:                              ;   in Loop: Header=BB98_6 Depth=1
	v_lshl_add_u32 v8, s6, 2, v22
	ds_write_b128 v8, v[1:4]
.LBB98_55:                              ;   in Loop: Header=BB98_6 Depth=1
	s_or_b32 exec_lo, exec_lo, s14
	s_waitcnt lgkmcnt(0)
	s_barrier
	buffer_gl0_inv
	s_and_saveexec_b32 s14, s62
	s_cbranch_execz .LBB98_85
; %bb.56:                               ;   in Loop: Header=BB98_6 Depth=1
	v_mov_b32_e32 v1, 0
	s_andn2_b32 vcc_lo, exec_lo, s64
	s_cbranch_vccnz .LBB98_84
; %bb.57:                               ;   in Loop: Header=BB98_6 Depth=1
	s_andn2_b32 vcc_lo, exec_lo, s67
	s_cbranch_vccnz .LBB98_81
; %bb.58:                               ;   in Loop: Header=BB98_6 Depth=1
	v_lshl_add_u32 v2, s78, 9, v34
	v_mov_b32_e32 v1, 0
	s_mov_b32 s16, 0
	.p2align	6
.LBB98_59:                              ;   Parent Loop BB98_6 Depth=1
                                        ; =>  This Inner Loop Header: Depth=2
	ds_read2_b32 v[3:4], v2 offset1:4
	ds_read2_b32 v[13:14], v2 offset0:8 offset1:12
	ds_read2_b32 v[15:16], v2 offset0:16 offset1:20
	;; [unrolled: 1-line block ×3, first 2 shown]
	v_add_nc_u32_e32 v2, 0x80, v2
	s_add_i32 s16, s16, 8
	s_cmp_eq_u32 s61, s16
	s_waitcnt lgkmcnt(3)
	v_add3_u32 v1, v3, v1, v4
	s_waitcnt lgkmcnt(2)
	v_add3_u32 v1, v13, v1, v14
	;; [unrolled: 2-line block ×4, first 2 shown]
	s_cbranch_scc0 .LBB98_59
; %bb.60:                               ;   in Loop: Header=BB98_6 Depth=1
	s_mov_b32 s16, s61
	s_andn2_b32 vcc_lo, exec_lo, s68
	s_cbranch_vccz .LBB98_82
	s_branch .LBB98_84
.LBB98_61:                              ;   in Loop: Header=BB98_6 Depth=1
	v_mov_b32_e32 v1, 0
	v_mov_b32_e32 v2, 0
	;; [unrolled: 1-line block ×4, first 2 shown]
	s_and_saveexec_b32 s25, s11
	s_cbranch_execz .LBB98_65
; %bb.62:                               ;   in Loop: Header=BB98_6 Depth=1
	v_mov_b32_e32 v13, v19
	s_mov_b32 s26, 0
	s_mov_b32 s27, 0
	;; [unrolled: 1-line block ×6, first 2 shown]
.LBB98_63:                              ;   Parent Loop BB98_6 Depth=1
                                        ; =>  This Inner Loop Header: Depth=2
	v_add_nc_u32_e32 v8, s27, v31
	v_add_nc_u32_e32 v13, s60, v13
	v_lshlrev_b64 v[1:2], 1, v[8:9]
	v_add_nc_u32_e32 v8, s27, v12
	v_lshlrev_b64 v[3:4], 1, v[8:9]
	v_add_nc_u32_e32 v8, s27, v29
	v_add_co_u32 v1, vcc_lo, s50, v1
	v_add_co_ci_u32_e64 v2, null, s51, v2, vcc_lo
	v_lshlrev_b64 v[14:15], 1, v[8:9]
	v_add_nc_u32_e32 v8, s27, v30
	s_add_i32 s27, s27, s73
	global_load_ushort v16, v[1:2], off
	v_add_co_u32 v1, vcc_lo, s50, v3
	v_add_co_ci_u32_e64 v2, null, s51, v4, vcc_lo
	v_add_co_u32 v14, vcc_lo, s50, v14
	v_add_co_ci_u32_e64 v15, null, s51, v15, vcc_lo
	v_lshlrev_b64 v[3:4], 1, v[8:9]
	s_clause 0x1
	global_load_ushort v8, v[1:2], off
	global_load_ushort v14, v[14:15], off
	v_add_co_u32 v1, vcc_lo, s50, v3
	v_add_co_ci_u32_e64 v2, null, s51, v4, vcc_lo
	v_cmp_le_u32_e32 vcc_lo, s70, v13
	global_load_ushort v1, v[1:2], off
	s_waitcnt vmcnt(3)
	v_cmp_lt_i16_e64 s6, -1, v16
	v_cndmask_b32_e64 v2, 0xffff, v35, s6
	s_waitcnt vmcnt(2)
	v_cmp_lt_i16_e64 s6, -1, v8
	v_xor_b32_sdwa v2, v2, v16 dst_sel:DWORD dst_unused:UNUSED_PAD src0_sel:DWORD src1_sel:WORD_0
	s_waitcnt vmcnt(1)
	v_cmp_lt_i16_e64 s14, -1, v14
	v_cndmask_b32_e64 v3, 0xffff, v35, s6
	v_cmp_o_f16_e64 s6, v16, v16
	v_cndmask_b32_e64 v4, 0xffff, v35, s14
	v_xor_b32_sdwa v3, v3, v8 dst_sel:DWORD dst_unused:UNUSED_PAD src0_sel:DWORD src1_sel:WORD_0
	v_cndmask_b32_e64 v2, 0xffff, v2, s6
	v_cmp_o_f16_e64 s6, v8, v8
	v_xor_b32_sdwa v4, v4, v14 dst_sel:DWORD dst_unused:UNUSED_PAD src0_sel:DWORD src1_sel:WORD_0
	s_waitcnt vmcnt(0)
	v_cmp_o_f16_e64 s19, v1, v1
	v_and_b32_e32 v15, v2, v37
	v_cndmask_b32_e64 v3, 0xffff, v3, s6
	v_cmp_lt_i16_e64 s6, -1, v1
	v_bfe_u32 v2, v2, s82, 2
	v_cndmask_b32_e64 v8, 0xffff, v35, s6
	v_cmp_o_f16_e64 s6, v14, v14
	v_cmp_eq_u32_e64 s14, 0, v2
	v_and_b32_e32 v14, v3, v37
	v_bfe_u32 v3, v3, s82, 2
	v_xor_b32_sdwa v8, v8, v1 dst_sel:DWORD dst_unused:UNUSED_PAD src0_sel:DWORD src1_sel:WORD_0
	v_cndmask_b32_e64 v4, 0xffff, v4, s6
	v_cmp_eq_u32_e64 s6, v15, v27
	v_cmp_eq_u32_e64 s16, 1, v2
	;; [unrolled: 1-line block ×4, first 2 shown]
	v_cndmask_b32_e64 v1, 0xffff, v8, s19
	s_and_b32 s14, s6, s14
	v_cmp_eq_u32_e64 s19, v14, v27
	v_cmp_eq_u32_e64 s20, 0, v3
	v_cndmask_b32_e64 v8, 0, 1, s14
	v_cmp_eq_u32_e64 s14, 1, v3
	s_and_b32 s16, s6, s16
	v_and_b32_e32 v2, v4, v37
	v_bfe_u32 v4, v4, s82, 2
	v_cndmask_b32_e64 v14, 0, 1, s16
	v_cmp_eq_u32_e64 s16, 2, v3
	s_and_b32 s17, s6, s17
	s_and_b32 s6, s6, s18
	v_cndmask_b32_e64 v15, 0, 1, s17
	s_and_b32 s20, s19, s20
	s_and_b32 s14, s19, s14
	v_cmp_eq_u32_e64 s17, 3, v3
	v_cndmask_b32_e64 v3, 0, 1, s6
	v_cmp_eq_u32_e64 s6, v2, v27
	v_cmp_eq_u32_e64 s18, 0, v4
	v_cmp_ne_u32_e64 s21, 0, v8
	v_cndmask_b32_e64 v8, 0, 1, s20
	v_cmp_eq_u32_e64 s20, 1, v4
	v_cmp_ne_u32_e64 s22, 0, v14
	v_cndmask_b32_e64 v14, 0, 1, s14
	v_cmp_eq_u32_e64 s14, 2, v4
	s_and_b32 s16, s19, s16
	v_and_b32_e32 v2, v1, v37
	v_bfe_u32 v1, v1, s82, 2
	v_cmp_ne_u32_e64 s23, 0, v15
	v_cndmask_b32_e64 v15, 0, 1, s16
	v_cmp_eq_u32_e64 s16, 3, v4
	s_and_b32 s17, s19, s17
	s_and_b32 s18, s6, s18
	;; [unrolled: 1-line block ×4, first 2 shown]
	v_cmp_ne_u32_e64 s24, 0, v3
	v_cndmask_b32_e64 v3, 0, 1, s17
	v_cmp_eq_u32_e64 s17, v2, v27
	v_cmp_eq_u32_e64 s19, 0, v1
	s_bcnt1_i32_b32 s33, s21
	v_cmp_ne_u32_e64 s21, 0, v8
	v_cndmask_b32_e64 v2, 0, 1, s18
	v_cmp_eq_u32_e64 s18, 1, v1
	v_cndmask_b32_e64 v4, 0, 1, s20
	v_cmp_eq_u32_e64 s20, 2, v1
	;; [unrolled: 2-line block ×3, first 2 shown]
	s_and_b32 s6, s6, s16
	s_bcnt1_i32_b32 s91, s24
	v_cndmask_b32_e64 v1, 0, 1, s6
	v_cmp_ne_u32_e64 s24, 0, v3
	s_and_b32 s16, s17, s19
	s_and_b32 s18, s17, s18
	;; [unrolled: 1-line block ×4, first 2 shown]
	v_cmp_ne_u32_e64 s6, 0, v2
	v_cndmask_b32_e64 v2, 0, 1, s16
	v_cmp_ne_u32_e64 s16, 0, v4
	v_cndmask_b32_e64 v3, 0, 1, s18
	v_cndmask_b32_e64 v4, 0, 1, s19
	v_cmp_ne_u32_e64 s19, 0, v1
	v_cndmask_b32_e64 v1, 0, 1, s14
	s_bcnt1_i32_b32 s34, s22
	v_cmp_ne_u32_e64 s22, 0, v14
	s_bcnt1_i32_b32 s90, s23
	v_cmp_ne_u32_e64 s23, 0, v15
	s_add_i32 s28, s91, s28
	v_cmp_ne_u32_e64 s18, 0, v8
	s_bcnt1_i32_b32 s20, s24
	s_bcnt1_i32_b32 s24, s6
	s_add_i32 s20, s28, s20
	v_cmp_ne_u32_e64 s6, 0, v2
	s_bcnt1_i32_b32 s28, s16
	v_cmp_ne_u32_e64 s14, 0, v3
	v_cmp_ne_u32_e64 s16, 0, v4
	;; [unrolled: 1-line block ×3, first 2 shown]
	s_add_i32 s31, s33, s31
	s_add_i32 s30, s34, s30
	;; [unrolled: 1-line block ×3, first 2 shown]
	s_bcnt1_i32_b32 s21, s21
	s_bcnt1_i32_b32 s22, s22
	;; [unrolled: 1-line block ×3, first 2 shown]
	s_add_i32 s21, s31, s21
	s_add_i32 s22, s30, s22
	;; [unrolled: 1-line block ×3, first 2 shown]
	s_bcnt1_i32_b32 s18, s18
	s_bcnt1_i32_b32 s19, s19
	s_add_i32 s21, s21, s24
	s_add_i32 s22, s22, s28
	;; [unrolled: 1-line block ×4, first 2 shown]
	s_bcnt1_i32_b32 s6, s6
	s_bcnt1_i32_b32 s14, s14
	;; [unrolled: 1-line block ×4, first 2 shown]
	s_add_i32 s31, s21, s6
	s_add_i32 s30, s22, s14
	;; [unrolled: 1-line block ×4, first 2 shown]
	v_mov_b32_e32 v1, s31
	v_mov_b32_e32 v2, s30
	;; [unrolled: 1-line block ×4, first 2 shown]
	s_or_b32 s26, vcc_lo, s26
	s_andn2_b32 exec_lo, exec_lo, s26
	s_cbranch_execnz .LBB98_63
; %bb.64:                               ;   in Loop: Header=BB98_6 Depth=1
	s_or_b32 exec_lo, exec_lo, s26
.LBB98_65:                              ;   in Loop: Header=BB98_6 Depth=1
	s_or_b32 exec_lo, exec_lo, s25
	s_and_saveexec_b32 s18, s12
	s_cbranch_execz .LBB98_71
; %bb.66:                               ;   in Loop: Header=BB98_6 Depth=1
	global_load_ushort v15, v[10:11], off
	v_mov_b32_e32 v8, v32
	v_mov_b32_e32 v13, v25
	s_mov_b32 s19, 0
	s_branch .LBB98_68
.LBB98_67:                              ;   in Loop: Header=BB98_68 Depth=2
	s_or_b32 exec_lo, exec_lo, s14
	s_waitcnt vmcnt(0)
	v_cmp_lt_i16_e64 s6, -1, v15
	s_and_b32 s14, exec_lo, vcc_lo
	v_add_nc_u32_e32 v8, s53, v8
	s_or_b32 s19, s14, s19
	v_cndmask_b32_e64 v16, 0xffff, v35, s6
	v_cmp_o_f16_e64 s6, v15, v15
	v_xor_b32_sdwa v16, v16, v15 dst_sel:DWORD dst_unused:UNUSED_PAD src0_sel:DWORD src1_sel:WORD_0
	v_cndmask_b32_e64 v15, 0xffff, v16, s6
	v_and_b32_e32 v16, v15, v37
	v_bfe_u32 v15, v15, s82, 2
	v_cmp_eq_u32_e32 vcc_lo, v16, v27
	v_cmp_eq_u32_e64 s6, 0, v15
	v_cmp_eq_u32_e64 s14, 1, v15
	;; [unrolled: 1-line block ×4, first 2 shown]
	s_and_b32 s6, vcc_lo, s6
	v_cndmask_b32_e64 v15, 0, 1, s6
	s_and_b32 s6, vcc_lo, s14
	v_cndmask_b32_e64 v16, 0, 1, s6
	;; [unrolled: 2-line block ×3, first 2 shown]
	s_and_b32 s6, vcc_lo, s17
	v_cmp_ne_u32_e32 vcc_lo, 0, v15
	v_cndmask_b32_e64 v41, 0, 1, s6
	v_cmp_ne_u32_e64 s6, 0, v16
	v_cmp_ne_u32_e64 s14, 0, v40
	v_mov_b32_e32 v15, v14
	s_bcnt1_i32_b32 s17, vcc_lo
	v_cmp_ne_u32_e64 s16, 0, v41
	s_bcnt1_i32_b32 s6, s6
	s_bcnt1_i32_b32 s14, s14
	v_add_nc_u32_e32 v1, s17, v1
	v_add_nc_u32_e32 v2, s6, v2
	s_bcnt1_i32_b32 s16, s16
	v_add_nc_u32_e32 v3, s14, v3
	v_add_nc_u32_e32 v4, s16, v4
	s_andn2_b32 exec_lo, exec_lo, s19
	s_cbranch_execz .LBB98_70
.LBB98_68:                              ;   Parent Loop BB98_6 Depth=1
                                        ; =>  This Inner Loop Header: Depth=2
	v_add_nc_u32_e32 v13, s52, v13
	v_mov_b32_e32 v14, 0
	s_mov_b32 s14, exec_lo
	v_cmp_le_u32_e32 vcc_lo, s36, v13
	v_cmpx_gt_u32_e64 s36, v13
	s_cbranch_execz .LBB98_67
; %bb.69:                               ;   in Loop: Header=BB98_68 Depth=2
	v_lshlrev_b64 v[40:41], 1, v[8:9]
	v_add_co_u32 v40, s6, s50, v40
	v_add_co_ci_u32_e64 v41, null, s51, v41, s6
	global_load_ushort v14, v[40:41], off
	s_branch .LBB98_67
.LBB98_70:                              ;   in Loop: Header=BB98_6 Depth=1
	s_or_b32 exec_lo, exec_lo, s19
.LBB98_71:                              ;   in Loop: Header=BB98_6 Depth=1
	s_or_b32 exec_lo, exec_lo, s18
	s_branch .LBB98_53
.LBB98_72:                              ;   in Loop: Header=BB98_6 Depth=1
	s_mul_hi_u32 s6, s89, s69
	v_mov_b32_e32 v1, 0
	s_mul_i32 s6, s6, s60
	v_mov_b32_e32 v2, 0
	s_sub_i32 s6, s89, s6
	v_mov_b32_e32 v3, 0
	s_sub_i32 s14, s6, s60
	s_cmp_ge_u32 s6, s60
	v_mov_b32_e32 v4, 0
	s_cselect_b32 s6, s14, s6
	s_mov_b32 s91, exec_lo
	s_sub_i32 s14, s6, s60
	s_cmp_ge_u32 s6, s60
	s_cselect_b32 s6, s14, s6
	s_sub_i32 s90, s89, s6
	v_cmpx_gt_u32_e64 s90, v19
	s_cbranch_execz .LBB98_76
; %bb.73:                               ;   in Loop: Header=BB98_6 Depth=1
	v_mov_b32_e32 v8, v33
	v_mov_b32_e32 v13, v19
	s_mov_b32 s92, 0
	s_mov_b32 s93, 0
	;; [unrolled: 1-line block ×5, first 2 shown]
.LBB98_74:                              ;   Parent Loop BB98_6 Depth=1
                                        ; =>  This Inner Loop Header: Depth=2
	ds_read_b64 v[1:2], v8
	v_add_nc_u32_e32 v13, s60, v13
	v_add_nc_u32_e32 v8, s74, v8
	v_cmp_le_u32_e32 vcc_lo, s90, v13
	s_waitcnt lgkmcnt(0)
	v_cmp_lt_i16_e64 s6, -1, v1
	v_cmp_o_f16_e64 s17, v1, v1
	v_cmp_o_f16_e64 s14, v2, v2
	v_cmp_o_f16_sdwa s16, v2, v2 src0_sel:WORD_1 src1_sel:WORD_1
	v_cndmask_b32_e64 v3, 0xffff, v35, s6
	v_cmp_gt_i16_sdwa s6, v1, v36 src0_sel:WORD_1 src1_sel:DWORD
	v_xor_b32_sdwa v3, v3, v1 dst_sel:DWORD dst_unused:UNUSED_PAD src0_sel:DWORD src1_sel:WORD_0
	v_cndmask_b32_e64 v4, 0xffff, v35, s6
	v_cmp_lt_i16_e64 s6, -1, v2
	v_xor_b32_sdwa v4, v4, v1 dst_sel:DWORD dst_unused:UNUSED_PAD src0_sel:DWORD src1_sel:WORD_1
	v_cndmask_b32_e64 v14, 0xffff, v35, s6
	v_cmp_gt_i16_sdwa s6, v2, v36 src0_sel:WORD_1 src1_sel:DWORD
	v_xor_b32_sdwa v14, v14, v2 dst_sel:DWORD dst_unused:UNUSED_PAD src0_sel:DWORD src1_sel:WORD_0
	v_cndmask_b32_e64 v15, 0xffff, v35, s6
	v_cmp_o_f16_sdwa s6, v1, v1 src0_sel:WORD_1 src1_sel:WORD_1
	v_cndmask_b32_e64 v1, 0xffff, v3, s17
	v_cndmask_b32_e64 v3, 0xffff, v14, s14
	v_xor_b32_sdwa v15, v15, v2 dst_sel:DWORD dst_unused:UNUSED_PAD src0_sel:DWORD src1_sel:WORD_1
	v_cndmask_b32_e64 v2, 0xffff, v4, s6
	v_and_b32_e32 v14, v1, v37
	v_bfe_u32 v1, v1, s82, 2
	v_and_b32_e32 v16, v3, v37
	v_cndmask_b32_e64 v4, 0xffff, v15, s16
	v_and_b32_e32 v15, v2, v37
	v_bfe_u32 v2, v2, s82, 2
	v_bfe_u32 v3, v3, s82, 2
	v_cmp_eq_u32_e64 s6, v14, v27
	v_cmp_eq_u32_e64 s18, 0, v1
	v_and_b32_e32 v40, v4, v37
	v_bfe_u32 v4, v4, s82, 2
	v_cmp_eq_u32_e64 s14, v15, v27
	v_cmp_eq_u32_e64 s19, 0, v2
	;; [unrolled: 1-line block ×4, first 2 shown]
	s_and_b32 s18, s6, s18
	v_cmp_eq_u32_e64 s17, v40, v27
	v_cmp_eq_u32_e64 s21, 0, v4
	;; [unrolled: 1-line block ×5, first 2 shown]
	v_cndmask_b32_e64 v1, 0, 1, s18
	s_and_b32 s18, s14, s19
	v_cmp_eq_u32_e64 s23, 1, v2
	v_cmp_eq_u32_e64 s27, 2, v2
	v_cmp_eq_u32_e64 s31, 3, v2
	v_cndmask_b32_e64 v2, 0, 1, s18
	s_and_b32 s18, s16, s20
	v_cmp_eq_u32_e64 s24, 1, v3
	v_cmp_eq_u32_e64 s28, 2, v3
	v_cmp_eq_u32_e64 s33, 3, v3
	;; [unrolled: 5-line block ×3, first 2 shown]
	v_cndmask_b32_e64 v4, 0, 1, s18
	s_and_b32 s18, s6, s22
	v_cndmask_b32_e64 v14, 0, 1, s18
	s_and_b32 s18, s14, s23
	;; [unrolled: 2-line block ×4, first 2 shown]
	v_cmp_ne_u32_e64 s19, 0, v15
	v_cndmask_b32_e64 v40, 0, 1, s18
	s_and_b32 s18, s6, s26
	s_and_b32 s6, s6, s30
	v_cndmask_b32_e64 v41, 0, 1, s18
	s_and_b32 s18, s14, s27
	v_cndmask_b32_e64 v45, 0, 1, s6
	;; [unrolled: 2-line block ×7, first 2 shown]
	v_cndmask_b32_e64 v48, 0, 1, s6
	v_cmp_ne_u32_e64 s6, 0, v1
	v_cmp_ne_u32_e64 s18, 0, v14
	v_cmp_ne_u32_e64 s22, 0, v41
	v_cmp_ne_u32_e64 s26, 0, v45
	v_cmp_ne_u32_e64 s14, 0, v2
	v_cmp_ne_u32_e64 s23, 0, v42
	v_cmp_ne_u32_e64 s27, 0, v46
	v_cmp_ne_u32_e64 s16, 0, v3
	v_cmp_ne_u32_e64 s20, 0, v16
	v_cmp_ne_u32_e64 s24, 0, v43
	v_cmp_ne_u32_e64 s28, 0, v47
	s_bcnt1_i32_b32 s6, s6
	s_bcnt1_i32_b32 s18, s18
	;; [unrolled: 1-line block ×4, first 2 shown]
	v_cmp_ne_u32_e64 s17, 0, v4
	v_cmp_ne_u32_e64 s21, 0, v40
	;; [unrolled: 1-line block ×4, first 2 shown]
	s_bcnt1_i32_b32 s14, s14
	s_bcnt1_i32_b32 s19, s19
	s_bcnt1_i32_b32 s23, s23
	s_bcnt1_i32_b32 s27, s27
	s_add_i32 s6, s6, s96
	s_add_i32 s18, s18, s95
	s_add_i32 s22, s22, s94
	s_add_i32 s26, s26, s93
	s_bcnt1_i32_b32 s16, s16
	s_bcnt1_i32_b32 s20, s20
	s_bcnt1_i32_b32 s24, s24
	s_bcnt1_i32_b32 s28, s28
	s_add_i32 s6, s6, s14
	s_add_i32 s14, s18, s19
	s_add_i32 s18, s22, s23
	s_add_i32 s19, s26, s27
	;; [unrolled: 8-line block ×3, first 2 shown]
	s_add_i32 s96, s6, s17
	s_add_i32 s95, s14, s21
	;; [unrolled: 1-line block ×4, first 2 shown]
	v_mov_b32_e32 v1, s96
	v_mov_b32_e32 v2, s95
	;; [unrolled: 1-line block ×4, first 2 shown]
	s_or_b32 s92, vcc_lo, s92
	s_andn2_b32 exec_lo, exec_lo, s92
	s_cbranch_execnz .LBB98_74
; %bb.75:                               ;   in Loop: Header=BB98_6 Depth=1
	s_or_b32 exec_lo, exec_lo, s92
.LBB98_76:                              ;   in Loop: Header=BB98_6 Depth=1
	s_or_b32 exec_lo, exec_lo, s91
	v_add_nc_u32_e32 v8, s90, v0
	s_mov_b32 s19, exec_lo
	v_cmpx_gt_u32_e64 s89, v8
	s_cbranch_execz .LBB98_80
; %bb.77:                               ;   in Loop: Header=BB98_6 Depth=1
	v_lshlrev_b32_e32 v13, 1, v8
	s_mov_b32 s20, 0
.LBB98_78:                              ;   Parent Loop BB98_6 Depth=1
                                        ; =>  This Inner Loop Header: Depth=2
	ds_read_u16 v14, v13
	v_add_nc_u32_e32 v8, s52, v8
	v_add_nc_u32_e32 v13, s75, v13
	v_cmp_le_u32_e32 vcc_lo, s89, v8
	s_waitcnt lgkmcnt(0)
	v_cmp_lt_i16_e64 s6, -1, v14
	v_cndmask_b32_e64 v15, 0xffff, v35, s6
	v_cmp_o_f16_e64 s6, v14, v14
	v_xor_b32_sdwa v15, v15, v14 dst_sel:DWORD dst_unused:UNUSED_PAD src0_sel:DWORD src1_sel:WORD_0
	v_cndmask_b32_e64 v14, 0xffff, v15, s6
	v_and_b32_e32 v15, v14, v37
	v_bfe_u32 v14, v14, s82, 2
	v_cmp_eq_u32_e64 s6, v15, v27
	v_cmp_eq_u32_e64 s14, 0, v14
	;; [unrolled: 1-line block ×5, first 2 shown]
	s_and_b32 s14, s6, s14
	v_cndmask_b32_e64 v14, 0, 1, s14
	s_and_b32 s14, s6, s16
	v_cndmask_b32_e64 v15, 0, 1, s14
	s_and_b32 s14, s6, s17
	s_and_b32 s6, s6, s18
	v_cndmask_b32_e64 v16, 0, 1, s14
	v_cndmask_b32_e64 v40, 0, 1, s6
	v_cmp_ne_u32_e64 s6, 0, v14
	v_cmp_ne_u32_e64 s14, 0, v15
	v_cmp_ne_u32_e64 s16, 0, v16
	v_cmp_ne_u32_e64 s17, 0, v40
	s_bcnt1_i32_b32 s6, s6
	s_bcnt1_i32_b32 s14, s14
	v_add_nc_u32_e32 v1, s6, v1
	s_bcnt1_i32_b32 s16, s16
	s_bcnt1_i32_b32 s17, s17
	v_add_nc_u32_e32 v2, s14, v2
	v_add_nc_u32_e32 v3, s16, v3
	;; [unrolled: 1-line block ×3, first 2 shown]
	s_or_b32 s20, vcc_lo, s20
	s_andn2_b32 exec_lo, exec_lo, s20
	s_cbranch_execnz .LBB98_78
; %bb.79:                               ;   in Loop: Header=BB98_6 Depth=1
	s_or_b32 exec_lo, exec_lo, s20
.LBB98_80:                              ;   in Loop: Header=BB98_6 Depth=1
	s_or_b32 exec_lo, exec_lo, s19
	s_lshl_b32 s6, s78, 7
	s_and_saveexec_b32 s14, s0
	s_cbranch_execnz .LBB98_54
	s_branch .LBB98_55
.LBB98_81:                              ;   in Loop: Header=BB98_6 Depth=1
	v_mov_b32_e32 v1, 0
	s_mov_b32 s16, 0
	s_andn2_b32 vcc_lo, exec_lo, s68
	s_cbranch_vccnz .LBB98_84
.LBB98_82:                              ;   in Loop: Header=BB98_6 Depth=1
	s_lshl_b32 s17, s78, 9
	s_lshl_b32 s16, s16, 4
	v_add3_u32 v2, s17, s16, v34
	s_mov_b32 s16, s66
.LBB98_83:                              ;   Parent Loop BB98_6 Depth=1
                                        ; =>  This Inner Loop Header: Depth=2
	ds_read_b32 v3, v2
	v_add_nc_u32_e32 v2, 16, v2
	s_add_i32 s16, s16, -1
	s_cmp_lg_u32 s16, 0
	s_waitcnt lgkmcnt(0)
	v_add_nc_u32_e32 v1, v3, v1
	s_cbranch_scc1 .LBB98_83
.LBB98_84:                              ;   in Loop: Header=BB98_6 Depth=1
	v_add_lshl_u32 v2, s6, v18, 2
	ds_write_b32 v2, v1 offset:3072
.LBB98_85:                              ;   in Loop: Header=BB98_6 Depth=1
	s_or_b32 exec_lo, exec_lo, s14
	s_lshl_b32 s6, s6, 2
	s_waitcnt lgkmcnt(0)
	v_mov_b32_e32 v1, s6
	s_barrier
	buffer_gl0_inv
	v_cmp_eq_u32_e64 s14, 1, v39
	s_lshl_b32 s18, 3, s82
	ds_read_b128 v[1:4], v1 offset:3072
	s_mov_b32 s27, -1
	s_not_b32 s19, s18
	s_mov_b32 s16, 0
	s_andn2_b32 vcc_lo, exec_lo, s59
	s_mov_b32 s24, 0
	s_mov_b32 s23, 0
                                        ; implicit-def: $sgpr25
                                        ; implicit-def: $sgpr26
                                        ; implicit-def: $vgpr8
	s_waitcnt lgkmcnt(0)
	v_readfirstlane_b32 s17, v1
	v_readfirstlane_b32 s20, v2
	;; [unrolled: 1-line block ×4, first 2 shown]
                                        ; implicit-def: $vgpr4
                                        ; implicit-def: $vgpr1
                                        ; implicit-def: $vgpr2
                                        ; implicit-def: $vgpr3
	s_cbranch_vccnz .LBB98_251
; %bb.86:                               ;   in Loop: Header=BB98_6 Depth=1
	s_cmp_eq_u32 s17, 1
	v_mov_b32_e32 v2, v27
	v_mov_b32_e32 v3, v37
	;; [unrolled: 1-line block ×3, first 2 shown]
	s_cselect_b32 s6, -1, 0
	s_mov_b32 s29, -1
	s_and_b32 s6, s6, s14
                                        ; implicit-def: $sgpr26
                                        ; implicit-def: $sgpr25
	s_and_saveexec_b32 s23, s6
	s_cbranch_execz .LBB98_114
; %bb.87:                               ;   in Loop: Header=BB98_6 Depth=1
	ds_read_b32 v1, v9 offset:4096
	s_waitcnt lgkmcnt(0)
	s_barrier
	buffer_gl0_inv
	v_readfirstlane_b32 s27, v1
	s_and_saveexec_b32 s24, s15
; %bb.88:                               ;   in Loop: Header=BB98_6 Depth=1
	ds_write_b16 v21, v9
; %bb.89:                               ;   in Loop: Header=BB98_6 Depth=1
	s_or_b32 exec_lo, exec_lo, s24
	v_and_b32_e32 v2, s19, v27
	v_or_b32_e32 v3, s18, v37
	s_mov_b32 s25, -1
	s_mov_b32 s26, 0
	s_cmp_eq_u32 s27, 0
	s_mov_b32 s24, 0
	s_mov_b32 s28, -1
	s_waitcnt lgkmcnt(0)
	s_barrier
	buffer_gl0_inv
                                        ; implicit-def: $vgpr8
	s_cbranch_scc1 .LBB98_101
; %bb.90:                               ;   in Loop: Header=BB98_6 Depth=1
	s_add_i32 s24, s27, s65
                                        ; implicit-def: $vgpr8
	s_mul_hi_u32 s28, s24, s71
	s_mul_i32 s28, s28, s52
	s_sub_i32 s28, s24, s28
	s_sub_i32 s29, s28, s52
	s_cmp_ge_u32 s28, s52
	s_cselect_b32 s28, s29, s28
	s_sub_i32 s29, s28, s52
	s_cmp_ge_u32 s28, s52
	s_cselect_b32 s28, s29, s28
	s_mov_b32 s29, exec_lo
	s_sub_i32 s30, s24, s28
	s_mov_b32 s28, 0
	s_mov_b32 s24, 0
	v_cmpx_gt_u32_e64 s30, v0
	s_cbranch_execz .LBB98_100
; %bb.91:                               ;   in Loop: Header=BB98_6 Depth=1
	v_mov_b32_e32 v1, v20
	v_mov_b32_e32 v4, v0
                                        ; implicit-def: $sgpr31
	s_inst_prefetch 0x1
	s_branch .LBB98_95
	.p2align	6
.LBB98_92:                              ;   in Loop: Header=BB98_95 Depth=2
	s_or_b32 exec_lo, exec_lo, s33
	s_waitcnt lgkmcnt(0)
	s_barrier
	buffer_gl0_inv
	ds_read_b32 v8, v9 offset:3072
	s_waitcnt lgkmcnt(0)
	s_barrier
	buffer_gl0_inv
	v_cmp_neq_f16_e32 vcc_lo, 0, v8
	s_cbranch_vccnz .LBB98_98
; %bb.93:                               ;   in Loop: Header=BB98_95 Depth=2
	v_add_nc_u32_e32 v4, s52, v4
	v_add_nc_u32_e32 v1, s75, v1
	s_mov_b32 s33, 0
	v_cmp_le_u32_e32 vcc_lo, s30, v4
	s_orn2_b32 s34, vcc_lo, exec_lo
.LBB98_94:                              ;   in Loop: Header=BB98_95 Depth=2
	s_and_b32 s34, exec_lo, s34
	s_or_b32 s24, s34, s24
	s_andn2_b32 s31, s31, exec_lo
	s_and_b32 s33, s33, exec_lo
	s_or_b32 s31, s31, s33
	s_andn2_b32 exec_lo, exec_lo, s24
	s_cbranch_execz .LBB98_99
.LBB98_95:                              ;   Parent Loop BB98_6 Depth=1
                                        ; =>  This Inner Loop Header: Depth=2
	s_mov_b32 s33, exec_lo
	v_cmpx_gt_u32_e64 s27, v4
	s_cbranch_execz .LBB98_92
; %bb.96:                               ;   in Loop: Header=BB98_95 Depth=2
	ds_read_u16 v8, v1
	s_waitcnt lgkmcnt(0)
	v_cmp_lt_i16_e32 vcc_lo, -1, v8
	v_cndmask_b32_e32 v13, 0xffff, v35, vcc_lo
	v_cmp_o_f16_e32 vcc_lo, v8, v8
	v_xor_b32_sdwa v13, v13, v8 dst_sel:DWORD dst_unused:UNUSED_PAD src0_sel:DWORD src1_sel:WORD_0
	v_cndmask_b32_e32 v13, 0xffff, v13, vcc_lo
	v_and_b32_e32 v13, v13, v3
	v_cmp_eq_u32_e32 vcc_lo, v13, v2
	s_and_b32 exec_lo, exec_lo, vcc_lo
	s_cbranch_execz .LBB98_92
; %bb.97:                               ;   in Loop: Header=BB98_95 Depth=2
	v_perm_b32 v8, v8, s77, 0x5040100
	ds_write_b32 v9, v8 offset:3072
	s_branch .LBB98_92
.LBB98_98:                              ;   in Loop: Header=BB98_95 Depth=2
	s_mov_b32 s34, -1
	s_mov_b32 s33, -1
                                        ; implicit-def: $vgpr4
                                        ; implicit-def: $vgpr1
	s_branch .LBB98_94
.LBB98_99:                              ;   in Loop: Header=BB98_6 Depth=1
	s_inst_prefetch 0x2
	s_or_b32 exec_lo, exec_lo, s24
	v_lshrrev_b32_e32 v8, 16, v8
	s_and_b32 s24, s31, exec_lo
.LBB98_100:                             ;   in Loop: Header=BB98_6 Depth=1
	s_or_b32 exec_lo, exec_lo, s29
.LBB98_101:                             ;   in Loop: Header=BB98_6 Depth=1
	s_and_b32 vcc_lo, exec_lo, s28
	s_cbranch_vccz .LBB98_113
; %bb.102:                              ;   in Loop: Header=BB98_6 Depth=1
                                        ; implicit-def: $vgpr8
	s_and_saveexec_b32 s25, s13
	s_cbranch_execz .LBB98_112
; %bb.103:                              ;   in Loop: Header=BB98_6 Depth=1
	v_mov_b32_e32 v8, v7
	v_mov_b32_e32 v1, v0
	s_mov_b32 s26, 0
                                        ; implicit-def: $sgpr27
	s_branch .LBB98_107
.LBB98_104:                             ;   in Loop: Header=BB98_107 Depth=2
	s_or_b32 exec_lo, exec_lo, s28
	s_waitcnt lgkmcnt(0)
	s_barrier
	buffer_gl0_inv
	ds_read_b32 v4, v9 offset:3072
	s_waitcnt lgkmcnt(0)
	s_barrier
	buffer_gl0_inv
	v_cmp_neq_f16_e32 vcc_lo, 0, v4
	s_cbranch_vccnz .LBB98_110
; %bb.105:                              ;   in Loop: Header=BB98_107 Depth=2
	v_add_nc_u32_e32 v1, s52, v1
	v_add_nc_u32_e32 v8, s53, v8
	s_mov_b32 s28, 0
	v_cmp_le_u32_e32 vcc_lo, s72, v1
	s_orn2_b32 s29, vcc_lo, exec_lo
.LBB98_106:                             ;   in Loop: Header=BB98_107 Depth=2
	s_and_b32 s29, exec_lo, s29
	s_or_b32 s26, s29, s26
	s_andn2_b32 s27, s27, exec_lo
	s_and_b32 s28, s28, exec_lo
	s_or_b32 s27, s27, s28
	s_andn2_b32 exec_lo, exec_lo, s26
	s_cbranch_execz .LBB98_111
.LBB98_107:                             ;   Parent Loop BB98_6 Depth=1
                                        ; =>  This Inner Loop Header: Depth=2
	s_mov_b32 s28, exec_lo
	v_cmpx_gt_u32_e64 s36, v1
	s_cbranch_execz .LBB98_104
; %bb.108:                              ;   in Loop: Header=BB98_107 Depth=2
	v_lshlrev_b64 v[13:14], 1, v[8:9]
	v_add_co_u32 v13, vcc_lo, s50, v13
	v_add_co_ci_u32_e64 v14, null, s51, v14, vcc_lo
	global_load_ushort v4, v[13:14], off
	s_waitcnt vmcnt(0)
	v_cmp_lt_i16_e32 vcc_lo, -1, v4
	v_cndmask_b32_e32 v13, 0xffff, v35, vcc_lo
	v_cmp_o_f16_e32 vcc_lo, v4, v4
	v_xor_b32_sdwa v13, v13, v4 dst_sel:DWORD dst_unused:UNUSED_PAD src0_sel:DWORD src1_sel:WORD_0
	v_cndmask_b32_e32 v13, 0xffff, v13, vcc_lo
	v_and_b32_e32 v13, v13, v3
	v_cmp_eq_u32_e32 vcc_lo, v13, v2
	s_and_b32 exec_lo, exec_lo, vcc_lo
	s_cbranch_execz .LBB98_104
; %bb.109:                              ;   in Loop: Header=BB98_107 Depth=2
	v_perm_b32 v4, v4, s77, 0x5040100
	ds_write_b32 v9, v4 offset:3072
	s_branch .LBB98_104
.LBB98_110:                             ;   in Loop: Header=BB98_107 Depth=2
	s_mov_b32 s29, -1
	s_mov_b32 s28, -1
                                        ; implicit-def: $vgpr1
	s_branch .LBB98_106
.LBB98_111:                             ;   in Loop: Header=BB98_6 Depth=1
	s_or_b32 exec_lo, exec_lo, s26
	v_lshrrev_b32_e32 v8, 16, v4
	s_andn2_b32 s24, s24, exec_lo
	s_and_b32 s26, s27, exec_lo
	s_or_b32 s24, s24, s26
.LBB98_112:                             ;   in Loop: Header=BB98_6 Depth=1
	s_or_b32 exec_lo, exec_lo, s25
	s_mov_b32 s25, 0
	s_mov_b32 s26, -1
.LBB98_113:                             ;   in Loop: Header=BB98_6 Depth=1
	s_orn2_b32 s29, s24, exec_lo
.LBB98_114:                             ;   in Loop: Header=BB98_6 Depth=1
	s_or_b32 exec_lo, exec_lo, s23
	s_mov_b32 s27, 0
	s_mov_b32 s24, 0
	;; [unrolled: 1-line block ×3, first 2 shown]
                                        ; implicit-def: $vgpr4
                                        ; implicit-def: $vgpr1
	s_and_saveexec_b32 s28, s29
	s_cbranch_execz .LBB98_250
; %bb.115:                              ;   in Loop: Header=BB98_6 Depth=1
	v_mov_b32_e32 v4, 1
	v_mov_b32_e32 v1, 1
	s_xor_b32 s23, s6, -1
	s_mov_b32 s30, 0
	s_and_saveexec_b32 s6, s23
	s_cbranch_execz .LBB98_124
; %bb.116:                              ;   in Loop: Header=BB98_6 Depth=1
	s_mov_b32 s23, exec_lo
	v_cmpx_ge_u32_e64 s17, v39
	s_xor_b32 s23, exec_lo, s23
	s_cbranch_execz .LBB98_121
; %bb.117:                              ;   in Loop: Header=BB98_6 Depth=1
	ds_read_b32 v1, v9 offset:4096
	v_and_b32_e32 v2, s19, v2
	v_or_b32_e32 v3, s18, v3
	s_waitcnt lgkmcnt(0)
	v_cmp_ne_u32_e32 vcc_lo, 0, v1
	s_cbranch_vccnz .LBB98_121
; %bb.118:                              ;   in Loop: Header=BB98_6 Depth=1
	s_and_saveexec_b32 s24, s3
; %bb.119:                              ;   in Loop: Header=BB98_6 Depth=1
	v_mov_b32_e32 v1, s17
	ds_write_b32 v9, v1 offset:4100
; %bb.120:                              ;   in Loop: Header=BB98_6 Depth=1
	s_or_b32 exec_lo, exec_lo, s24
	s_waitcnt lgkmcnt(0)
	s_barrier
	buffer_gl0_inv
.LBB98_121:                             ;   in Loop: Header=BB98_6 Depth=1
	s_or_saveexec_b32 s23, s23
	v_mov_b32_e32 v1, 8
	v_mov_b32_e32 v4, v39
	s_mov_b32 s24, 0
	s_xor_b32 exec_lo, exec_lo, s23
; %bb.122:                              ;   in Loop: Header=BB98_6 Depth=1
	v_subrev_nc_u32_e32 v4, s17, v39
	v_mov_b32_e32 v1, 0
	s_mov_b32 s24, exec_lo
; %bb.123:                              ;   in Loop: Header=BB98_6 Depth=1
	s_or_b32 exec_lo, exec_lo, s23
	s_and_b32 s30, s24, exec_lo
.LBB98_124:                             ;   in Loop: Header=BB98_6 Depth=1
	s_or_b32 exec_lo, exec_lo, s6
	s_mov_b32 s29, -1
                                        ; implicit-def: $sgpr23
                                        ; implicit-def: $sgpr24
	s_and_saveexec_b32 s6, s30
	s_xor_b32 s6, exec_lo, s6
	s_cbranch_execz .LBB98_247
; %bb.125:                              ;   in Loop: Header=BB98_6 Depth=1
	v_cmp_eq_u32_e32 vcc_lo, 1, v4
	s_cmp_eq_u32 s20, 1
	s_mov_b32 s31, -1
	s_cselect_b32 s23, -1, 0
                                        ; implicit-def: $sgpr24
	s_and_b32 s30, s23, vcc_lo
                                        ; implicit-def: $sgpr23
	s_and_saveexec_b32 s29, s30
	s_cbranch_execz .LBB98_153
; %bb.126:                              ;   in Loop: Header=BB98_6 Depth=1
	ds_read_b32 v8, v9 offset:4096
	s_waitcnt lgkmcnt(0)
	s_barrier
	buffer_gl0_inv
	v_readfirstlane_b32 s33, v8
	s_and_saveexec_b32 s23, s15
; %bb.127:                              ;   in Loop: Header=BB98_6 Depth=1
	ds_write_b16 v21, v9
; %bb.128:                              ;   in Loop: Header=BB98_6 Depth=1
	s_or_b32 exec_lo, exec_lo, s23
	s_lshl_b32 s23, 1, s82
	v_or_b32_e32 v3, s18, v3
	v_and_or_b32 v2, v2, s19, s23
	s_mov_b32 s23, -1
	s_mov_b32 s24, 0
	s_cmp_eq_u32 s33, 0
	s_mov_b32 s31, 0
	s_mov_b32 s34, -1
	s_waitcnt lgkmcnt(0)
	s_barrier
	buffer_gl0_inv
                                        ; implicit-def: $vgpr8
	s_cbranch_scc1 .LBB98_140
; %bb.129:                              ;   in Loop: Header=BB98_6 Depth=1
	s_add_i32 s31, s33, s65
                                        ; implicit-def: $vgpr8
	s_mul_hi_u32 s34, s31, s71
	s_mul_i32 s34, s34, s52
	s_sub_i32 s34, s31, s34
	s_sub_i32 s89, s34, s52
	s_cmp_ge_u32 s34, s52
	s_cselect_b32 s34, s89, s34
	s_sub_i32 s89, s34, s52
	s_cmp_ge_u32 s34, s52
	s_cselect_b32 s34, s89, s34
	s_mov_b32 s89, exec_lo
	s_sub_i32 s90, s31, s34
	s_mov_b32 s34, 0
	s_mov_b32 s31, 0
	v_cmpx_gt_u32_e64 s90, v0
	s_cbranch_execz .LBB98_139
; %bb.130:                              ;   in Loop: Header=BB98_6 Depth=1
	v_mov_b32_e32 v8, v20
	v_mov_b32_e32 v13, v0
                                        ; implicit-def: $sgpr91
	s_inst_prefetch 0x1
	s_branch .LBB98_134
	.p2align	6
.LBB98_131:                             ;   in Loop: Header=BB98_134 Depth=2
	s_or_b32 exec_lo, exec_lo, s92
	s_waitcnt lgkmcnt(0)
	s_barrier
	buffer_gl0_inv
	ds_read_b32 v14, v9 offset:3072
	s_waitcnt lgkmcnt(0)
	s_barrier
	buffer_gl0_inv
	v_cmp_neq_f16_e32 vcc_lo, 0, v14
	s_cbranch_vccnz .LBB98_137
; %bb.132:                              ;   in Loop: Header=BB98_134 Depth=2
	v_add_nc_u32_e32 v13, s52, v13
	v_add_nc_u32_e32 v8, s75, v8
	s_mov_b32 s92, 0
	v_cmp_le_u32_e32 vcc_lo, s90, v13
	s_orn2_b32 s93, vcc_lo, exec_lo
.LBB98_133:                             ;   in Loop: Header=BB98_134 Depth=2
	s_and_b32 s93, exec_lo, s93
	s_or_b32 s31, s93, s31
	s_andn2_b32 s91, s91, exec_lo
	s_and_b32 s92, s92, exec_lo
	s_or_b32 s91, s91, s92
	s_andn2_b32 exec_lo, exec_lo, s31
	s_cbranch_execz .LBB98_138
.LBB98_134:                             ;   Parent Loop BB98_6 Depth=1
                                        ; =>  This Inner Loop Header: Depth=2
	s_mov_b32 s92, exec_lo
	v_cmpx_gt_u32_e64 s33, v13
	s_cbranch_execz .LBB98_131
; %bb.135:                              ;   in Loop: Header=BB98_134 Depth=2
	ds_read_u16 v14, v8
	s_waitcnt lgkmcnt(0)
	v_cmp_lt_i16_e32 vcc_lo, -1, v14
	v_cndmask_b32_e32 v15, 0xffff, v35, vcc_lo
	v_cmp_o_f16_e32 vcc_lo, v14, v14
	v_xor_b32_sdwa v15, v15, v14 dst_sel:DWORD dst_unused:UNUSED_PAD src0_sel:DWORD src1_sel:WORD_0
	v_cndmask_b32_e32 v15, 0xffff, v15, vcc_lo
	v_and_b32_e32 v15, v15, v3
	v_cmp_eq_u32_e32 vcc_lo, v15, v2
	s_and_b32 exec_lo, exec_lo, vcc_lo
	s_cbranch_execz .LBB98_131
; %bb.136:                              ;   in Loop: Header=BB98_134 Depth=2
	v_perm_b32 v14, v14, s77, 0x5040100
	ds_write_b32 v9, v14 offset:3072
	s_branch .LBB98_131
.LBB98_137:                             ;   in Loop: Header=BB98_134 Depth=2
	s_mov_b32 s93, -1
	s_mov_b32 s92, -1
                                        ; implicit-def: $vgpr13
                                        ; implicit-def: $vgpr8
	s_branch .LBB98_133
.LBB98_138:                             ;   in Loop: Header=BB98_6 Depth=1
	s_inst_prefetch 0x2
	s_or_b32 exec_lo, exec_lo, s31
	v_lshrrev_b32_e32 v8, 16, v14
	s_and_b32 s31, s91, exec_lo
.LBB98_139:                             ;   in Loop: Header=BB98_6 Depth=1
	s_or_b32 exec_lo, exec_lo, s89
.LBB98_140:                             ;   in Loop: Header=BB98_6 Depth=1
	s_and_b32 vcc_lo, exec_lo, s34
	s_cbranch_vccz .LBB98_152
; %bb.141:                              ;   in Loop: Header=BB98_6 Depth=1
                                        ; implicit-def: $vgpr8
	s_and_saveexec_b32 s23, s13
	s_cbranch_execz .LBB98_151
; %bb.142:                              ;   in Loop: Header=BB98_6 Depth=1
	v_mov_b32_e32 v8, v7
	v_mov_b32_e32 v13, v0
	s_mov_b32 s24, 0
                                        ; implicit-def: $sgpr33
	s_branch .LBB98_146
.LBB98_143:                             ;   in Loop: Header=BB98_146 Depth=2
	s_or_b32 exec_lo, exec_lo, s34
	s_waitcnt lgkmcnt(0)
	s_barrier
	buffer_gl0_inv
	ds_read_b32 v14, v9 offset:3072
	s_waitcnt lgkmcnt(0)
	s_barrier
	buffer_gl0_inv
	v_cmp_eq_f16_e32 vcc_lo, 0, v14
	s_cbranch_vccz .LBB98_149
; %bb.144:                              ;   in Loop: Header=BB98_146 Depth=2
	v_add_nc_u32_e32 v13, s52, v13
	v_add_nc_u32_e32 v8, s53, v8
	s_mov_b32 s34, 0
	v_cmp_le_u32_e32 vcc_lo, s72, v13
	s_orn2_b32 s89, vcc_lo, exec_lo
.LBB98_145:                             ;   in Loop: Header=BB98_146 Depth=2
	s_and_b32 s89, exec_lo, s89
	s_or_b32 s24, s89, s24
	s_andn2_b32 s33, s33, exec_lo
	s_and_b32 s34, s34, exec_lo
	s_or_b32 s33, s33, s34
	s_andn2_b32 exec_lo, exec_lo, s24
	s_cbranch_execz .LBB98_150
.LBB98_146:                             ;   Parent Loop BB98_6 Depth=1
                                        ; =>  This Inner Loop Header: Depth=2
	s_mov_b32 s34, exec_lo
	v_cmpx_gt_u32_e64 s36, v13
	s_cbranch_execz .LBB98_143
; %bb.147:                              ;   in Loop: Header=BB98_146 Depth=2
	v_lshlrev_b64 v[14:15], 1, v[8:9]
	v_add_co_u32 v14, vcc_lo, s50, v14
	v_add_co_ci_u32_e64 v15, null, s51, v15, vcc_lo
	global_load_ushort v14, v[14:15], off
	s_waitcnt vmcnt(0)
	v_cmp_lt_i16_e32 vcc_lo, -1, v14
	v_cndmask_b32_e32 v15, 0xffff, v35, vcc_lo
	v_cmp_o_f16_e32 vcc_lo, v14, v14
	v_xor_b32_sdwa v15, v15, v14 dst_sel:DWORD dst_unused:UNUSED_PAD src0_sel:DWORD src1_sel:WORD_0
	v_cndmask_b32_e32 v15, 0xffff, v15, vcc_lo
	v_and_b32_e32 v15, v15, v3
	v_cmp_eq_u32_e32 vcc_lo, v15, v2
	s_and_b32 exec_lo, exec_lo, vcc_lo
	s_cbranch_execz .LBB98_143
; %bb.148:                              ;   in Loop: Header=BB98_146 Depth=2
	v_perm_b32 v14, v14, s77, 0x5040100
	ds_write_b32 v9, v14 offset:3072
	s_branch .LBB98_143
.LBB98_149:                             ;   in Loop: Header=BB98_146 Depth=2
	s_mov_b32 s89, -1
	s_mov_b32 s34, -1
                                        ; implicit-def: $vgpr13
	s_branch .LBB98_145
.LBB98_150:                             ;   in Loop: Header=BB98_6 Depth=1
	s_or_b32 exec_lo, exec_lo, s24
	v_lshrrev_b32_e32 v8, 16, v14
	s_andn2_b32 s24, s31, exec_lo
	s_and_b32 s31, s33, exec_lo
	s_or_b32 s31, s24, s31
.LBB98_151:                             ;   in Loop: Header=BB98_6 Depth=1
	s_or_b32 exec_lo, exec_lo, s23
	s_mov_b32 s23, 0
	s_mov_b32 s24, -1
.LBB98_152:                             ;   in Loop: Header=BB98_6 Depth=1
	s_orn2_b32 s31, s31, exec_lo
.LBB98_153:                             ;   in Loop: Header=BB98_6 Depth=1
	s_or_b32 exec_lo, exec_lo, s29
	s_mov_b32 s33, 0
	s_and_saveexec_b32 s29, s31
	s_cbranch_execz .LBB98_246
; %bb.154:                              ;   in Loop: Header=BB98_6 Depth=1
	v_mov_b32_e32 v13, 1
	v_mov_b32_e32 v1, 1
	s_xor_b32 s31, s30, -1
	s_mov_b32 s89, 0
	s_and_saveexec_b32 s30, s31
	s_cbranch_execz .LBB98_163
; %bb.155:                              ;   in Loop: Header=BB98_6 Depth=1
	s_mov_b32 s31, exec_lo
	v_cmpx_ge_u32_e64 s20, v4
	s_xor_b32 s31, exec_lo, s31
	s_cbranch_execz .LBB98_160
; %bb.156:                              ;   in Loop: Header=BB98_6 Depth=1
	ds_read_b32 v1, v9 offset:4096
	s_lshl_b32 s33, 1, s82
	v_or_b32_e32 v3, s18, v3
	v_and_or_b32 v2, v2, s19, s33
	s_waitcnt lgkmcnt(0)
	v_cmp_ne_u32_e32 vcc_lo, 0, v1
	s_cbranch_vccnz .LBB98_160
; %bb.157:                              ;   in Loop: Header=BB98_6 Depth=1
	s_and_saveexec_b32 s33, s3
; %bb.158:                              ;   in Loop: Header=BB98_6 Depth=1
	v_mov_b32_e32 v1, s20
	ds_write_b32 v9, v1 offset:4100
; %bb.159:                              ;   in Loop: Header=BB98_6 Depth=1
	s_or_b32 exec_lo, exec_lo, s33
	s_waitcnt lgkmcnt(0)
	s_barrier
	buffer_gl0_inv
.LBB98_160:                             ;   in Loop: Header=BB98_6 Depth=1
	s_or_saveexec_b32 s31, s31
	v_mov_b32_e32 v1, 8
	s_mov_b32 s33, 0
	s_xor_b32 exec_lo, exec_lo, s31
; %bb.161:                              ;   in Loop: Header=BB98_6 Depth=1
	v_subrev_nc_u32_e32 v4, s20, v4
	v_mov_b32_e32 v1, 0
	s_mov_b32 s33, exec_lo
; %bb.162:                              ;   in Loop: Header=BB98_6 Depth=1
	s_or_b32 exec_lo, exec_lo, s31
	v_mov_b32_e32 v13, v4
	s_and_b32 s89, s33, exec_lo
.LBB98_163:                             ;   in Loop: Header=BB98_6 Depth=1
	s_or_b32 exec_lo, exec_lo, s30
	s_mov_b32 s34, -1
                                        ; implicit-def: $sgpr31
                                        ; implicit-def: $sgpr33
	s_and_saveexec_b32 s30, s89
	s_cbranch_execz .LBB98_245
; %bb.164:                              ;   in Loop: Header=BB98_6 Depth=1
	v_cmp_eq_u32_e32 vcc_lo, 1, v13
	s_cmp_eq_u32 s21, 1
	s_mov_b32 s90, -1
	s_cselect_b32 s31, -1, 0
                                        ; implicit-def: $sgpr33
	s_and_b32 s89, s31, vcc_lo
                                        ; implicit-def: $sgpr31
	s_and_saveexec_b32 s34, s89
	s_cbranch_execz .LBB98_192
; %bb.165:                              ;   in Loop: Header=BB98_6 Depth=1
	ds_read_b32 v4, v9 offset:4096
	s_waitcnt lgkmcnt(0)
	s_barrier
	buffer_gl0_inv
	v_readfirstlane_b32 s91, v4
	s_and_saveexec_b32 s31, s15
; %bb.166:                              ;   in Loop: Header=BB98_6 Depth=1
	ds_write_b16 v21, v9
; %bb.167:                              ;   in Loop: Header=BB98_6 Depth=1
	s_or_b32 exec_lo, exec_lo, s31
	s_lshl_b32 s31, 2, s82
	v_or_b32_e32 v3, s18, v3
	v_and_or_b32 v2, v2, s19, s31
	s_mov_b32 s31, -1
	s_mov_b32 s33, 0
	s_cmp_eq_u32 s91, 0
	s_mov_b32 s90, 0
	s_mov_b32 s92, -1
	s_waitcnt lgkmcnt(0)
	s_barrier
	buffer_gl0_inv
                                        ; implicit-def: $vgpr8
	s_cbranch_scc1 .LBB98_179
; %bb.168:                              ;   in Loop: Header=BB98_6 Depth=1
	s_add_i32 s90, s91, s65
                                        ; implicit-def: $vgpr8
	s_mul_hi_u32 s92, s90, s71
	s_mul_i32 s92, s92, s52
	s_sub_i32 s92, s90, s92
	s_sub_i32 s93, s92, s52
	s_cmp_ge_u32 s92, s52
	s_cselect_b32 s92, s93, s92
	s_sub_i32 s93, s92, s52
	s_cmp_ge_u32 s92, s52
	s_cselect_b32 s92, s93, s92
	s_mov_b32 s93, exec_lo
	s_sub_i32 s94, s90, s92
	s_mov_b32 s92, 0
	s_mov_b32 s90, 0
	v_cmpx_gt_u32_e64 s94, v0
	s_cbranch_execz .LBB98_178
; %bb.169:                              ;   in Loop: Header=BB98_6 Depth=1
	v_mov_b32_e32 v4, v20
	v_mov_b32_e32 v8, v0
                                        ; implicit-def: $sgpr95
	s_inst_prefetch 0x1
	s_branch .LBB98_173
	.p2align	6
.LBB98_170:                             ;   in Loop: Header=BB98_173 Depth=2
	s_or_b32 exec_lo, exec_lo, s96
	s_waitcnt lgkmcnt(0)
	s_barrier
	buffer_gl0_inv
	ds_read_b32 v14, v9 offset:3072
	s_waitcnt lgkmcnt(0)
	s_barrier
	buffer_gl0_inv
	v_cmp_neq_f16_e32 vcc_lo, 0, v14
	s_cbranch_vccnz .LBB98_176
; %bb.171:                              ;   in Loop: Header=BB98_173 Depth=2
	v_add_nc_u32_e32 v8, s52, v8
	v_add_nc_u32_e32 v4, s75, v4
	s_mov_b32 s96, 0
	v_cmp_le_u32_e32 vcc_lo, s94, v8
	s_orn2_b32 s97, vcc_lo, exec_lo
.LBB98_172:                             ;   in Loop: Header=BB98_173 Depth=2
	s_and_b32 s97, exec_lo, s97
	s_or_b32 s90, s97, s90
	s_andn2_b32 s95, s95, exec_lo
	s_and_b32 s96, s96, exec_lo
	s_or_b32 s95, s95, s96
	s_andn2_b32 exec_lo, exec_lo, s90
	s_cbranch_execz .LBB98_177
.LBB98_173:                             ;   Parent Loop BB98_6 Depth=1
                                        ; =>  This Inner Loop Header: Depth=2
	s_mov_b32 s96, exec_lo
	v_cmpx_gt_u32_e64 s91, v8
	s_cbranch_execz .LBB98_170
; %bb.174:                              ;   in Loop: Header=BB98_173 Depth=2
	ds_read_u16 v14, v4
	s_waitcnt lgkmcnt(0)
	v_cmp_lt_i16_e32 vcc_lo, -1, v14
	v_cndmask_b32_e32 v15, 0xffff, v35, vcc_lo
	v_cmp_o_f16_e32 vcc_lo, v14, v14
	v_xor_b32_sdwa v15, v15, v14 dst_sel:DWORD dst_unused:UNUSED_PAD src0_sel:DWORD src1_sel:WORD_0
	v_cndmask_b32_e32 v15, 0xffff, v15, vcc_lo
	v_and_b32_e32 v15, v15, v3
	v_cmp_eq_u32_e32 vcc_lo, v15, v2
	s_and_b32 exec_lo, exec_lo, vcc_lo
	s_cbranch_execz .LBB98_170
; %bb.175:                              ;   in Loop: Header=BB98_173 Depth=2
	v_perm_b32 v14, v14, s77, 0x5040100
	ds_write_b32 v9, v14 offset:3072
	s_branch .LBB98_170
.LBB98_176:                             ;   in Loop: Header=BB98_173 Depth=2
	s_mov_b32 s97, -1
	s_mov_b32 s96, -1
                                        ; implicit-def: $vgpr8
                                        ; implicit-def: $vgpr4
	s_branch .LBB98_172
.LBB98_177:                             ;   in Loop: Header=BB98_6 Depth=1
	s_inst_prefetch 0x2
	s_or_b32 exec_lo, exec_lo, s90
	v_lshrrev_b32_e32 v8, 16, v14
	s_and_b32 s90, s95, exec_lo
.LBB98_178:                             ;   in Loop: Header=BB98_6 Depth=1
	s_or_b32 exec_lo, exec_lo, s93
.LBB98_179:                             ;   in Loop: Header=BB98_6 Depth=1
	s_and_b32 vcc_lo, exec_lo, s92
	s_cbranch_vccz .LBB98_191
; %bb.180:                              ;   in Loop: Header=BB98_6 Depth=1
                                        ; implicit-def: $vgpr8
	s_and_saveexec_b32 s31, s13
	s_cbranch_execz .LBB98_190
; %bb.181:                              ;   in Loop: Header=BB98_6 Depth=1
	v_mov_b32_e32 v8, v7
	v_mov_b32_e32 v4, v0
	s_mov_b32 s33, 0
                                        ; implicit-def: $sgpr91
	s_branch .LBB98_185
.LBB98_182:                             ;   in Loop: Header=BB98_185 Depth=2
	s_or_b32 exec_lo, exec_lo, s92
	s_waitcnt lgkmcnt(0)
	s_barrier
	buffer_gl0_inv
	ds_read_b32 v14, v9 offset:3072
	s_waitcnt lgkmcnt(0)
	s_barrier
	buffer_gl0_inv
	v_cmp_eq_f16_e32 vcc_lo, 0, v14
	s_cbranch_vccz .LBB98_188
; %bb.183:                              ;   in Loop: Header=BB98_185 Depth=2
	v_add_nc_u32_e32 v4, s52, v4
	v_add_nc_u32_e32 v8, s53, v8
	s_mov_b32 s92, 0
	v_cmp_le_u32_e32 vcc_lo, s72, v4
	s_orn2_b32 s93, vcc_lo, exec_lo
.LBB98_184:                             ;   in Loop: Header=BB98_185 Depth=2
	s_and_b32 s93, exec_lo, s93
	s_or_b32 s33, s93, s33
	s_andn2_b32 s91, s91, exec_lo
	s_and_b32 s92, s92, exec_lo
	s_or_b32 s91, s91, s92
	s_andn2_b32 exec_lo, exec_lo, s33
	s_cbranch_execz .LBB98_189
.LBB98_185:                             ;   Parent Loop BB98_6 Depth=1
                                        ; =>  This Inner Loop Header: Depth=2
	s_mov_b32 s92, exec_lo
	v_cmpx_gt_u32_e64 s36, v4
	s_cbranch_execz .LBB98_182
; %bb.186:                              ;   in Loop: Header=BB98_185 Depth=2
	v_lshlrev_b64 v[14:15], 1, v[8:9]
	v_add_co_u32 v14, vcc_lo, s50, v14
	v_add_co_ci_u32_e64 v15, null, s51, v15, vcc_lo
	global_load_ushort v14, v[14:15], off
	s_waitcnt vmcnt(0)
	v_cmp_lt_i16_e32 vcc_lo, -1, v14
	v_cndmask_b32_e32 v15, 0xffff, v35, vcc_lo
	v_cmp_o_f16_e32 vcc_lo, v14, v14
	v_xor_b32_sdwa v15, v15, v14 dst_sel:DWORD dst_unused:UNUSED_PAD src0_sel:DWORD src1_sel:WORD_0
	v_cndmask_b32_e32 v15, 0xffff, v15, vcc_lo
	v_and_b32_e32 v15, v15, v3
	v_cmp_eq_u32_e32 vcc_lo, v15, v2
	s_and_b32 exec_lo, exec_lo, vcc_lo
	s_cbranch_execz .LBB98_182
; %bb.187:                              ;   in Loop: Header=BB98_185 Depth=2
	v_perm_b32 v14, v14, s77, 0x5040100
	ds_write_b32 v9, v14 offset:3072
	s_branch .LBB98_182
.LBB98_188:                             ;   in Loop: Header=BB98_185 Depth=2
	s_mov_b32 s93, -1
	s_mov_b32 s92, -1
                                        ; implicit-def: $vgpr4
	s_branch .LBB98_184
.LBB98_189:                             ;   in Loop: Header=BB98_6 Depth=1
	s_or_b32 exec_lo, exec_lo, s33
	v_lshrrev_b32_e32 v8, 16, v14
	s_andn2_b32 s33, s90, exec_lo
	s_and_b32 s90, s91, exec_lo
	s_or_b32 s90, s33, s90
.LBB98_190:                             ;   in Loop: Header=BB98_6 Depth=1
	s_or_b32 exec_lo, exec_lo, s31
	s_mov_b32 s31, 0
	s_mov_b32 s33, -1
.LBB98_191:                             ;   in Loop: Header=BB98_6 Depth=1
	s_orn2_b32 s90, s90, exec_lo
.LBB98_192:                             ;   in Loop: Header=BB98_6 Depth=1
	s_or_b32 exec_lo, exec_lo, s34
	s_mov_b32 s91, 0
	s_and_saveexec_b32 s34, s90
	s_cbranch_execz .LBB98_244
; %bb.193:                              ;   in Loop: Header=BB98_6 Depth=1
	v_mov_b32_e32 v4, 1
	v_mov_b32_e32 v1, 1
	s_xor_b32 s90, s89, -1
	s_mov_b32 s93, 0
	s_and_saveexec_b32 s89, s90
	s_cbranch_execz .LBB98_202
; %bb.194:                              ;   in Loop: Header=BB98_6 Depth=1
	s_mov_b32 s90, exec_lo
	v_cmpx_ge_u32_e64 s21, v13
	s_xor_b32 s90, exec_lo, s90
	s_cbranch_execz .LBB98_199
; %bb.195:                              ;   in Loop: Header=BB98_6 Depth=1
	ds_read_b32 v1, v9 offset:4096
	s_lshl_b32 s91, 2, s82
	v_or_b32_e32 v3, s18, v3
	v_and_or_b32 v2, v2, s19, s91
	s_waitcnt lgkmcnt(0)
	v_cmp_ne_u32_e32 vcc_lo, 0, v1
	s_cbranch_vccnz .LBB98_199
; %bb.196:                              ;   in Loop: Header=BB98_6 Depth=1
	s_and_saveexec_b32 s91, s3
; %bb.197:                              ;   in Loop: Header=BB98_6 Depth=1
	v_mov_b32_e32 v1, s21
	ds_write_b32 v9, v1 offset:4100
; %bb.198:                              ;   in Loop: Header=BB98_6 Depth=1
	s_or_b32 exec_lo, exec_lo, s91
	s_waitcnt lgkmcnt(0)
	s_barrier
	buffer_gl0_inv
.LBB98_199:                             ;   in Loop: Header=BB98_6 Depth=1
	s_or_saveexec_b32 s90, s90
	v_mov_b32_e32 v1, 8
	s_mov_b32 s91, 0
	s_xor_b32 exec_lo, exec_lo, s90
; %bb.200:                              ;   in Loop: Header=BB98_6 Depth=1
	v_subrev_nc_u32_e32 v13, s21, v13
	v_mov_b32_e32 v1, 0
	s_mov_b32 s91, exec_lo
; %bb.201:                              ;   in Loop: Header=BB98_6 Depth=1
	s_or_b32 exec_lo, exec_lo, s90
	v_mov_b32_e32 v4, v13
	s_and_b32 s93, s91, exec_lo
.LBB98_202:                             ;   in Loop: Header=BB98_6 Depth=1
	s_or_b32 exec_lo, exec_lo, s89
	s_mov_b32 s90, -1
                                        ; implicit-def: $sgpr92
                                        ; implicit-def: $sgpr91
	s_and_saveexec_b32 s89, s93
	s_cbranch_execz .LBB98_243
; %bb.203:                              ;   in Loop: Header=BB98_6 Depth=1
	v_cmp_eq_u32_e32 vcc_lo, 1, v4
	s_cmp_eq_u32 s22, 1
	s_mov_b32 s94, -1
	s_cselect_b32 s90, -1, 0
                                        ; implicit-def: $sgpr92
                                        ; implicit-def: $sgpr91
	s_and_b32 s90, s90, vcc_lo
	s_and_saveexec_b32 s93, s90
	s_cbranch_execz .LBB98_231
; %bb.204:                              ;   in Loop: Header=BB98_6 Depth=1
	ds_read_b32 v8, v9 offset:4096
	s_waitcnt lgkmcnt(0)
	s_barrier
	buffer_gl0_inv
	v_readfirstlane_b32 s95, v8
	s_and_saveexec_b32 s91, s15
; %bb.205:                              ;   in Loop: Header=BB98_6 Depth=1
	ds_write_b16 v21, v9
; %bb.206:                              ;   in Loop: Header=BB98_6 Depth=1
	s_or_b32 exec_lo, exec_lo, s91
	v_or_b32_e32 v2, s18, v2
	v_or_b32_e32 v3, s18, v3
	s_mov_b32 s91, -1
	s_mov_b32 s92, 0
	s_cmp_eq_u32 s95, 0
	s_mov_b32 s94, 0
	s_mov_b32 s96, -1
	s_waitcnt lgkmcnt(0)
	s_barrier
	buffer_gl0_inv
                                        ; implicit-def: $vgpr8
	s_cbranch_scc1 .LBB98_218
; %bb.207:                              ;   in Loop: Header=BB98_6 Depth=1
	s_add_i32 s94, s95, s65
                                        ; implicit-def: $vgpr8
	s_mul_hi_u32 s96, s94, s71
	s_mul_i32 s96, s96, s52
	s_sub_i32 s96, s94, s96
	s_sub_i32 s97, s96, s52
	s_cmp_ge_u32 s96, s52
	s_cselect_b32 s96, s97, s96
	s_sub_i32 s97, s96, s52
	s_cmp_ge_u32 s96, s52
	s_cselect_b32 s96, s97, s96
	s_mov_b32 s97, exec_lo
	s_sub_i32 s98, s94, s96
	s_mov_b32 s96, 0
	s_mov_b32 s94, 0
	v_cmpx_gt_u32_e64 s98, v0
	s_cbranch_execz .LBB98_217
; %bb.208:                              ;   in Loop: Header=BB98_6 Depth=1
	v_mov_b32_e32 v8, v20
	v_mov_b32_e32 v13, v0
                                        ; implicit-def: $sgpr99
	s_inst_prefetch 0x1
	s_branch .LBB98_212
	.p2align	6
.LBB98_209:                             ;   in Loop: Header=BB98_212 Depth=2
	s_or_b32 exec_lo, exec_lo, s104
	s_waitcnt lgkmcnt(0)
	s_barrier
	buffer_gl0_inv
	ds_read_b32 v14, v9 offset:3072
	s_waitcnt lgkmcnt(0)
	s_barrier
	buffer_gl0_inv
	v_cmp_neq_f16_e32 vcc_lo, 0, v14
	s_cbranch_vccnz .LBB98_215
; %bb.210:                              ;   in Loop: Header=BB98_212 Depth=2
	v_add_nc_u32_e32 v13, s52, v13
	v_add_nc_u32_e32 v8, s75, v8
	s_mov_b32 s104, 0
	v_cmp_le_u32_e32 vcc_lo, s98, v13
	s_orn2_b32 vcc_lo, vcc_lo, exec_lo
.LBB98_211:                             ;   in Loop: Header=BB98_212 Depth=2
	s_and_b32 vcc_lo, exec_lo, vcc_lo
	s_or_b32 s94, vcc_lo, s94
	s_andn2_b32 s99, s99, exec_lo
	s_and_b32 s104, s104, exec_lo
	s_or_b32 s99, s99, s104
	s_andn2_b32 exec_lo, exec_lo, s94
	s_cbranch_execz .LBB98_216
.LBB98_212:                             ;   Parent Loop BB98_6 Depth=1
                                        ; =>  This Inner Loop Header: Depth=2
	s_mov_b32 s104, exec_lo
	v_cmpx_gt_u32_e64 s95, v13
	s_cbranch_execz .LBB98_209
; %bb.213:                              ;   in Loop: Header=BB98_212 Depth=2
	ds_read_u16 v14, v8
	s_waitcnt lgkmcnt(0)
	v_cmp_lt_i16_e32 vcc_lo, -1, v14
	v_cndmask_b32_e32 v15, 0xffff, v35, vcc_lo
	v_cmp_o_f16_e32 vcc_lo, v14, v14
	v_xor_b32_sdwa v15, v15, v14 dst_sel:DWORD dst_unused:UNUSED_PAD src0_sel:DWORD src1_sel:WORD_0
	v_cndmask_b32_e32 v15, 0xffff, v15, vcc_lo
	v_and_b32_e32 v15, v15, v3
	v_cmp_eq_u32_e32 vcc_lo, v15, v2
	s_and_b32 exec_lo, exec_lo, vcc_lo
	s_cbranch_execz .LBB98_209
; %bb.214:                              ;   in Loop: Header=BB98_212 Depth=2
	v_perm_b32 v14, v14, s77, 0x5040100
	ds_write_b32 v9, v14 offset:3072
	s_branch .LBB98_209
.LBB98_215:                             ;   in Loop: Header=BB98_212 Depth=2
	s_mov_b32 vcc_lo, -1
	s_mov_b32 s104, -1
                                        ; implicit-def: $vgpr13
                                        ; implicit-def: $vgpr8
	s_branch .LBB98_211
.LBB98_216:                             ;   in Loop: Header=BB98_6 Depth=1
	s_inst_prefetch 0x2
	s_or_b32 exec_lo, exec_lo, s94
	v_lshrrev_b32_e32 v8, 16, v14
	s_and_b32 s94, s99, exec_lo
.LBB98_217:                             ;   in Loop: Header=BB98_6 Depth=1
	s_or_b32 exec_lo, exec_lo, s97
.LBB98_218:                             ;   in Loop: Header=BB98_6 Depth=1
	s_and_b32 vcc_lo, exec_lo, s96
	s_cbranch_vccz .LBB98_230
; %bb.219:                              ;   in Loop: Header=BB98_6 Depth=1
                                        ; implicit-def: $vgpr8
	s_and_saveexec_b32 s91, s13
	s_cbranch_execz .LBB98_229
; %bb.220:                              ;   in Loop: Header=BB98_6 Depth=1
	v_mov_b32_e32 v8, v7
	v_mov_b32_e32 v13, v0
	s_mov_b32 s92, 0
                                        ; implicit-def: $sgpr95
	s_branch .LBB98_224
.LBB98_221:                             ;   in Loop: Header=BB98_224 Depth=2
	s_or_b32 exec_lo, exec_lo, s96
	s_waitcnt lgkmcnt(0)
	s_barrier
	buffer_gl0_inv
	ds_read_b32 v14, v9 offset:3072
	s_waitcnt lgkmcnt(0)
	s_barrier
	buffer_gl0_inv
	v_cmp_eq_f16_e32 vcc_lo, 0, v14
	s_cbranch_vccz .LBB98_227
; %bb.222:                              ;   in Loop: Header=BB98_224 Depth=2
	v_add_nc_u32_e32 v13, s52, v13
	v_add_nc_u32_e32 v8, s53, v8
	s_mov_b32 s96, 0
	v_cmp_le_u32_e32 vcc_lo, s72, v13
	s_orn2_b32 s97, vcc_lo, exec_lo
.LBB98_223:                             ;   in Loop: Header=BB98_224 Depth=2
	s_and_b32 s97, exec_lo, s97
	s_or_b32 s92, s97, s92
	s_andn2_b32 s95, s95, exec_lo
	s_and_b32 s96, s96, exec_lo
	s_or_b32 s95, s95, s96
	s_andn2_b32 exec_lo, exec_lo, s92
	s_cbranch_execz .LBB98_228
.LBB98_224:                             ;   Parent Loop BB98_6 Depth=1
                                        ; =>  This Inner Loop Header: Depth=2
	s_mov_b32 s96, exec_lo
	v_cmpx_gt_u32_e64 s36, v13
	s_cbranch_execz .LBB98_221
; %bb.225:                              ;   in Loop: Header=BB98_224 Depth=2
	v_lshlrev_b64 v[14:15], 1, v[8:9]
	v_add_co_u32 v14, vcc_lo, s50, v14
	v_add_co_ci_u32_e64 v15, null, s51, v15, vcc_lo
	global_load_ushort v14, v[14:15], off
	s_waitcnt vmcnt(0)
	v_cmp_lt_i16_e32 vcc_lo, -1, v14
	v_cndmask_b32_e32 v15, 0xffff, v35, vcc_lo
	v_cmp_o_f16_e32 vcc_lo, v14, v14
	v_xor_b32_sdwa v15, v15, v14 dst_sel:DWORD dst_unused:UNUSED_PAD src0_sel:DWORD src1_sel:WORD_0
	v_cndmask_b32_e32 v15, 0xffff, v15, vcc_lo
	v_and_b32_e32 v15, v15, v3
	v_cmp_eq_u32_e32 vcc_lo, v15, v2
	s_and_b32 exec_lo, exec_lo, vcc_lo
	s_cbranch_execz .LBB98_221
; %bb.226:                              ;   in Loop: Header=BB98_224 Depth=2
	v_perm_b32 v14, v14, s77, 0x5040100
	ds_write_b32 v9, v14 offset:3072
	s_branch .LBB98_221
.LBB98_227:                             ;   in Loop: Header=BB98_224 Depth=2
	s_mov_b32 s97, -1
	s_mov_b32 s96, -1
                                        ; implicit-def: $vgpr13
	s_branch .LBB98_223
.LBB98_228:                             ;   in Loop: Header=BB98_6 Depth=1
	s_or_b32 exec_lo, exec_lo, s92
	v_lshrrev_b32_e32 v8, 16, v14
	s_andn2_b32 s92, s94, exec_lo
	s_and_b32 s94, s95, exec_lo
	s_or_b32 s94, s92, s94
.LBB98_229:                             ;   in Loop: Header=BB98_6 Depth=1
	s_or_b32 exec_lo, exec_lo, s91
	s_mov_b32 s91, 0
	s_mov_b32 s92, -1
.LBB98_230:                             ;   in Loop: Header=BB98_6 Depth=1
	s_orn2_b32 s94, s94, exec_lo
.LBB98_231:                             ;   in Loop: Header=BB98_6 Depth=1
	s_or_b32 exec_lo, exec_lo, s93
	s_mov_b32 s95, 0
	s_and_saveexec_b32 s93, s94
	s_cbranch_execz .LBB98_242
; %bb.232:                              ;   in Loop: Header=BB98_6 Depth=1
	v_mov_b32_e32 v1, 1
	v_mov_b32_e32 v13, 1
	s_xor_b32 s94, s90, -1
	s_and_saveexec_b32 s90, s94
	s_cbranch_execz .LBB98_241
; %bb.233:                              ;   in Loop: Header=BB98_6 Depth=1
	s_mov_b32 s94, exec_lo
	v_cmpx_ge_u32_e64 s22, v4
	s_xor_b32 s94, exec_lo, s94
	s_cbranch_execz .LBB98_238
; %bb.234:                              ;   in Loop: Header=BB98_6 Depth=1
	ds_read_b32 v1, v9 offset:4096
	v_or_b32_e32 v2, s18, v2
	v_or_b32_e32 v3, s18, v3
	s_waitcnt lgkmcnt(0)
	v_cmp_ne_u32_e32 vcc_lo, 0, v1
	s_cbranch_vccnz .LBB98_238
; %bb.235:                              ;   in Loop: Header=BB98_6 Depth=1
	s_and_saveexec_b32 s95, s3
; %bb.236:                              ;   in Loop: Header=BB98_6 Depth=1
	v_mov_b32_e32 v1, s22
	ds_write_b32 v9, v1 offset:4100
; %bb.237:                              ;   in Loop: Header=BB98_6 Depth=1
	s_or_b32 exec_lo, exec_lo, s95
	s_waitcnt lgkmcnt(0)
	s_barrier
	buffer_gl0_inv
.LBB98_238:                             ;   in Loop: Header=BB98_6 Depth=1
	s_andn2_saveexec_b32 s94, s94
; %bb.239:                              ;   in Loop: Header=BB98_6 Depth=1
	v_subrev_nc_u32_e32 v4, s22, v4
; %bb.240:                              ;   in Loop: Header=BB98_6 Depth=1
	s_or_b32 exec_lo, exec_lo, s94
	v_mov_b32_e32 v1, 8
	v_mov_b32_e32 v13, v4
.LBB98_241:                             ;   in Loop: Header=BB98_6 Depth=1
	s_or_b32 exec_lo, exec_lo, s90
	v_mov_b32_e32 v4, v13
	s_mov_b32 s95, exec_lo
.LBB98_242:                             ;   in Loop: Header=BB98_6 Depth=1
	s_or_b32 exec_lo, exec_lo, s93
	s_orn2_b32 s90, s95, exec_lo
.LBB98_243:                             ;   in Loop: Header=BB98_6 Depth=1
	s_or_b32 exec_lo, exec_lo, s89
	v_mov_b32_e32 v13, v4
	s_andn2_b32 s33, s33, exec_lo
	s_and_b32 s89, s92, exec_lo
	s_andn2_b32 s31, s31, exec_lo
	s_and_b32 s91, s91, exec_lo
	s_or_b32 s33, s33, s89
	s_or_b32 s31, s31, s91
	s_and_b32 s91, s90, exec_lo
.LBB98_244:                             ;   in Loop: Header=BB98_6 Depth=1
	s_or_b32 exec_lo, exec_lo, s34
	s_orn2_b32 s34, s91, exec_lo
.LBB98_245:                             ;   in Loop: Header=BB98_6 Depth=1
	s_or_b32 exec_lo, exec_lo, s30
	v_mov_b32_e32 v4, v13
	s_andn2_b32 s24, s24, exec_lo
	s_and_b32 s30, s33, exec_lo
	s_andn2_b32 s23, s23, exec_lo
	s_and_b32 s31, s31, exec_lo
	s_or_b32 s24, s24, s30
	s_or_b32 s23, s23, s31
	s_and_b32 s33, s34, exec_lo
.LBB98_246:                             ;   in Loop: Header=BB98_6 Depth=1
	s_or_b32 exec_lo, exec_lo, s29
	s_orn2_b32 s29, s33, exec_lo
.LBB98_247:                             ;   in Loop: Header=BB98_6 Depth=1
	s_or_b32 exec_lo, exec_lo, s6
	s_mov_b32 s6, 0
	s_mov_b32 s30, 0
	s_and_saveexec_b32 s31, s29
	s_xor_b32 s29, exec_lo, s31
; %bb.248:                              ;   in Loop: Header=BB98_6 Depth=1
	v_cmp_ne_u32_e32 vcc_lo, 8, v1
	v_cmp_eq_u32_e64 s6, 8, v1
	s_and_b32 s30, vcc_lo, exec_lo
	s_and_b32 s6, s6, exec_lo
; %bb.249:                              ;   in Loop: Header=BB98_6 Depth=1
	s_or_b32 exec_lo, exec_lo, s29
	s_andn2_b32 s26, s26, exec_lo
	s_and_b32 s24, s24, exec_lo
	s_andn2_b32 s25, s25, exec_lo
	s_and_b32 s23, s23, exec_lo
	s_or_b32 s26, s26, s24
	s_or_b32 s25, s25, s23
	s_and_b32 s23, s30, exec_lo
	s_and_b32 s24, s6, exec_lo
.LBB98_250:                             ;   in Loop: Header=BB98_6 Depth=1
	s_or_b32 exec_lo, exec_lo, s28
.LBB98_251:                             ;   in Loop: Header=BB98_6 Depth=1
	s_and_b32 vcc_lo, exec_lo, s27
	s_cbranch_vccz .LBB98_265
; %bb.252:                              ;   in Loop: Header=BB98_6 Depth=1
	s_cmp_eq_u32 s22, 1
	s_mov_b32 s26, -1
	s_cselect_b32 s6, -1, 0
                                        ; implicit-def: $sgpr16
	s_and_b32 s6, s6, s14
                                        ; implicit-def: $sgpr14
	s_and_saveexec_b32 s25, s6
	s_cbranch_execz .LBB98_281
; %bb.253:                              ;   in Loop: Header=BB98_6 Depth=1
	ds_read_b32 v1, v9 offset:4096
	s_waitcnt lgkmcnt(0)
	s_barrier
	buffer_gl0_inv
	v_readfirstlane_b32 s27, v1
	s_and_saveexec_b32 s14, s15
; %bb.254:                              ;   in Loop: Header=BB98_6 Depth=1
	ds_write_b16 v21, v9
; %bb.255:                              ;   in Loop: Header=BB98_6 Depth=1
	s_or_b32 exec_lo, exec_lo, s14
	v_or_b32_e32 v27, s18, v27
	v_or_b32_e32 v37, s18, v37
	s_mov_b32 s16, -1
	s_mov_b32 s14, 0
	s_cmp_eq_u32 s27, 0
	s_mov_b32 s26, 0
	s_mov_b32 s28, -1
	s_waitcnt lgkmcnt(0)
	s_barrier
	buffer_gl0_inv
                                        ; implicit-def: $vgpr38
	s_cbranch_scc1 .LBB98_268
; %bb.256:                              ;   in Loop: Header=BB98_6 Depth=1
	s_add_i32 s26, s27, s65
                                        ; implicit-def: $vgpr38
	s_mul_hi_u32 s28, s26, s71
	s_mul_i32 s28, s28, s52
	s_sub_i32 s28, s26, s28
	s_sub_i32 s29, s28, s52
	s_cmp_ge_u32 s28, s52
	s_cselect_b32 s28, s29, s28
	s_sub_i32 s29, s28, s52
	s_cmp_ge_u32 s28, s52
	s_cselect_b32 s28, s29, s28
	s_mov_b32 s29, exec_lo
	s_sub_i32 s30, s26, s28
	s_mov_b32 s28, 0
	s_mov_b32 s26, 0
	v_cmpx_gt_u32_e64 s30, v0
	s_cbranch_execz .LBB98_267
; %bb.257:                              ;   in Loop: Header=BB98_6 Depth=1
	v_mov_b32_e32 v1, v20
	v_mov_b32_e32 v2, v0
                                        ; implicit-def: $sgpr31
	s_inst_prefetch 0x1
	s_branch .LBB98_261
	.p2align	6
.LBB98_258:                             ;   in Loop: Header=BB98_261 Depth=2
	s_or_b32 exec_lo, exec_lo, s33
	s_waitcnt lgkmcnt(0)
	s_barrier
	buffer_gl0_inv
	ds_read_b32 v3, v9 offset:3072
	s_waitcnt lgkmcnt(0)
	s_barrier
	buffer_gl0_inv
	v_cmp_neq_f16_e32 vcc_lo, 0, v3
	s_cbranch_vccnz .LBB98_264
; %bb.259:                              ;   in Loop: Header=BB98_261 Depth=2
	v_add_nc_u32_e32 v2, s52, v2
	v_add_nc_u32_e32 v1, s75, v1
	s_mov_b32 s33, 0
	v_cmp_le_u32_e32 vcc_lo, s30, v2
	s_orn2_b32 s34, vcc_lo, exec_lo
.LBB98_260:                             ;   in Loop: Header=BB98_261 Depth=2
	s_and_b32 s34, exec_lo, s34
	s_or_b32 s26, s34, s26
	s_andn2_b32 s31, s31, exec_lo
	s_and_b32 s33, s33, exec_lo
	s_or_b32 s31, s31, s33
	s_andn2_b32 exec_lo, exec_lo, s26
	s_cbranch_execz .LBB98_266
.LBB98_261:                             ;   Parent Loop BB98_6 Depth=1
                                        ; =>  This Inner Loop Header: Depth=2
	s_mov_b32 s33, exec_lo
	v_cmpx_gt_u32_e64 s27, v2
	s_cbranch_execz .LBB98_258
; %bb.262:                              ;   in Loop: Header=BB98_261 Depth=2
	ds_read_u16 v3, v1
	s_waitcnt lgkmcnt(0)
	v_cmp_lt_i16_e32 vcc_lo, -1, v3
	v_cndmask_b32_e32 v4, 0xffff, v35, vcc_lo
	v_cmp_o_f16_e32 vcc_lo, v3, v3
	v_xor_b32_sdwa v4, v4, v3 dst_sel:DWORD dst_unused:UNUSED_PAD src0_sel:DWORD src1_sel:WORD_0
	v_cndmask_b32_e32 v4, 0xffff, v4, vcc_lo
	v_and_b32_e32 v4, v4, v37
	v_cmp_eq_u32_e32 vcc_lo, v4, v27
	s_and_b32 exec_lo, exec_lo, vcc_lo
	s_cbranch_execz .LBB98_258
; %bb.263:                              ;   in Loop: Header=BB98_261 Depth=2
	v_perm_b32 v3, v3, s77, 0x5040100
	ds_write_b32 v9, v3 offset:3072
	s_branch .LBB98_258
.LBB98_264:                             ;   in Loop: Header=BB98_261 Depth=2
	s_mov_b32 s34, -1
	s_mov_b32 s33, -1
                                        ; implicit-def: $vgpr2
                                        ; implicit-def: $vgpr1
	s_branch .LBB98_260
.LBB98_265:                             ;   in Loop: Header=BB98_6 Depth=1
	v_mov_b32_e32 v27, v2
	v_mov_b32_e32 v37, v3
	;; [unrolled: 1-line block ×3, first 2 shown]
	s_mov_b32 s14, 0
	s_and_saveexec_b32 s6, s24
	s_cbranch_execnz .LBB98_418
	s_branch .LBB98_419
.LBB98_266:                             ;   in Loop: Header=BB98_6 Depth=1
	s_inst_prefetch 0x2
	s_or_b32 exec_lo, exec_lo, s26
	v_lshrrev_b32_e32 v38, 16, v3
	s_and_b32 s26, s31, exec_lo
.LBB98_267:                             ;   in Loop: Header=BB98_6 Depth=1
	s_or_b32 exec_lo, exec_lo, s29
.LBB98_268:                             ;   in Loop: Header=BB98_6 Depth=1
	s_and_b32 vcc_lo, exec_lo, s28
	s_cbranch_vccz .LBB98_280
; %bb.269:                              ;   in Loop: Header=BB98_6 Depth=1
                                        ; implicit-def: $vgpr38
	s_and_saveexec_b32 s14, s13
	s_cbranch_execz .LBB98_279
; %bb.270:                              ;   in Loop: Header=BB98_6 Depth=1
	v_mov_b32_e32 v8, v7
	v_mov_b32_e32 v1, v0
	s_mov_b32 s16, 0
                                        ; implicit-def: $sgpr27
	s_branch .LBB98_274
.LBB98_271:                             ;   in Loop: Header=BB98_274 Depth=2
	s_or_b32 exec_lo, exec_lo, s28
	s_waitcnt lgkmcnt(0)
	s_barrier
	buffer_gl0_inv
	ds_read_b32 v2, v9 offset:3072
	s_waitcnt lgkmcnt(0)
	s_barrier
	buffer_gl0_inv
	v_cmp_neq_f16_e32 vcc_lo, 0, v2
	s_cbranch_vccnz .LBB98_277
; %bb.272:                              ;   in Loop: Header=BB98_274 Depth=2
	v_add_nc_u32_e32 v1, s52, v1
	v_add_nc_u32_e32 v8, s53, v8
	s_mov_b32 s28, 0
	v_cmp_le_u32_e32 vcc_lo, s72, v1
	s_orn2_b32 s29, vcc_lo, exec_lo
.LBB98_273:                             ;   in Loop: Header=BB98_274 Depth=2
	s_and_b32 s29, exec_lo, s29
	s_or_b32 s16, s29, s16
	s_andn2_b32 s27, s27, exec_lo
	s_and_b32 s28, s28, exec_lo
	s_or_b32 s27, s27, s28
	s_andn2_b32 exec_lo, exec_lo, s16
	s_cbranch_execz .LBB98_278
.LBB98_274:                             ;   Parent Loop BB98_6 Depth=1
                                        ; =>  This Inner Loop Header: Depth=2
	s_mov_b32 s28, exec_lo
	v_cmpx_gt_u32_e64 s36, v1
	s_cbranch_execz .LBB98_271
; %bb.275:                              ;   in Loop: Header=BB98_274 Depth=2
	v_lshlrev_b64 v[2:3], 1, v[8:9]
	v_add_co_u32 v2, vcc_lo, s50, v2
	v_add_co_ci_u32_e64 v3, null, s51, v3, vcc_lo
	global_load_ushort v2, v[2:3], off
	s_waitcnt vmcnt(0)
	v_cmp_lt_i16_e32 vcc_lo, -1, v2
	v_cndmask_b32_e32 v3, 0xffff, v35, vcc_lo
	v_cmp_o_f16_e32 vcc_lo, v2, v2
	v_xor_b32_sdwa v3, v3, v2 dst_sel:DWORD dst_unused:UNUSED_PAD src0_sel:DWORD src1_sel:WORD_0
	v_cndmask_b32_e32 v3, 0xffff, v3, vcc_lo
	v_and_b32_e32 v3, v3, v37
	v_cmp_eq_u32_e32 vcc_lo, v3, v27
	s_and_b32 exec_lo, exec_lo, vcc_lo
	s_cbranch_execz .LBB98_271
; %bb.276:                              ;   in Loop: Header=BB98_274 Depth=2
	v_perm_b32 v2, v2, s77, 0x5040100
	ds_write_b32 v9, v2 offset:3072
	s_branch .LBB98_271
.LBB98_277:                             ;   in Loop: Header=BB98_274 Depth=2
	s_mov_b32 s29, -1
	s_mov_b32 s28, -1
                                        ; implicit-def: $vgpr1
	s_branch .LBB98_273
.LBB98_278:                             ;   in Loop: Header=BB98_6 Depth=1
	s_or_b32 exec_lo, exec_lo, s16
	s_andn2_b32 s16, s26, exec_lo
	s_and_b32 s26, s27, exec_lo
	v_lshrrev_b32_e32 v38, 16, v2
	s_or_b32 s26, s16, s26
.LBB98_279:                             ;   in Loop: Header=BB98_6 Depth=1
	s_or_b32 exec_lo, exec_lo, s14
	s_mov_b32 s16, 0
	s_mov_b32 s14, -1
.LBB98_280:                             ;   in Loop: Header=BB98_6 Depth=1
	s_orn2_b32 s26, s26, exec_lo
.LBB98_281:                             ;   in Loop: Header=BB98_6 Depth=1
	s_or_b32 exec_lo, exec_lo, s25
                                        ; implicit-def: $vgpr4
                                        ; implicit-def: $vgpr1
	s_and_saveexec_b32 s25, s26
	s_cbranch_execz .LBB98_417
; %bb.282:                              ;   in Loop: Header=BB98_6 Depth=1
	v_mov_b32_e32 v4, 1
	v_mov_b32_e32 v1, 1
	s_xor_b32 s26, s6, -1
	s_mov_b32 s28, 0
	s_and_saveexec_b32 s6, s26
	s_cbranch_execz .LBB98_291
; %bb.283:                              ;   in Loop: Header=BB98_6 Depth=1
	s_mov_b32 s26, exec_lo
	v_cmpx_ge_u32_e64 s22, v39
	s_xor_b32 s26, exec_lo, s26
	s_cbranch_execz .LBB98_288
; %bb.284:                              ;   in Loop: Header=BB98_6 Depth=1
	ds_read_b32 v1, v9 offset:4096
	v_or_b32_e32 v27, s18, v27
	v_or_b32_e32 v37, s18, v37
	s_waitcnt lgkmcnt(0)
	v_cmp_ne_u32_e32 vcc_lo, 0, v1
	s_cbranch_vccnz .LBB98_288
; %bb.285:                              ;   in Loop: Header=BB98_6 Depth=1
	s_and_saveexec_b32 s27, s3
; %bb.286:                              ;   in Loop: Header=BB98_6 Depth=1
	v_mov_b32_e32 v1, s22
	ds_write_b32 v9, v1 offset:4100
; %bb.287:                              ;   in Loop: Header=BB98_6 Depth=1
	s_or_b32 exec_lo, exec_lo, s27
	s_waitcnt lgkmcnt(0)
	s_barrier
	buffer_gl0_inv
.LBB98_288:                             ;   in Loop: Header=BB98_6 Depth=1
	s_or_saveexec_b32 s26, s26
	v_mov_b32_e32 v1, 5
	s_mov_b32 s27, 0
	s_xor_b32 exec_lo, exec_lo, s26
; %bb.289:                              ;   in Loop: Header=BB98_6 Depth=1
	v_subrev_nc_u32_e32 v39, s22, v39
	v_mov_b32_e32 v1, 0
	s_mov_b32 s27, exec_lo
; %bb.290:                              ;   in Loop: Header=BB98_6 Depth=1
	s_or_b32 exec_lo, exec_lo, s26
	v_mov_b32_e32 v4, v39
	s_and_b32 s28, s27, exec_lo
.LBB98_291:                             ;   in Loop: Header=BB98_6 Depth=1
	s_or_b32 exec_lo, exec_lo, s6
	s_mov_b32 s27, -1
                                        ; implicit-def: $sgpr22
                                        ; implicit-def: $sgpr26
	s_and_saveexec_b32 s6, s28
	s_xor_b32 s6, exec_lo, s6
	s_cbranch_execz .LBB98_414
; %bb.292:                              ;   in Loop: Header=BB98_6 Depth=1
	v_cmp_eq_u32_e32 vcc_lo, 1, v4
	s_cmp_eq_u32 s21, 1
	s_mov_b32 s29, -1
	s_cselect_b32 s22, -1, 0
                                        ; implicit-def: $sgpr26
	s_and_b32 s28, s22, vcc_lo
                                        ; implicit-def: $sgpr22
	s_and_saveexec_b32 s27, s28
	s_cbranch_execz .LBB98_320
; %bb.293:                              ;   in Loop: Header=BB98_6 Depth=1
	ds_read_b32 v2, v9 offset:4096
	s_waitcnt lgkmcnt(0)
	s_barrier
	buffer_gl0_inv
	v_readfirstlane_b32 s30, v2
	s_and_saveexec_b32 s22, s15
; %bb.294:                              ;   in Loop: Header=BB98_6 Depth=1
	ds_write_b16 v21, v9
; %bb.295:                              ;   in Loop: Header=BB98_6 Depth=1
	s_or_b32 exec_lo, exec_lo, s22
	s_lshl_b32 s22, 2, s82
	v_or_b32_e32 v37, s18, v37
	v_and_or_b32 v27, v27, s19, s22
	s_mov_b32 s22, -1
	s_mov_b32 s26, 0
	s_cmp_eq_u32 s30, 0
	s_mov_b32 s29, 0
	s_mov_b32 s31, -1
	s_waitcnt lgkmcnt(0)
	s_barrier
	buffer_gl0_inv
                                        ; implicit-def: $vgpr38
	s_cbranch_scc1 .LBB98_307
; %bb.296:                              ;   in Loop: Header=BB98_6 Depth=1
	s_add_i32 s29, s30, s65
                                        ; implicit-def: $vgpr38
	s_mul_hi_u32 s31, s29, s71
	s_mul_i32 s31, s31, s52
	s_sub_i32 s31, s29, s31
	s_sub_i32 s33, s31, s52
	s_cmp_ge_u32 s31, s52
	s_cselect_b32 s31, s33, s31
	s_sub_i32 s33, s31, s52
	s_cmp_ge_u32 s31, s52
	s_cselect_b32 s31, s33, s31
	s_mov_b32 s33, exec_lo
	s_sub_i32 s34, s29, s31
	s_mov_b32 s31, 0
	s_mov_b32 s29, 0
	v_cmpx_gt_u32_e64 s34, v0
	s_cbranch_execz .LBB98_306
; %bb.297:                              ;   in Loop: Header=BB98_6 Depth=1
	v_mov_b32_e32 v2, v20
	v_mov_b32_e32 v3, v0
                                        ; implicit-def: $sgpr89
	s_inst_prefetch 0x1
	s_branch .LBB98_301
	.p2align	6
.LBB98_298:                             ;   in Loop: Header=BB98_301 Depth=2
	s_or_b32 exec_lo, exec_lo, s90
	s_waitcnt lgkmcnt(0)
	s_barrier
	buffer_gl0_inv
	ds_read_b32 v8, v9 offset:3072
	s_waitcnt lgkmcnt(0)
	s_barrier
	buffer_gl0_inv
	v_cmp_neq_f16_e32 vcc_lo, 0, v8
	s_cbranch_vccnz .LBB98_304
; %bb.299:                              ;   in Loop: Header=BB98_301 Depth=2
	v_add_nc_u32_e32 v3, s52, v3
	v_add_nc_u32_e32 v2, s75, v2
	s_mov_b32 s90, 0
	v_cmp_le_u32_e32 vcc_lo, s34, v3
	s_orn2_b32 s91, vcc_lo, exec_lo
.LBB98_300:                             ;   in Loop: Header=BB98_301 Depth=2
	s_and_b32 s91, exec_lo, s91
	s_or_b32 s29, s91, s29
	s_andn2_b32 s89, s89, exec_lo
	s_and_b32 s90, s90, exec_lo
	s_or_b32 s89, s89, s90
	s_andn2_b32 exec_lo, exec_lo, s29
	s_cbranch_execz .LBB98_305
.LBB98_301:                             ;   Parent Loop BB98_6 Depth=1
                                        ; =>  This Inner Loop Header: Depth=2
	s_mov_b32 s90, exec_lo
	v_cmpx_gt_u32_e64 s30, v3
	s_cbranch_execz .LBB98_298
; %bb.302:                              ;   in Loop: Header=BB98_301 Depth=2
	ds_read_u16 v8, v2
	s_waitcnt lgkmcnt(0)
	v_cmp_lt_i16_e32 vcc_lo, -1, v8
	v_cndmask_b32_e32 v13, 0xffff, v35, vcc_lo
	v_cmp_o_f16_e32 vcc_lo, v8, v8
	v_xor_b32_sdwa v13, v13, v8 dst_sel:DWORD dst_unused:UNUSED_PAD src0_sel:DWORD src1_sel:WORD_0
	v_cndmask_b32_e32 v13, 0xffff, v13, vcc_lo
	v_and_b32_e32 v13, v13, v37
	v_cmp_eq_u32_e32 vcc_lo, v13, v27
	s_and_b32 exec_lo, exec_lo, vcc_lo
	s_cbranch_execz .LBB98_298
; %bb.303:                              ;   in Loop: Header=BB98_301 Depth=2
	v_perm_b32 v8, v8, s77, 0x5040100
	ds_write_b32 v9, v8 offset:3072
	s_branch .LBB98_298
.LBB98_304:                             ;   in Loop: Header=BB98_301 Depth=2
	s_mov_b32 s91, -1
	s_mov_b32 s90, -1
                                        ; implicit-def: $vgpr3
                                        ; implicit-def: $vgpr2
	s_branch .LBB98_300
.LBB98_305:                             ;   in Loop: Header=BB98_6 Depth=1
	s_inst_prefetch 0x2
	s_or_b32 exec_lo, exec_lo, s29
	v_lshrrev_b32_e32 v38, 16, v8
	s_and_b32 s29, s89, exec_lo
.LBB98_306:                             ;   in Loop: Header=BB98_6 Depth=1
	s_or_b32 exec_lo, exec_lo, s33
.LBB98_307:                             ;   in Loop: Header=BB98_6 Depth=1
	s_and_b32 vcc_lo, exec_lo, s31
	s_cbranch_vccz .LBB98_319
; %bb.308:                              ;   in Loop: Header=BB98_6 Depth=1
                                        ; implicit-def: $vgpr38
	s_and_saveexec_b32 s22, s13
	s_cbranch_execz .LBB98_318
; %bb.309:                              ;   in Loop: Header=BB98_6 Depth=1
	v_mov_b32_e32 v8, v7
	v_mov_b32_e32 v2, v0
	s_mov_b32 s26, 0
                                        ; implicit-def: $sgpr30
	s_branch .LBB98_313
.LBB98_310:                             ;   in Loop: Header=BB98_313 Depth=2
	s_or_b32 exec_lo, exec_lo, s31
	s_waitcnt lgkmcnt(0)
	s_barrier
	buffer_gl0_inv
	ds_read_b32 v3, v9 offset:3072
	s_waitcnt lgkmcnt(0)
	s_barrier
	buffer_gl0_inv
	v_cmp_eq_f16_e32 vcc_lo, 0, v3
	s_cbranch_vccz .LBB98_316
; %bb.311:                              ;   in Loop: Header=BB98_313 Depth=2
	v_add_nc_u32_e32 v2, s52, v2
	v_add_nc_u32_e32 v8, s53, v8
	s_mov_b32 s31, 0
	v_cmp_le_u32_e32 vcc_lo, s72, v2
	s_orn2_b32 s33, vcc_lo, exec_lo
.LBB98_312:                             ;   in Loop: Header=BB98_313 Depth=2
	s_and_b32 s33, exec_lo, s33
	s_or_b32 s26, s33, s26
	s_andn2_b32 s30, s30, exec_lo
	s_and_b32 s31, s31, exec_lo
	s_or_b32 s30, s30, s31
	s_andn2_b32 exec_lo, exec_lo, s26
	s_cbranch_execz .LBB98_317
.LBB98_313:                             ;   Parent Loop BB98_6 Depth=1
                                        ; =>  This Inner Loop Header: Depth=2
	s_mov_b32 s31, exec_lo
	v_cmpx_gt_u32_e64 s36, v2
	s_cbranch_execz .LBB98_310
; %bb.314:                              ;   in Loop: Header=BB98_313 Depth=2
	v_lshlrev_b64 v[13:14], 1, v[8:9]
	v_add_co_u32 v13, vcc_lo, s50, v13
	v_add_co_ci_u32_e64 v14, null, s51, v14, vcc_lo
	global_load_ushort v3, v[13:14], off
	s_waitcnt vmcnt(0)
	v_cmp_lt_i16_e32 vcc_lo, -1, v3
	v_cndmask_b32_e32 v13, 0xffff, v35, vcc_lo
	v_cmp_o_f16_e32 vcc_lo, v3, v3
	v_xor_b32_sdwa v13, v13, v3 dst_sel:DWORD dst_unused:UNUSED_PAD src0_sel:DWORD src1_sel:WORD_0
	v_cndmask_b32_e32 v13, 0xffff, v13, vcc_lo
	v_and_b32_e32 v13, v13, v37
	v_cmp_eq_u32_e32 vcc_lo, v13, v27
	s_and_b32 exec_lo, exec_lo, vcc_lo
	s_cbranch_execz .LBB98_310
; %bb.315:                              ;   in Loop: Header=BB98_313 Depth=2
	v_perm_b32 v3, v3, s77, 0x5040100
	ds_write_b32 v9, v3 offset:3072
	s_branch .LBB98_310
.LBB98_316:                             ;   in Loop: Header=BB98_313 Depth=2
	s_mov_b32 s33, -1
	s_mov_b32 s31, -1
                                        ; implicit-def: $vgpr2
	s_branch .LBB98_312
.LBB98_317:                             ;   in Loop: Header=BB98_6 Depth=1
	s_or_b32 exec_lo, exec_lo, s26
	v_lshrrev_b32_e32 v38, 16, v3
	s_andn2_b32 s26, s29, exec_lo
	s_and_b32 s29, s30, exec_lo
	s_or_b32 s29, s26, s29
.LBB98_318:                             ;   in Loop: Header=BB98_6 Depth=1
	s_or_b32 exec_lo, exec_lo, s22
	s_mov_b32 s22, 0
	s_mov_b32 s26, -1
.LBB98_319:                             ;   in Loop: Header=BB98_6 Depth=1
	s_orn2_b32 s29, s29, exec_lo
.LBB98_320:                             ;   in Loop: Header=BB98_6 Depth=1
	s_or_b32 exec_lo, exec_lo, s27
	s_mov_b32 s30, 0
	s_and_saveexec_b32 s27, s29
	s_cbranch_execz .LBB98_413
; %bb.321:                              ;   in Loop: Header=BB98_6 Depth=1
	v_mov_b32_e32 v2, 1
	v_mov_b32_e32 v1, 1
	s_xor_b32 s29, s28, -1
	s_mov_b32 s31, 0
	s_and_saveexec_b32 s28, s29
	s_cbranch_execz .LBB98_330
; %bb.322:                              ;   in Loop: Header=BB98_6 Depth=1
	s_mov_b32 s29, exec_lo
	v_cmpx_ge_u32_e64 s21, v4
	s_xor_b32 s29, exec_lo, s29
	s_cbranch_execz .LBB98_327
; %bb.323:                              ;   in Loop: Header=BB98_6 Depth=1
	ds_read_b32 v1, v9 offset:4096
	s_lshl_b32 s30, 2, s82
	v_or_b32_e32 v37, s18, v37
	v_and_or_b32 v27, v27, s19, s30
	s_waitcnt lgkmcnt(0)
	v_cmp_ne_u32_e32 vcc_lo, 0, v1
	s_cbranch_vccnz .LBB98_327
; %bb.324:                              ;   in Loop: Header=BB98_6 Depth=1
	s_and_saveexec_b32 s30, s3
; %bb.325:                              ;   in Loop: Header=BB98_6 Depth=1
	v_mov_b32_e32 v1, s21
	ds_write_b32 v9, v1 offset:4100
; %bb.326:                              ;   in Loop: Header=BB98_6 Depth=1
	s_or_b32 exec_lo, exec_lo, s30
	s_waitcnt lgkmcnt(0)
	s_barrier
	buffer_gl0_inv
.LBB98_327:                             ;   in Loop: Header=BB98_6 Depth=1
	s_or_saveexec_b32 s29, s29
	v_mov_b32_e32 v1, 5
	s_mov_b32 s30, 0
	s_xor_b32 exec_lo, exec_lo, s29
; %bb.328:                              ;   in Loop: Header=BB98_6 Depth=1
	v_subrev_nc_u32_e32 v4, s21, v4
	v_mov_b32_e32 v1, 0
	s_mov_b32 s30, exec_lo
; %bb.329:                              ;   in Loop: Header=BB98_6 Depth=1
	s_or_b32 exec_lo, exec_lo, s29
	v_mov_b32_e32 v2, v4
	s_and_b32 s31, s30, exec_lo
.LBB98_330:                             ;   in Loop: Header=BB98_6 Depth=1
	s_or_b32 exec_lo, exec_lo, s28
	s_mov_b32 s30, -1
                                        ; implicit-def: $sgpr28
                                        ; implicit-def: $sgpr29
	s_and_saveexec_b32 s21, s31
	s_cbranch_execz .LBB98_412
; %bb.331:                              ;   in Loop: Header=BB98_6 Depth=1
	v_cmp_eq_u32_e32 vcc_lo, 1, v2
	s_cmp_eq_u32 s20, 1
	s_mov_b32 s33, -1
	s_cselect_b32 s28, -1, 0
                                        ; implicit-def: $sgpr29
	s_and_b32 s31, s28, vcc_lo
                                        ; implicit-def: $sgpr28
	s_and_saveexec_b32 s30, s31
	s_cbranch_execz .LBB98_359
; %bb.332:                              ;   in Loop: Header=BB98_6 Depth=1
	ds_read_b32 v3, v9 offset:4096
	s_waitcnt lgkmcnt(0)
	s_barrier
	buffer_gl0_inv
	v_readfirstlane_b32 s34, v3
	s_and_saveexec_b32 s28, s15
; %bb.333:                              ;   in Loop: Header=BB98_6 Depth=1
	ds_write_b16 v21, v9
; %bb.334:                              ;   in Loop: Header=BB98_6 Depth=1
	s_or_b32 exec_lo, exec_lo, s28
	s_lshl_b32 s28, 1, s82
	v_or_b32_e32 v37, s18, v37
	v_and_or_b32 v27, v27, s19, s28
	s_mov_b32 s28, -1
	s_mov_b32 s29, 0
	s_cmp_eq_u32 s34, 0
	s_mov_b32 s33, 0
	s_mov_b32 s89, -1
	s_waitcnt lgkmcnt(0)
	s_barrier
	buffer_gl0_inv
                                        ; implicit-def: $vgpr38
	s_cbranch_scc1 .LBB98_346
; %bb.335:                              ;   in Loop: Header=BB98_6 Depth=1
	s_add_i32 s33, s34, s65
                                        ; implicit-def: $vgpr38
	s_mul_hi_u32 s89, s33, s71
	s_mul_i32 s89, s89, s52
	s_sub_i32 s89, s33, s89
	s_sub_i32 s90, s89, s52
	s_cmp_ge_u32 s89, s52
	s_cselect_b32 s89, s90, s89
	s_sub_i32 s90, s89, s52
	s_cmp_ge_u32 s89, s52
	s_cselect_b32 s89, s90, s89
	s_mov_b32 s90, exec_lo
	s_sub_i32 s91, s33, s89
	s_mov_b32 s89, 0
	s_mov_b32 s33, 0
	v_cmpx_gt_u32_e64 s91, v0
	s_cbranch_execz .LBB98_345
; %bb.336:                              ;   in Loop: Header=BB98_6 Depth=1
	v_mov_b32_e32 v3, v20
	v_mov_b32_e32 v4, v0
                                        ; implicit-def: $sgpr92
	s_inst_prefetch 0x1
	s_branch .LBB98_340
	.p2align	6
.LBB98_337:                             ;   in Loop: Header=BB98_340 Depth=2
	s_or_b32 exec_lo, exec_lo, s93
	s_waitcnt lgkmcnt(0)
	s_barrier
	buffer_gl0_inv
	ds_read_b32 v8, v9 offset:3072
	s_waitcnt lgkmcnt(0)
	s_barrier
	buffer_gl0_inv
	v_cmp_neq_f16_e32 vcc_lo, 0, v8
	s_cbranch_vccnz .LBB98_343
; %bb.338:                              ;   in Loop: Header=BB98_340 Depth=2
	v_add_nc_u32_e32 v4, s52, v4
	v_add_nc_u32_e32 v3, s75, v3
	s_mov_b32 s93, 0
	v_cmp_le_u32_e32 vcc_lo, s91, v4
	s_orn2_b32 s94, vcc_lo, exec_lo
.LBB98_339:                             ;   in Loop: Header=BB98_340 Depth=2
	s_and_b32 s94, exec_lo, s94
	s_or_b32 s33, s94, s33
	s_andn2_b32 s92, s92, exec_lo
	s_and_b32 s93, s93, exec_lo
	s_or_b32 s92, s92, s93
	s_andn2_b32 exec_lo, exec_lo, s33
	s_cbranch_execz .LBB98_344
.LBB98_340:                             ;   Parent Loop BB98_6 Depth=1
                                        ; =>  This Inner Loop Header: Depth=2
	s_mov_b32 s93, exec_lo
	v_cmpx_gt_u32_e64 s34, v4
	s_cbranch_execz .LBB98_337
; %bb.341:                              ;   in Loop: Header=BB98_340 Depth=2
	ds_read_u16 v8, v3
	s_waitcnt lgkmcnt(0)
	v_cmp_lt_i16_e32 vcc_lo, -1, v8
	v_cndmask_b32_e32 v13, 0xffff, v35, vcc_lo
	v_cmp_o_f16_e32 vcc_lo, v8, v8
	v_xor_b32_sdwa v13, v13, v8 dst_sel:DWORD dst_unused:UNUSED_PAD src0_sel:DWORD src1_sel:WORD_0
	v_cndmask_b32_e32 v13, 0xffff, v13, vcc_lo
	v_and_b32_e32 v13, v13, v37
	v_cmp_eq_u32_e32 vcc_lo, v13, v27
	s_and_b32 exec_lo, exec_lo, vcc_lo
	s_cbranch_execz .LBB98_337
; %bb.342:                              ;   in Loop: Header=BB98_340 Depth=2
	v_perm_b32 v8, v8, s77, 0x5040100
	ds_write_b32 v9, v8 offset:3072
	s_branch .LBB98_337
.LBB98_343:                             ;   in Loop: Header=BB98_340 Depth=2
	s_mov_b32 s94, -1
	s_mov_b32 s93, -1
                                        ; implicit-def: $vgpr4
                                        ; implicit-def: $vgpr3
	s_branch .LBB98_339
.LBB98_344:                             ;   in Loop: Header=BB98_6 Depth=1
	s_inst_prefetch 0x2
	s_or_b32 exec_lo, exec_lo, s33
	v_lshrrev_b32_e32 v38, 16, v8
	s_and_b32 s33, s92, exec_lo
.LBB98_345:                             ;   in Loop: Header=BB98_6 Depth=1
	s_or_b32 exec_lo, exec_lo, s90
.LBB98_346:                             ;   in Loop: Header=BB98_6 Depth=1
	s_and_b32 vcc_lo, exec_lo, s89
	s_cbranch_vccz .LBB98_358
; %bb.347:                              ;   in Loop: Header=BB98_6 Depth=1
                                        ; implicit-def: $vgpr38
	s_and_saveexec_b32 s28, s13
	s_cbranch_execz .LBB98_357
; %bb.348:                              ;   in Loop: Header=BB98_6 Depth=1
	v_mov_b32_e32 v8, v7
	v_mov_b32_e32 v3, v0
	s_mov_b32 s29, 0
                                        ; implicit-def: $sgpr34
	s_branch .LBB98_352
.LBB98_349:                             ;   in Loop: Header=BB98_352 Depth=2
	s_or_b32 exec_lo, exec_lo, s89
	s_waitcnt lgkmcnt(0)
	s_barrier
	buffer_gl0_inv
	ds_read_b32 v4, v9 offset:3072
	s_waitcnt lgkmcnt(0)
	s_barrier
	buffer_gl0_inv
	v_cmp_eq_f16_e32 vcc_lo, 0, v4
	s_cbranch_vccz .LBB98_355
; %bb.350:                              ;   in Loop: Header=BB98_352 Depth=2
	v_add_nc_u32_e32 v3, s52, v3
	v_add_nc_u32_e32 v8, s53, v8
	s_mov_b32 s89, 0
	v_cmp_le_u32_e32 vcc_lo, s72, v3
	s_orn2_b32 s90, vcc_lo, exec_lo
.LBB98_351:                             ;   in Loop: Header=BB98_352 Depth=2
	s_and_b32 s90, exec_lo, s90
	s_or_b32 s29, s90, s29
	s_andn2_b32 s34, s34, exec_lo
	s_and_b32 s89, s89, exec_lo
	s_or_b32 s34, s34, s89
	s_andn2_b32 exec_lo, exec_lo, s29
	s_cbranch_execz .LBB98_356
.LBB98_352:                             ;   Parent Loop BB98_6 Depth=1
                                        ; =>  This Inner Loop Header: Depth=2
	s_mov_b32 s89, exec_lo
	v_cmpx_gt_u32_e64 s36, v3
	s_cbranch_execz .LBB98_349
; %bb.353:                              ;   in Loop: Header=BB98_352 Depth=2
	v_lshlrev_b64 v[13:14], 1, v[8:9]
	v_add_co_u32 v13, vcc_lo, s50, v13
	v_add_co_ci_u32_e64 v14, null, s51, v14, vcc_lo
	global_load_ushort v4, v[13:14], off
	s_waitcnt vmcnt(0)
	v_cmp_lt_i16_e32 vcc_lo, -1, v4
	v_cndmask_b32_e32 v13, 0xffff, v35, vcc_lo
	v_cmp_o_f16_e32 vcc_lo, v4, v4
	v_xor_b32_sdwa v13, v13, v4 dst_sel:DWORD dst_unused:UNUSED_PAD src0_sel:DWORD src1_sel:WORD_0
	v_cndmask_b32_e32 v13, 0xffff, v13, vcc_lo
	v_and_b32_e32 v13, v13, v37
	v_cmp_eq_u32_e32 vcc_lo, v13, v27
	s_and_b32 exec_lo, exec_lo, vcc_lo
	s_cbranch_execz .LBB98_349
; %bb.354:                              ;   in Loop: Header=BB98_352 Depth=2
	v_perm_b32 v4, v4, s77, 0x5040100
	ds_write_b32 v9, v4 offset:3072
	s_branch .LBB98_349
.LBB98_355:                             ;   in Loop: Header=BB98_352 Depth=2
	s_mov_b32 s90, -1
	s_mov_b32 s89, -1
                                        ; implicit-def: $vgpr3
	s_branch .LBB98_351
.LBB98_356:                             ;   in Loop: Header=BB98_6 Depth=1
	s_or_b32 exec_lo, exec_lo, s29
	v_lshrrev_b32_e32 v38, 16, v4
	s_andn2_b32 s29, s33, exec_lo
	s_and_b32 s33, s34, exec_lo
	s_or_b32 s33, s29, s33
.LBB98_357:                             ;   in Loop: Header=BB98_6 Depth=1
	s_or_b32 exec_lo, exec_lo, s28
	s_mov_b32 s28, 0
	s_mov_b32 s29, -1
.LBB98_358:                             ;   in Loop: Header=BB98_6 Depth=1
	s_orn2_b32 s33, s33, exec_lo
.LBB98_359:                             ;   in Loop: Header=BB98_6 Depth=1
	s_or_b32 exec_lo, exec_lo, s30
	s_mov_b32 s34, 0
	s_and_saveexec_b32 s30, s33
	s_cbranch_execz .LBB98_411
; %bb.360:                              ;   in Loop: Header=BB98_6 Depth=1
	v_mov_b32_e32 v3, 1
	v_mov_b32_e32 v1, 1
	s_xor_b32 s33, s31, -1
	s_mov_b32 s89, 0
	s_and_saveexec_b32 s31, s33
	s_cbranch_execz .LBB98_369
; %bb.361:                              ;   in Loop: Header=BB98_6 Depth=1
	s_mov_b32 s33, exec_lo
	v_cmpx_ge_u32_e64 s20, v2
	s_xor_b32 s33, exec_lo, s33
	s_cbranch_execz .LBB98_366
; %bb.362:                              ;   in Loop: Header=BB98_6 Depth=1
	ds_read_b32 v1, v9 offset:4096
	s_lshl_b32 s34, 1, s82
	v_or_b32_e32 v37, s18, v37
	v_and_or_b32 v27, v27, s19, s34
	s_waitcnt lgkmcnt(0)
	v_cmp_ne_u32_e32 vcc_lo, 0, v1
	s_cbranch_vccnz .LBB98_366
; %bb.363:                              ;   in Loop: Header=BB98_6 Depth=1
	s_and_saveexec_b32 s34, s3
; %bb.364:                              ;   in Loop: Header=BB98_6 Depth=1
	v_mov_b32_e32 v1, s20
	ds_write_b32 v9, v1 offset:4100
; %bb.365:                              ;   in Loop: Header=BB98_6 Depth=1
	s_or_b32 exec_lo, exec_lo, s34
	s_waitcnt lgkmcnt(0)
	s_barrier
	buffer_gl0_inv
.LBB98_366:                             ;   in Loop: Header=BB98_6 Depth=1
	s_or_saveexec_b32 s33, s33
	v_mov_b32_e32 v1, 5
	s_mov_b32 s34, 0
	s_xor_b32 exec_lo, exec_lo, s33
; %bb.367:                              ;   in Loop: Header=BB98_6 Depth=1
	v_subrev_nc_u32_e32 v2, s20, v2
	v_mov_b32_e32 v1, 0
	s_mov_b32 s34, exec_lo
; %bb.368:                              ;   in Loop: Header=BB98_6 Depth=1
	s_or_b32 exec_lo, exec_lo, s33
	v_mov_b32_e32 v3, v2
	s_and_b32 s89, s34, exec_lo
.LBB98_369:                             ;   in Loop: Header=BB98_6 Depth=1
	s_or_b32 exec_lo, exec_lo, s31
	s_mov_b32 s31, -1
                                        ; implicit-def: $sgpr34
                                        ; implicit-def: $sgpr33
	s_and_saveexec_b32 s20, s89
	s_cbranch_execz .LBB98_410
; %bb.370:                              ;   in Loop: Header=BB98_6 Depth=1
	v_cmp_eq_u32_e32 vcc_lo, 1, v3
	s_cmp_eq_u32 s17, 1
	s_mov_b32 s90, -1
	s_cselect_b32 s31, -1, 0
                                        ; implicit-def: $sgpr34
                                        ; implicit-def: $sgpr33
	s_and_b32 s31, s31, vcc_lo
	s_and_saveexec_b32 s89, s31
	s_cbranch_execz .LBB98_398
; %bb.371:                              ;   in Loop: Header=BB98_6 Depth=1
	ds_read_b32 v2, v9 offset:4096
	s_waitcnt lgkmcnt(0)
	s_barrier
	buffer_gl0_inv
	v_readfirstlane_b32 s91, v2
	s_and_saveexec_b32 s33, s15
; %bb.372:                              ;   in Loop: Header=BB98_6 Depth=1
	ds_write_b16 v21, v9
; %bb.373:                              ;   in Loop: Header=BB98_6 Depth=1
	s_or_b32 exec_lo, exec_lo, s33
	v_and_b32_e32 v27, s19, v27
	v_or_b32_e32 v37, s18, v37
	s_mov_b32 s33, -1
	s_mov_b32 s34, 0
	s_cmp_eq_u32 s91, 0
	s_mov_b32 s90, 0
	s_mov_b32 s92, -1
	s_waitcnt lgkmcnt(0)
	s_barrier
	buffer_gl0_inv
                                        ; implicit-def: $vgpr38
	s_cbranch_scc1 .LBB98_385
; %bb.374:                              ;   in Loop: Header=BB98_6 Depth=1
	s_add_i32 s90, s91, s65
                                        ; implicit-def: $vgpr38
	s_mul_hi_u32 s92, s90, s71
	s_mul_i32 s92, s92, s52
	s_sub_i32 s92, s90, s92
	s_sub_i32 s93, s92, s52
	s_cmp_ge_u32 s92, s52
	s_cselect_b32 s92, s93, s92
	s_sub_i32 s93, s92, s52
	s_cmp_ge_u32 s92, s52
	s_cselect_b32 s92, s93, s92
	s_mov_b32 s93, exec_lo
	s_sub_i32 s94, s90, s92
	s_mov_b32 s92, 0
	s_mov_b32 s90, 0
	v_cmpx_gt_u32_e64 s94, v0
	s_cbranch_execz .LBB98_384
; %bb.375:                              ;   in Loop: Header=BB98_6 Depth=1
	v_mov_b32_e32 v2, v20
	v_mov_b32_e32 v4, v0
                                        ; implicit-def: $sgpr95
	s_inst_prefetch 0x1
	s_branch .LBB98_379
	.p2align	6
.LBB98_376:                             ;   in Loop: Header=BB98_379 Depth=2
	s_or_b32 exec_lo, exec_lo, s96
	s_waitcnt lgkmcnt(0)
	s_barrier
	buffer_gl0_inv
	ds_read_b32 v8, v9 offset:3072
	s_waitcnt lgkmcnt(0)
	s_barrier
	buffer_gl0_inv
	v_cmp_neq_f16_e32 vcc_lo, 0, v8
	s_cbranch_vccnz .LBB98_382
; %bb.377:                              ;   in Loop: Header=BB98_379 Depth=2
	v_add_nc_u32_e32 v4, s52, v4
	v_add_nc_u32_e32 v2, s75, v2
	s_mov_b32 s96, 0
	v_cmp_le_u32_e32 vcc_lo, s94, v4
	s_orn2_b32 s97, vcc_lo, exec_lo
.LBB98_378:                             ;   in Loop: Header=BB98_379 Depth=2
	s_and_b32 s97, exec_lo, s97
	s_or_b32 s90, s97, s90
	s_andn2_b32 s95, s95, exec_lo
	s_and_b32 s96, s96, exec_lo
	s_or_b32 s95, s95, s96
	s_andn2_b32 exec_lo, exec_lo, s90
	s_cbranch_execz .LBB98_383
.LBB98_379:                             ;   Parent Loop BB98_6 Depth=1
                                        ; =>  This Inner Loop Header: Depth=2
	s_mov_b32 s96, exec_lo
	v_cmpx_gt_u32_e64 s91, v4
	s_cbranch_execz .LBB98_376
; %bb.380:                              ;   in Loop: Header=BB98_379 Depth=2
	ds_read_u16 v8, v2
	s_waitcnt lgkmcnt(0)
	v_cmp_lt_i16_e32 vcc_lo, -1, v8
	v_cndmask_b32_e32 v13, 0xffff, v35, vcc_lo
	v_cmp_o_f16_e32 vcc_lo, v8, v8
	v_xor_b32_sdwa v13, v13, v8 dst_sel:DWORD dst_unused:UNUSED_PAD src0_sel:DWORD src1_sel:WORD_0
	v_cndmask_b32_e32 v13, 0xffff, v13, vcc_lo
	v_and_b32_e32 v13, v13, v37
	v_cmp_eq_u32_e32 vcc_lo, v13, v27
	s_and_b32 exec_lo, exec_lo, vcc_lo
	s_cbranch_execz .LBB98_376
; %bb.381:                              ;   in Loop: Header=BB98_379 Depth=2
	v_perm_b32 v8, v8, s77, 0x5040100
	ds_write_b32 v9, v8 offset:3072
	s_branch .LBB98_376
.LBB98_382:                             ;   in Loop: Header=BB98_379 Depth=2
	s_mov_b32 s97, -1
	s_mov_b32 s96, -1
                                        ; implicit-def: $vgpr4
                                        ; implicit-def: $vgpr2
	s_branch .LBB98_378
.LBB98_383:                             ;   in Loop: Header=BB98_6 Depth=1
	s_inst_prefetch 0x2
	s_or_b32 exec_lo, exec_lo, s90
	v_lshrrev_b32_e32 v38, 16, v8
	s_and_b32 s90, s95, exec_lo
.LBB98_384:                             ;   in Loop: Header=BB98_6 Depth=1
	s_or_b32 exec_lo, exec_lo, s93
.LBB98_385:                             ;   in Loop: Header=BB98_6 Depth=1
	s_and_b32 vcc_lo, exec_lo, s92
	s_cbranch_vccz .LBB98_397
; %bb.386:                              ;   in Loop: Header=BB98_6 Depth=1
                                        ; implicit-def: $vgpr38
	s_and_saveexec_b32 s33, s13
	s_cbranch_execz .LBB98_396
; %bb.387:                              ;   in Loop: Header=BB98_6 Depth=1
	v_mov_b32_e32 v8, v7
	v_mov_b32_e32 v2, v0
	s_mov_b32 s34, 0
                                        ; implicit-def: $sgpr91
	s_branch .LBB98_391
.LBB98_388:                             ;   in Loop: Header=BB98_391 Depth=2
	s_or_b32 exec_lo, exec_lo, s92
	s_waitcnt lgkmcnt(0)
	s_barrier
	buffer_gl0_inv
	ds_read_b32 v4, v9 offset:3072
	s_waitcnt lgkmcnt(0)
	s_barrier
	buffer_gl0_inv
	v_cmp_eq_f16_e32 vcc_lo, 0, v4
	s_cbranch_vccz .LBB98_394
; %bb.389:                              ;   in Loop: Header=BB98_391 Depth=2
	v_add_nc_u32_e32 v2, s52, v2
	v_add_nc_u32_e32 v8, s53, v8
	s_mov_b32 s92, 0
	v_cmp_le_u32_e32 vcc_lo, s72, v2
	s_orn2_b32 s93, vcc_lo, exec_lo
.LBB98_390:                             ;   in Loop: Header=BB98_391 Depth=2
	s_and_b32 s93, exec_lo, s93
	s_or_b32 s34, s93, s34
	s_andn2_b32 s91, s91, exec_lo
	s_and_b32 s92, s92, exec_lo
	s_or_b32 s91, s91, s92
	s_andn2_b32 exec_lo, exec_lo, s34
	s_cbranch_execz .LBB98_395
.LBB98_391:                             ;   Parent Loop BB98_6 Depth=1
                                        ; =>  This Inner Loop Header: Depth=2
	s_mov_b32 s92, exec_lo
	v_cmpx_gt_u32_e64 s36, v2
	s_cbranch_execz .LBB98_388
; %bb.392:                              ;   in Loop: Header=BB98_391 Depth=2
	v_lshlrev_b64 v[13:14], 1, v[8:9]
	v_add_co_u32 v13, vcc_lo, s50, v13
	v_add_co_ci_u32_e64 v14, null, s51, v14, vcc_lo
	global_load_ushort v4, v[13:14], off
	s_waitcnt vmcnt(0)
	v_cmp_lt_i16_e32 vcc_lo, -1, v4
	v_cndmask_b32_e32 v13, 0xffff, v35, vcc_lo
	v_cmp_o_f16_e32 vcc_lo, v4, v4
	v_xor_b32_sdwa v13, v13, v4 dst_sel:DWORD dst_unused:UNUSED_PAD src0_sel:DWORD src1_sel:WORD_0
	v_cndmask_b32_e32 v13, 0xffff, v13, vcc_lo
	v_and_b32_e32 v13, v13, v37
	v_cmp_eq_u32_e32 vcc_lo, v13, v27
	s_and_b32 exec_lo, exec_lo, vcc_lo
	s_cbranch_execz .LBB98_388
; %bb.393:                              ;   in Loop: Header=BB98_391 Depth=2
	v_perm_b32 v4, v4, s77, 0x5040100
	ds_write_b32 v9, v4 offset:3072
	s_branch .LBB98_388
.LBB98_394:                             ;   in Loop: Header=BB98_391 Depth=2
	s_mov_b32 s93, -1
	s_mov_b32 s92, -1
                                        ; implicit-def: $vgpr2
	s_branch .LBB98_390
.LBB98_395:                             ;   in Loop: Header=BB98_6 Depth=1
	s_or_b32 exec_lo, exec_lo, s34
	v_lshrrev_b32_e32 v38, 16, v4
	s_andn2_b32 s34, s90, exec_lo
	s_and_b32 s90, s91, exec_lo
	s_or_b32 s90, s34, s90
.LBB98_396:                             ;   in Loop: Header=BB98_6 Depth=1
	s_or_b32 exec_lo, exec_lo, s33
	s_mov_b32 s33, 0
	s_mov_b32 s34, -1
.LBB98_397:                             ;   in Loop: Header=BB98_6 Depth=1
	s_orn2_b32 s90, s90, exec_lo
.LBB98_398:                             ;   in Loop: Header=BB98_6 Depth=1
	s_or_b32 exec_lo, exec_lo, s89
	s_mov_b32 s91, 0
	s_and_saveexec_b32 s89, s90
	s_cbranch_execz .LBB98_409
; %bb.399:                              ;   in Loop: Header=BB98_6 Depth=1
	v_mov_b32_e32 v1, 1
	v_mov_b32_e32 v2, 1
	s_xor_b32 s90, s31, -1
	s_and_saveexec_b32 s31, s90
	s_cbranch_execz .LBB98_408
; %bb.400:                              ;   in Loop: Header=BB98_6 Depth=1
	s_mov_b32 s90, exec_lo
	v_cmpx_ge_u32_e64 s17, v3
	s_xor_b32 s90, exec_lo, s90
	s_cbranch_execz .LBB98_405
; %bb.401:                              ;   in Loop: Header=BB98_6 Depth=1
	ds_read_b32 v1, v9 offset:4096
	v_and_b32_e32 v27, s19, v27
	v_or_b32_e32 v37, s18, v37
	s_waitcnt lgkmcnt(0)
	v_cmp_ne_u32_e32 vcc_lo, 0, v1
	s_cbranch_vccnz .LBB98_405
; %bb.402:                              ;   in Loop: Header=BB98_6 Depth=1
	s_and_saveexec_b32 s18, s3
; %bb.403:                              ;   in Loop: Header=BB98_6 Depth=1
	v_mov_b32_e32 v1, s17
	ds_write_b32 v9, v1 offset:4100
; %bb.404:                              ;   in Loop: Header=BB98_6 Depth=1
	s_or_b32 exec_lo, exec_lo, s18
	s_waitcnt lgkmcnt(0)
	s_barrier
	buffer_gl0_inv
.LBB98_405:                             ;   in Loop: Header=BB98_6 Depth=1
	s_andn2_saveexec_b32 s18, s90
; %bb.406:                              ;   in Loop: Header=BB98_6 Depth=1
	v_subrev_nc_u32_e32 v3, s17, v3
; %bb.407:                              ;   in Loop: Header=BB98_6 Depth=1
	s_or_b32 exec_lo, exec_lo, s18
	v_mov_b32_e32 v1, 5
	v_mov_b32_e32 v2, v3
.LBB98_408:                             ;   in Loop: Header=BB98_6 Depth=1
	s_or_b32 exec_lo, exec_lo, s31
	v_mov_b32_e32 v3, v2
	s_mov_b32 s91, exec_lo
.LBB98_409:                             ;   in Loop: Header=BB98_6 Depth=1
	s_or_b32 exec_lo, exec_lo, s89
	s_orn2_b32 s31, s91, exec_lo
.LBB98_410:                             ;   in Loop: Header=BB98_6 Depth=1
	s_or_b32 exec_lo, exec_lo, s20
	s_andn2_b32 s17, s29, exec_lo
	s_and_b32 s18, s34, exec_lo
	s_andn2_b32 s19, s28, exec_lo
	s_and_b32 s20, s33, exec_lo
	v_mov_b32_e32 v2, v3
	s_or_b32 s29, s17, s18
	s_or_b32 s28, s19, s20
	s_and_b32 s34, s31, exec_lo
.LBB98_411:                             ;   in Loop: Header=BB98_6 Depth=1
	s_or_b32 exec_lo, exec_lo, s30
	s_orn2_b32 s30, s34, exec_lo
.LBB98_412:                             ;   in Loop: Header=BB98_6 Depth=1
	s_or_b32 exec_lo, exec_lo, s21
	s_andn2_b32 s17, s26, exec_lo
	s_and_b32 s18, s29, exec_lo
	s_andn2_b32 s19, s22, exec_lo
	s_and_b32 s20, s28, exec_lo
	v_mov_b32_e32 v4, v2
	s_or_b32 s26, s17, s18
	s_or_b32 s22, s19, s20
	s_and_b32 s30, s30, exec_lo
.LBB98_413:                             ;   in Loop: Header=BB98_6 Depth=1
	s_or_b32 exec_lo, exec_lo, s27
	s_orn2_b32 s27, s30, exec_lo
.LBB98_414:                             ;   in Loop: Header=BB98_6 Depth=1
	s_or_b32 exec_lo, exec_lo, s6
	s_mov_b32 s6, s24
	s_mov_b32 s17, s23
	s_and_saveexec_b32 s18, s27
; %bb.415:                              ;   in Loop: Header=BB98_6 Depth=1
	v_cmp_ne_u32_e32 vcc_lo, 5, v1
	v_cmp_eq_u32_e64 s6, 5, v1
	s_andn2_b32 s17, s23, exec_lo
	s_andn2_b32 s19, s24, exec_lo
	s_and_b32 s20, vcc_lo, exec_lo
	s_and_b32 s6, s6, exec_lo
	s_or_b32 s17, s17, s20
	s_or_b32 s6, s19, s6
; %bb.416:                              ;   in Loop: Header=BB98_6 Depth=1
	s_or_b32 exec_lo, exec_lo, s18
	s_andn2_b32 s14, s14, exec_lo
	s_and_b32 s18, s26, exec_lo
	s_andn2_b32 s16, s16, exec_lo
	s_and_b32 s19, s22, exec_lo
	s_or_b32 s14, s14, s18
	s_or_b32 s16, s16, s19
	s_andn2_b32 s18, s23, exec_lo
	s_and_b32 s17, s17, exec_lo
	s_andn2_b32 s19, s24, exec_lo
	s_and_b32 s6, s6, exec_lo
	s_or_b32 s23, s18, s17
	s_or_b32 s24, s19, s6
.LBB98_417:                             ;   in Loop: Header=BB98_6 Depth=1
	s_or_b32 exec_lo, exec_lo, s25
	s_mov_b32 s25, 0
	s_mov_b32 s26, 0
	s_and_saveexec_b32 s6, s24
.LBB98_418:                             ;   in Loop: Header=BB98_6 Depth=1
	v_mov_b32_e32 v1, 0
	s_or_b32 s23, s23, exec_lo
.LBB98_419:                             ;   in Loop: Header=BB98_6 Depth=1
	s_or_b32 exec_lo, exec_lo, s6
	s_andn2_b32 s6, s86, exec_lo
	s_and_b32 s14, s14, exec_lo
	s_andn2_b32 s18, s84, exec_lo
	s_and_b32 s16, s16, exec_lo
	v_mov_b32_e32 v39, v4
	s_or_b32 s86, s6, s14
	s_or_b32 s84, s18, s16
	s_andn2_b32 s6, s88, exec_lo
	s_and_b32 s14, s26, exec_lo
	s_andn2_b32 s16, s87, exec_lo
	s_and_b32 s18, s25, exec_lo
	s_mov_b32 s17, -1
	s_andn2_b32 s85, s85, exec_lo
	s_or_b32 s88, s6, s14
	s_or_b32 s87, s16, s18
	s_and_saveexec_b32 s6, s23
	s_xor_b32 s6, exec_lo, s6
	s_cbranch_execz .LBB98_5
; %bb.420:                              ;   in Loop: Header=BB98_6 Depth=1
	s_mov_b32 s14, -1
	s_mov_b32 s16, -1
	s_mov_b32 s17, exec_lo
	v_cmpx_eq_u32_e32 0, v1
	s_cbranch_execz .LBB98_4
; %bb.421:                              ;   in Loop: Header=BB98_6 Depth=1
	s_xor_b32 s78, s78, 1
	s_add_i32 s18, s82, -2
	s_cmp_eq_u32 s82, 0
	s_mov_b32 s82, s18
	s_cselect_b32 s14, -1, 0
	s_xor_b32 s16, exec_lo, -1
	s_orn2_b32 s14, s14, exec_lo
	s_branch .LBB98_4
.LBB98_422:
	s_or_b32 exec_lo, exec_lo, s35
	s_xor_b32 s7, s83, -1
	s_xor_b32 s12, s80, -1
	;; [unrolled: 1-line block ×5, first 2 shown]
	s_mov_b32 s9, 0
	s_and_saveexec_b32 s10, s8
	s_xor_b32 s8, exec_lo, s10
	s_cbranch_execnz .LBB98_427
; %bb.423:
	s_andn2_saveexec_b32 s0, s8
	s_cbranch_execnz .LBB98_446
.LBB98_424:
	s_or_b32 exec_lo, exec_lo, s0
	s_and_saveexec_b32 s0, s9
.LBB98_425:
	; divergent unreachable
.LBB98_426:
	s_endpgm
.LBB98_427:
	s_mov_b32 s10, 0
	s_and_saveexec_b32 s9, s11
	s_xor_b32 s9, exec_lo, s9
	s_cbranch_execz .LBB98_444
; %bb.428:
	s_mov_b32 s11, 0
	s_and_saveexec_b32 s10, s12
	s_xor_b32 s10, exec_lo, s10
	s_cbranch_execz .LBB98_442
; %bb.429:
	;; [unrolled: 5-line block ×3, first 2 shown]
	s_and_saveexec_b32 s7, s6
	s_xor_b32 s6, exec_lo, s7
; %bb.431:
	v_and_b32_e32 v1, 0x8000, v27
	v_mov_b32_e32 v2, 0xffff
	v_cmp_eq_u32_e32 vcc_lo, 0, v1
	v_cndmask_b32_e32 v1, 0x8000, v2, vcc_lo
	v_xor_b32_e32 v38, v1, v27
; %bb.432:
	s_or_b32 exec_lo, exec_lo, s6
	s_and_saveexec_b32 s6, s3
; %bb.433:
	v_mov_b32_e32 v1, 0
	ds_write_b32 v1, v1 offset:4108
; %bb.434:
	s_or_b32 exec_lo, exec_lo, s6
	v_mov_b32_e32 v9, 0
	s_waitcnt lgkmcnt(0)
	s_barrier
	buffer_gl0_inv
	s_and_saveexec_b32 s3, s1
	s_cbranch_execz .LBB98_436
; %bb.435:
	global_load_ushort v9, v[5:6], off
.LBB98_436:
	s_or_b32 exec_lo, exec_lo, s3
	s_mul_i32 s3, s58, s56
	s_add_i32 s12, s36, 31
	s_sub_i32 s3, s54, s3
	s_andn2_b32 s12, s12, 31
	s_add_i32 s6, s58, 1
	s_sub_i32 s7, s3, s56
	s_cmp_ge_u32 s3, s56
	v_mov_b32_e32 v8, 0x8000
	s_cselect_b32 s6, s6, s58
	s_cselect_b32 s3, s7, s3
	s_add_i32 s7, s6, 1
	s_cmp_ge_u32 s3, s56
	v_cmp_lt_i16_e32 vcc_lo, -1, v38
	s_cselect_b32 s3, s7, s6
	s_mul_i32 s6, s57, s55
	s_mul_i32 s7, s3, s56
	s_sub_i32 s13, s54, s6
	s_sub_i32 s6, s54, s7
	s_mul_i32 s3, s3, s48
	s_mul_i32 s6, s6, s49
	s_add_i32 s7, s57, 1
	s_add_i32 s6, s3, s6
	s_sub_i32 s3, s13, s55
	s_cmp_ge_u32 s13, s55
	v_cndmask_b32_e32 v1, 0xffff, v8, vcc_lo
	s_cselect_b32 s7, s7, s57
	s_cselect_b32 s3, s3, s13
	s_add_i32 s13, s7, 1
	s_cmp_ge_u32 s3, s55
	v_xor_b32_sdwa v1, v1, v38 dst_sel:DWORD dst_unused:UNUSED_PAD src0_sel:DWORD src1_sel:WORD_0
	s_cselect_b32 s3, s13, s7
	s_clause 0x1
	s_load_dword s13, s[4:5], 0x1c8
	s_load_dword s5, s[4:5], 0x2a8
	s_mul_i32 s7, s3, s55
	v_cmp_o_f16_e32 vcc_lo, v38, v38
	s_sub_i32 s7, s54, s7
	s_mul_i32 s3, s3, s46
	s_mul_i32 s16, s7, s47
	s_mov_b32 s7, 0
	s_add_i32 s16, s3, s16
	s_lshl_b64 s[14:15], s[6:7], 1
	s_mov_b32 s17, s7
	s_add_u32 s6, s42, s14
	v_cndmask_b32_e32 v7, 0xffff, v1, vcc_lo
	s_addc_u32 s14, s43, s15
	s_lshl_b64 s[16:17], s[16:17], 3
	v_cmp_gt_u32_e32 vcc_lo, s12, v0
	s_add_u32 s15, s44, s16
	s_mov_b32 s4, -1
	s_addc_u32 s16, s45, s17
	s_mov_b32 s3, 0
	s_and_saveexec_b32 s17, vcc_lo
	s_cbranch_execnz .LBB98_447
; %bb.437:
	s_or_b32 exec_lo, exec_lo, s17
	s_and_saveexec_b32 s2, s4
	s_cbranch_execnz .LBB98_464
.LBB98_438:
	s_or_b32 exec_lo, exec_lo, s2
	s_and_saveexec_b32 s0, s3
	s_xor_b32 s0, exec_lo, s0
	s_cbranch_execnz .LBB98_487
.LBB98_439:
	s_or_b32 exec_lo, exec_lo, s0
	s_and_b32 s12, s7, exec_lo
.LBB98_440:
	s_andn2_saveexec_b32 s0, s11
	s_cbranch_execnz .LBB98_489
.LBB98_441:
	s_or_b32 exec_lo, exec_lo, s0
	s_and_b32 s11, s12, exec_lo
.LBB98_442:
	s_andn2_saveexec_b32 s0, s10
	s_cbranch_execnz .LBB98_488
.LBB98_443:
	s_or_b32 exec_lo, exec_lo, s0
	s_and_b32 s10, s11, exec_lo
.LBB98_444:
	s_andn2_saveexec_b32 s0, s9
	s_cbranch_execnz .LBB98_483
.LBB98_445:
	s_or_b32 exec_lo, exec_lo, s0
	s_and_b32 s9, s10, exec_lo
	s_andn2_saveexec_b32 s0, s8
	s_cbranch_execz .LBB98_424
.LBB98_446:
	s_or_b32 s9, s9, exec_lo
	s_trap 2
	s_or_b32 exec_lo, exec_lo, s0
	s_and_saveexec_b32 s0, s9
	s_cbranch_execnz .LBB98_425
	s_branch .LBB98_426
.LBB98_447:
	v_add_nc_u32_e32 v1, s52, v0
	v_mov_b32_e32 v2, 0
	v_mov_b32_e32 v3, v0
	s_mov_b32 s18, 0
                                        ; implicit-def: $sgpr19
                                        ; implicit-def: $vgpr11
	v_mul_lo_u32 v1, s40, v1
	s_branch .LBB98_449
.LBB98_448:                             ;   in Loop: Header=BB98_449 Depth=1
	s_or_b32 exec_lo, exec_lo, s21
	s_xor_b32 s3, s20, -1
	s_and_b32 s4, exec_lo, s4
	v_mov_b32_e32 v3, v10
	s_or_b32 s18, s4, s18
	s_waitcnt vmcnt(0)
	v_mov_b32_e32 v9, v12
	s_andn2_b32 s4, s19, exec_lo
	s_and_b32 s3, s3, exec_lo
	s_or_b32 s19, s4, s3
	s_andn2_b32 exec_lo, exec_lo, s18
	s_cbranch_execz .LBB98_463
.LBB98_449:                             ; =>This Inner Loop Header: Depth=1
	v_add_nc_u32_e32 v10, s52, v3
	v_mov_b32_e32 v12, 0
	s_mov_b32 s4, exec_lo
	v_cmpx_gt_u32_e64 s36, v10
	s_cbranch_execz .LBB98_451
; %bb.450:                              ;   in Loop: Header=BB98_449 Depth=1
	v_lshlrev_b64 v[12:13], 1, v[1:2]
	v_add_co_u32 v12, s3, s50, v12
	v_add_co_ci_u32_e64 v13, null, s51, v13, s3
	global_load_ushort v12, v[12:13], off
.LBB98_451:                             ;   in Loop: Header=BB98_449 Depth=1
	s_or_b32 exec_lo, exec_lo, s4
	s_mov_b32 s20, 0
	s_mov_b32 s4, exec_lo
	v_cmpx_gt_u32_e64 s36, v3
	s_cbranch_execz .LBB98_453
; %bb.452:                              ;   in Loop: Header=BB98_449 Depth=1
	s_waitcnt vmcnt(0)
	v_cmp_lt_i16_e64 s3, -1, v9
	v_cndmask_b32_e64 v4, 0xffff, v8, s3
	v_cmp_o_f16_e64 s3, v9, v9
	v_xor_b32_sdwa v4, v4, v9 dst_sel:DWORD dst_unused:UNUSED_PAD src0_sel:DWORD src1_sel:WORD_0
	v_cndmask_b32_e64 v4, 0xffff, v4, s3
	v_cmp_gt_u32_e64 s3, v4, v7
	v_cndmask_b32_e64 v13, 0, 1, s3
	v_cmp_lt_u32_e64 s3, v4, v7
	v_cndmask_b32_e64 v4, 0, 1, s3
	v_cndmask_b32_e64 v4, v4, v13, s2
	v_and_b32_e32 v4, 1, v4
	v_cmp_eq_u32_e64 s3, 1, v4
	s_and_b32 s20, s3, exec_lo
.LBB98_453:                             ;   in Loop: Header=BB98_449 Depth=1
	s_or_b32 exec_lo, exec_lo, s4
	v_cndmask_b32_e64 v4, 0, 1, s20
	v_cmp_ne_u32_e64 s3, 0, v4
	s_cmp_lg_u32 s3, 0
	s_cselect_b32 s4, -1, 0
	s_and_b32 s4, s0, s4
	s_and_saveexec_b32 s21, s4
	s_cbranch_execz .LBB98_457
; %bb.454:                              ;   in Loop: Header=BB98_449 Depth=1
	s_mov_b32 s24, exec_lo
	s_bcnt1_i32_b32 s22, s3
	v_mbcnt_lo_u32_b32 v4, s24, 0
	s_mov_b32 s23, exec_lo
                                        ; implicit-def: $vgpr11
	v_cmpx_eq_u32_e32 0, v4
	s_cbranch_execz .LBB98_456
; %bb.455:                              ;   in Loop: Header=BB98_449 Depth=1
	s_bcnt1_i32_b32 s4, s24
	s_mul_i32 s4, s22, s4
	s_waitcnt lgkmcnt(0)
	v_mov_b32_e32 v11, s4
	ds_add_rtn_u32 v11, v2, v11 offset:4108
.LBB98_456:                             ;   in Loop: Header=BB98_449 Depth=1
	s_or_b32 exec_lo, exec_lo, s23
	s_waitcnt lgkmcnt(0)
	v_readfirstlane_b32 s4, v11
	v_mad_u32_u24 v11, s22, v4, s4
.LBB98_457:                             ;   in Loop: Header=BB98_449 Depth=1
	s_or_b32 exec_lo, exec_lo, s21
	s_waitcnt lgkmcnt(0)
	ds_bpermute_b32 v11, v2, v11
	s_mov_b32 s4, -1
	s_mov_b32 s22, -1
	s_and_saveexec_b32 s21, s20
	s_cbranch_execz .LBB98_461
; %bb.458:                              ;   in Loop: Header=BB98_449 Depth=1
	v_and_b32_e32 v4, s3, v17
	s_mov_b32 s20, 0
	s_mov_b32 s22, exec_lo
	s_waitcnt lgkmcnt(0)
	v_bcnt_u32_b32 v4, v4, v11
	v_cmpx_gt_u32_e64 s37, v4
	s_cbranch_execz .LBB98_460
; %bb.459:                              ;   in Loop: Header=BB98_449 Depth=1
	v_mul_lo_u32 v13, v4, s13
	v_mul_lo_u32 v15, v4, s5
	v_mov_b32_e32 v14, v2
	v_mov_b32_e32 v16, v2
	v_mov_b32_e32 v4, v2
	s_mov_b32 s20, exec_lo
	v_lshlrev_b64 v[13:14], 1, v[13:14]
	v_lshlrev_b64 v[15:16], 3, v[15:16]
	v_add_co_u32 v13, s3, s6, v13
	v_add_co_ci_u32_e64 v14, null, s14, v14, s3
	v_add_co_u32 v15, s3, s15, v15
	v_add_co_ci_u32_e64 v16, null, s16, v16, s3
	s_waitcnt vmcnt(0)
	global_store_short v[13:14], v9, off
	global_store_dwordx2 v[15:16], v[3:4], off
.LBB98_460:                             ;   in Loop: Header=BB98_449 Depth=1
	s_or_b32 exec_lo, exec_lo, s22
	s_orn2_b32 s22, s20, exec_lo
.LBB98_461:                             ;   in Loop: Header=BB98_449 Depth=1
	s_or_b32 exec_lo, exec_lo, s21
	s_mov_b32 s20, -1
	s_and_saveexec_b32 s21, s22
	s_cbranch_execz .LBB98_448
; %bb.462:                              ;   in Loop: Header=BB98_449 Depth=1
	v_cmp_le_u32_e64 s3, s12, v10
	v_add_nc_u32_e32 v1, s53, v1
	s_xor_b32 s20, exec_lo, -1
	s_orn2_b32 s4, s3, exec_lo
	s_branch .LBB98_448
.LBB98_463:
	s_or_b32 exec_lo, exec_lo, s18
	s_mov_b32 s3, exec_lo
	s_orn2_b32 s4, s19, exec_lo
	s_or_b32 exec_lo, exec_lo, s17
	s_and_saveexec_b32 s2, s4
	s_cbranch_execz .LBB98_438
.LBB98_464:
	s_waitcnt vmcnt(0)
	v_mov_b32_e32 v9, 0
	s_waitcnt lgkmcnt(0)
	s_waitcnt_vscnt null, 0x0
	s_barrier
	buffer_gl0_inv
	s_and_saveexec_b32 s4, s1
	s_cbranch_execz .LBB98_466
; %bb.465:
	global_load_ushort v9, v[5:6], off
.LBB98_466:
	s_or_b32 exec_lo, exec_lo, s4
	s_mov_b32 s1, 0
	s_and_saveexec_b32 s4, vcc_lo
	s_cbranch_execz .LBB98_486
; %bb.467:
	v_add_nc_u32_e32 v1, s52, v0
	v_mov_b32_e32 v3, 0
	v_mov_b32_e32 v4, 0x8000
	s_mov_b32 s7, 0
                                        ; implicit-def: $sgpr17
                                        ; implicit-def: $vgpr6
	v_mul_lo_u32 v2, s40, v1
	s_branch .LBB98_470
.LBB98_468:                             ;   in Loop: Header=BB98_470 Depth=1
	s_or_b32 exec_lo, exec_lo, s19
	s_orn2_b32 s20, s21, exec_lo
	s_orn2_b32 s18, s18, exec_lo
.LBB98_469:                             ;   in Loop: Header=BB98_470 Depth=1
	s_or_b32 exec_lo, exec_lo, s1
	s_xor_b32 s1, s20, -1
	s_and_b32 s18, exec_lo, s18
	v_mov_b32_e32 v0, v5
	s_or_b32 s7, s18, s7
	v_mov_b32_e32 v9, v8
	s_andn2_b32 s17, s17, exec_lo
	s_and_b32 s1, s1, exec_lo
	s_or_b32 s17, s17, s1
	s_andn2_b32 exec_lo, exec_lo, s7
	s_cbranch_execz .LBB98_484
.LBB98_470:                             ; =>This Inner Loop Header: Depth=1
	v_add_nc_u32_e32 v5, s52, v0
	v_mov_b32_e32 v8, 0
	s_mov_b32 s1, exec_lo
	v_cmpx_gt_u32_e64 s36, v5
	s_cbranch_execz .LBB98_472
; %bb.471:                              ;   in Loop: Header=BB98_470 Depth=1
	v_lshlrev_b64 v[10:11], 1, v[2:3]
	v_add_co_u32 v10, vcc_lo, s50, v10
	v_add_co_ci_u32_e64 v11, null, s51, v11, vcc_lo
	global_load_ushort v8, v[10:11], off
.LBB98_472:                             ;   in Loop: Header=BB98_470 Depth=1
	s_or_b32 exec_lo, exec_lo, s1
	s_waitcnt vmcnt(0)
	v_cmp_lt_i16_e32 vcc_lo, -1, v9
	v_cndmask_b32_e32 v1, 0xffff, v4, vcc_lo
	v_cmp_o_f16_e32 vcc_lo, v9, v9
	v_xor_b32_sdwa v1, v1, v9 dst_sel:DWORD dst_unused:UNUSED_PAD src0_sel:DWORD src1_sel:WORD_0
	v_cndmask_b32_e32 v1, 0xffff, v1, vcc_lo
	v_cmp_gt_u32_e32 vcc_lo, s36, v0
	v_cmp_eq_u32_e64 s1, v1, v7
	s_and_b32 s19, vcc_lo, s1
	v_cndmask_b32_e64 v1, 0, 1, s19
	v_cmp_ne_u32_e32 vcc_lo, 0, v1
	s_cmp_lg_u32 vcc_lo, 0
	s_cselect_b32 s1, -1, 0
	s_and_b32 s1, s0, s1
	s_and_saveexec_b32 s18, s1
	s_cbranch_execz .LBB98_476
; %bb.473:                              ;   in Loop: Header=BB98_470 Depth=1
	s_mov_b32 s22, exec_lo
	s_bcnt1_i32_b32 s20, vcc_lo
	v_mbcnt_lo_u32_b32 v1, s22, 0
	s_mov_b32 s21, exec_lo
                                        ; implicit-def: $vgpr6
	v_cmpx_eq_u32_e32 0, v1
; %bb.474:                              ;   in Loop: Header=BB98_470 Depth=1
	s_bcnt1_i32_b32 s1, s22
	s_mul_i32 s1, s20, s1
	v_mov_b32_e32 v6, s1
	ds_add_rtn_u32 v6, v3, v6 offset:4108
; %bb.475:                              ;   in Loop: Header=BB98_470 Depth=1
	s_or_b32 exec_lo, exec_lo, s21
	s_waitcnt lgkmcnt(0)
	v_readfirstlane_b32 s1, v6
	v_mad_u32_u24 v6, s20, v1, s1
.LBB98_476:                             ;   in Loop: Header=BB98_470 Depth=1
	s_or_b32 exec_lo, exec_lo, s18
	ds_bpermute_b32 v6, v3, v6
	s_cmp_eq_u32 vcc_lo, 0
	s_mov_b32 s18, -1
	s_cselect_b32 s20, -1, 0
	s_waitcnt lgkmcnt(0)
	v_cmp_gt_u32_e64 s1, s37, v6
	s_or_b32 s21, s20, s1
	s_mov_b32 s20, -1
	s_and_saveexec_b32 s1, s21
	s_cbranch_execz .LBB98_469
; %bb.477:                              ;   in Loop: Header=BB98_470 Depth=1
	v_and_b32_e32 v1, vcc_lo, v17
	v_sub_nc_u32_e32 v10, s37, v6
	s_mov_b32 s21, -1
	v_bcnt_u32_b32 v1, v1, 0
	v_bcnt_u32_b32 v1, 0, v1
	v_cmp_gt_u32_e32 vcc_lo, v10, v1
	s_and_b32 s22, s19, vcc_lo
	s_and_saveexec_b32 s19, s22
	s_cbranch_execz .LBB98_481
; %bb.478:                              ;   in Loop: Header=BB98_470 Depth=1
	v_add_nc_u32_e32 v1, v6, v1
	s_mov_b32 s20, 0
	s_mov_b32 s21, exec_lo
	v_cmpx_gt_u32_e64 s37, v1
; %bb.479:                              ;   in Loop: Header=BB98_470 Depth=1
	v_mul_lo_u32 v10, v1, s13
	v_mul_lo_u32 v12, v1, s5
	v_mov_b32_e32 v11, v3
	v_mov_b32_e32 v13, v3
	;; [unrolled: 1-line block ×3, first 2 shown]
	s_mov_b32 s20, exec_lo
	v_lshlrev_b64 v[10:11], 1, v[10:11]
	v_lshlrev_b64 v[12:13], 3, v[12:13]
	v_add_co_u32 v10, vcc_lo, s6, v10
	v_add_co_ci_u32_e64 v11, null, s14, v11, vcc_lo
	v_add_co_u32 v12, vcc_lo, s15, v12
	v_add_co_ci_u32_e64 v13, null, s16, v13, vcc_lo
	global_store_short v[10:11], v9, off
	global_store_dwordx2 v[12:13], v[0:1], off
; %bb.480:                              ;   in Loop: Header=BB98_470 Depth=1
	s_or_b32 exec_lo, exec_lo, s21
	s_xor_b32 s21, exec_lo, -1
	s_orn2_b32 s20, s20, exec_lo
.LBB98_481:                             ;   in Loop: Header=BB98_470 Depth=1
	s_or_b32 exec_lo, exec_lo, s19
	s_and_saveexec_b32 s19, s20
	s_cbranch_execz .LBB98_468
; %bb.482:                              ;   in Loop: Header=BB98_470 Depth=1
	v_cmp_le_u32_e32 vcc_lo, s12, v5
	v_add_nc_u32_e32 v2, s53, v2
	s_or_b32 s21, s21, exec_lo
	s_orn2_b32 s18, vcc_lo, exec_lo
	s_branch .LBB98_468
.LBB98_483:
	s_or_b32 s10, s10, exec_lo
	s_trap 2
	s_branch .LBB98_445
.LBB98_484:
	s_or_b32 exec_lo, exec_lo, s7
	s_mov_b32 s0, 0
	s_and_saveexec_b32 s1, s17
	s_xor_b32 s1, exec_lo, s1
	s_cbranch_execnz .LBB98_490
.LBB98_485:
	s_or_b32 exec_lo, exec_lo, s1
	s_and_b32 s1, s0, exec_lo
.LBB98_486:
	s_or_b32 exec_lo, exec_lo, s4
	s_and_b32 s7, s1, exec_lo
	s_andn2_b32 s3, s3, exec_lo
	s_or_b32 exec_lo, exec_lo, s2
	s_and_saveexec_b32 s0, s3
	s_xor_b32 s0, exec_lo, s0
	s_cbranch_execz .LBB98_439
.LBB98_487:
	s_or_b32 s7, s7, exec_lo
	s_trap 2
	s_branch .LBB98_439
.LBB98_488:
	s_or_b32 s11, s11, exec_lo
	s_trap 2
	s_branch .LBB98_443
.LBB98_489:
	s_or_b32 s12, s12, exec_lo
	s_trap 2
	s_branch .LBB98_441
.LBB98_490:
	s_mov_b32 s0, exec_lo
	s_trap 2
	s_branch .LBB98_485
	.section	.rodata,"a",@progbits
	.p2align	6, 0x0
	.amdhsa_kernel _ZN2at6native6sbtopk10gatherTopKIN3c104HalfEjLi2ELb0EEEvNS_4cuda6detail10TensorInfoIKT_T0_EESA_SA_bSA_SA_NS7_IS8_SA_EESA_NS7_IlSA_EESA_PS8_
		.amdhsa_group_segment_fixed_size 4112
		.amdhsa_private_segment_fixed_size 0
		.amdhsa_kernarg_size 952
		.amdhsa_user_sgpr_count 6
		.amdhsa_user_sgpr_private_segment_buffer 1
		.amdhsa_user_sgpr_dispatch_ptr 0
		.amdhsa_user_sgpr_queue_ptr 0
		.amdhsa_user_sgpr_kernarg_segment_ptr 1
		.amdhsa_user_sgpr_dispatch_id 0
		.amdhsa_user_sgpr_flat_scratch_init 0
		.amdhsa_user_sgpr_private_segment_size 0
		.amdhsa_wavefront_size32 1
		.amdhsa_uses_dynamic_stack 0
		.amdhsa_system_sgpr_private_segment_wavefront_offset 0
		.amdhsa_system_sgpr_workgroup_id_x 1
		.amdhsa_system_sgpr_workgroup_id_y 1
		.amdhsa_system_sgpr_workgroup_id_z 1
		.amdhsa_system_sgpr_workgroup_info 0
		.amdhsa_system_vgpr_workitem_id 0
		.amdhsa_next_free_vgpr 62
		.amdhsa_next_free_sgpr 105
		.amdhsa_reserve_vcc 1
		.amdhsa_reserve_flat_scratch 0
		.amdhsa_float_round_mode_32 0
		.amdhsa_float_round_mode_16_64 0
		.amdhsa_float_denorm_mode_32 3
		.amdhsa_float_denorm_mode_16_64 3
		.amdhsa_dx10_clamp 1
		.amdhsa_ieee_mode 1
		.amdhsa_fp16_overflow 0
		.amdhsa_workgroup_processor_mode 1
		.amdhsa_memory_ordered 1
		.amdhsa_forward_progress 1
		.amdhsa_shared_vgpr_count 0
		.amdhsa_exception_fp_ieee_invalid_op 0
		.amdhsa_exception_fp_denorm_src 0
		.amdhsa_exception_fp_ieee_div_zero 0
		.amdhsa_exception_fp_ieee_overflow 0
		.amdhsa_exception_fp_ieee_underflow 0
		.amdhsa_exception_fp_ieee_inexact 0
		.amdhsa_exception_int_div_zero 0
	.end_amdhsa_kernel
	.section	.text._ZN2at6native6sbtopk10gatherTopKIN3c104HalfEjLi2ELb0EEEvNS_4cuda6detail10TensorInfoIKT_T0_EESA_SA_bSA_SA_NS7_IS8_SA_EESA_NS7_IlSA_EESA_PS8_,"axG",@progbits,_ZN2at6native6sbtopk10gatherTopKIN3c104HalfEjLi2ELb0EEEvNS_4cuda6detail10TensorInfoIKT_T0_EESA_SA_bSA_SA_NS7_IS8_SA_EESA_NS7_IlSA_EESA_PS8_,comdat
.Lfunc_end98:
	.size	_ZN2at6native6sbtopk10gatherTopKIN3c104HalfEjLi2ELb0EEEvNS_4cuda6detail10TensorInfoIKT_T0_EESA_SA_bSA_SA_NS7_IS8_SA_EESA_NS7_IlSA_EESA_PS8_, .Lfunc_end98-_ZN2at6native6sbtopk10gatherTopKIN3c104HalfEjLi2ELb0EEEvNS_4cuda6detail10TensorInfoIKT_T0_EESA_SA_bSA_SA_NS7_IS8_SA_EESA_NS7_IlSA_EESA_PS8_
                                        ; -- End function
	.set _ZN2at6native6sbtopk10gatherTopKIN3c104HalfEjLi2ELb0EEEvNS_4cuda6detail10TensorInfoIKT_T0_EESA_SA_bSA_SA_NS7_IS8_SA_EESA_NS7_IlSA_EESA_PS8_.num_vgpr, 62
	.set _ZN2at6native6sbtopk10gatherTopKIN3c104HalfEjLi2ELb0EEEvNS_4cuda6detail10TensorInfoIKT_T0_EESA_SA_bSA_SA_NS7_IS8_SA_EESA_NS7_IlSA_EESA_PS8_.num_agpr, 0
	.set _ZN2at6native6sbtopk10gatherTopKIN3c104HalfEjLi2ELb0EEEvNS_4cuda6detail10TensorInfoIKT_T0_EESA_SA_bSA_SA_NS7_IS8_SA_EESA_NS7_IlSA_EESA_PS8_.numbered_sgpr, 105
	.set _ZN2at6native6sbtopk10gatherTopKIN3c104HalfEjLi2ELb0EEEvNS_4cuda6detail10TensorInfoIKT_T0_EESA_SA_bSA_SA_NS7_IS8_SA_EESA_NS7_IlSA_EESA_PS8_.num_named_barrier, 0
	.set _ZN2at6native6sbtopk10gatherTopKIN3c104HalfEjLi2ELb0EEEvNS_4cuda6detail10TensorInfoIKT_T0_EESA_SA_bSA_SA_NS7_IS8_SA_EESA_NS7_IlSA_EESA_PS8_.private_seg_size, 0
	.set _ZN2at6native6sbtopk10gatherTopKIN3c104HalfEjLi2ELb0EEEvNS_4cuda6detail10TensorInfoIKT_T0_EESA_SA_bSA_SA_NS7_IS8_SA_EESA_NS7_IlSA_EESA_PS8_.uses_vcc, 1
	.set _ZN2at6native6sbtopk10gatherTopKIN3c104HalfEjLi2ELb0EEEvNS_4cuda6detail10TensorInfoIKT_T0_EESA_SA_bSA_SA_NS7_IS8_SA_EESA_NS7_IlSA_EESA_PS8_.uses_flat_scratch, 0
	.set _ZN2at6native6sbtopk10gatherTopKIN3c104HalfEjLi2ELb0EEEvNS_4cuda6detail10TensorInfoIKT_T0_EESA_SA_bSA_SA_NS7_IS8_SA_EESA_NS7_IlSA_EESA_PS8_.has_dyn_sized_stack, 0
	.set _ZN2at6native6sbtopk10gatherTopKIN3c104HalfEjLi2ELb0EEEvNS_4cuda6detail10TensorInfoIKT_T0_EESA_SA_bSA_SA_NS7_IS8_SA_EESA_NS7_IlSA_EESA_PS8_.has_recursion, 0
	.set _ZN2at6native6sbtopk10gatherTopKIN3c104HalfEjLi2ELb0EEEvNS_4cuda6detail10TensorInfoIKT_T0_EESA_SA_bSA_SA_NS7_IS8_SA_EESA_NS7_IlSA_EESA_PS8_.has_indirect_call, 0
	.section	.AMDGPU.csdata,"",@progbits
; Kernel info:
; codeLenInByte = 16712
; TotalNumSgprs: 107
; NumVgprs: 62
; ScratchSize: 0
; MemoryBound: 0
; FloatMode: 240
; IeeeMode: 1
; LDSByteSize: 4112 bytes/workgroup (compile time only)
; SGPRBlocks: 0
; VGPRBlocks: 7
; NumSGPRsForWavesPerEU: 107
; NumVGPRsForWavesPerEU: 62
; Occupancy: 16
; WaveLimiterHint : 1
; COMPUTE_PGM_RSRC2:SCRATCH_EN: 0
; COMPUTE_PGM_RSRC2:USER_SGPR: 6
; COMPUTE_PGM_RSRC2:TRAP_HANDLER: 0
; COMPUTE_PGM_RSRC2:TGID_X_EN: 1
; COMPUTE_PGM_RSRC2:TGID_Y_EN: 1
; COMPUTE_PGM_RSRC2:TGID_Z_EN: 1
; COMPUTE_PGM_RSRC2:TIDIG_COMP_CNT: 0
	.section	.text._ZN2at6native6mbtopk23computeBlockDigitCountsIN3c104HalfEjjLi3EEEvNS_4cuda6detail10TensorInfoIKT_T0_EEjPjjSA_iijT1_PSD_Ps,"axG",@progbits,_ZN2at6native6mbtopk23computeBlockDigitCountsIN3c104HalfEjjLi3EEEvNS_4cuda6detail10TensorInfoIKT_T0_EEjPjjSA_iijT1_PSD_Ps,comdat
	.protected	_ZN2at6native6mbtopk23computeBlockDigitCountsIN3c104HalfEjjLi3EEEvNS_4cuda6detail10TensorInfoIKT_T0_EEjPjjSA_iijT1_PSD_Ps ; -- Begin function _ZN2at6native6mbtopk23computeBlockDigitCountsIN3c104HalfEjjLi3EEEvNS_4cuda6detail10TensorInfoIKT_T0_EEjPjjSA_iijT1_PSD_Ps
	.globl	_ZN2at6native6mbtopk23computeBlockDigitCountsIN3c104HalfEjjLi3EEEvNS_4cuda6detail10TensorInfoIKT_T0_EEjPjjSA_iijT1_PSD_Ps
	.p2align	8
	.type	_ZN2at6native6mbtopk23computeBlockDigitCountsIN3c104HalfEjjLi3EEEvNS_4cuda6detail10TensorInfoIKT_T0_EEjPjjSA_iijT1_PSD_Ps,@function
_ZN2at6native6mbtopk23computeBlockDigitCountsIN3c104HalfEjjLi3EEEvNS_4cuda6detail10TensorInfoIKT_T0_EEjPjjSA_iijT1_PSD_Ps: ; @_ZN2at6native6mbtopk23computeBlockDigitCountsIN3c104HalfEjjLi3EEEvNS_4cuda6detail10TensorInfoIKT_T0_EEjPjjSA_iijT1_PSD_Ps
; %bb.0:
	s_clause 0x2
	s_load_dwordx2 s[10:11], s[4:5], 0xf8
	s_load_dwordx4 s[12:15], s[4:5], 0xe8
	s_load_dwordx2 s[0:1], s[4:5], 0x110
	s_mov_b32 s9, 0
	s_waitcnt lgkmcnt(0)
	v_cvt_f32_u32_e32 v1, s10
	s_sub_i32 s3, 0, s10
	s_mul_i32 s1, s1, s8
	s_add_i32 s1, s1, s7
	v_rcp_iflag_f32_e32 v1, v1
	s_mul_i32 s18, s1, s0
	s_add_i32 s18, s18, s6
	v_mul_f32_e32 v1, 0x4f7ffffe, v1
	v_cvt_u32_f32_e32 v1, v1
	v_readfirstlane_b32 s2, v1
	s_mul_i32 s3, s3, s2
	s_mul_hi_u32 s0, s2, s3
	s_add_i32 s2, s2, s0
	s_mul_hi_u32 s0, s18, s2
	s_mul_i32 s1, s0, s10
	s_add_i32 s2, s0, 1
	s_sub_i32 s1, s18, s1
	s_sub_i32 s3, s1, s10
	s_cmp_ge_u32 s1, s10
	s_cselect_b32 s0, s2, s0
	s_cselect_b32 s1, s3, s1
	s_add_i32 s2, s0, 1
	s_cmp_ge_u32 s1, s10
	s_cselect_b32 s8, s2, s0
	s_cmp_ge_u32 s8, s12
	s_cbranch_scc1 .LBB99_27
; %bb.1:
	s_clause 0x1
	s_load_dwordx2 s[6:7], s[4:5], 0xc
	s_load_dwordx4 s[0:3], s[4:5], 0x100
	s_lshl_b64 s[16:17], s[8:9], 2
	v_cmp_gt_u32_e32 vcc_lo, 0x100, v0
	v_lshlrev_b32_e32 v3, 2, v0
	s_waitcnt lgkmcnt(0)
	v_cvt_f32_u32_e32 v1, s7
	v_cvt_f32_u32_e32 v2, s6
	s_add_u32 s16, s0, s16
	s_addc_u32 s17, s1, s17
	s_sub_i32 s0, 0, s7
	v_rcp_iflag_f32_e32 v1, v1
	v_rcp_iflag_f32_e32 v2, v2
	v_mul_f32_e32 v1, 0x4f7ffffe, v1
	v_cvt_u32_f32_e32 v1, v1
	v_readfirstlane_b32 s9, v1
	v_mul_f32_e32 v1, 0x4f7ffffe, v2
	s_mul_i32 s0, s0, s9
	v_cvt_u32_f32_e32 v1, v1
	s_mul_hi_u32 s0, s9, s0
	s_add_i32 s9, s9, s0
	v_readfirstlane_b32 s19, v1
	s_mul_hi_u32 s0, s8, s9
	s_mul_i32 s1, s0, s7
	s_add_i32 s9, s0, 1
	s_sub_i32 s1, s8, s1
	s_sub_i32 s12, s1, s7
	s_cmp_ge_u32 s1, s7
	s_cselect_b32 s0, s9, s0
	s_cselect_b32 s1, s12, s1
	s_add_i32 s9, s0, 1
	s_cmp_ge_u32 s1, s7
	s_cselect_b32 s0, s9, s0
	s_and_saveexec_b32 s1, vcc_lo
; %bb.2:
	v_mov_b32_e32 v1, 0
	ds_write_b32 v3, v1
; %bb.3:
	s_or_b32 exec_lo, exec_lo, s1
	s_load_dword s9, s[4:5], 0xd8
	s_mul_i32 s1, s8, s10
	s_waitcnt lgkmcnt(0)
	s_sub_i32 s1, s18, s1
	s_barrier
	s_mul_i32 s12, s15, s1
	s_add_i32 s1, s1, 1
	s_lshl_b32 s12, s12, 8
	buffer_gl0_inv
	s_sub_i32 s20, s9, s12
	s_add_u32 s20, s20, 0xff
	s_addc_u32 s21, 0, 0
	s_lshr_b64 s[20:21], s[20:21], 8
	s_cmp_lt_u32 s1, s10
	s_mov_b32 s1, 0
	s_cselect_b32 s10, s15, s20
	s_cmp_lt_i32 s10, 1
	s_cbranch_scc1 .LBB99_25
; %bb.4:
	s_sub_i32 s15, 0, s6
	s_clause 0x1
	s_load_dwordx4 s[20:23], s[4:5], 0x6c
	s_load_dwordx2 s[24:25], s[4:5], 0x0
	s_mul_i32 s15, s15, s19
	s_mul_i32 s7, s0, s7
	s_mul_hi_u32 s15, s19, s15
	s_sub_i32 s7, s8, s7
	s_add_i32 s19, s19, s15
	s_mul_hi_u32 s15, s0, s19
	s_mul_i32 s19, s15, s6
	s_sub_i32 s8, s0, s19
	s_add_i32 s19, s15, 1
	s_waitcnt lgkmcnt(0)
	s_sub_i32 s23, s8, s6
	s_cmp_ge_u32 s8, s6
	s_cselect_b32 s5, s19, s15
	s_cselect_b32 s4, s23, s8
	s_add_i32 s8, s5, 1
	s_cmp_ge_u32 s4, s6
	s_load_dword s4, s[16:17], 0x0
	s_cselect_b32 s5, s8, s5
	s_mul_i32 s7, s7, s22
	s_mul_i32 s6, s5, s6
	;; [unrolled: 1-line block ×3, first 2 shown]
	s_sub_i32 s0, s0, s6
	s_mul_i32 s0, s0, s21
	s_add_i32 s0, s0, s7
	s_add_i32 s0, s0, s5
	s_lshl_b64 s[6:7], s[0:1], 1
	s_add_u32 s5, s24, s6
	s_addc_u32 s6, s25, s7
	s_and_b32 s7, s14, 0xff
	s_cmp_lt_u32 s10, 4
	s_cbranch_scc1 .LBB99_19
; %bb.5:
	v_add_nc_u32_e32 v1, s12, v0
	v_mov_b32_e32 v9, 1
	v_mov_b32_e32 v10, 0x8000
	s_and_b32 s1, s10, 0x7ffffffc
	s_lshl_b32 s8, s13, 10
	v_add_nc_u32_e32 v4, 0x300, v1
	v_add_nc_u32_e32 v2, 0x200, v1
	;; [unrolled: 1-line block ×3, first 2 shown]
	v_mul_lo_u32 v8, s13, v1
	s_mov_b32 s14, 0
	v_mul_lo_u32 v5, s13, v4
	v_mul_lo_u32 v6, s13, v2
	;; [unrolled: 1-line block ×3, first 2 shown]
	v_mov_b32_e32 v2, 0
	s_mov_b32 s15, 0
	s_branch .LBB99_7
.LBB99_6:                               ;   in Loop: Header=BB99_7 Depth=1
	s_or_b32 exec_lo, exec_lo, s16
	v_add_nc_u32_e32 v4, 0x400, v4
	s_add_i32 s15, s15, 4
	s_add_i32 s14, s14, s8
	s_cmp_eq_u32 s1, s15
	s_cbranch_scc1 .LBB99_19
.LBB99_7:                               ; =>This Inner Loop Header: Depth=1
	v_add_nc_u32_e32 v1, 0xfffffd00, v4
	s_mov_b32 s16, exec_lo
	v_cmpx_gt_u32_e64 s9, v1
	s_cbranch_execz .LBB99_10
; %bb.8:                                ;   in Loop: Header=BB99_7 Depth=1
	v_add_nc_u32_e32 v1, s14, v8
	v_lshlrev_b64 v[11:12], 1, v[1:2]
	v_add_co_u32 v11, s0, s5, v11
	v_add_co_ci_u32_e64 v12, null, s6, v12, s0
	global_load_ushort v1, v[11:12], off
	s_waitcnt vmcnt(0)
	v_cmp_lt_i16_e64 s0, -1, v1
	v_cndmask_b32_e64 v11, 0xffff, v10, s0
	v_cmp_o_f16_e64 s0, v1, v1
	v_xor_b32_sdwa v11, v11, v1 dst_sel:DWORD dst_unused:UNUSED_PAD src0_sel:DWORD src1_sel:WORD_0
	v_cndmask_b32_e64 v1, 0xffff, v11, s0
	s_waitcnt lgkmcnt(0)
	v_xor_b32_e32 v11, s4, v1
	v_and_b32_e32 v11, s11, v11
	v_cmp_eq_u32_e64 s0, 0, v11
	s_and_b32 exec_lo, exec_lo, s0
; %bb.9:                                ;   in Loop: Header=BB99_7 Depth=1
	v_bfe_u32 v1, v1, s7, 8
	v_lshlrev_b32_e32 v1, 2, v1
	ds_add_u32 v1, v9
.LBB99_10:                              ;   in Loop: Header=BB99_7 Depth=1
	s_or_b32 exec_lo, exec_lo, s16
	v_add_nc_u32_e32 v1, 0xfffffe00, v4
	s_mov_b32 s16, exec_lo
	v_cmpx_gt_u32_e64 s9, v1
	s_cbranch_execz .LBB99_13
; %bb.11:                               ;   in Loop: Header=BB99_7 Depth=1
	v_add_nc_u32_e32 v1, s14, v7
	v_lshlrev_b64 v[11:12], 1, v[1:2]
	v_add_co_u32 v11, s0, s5, v11
	v_add_co_ci_u32_e64 v12, null, s6, v12, s0
	global_load_ushort v1, v[11:12], off
	s_waitcnt vmcnt(0)
	v_cmp_lt_i16_e64 s0, -1, v1
	v_cndmask_b32_e64 v11, 0xffff, v10, s0
	v_cmp_o_f16_e64 s0, v1, v1
	v_xor_b32_sdwa v11, v11, v1 dst_sel:DWORD dst_unused:UNUSED_PAD src0_sel:DWORD src1_sel:WORD_0
	v_cndmask_b32_e64 v1, 0xffff, v11, s0
	s_waitcnt lgkmcnt(0)
	v_xor_b32_e32 v11, s4, v1
	v_and_b32_e32 v11, s11, v11
	v_cmp_eq_u32_e64 s0, 0, v11
	s_and_b32 exec_lo, exec_lo, s0
; %bb.12:                               ;   in Loop: Header=BB99_7 Depth=1
	v_bfe_u32 v1, v1, s7, 8
	v_lshlrev_b32_e32 v1, 2, v1
	ds_add_u32 v1, v9
.LBB99_13:                              ;   in Loop: Header=BB99_7 Depth=1
	s_or_b32 exec_lo, exec_lo, s16
	v_add_nc_u32_e32 v1, 0xffffff00, v4
	s_mov_b32 s16, exec_lo
	v_cmpx_gt_u32_e64 s9, v1
	s_cbranch_execz .LBB99_16
; %bb.14:                               ;   in Loop: Header=BB99_7 Depth=1
	v_add_nc_u32_e32 v1, s14, v6
	v_lshlrev_b64 v[11:12], 1, v[1:2]
	v_add_co_u32 v11, s0, s5, v11
	v_add_co_ci_u32_e64 v12, null, s6, v12, s0
	global_load_ushort v1, v[11:12], off
	s_waitcnt vmcnt(0)
	v_cmp_lt_i16_e64 s0, -1, v1
	v_cndmask_b32_e64 v11, 0xffff, v10, s0
	v_cmp_o_f16_e64 s0, v1, v1
	v_xor_b32_sdwa v11, v11, v1 dst_sel:DWORD dst_unused:UNUSED_PAD src0_sel:DWORD src1_sel:WORD_0
	v_cndmask_b32_e64 v1, 0xffff, v11, s0
	s_waitcnt lgkmcnt(0)
	v_xor_b32_e32 v11, s4, v1
	v_and_b32_e32 v11, s11, v11
	v_cmp_eq_u32_e64 s0, 0, v11
	s_and_b32 exec_lo, exec_lo, s0
; %bb.15:                               ;   in Loop: Header=BB99_7 Depth=1
	v_bfe_u32 v1, v1, s7, 8
	v_lshlrev_b32_e32 v1, 2, v1
	ds_add_u32 v1, v9
.LBB99_16:                              ;   in Loop: Header=BB99_7 Depth=1
	s_or_b32 exec_lo, exec_lo, s16
	s_mov_b32 s16, exec_lo
	v_cmpx_gt_u32_e64 s9, v4
	s_cbranch_execz .LBB99_6
; %bb.17:                               ;   in Loop: Header=BB99_7 Depth=1
	v_add_nc_u32_e32 v1, s14, v5
	v_lshlrev_b64 v[11:12], 1, v[1:2]
	v_add_co_u32 v11, s0, s5, v11
	v_add_co_ci_u32_e64 v12, null, s6, v12, s0
	global_load_ushort v1, v[11:12], off
	s_waitcnt vmcnt(0)
	v_cmp_lt_i16_e64 s0, -1, v1
	v_cndmask_b32_e64 v11, 0xffff, v10, s0
	v_cmp_o_f16_e64 s0, v1, v1
	v_xor_b32_sdwa v11, v11, v1 dst_sel:DWORD dst_unused:UNUSED_PAD src0_sel:DWORD src1_sel:WORD_0
	v_cndmask_b32_e64 v1, 0xffff, v11, s0
	s_waitcnt lgkmcnt(0)
	v_xor_b32_e32 v11, s4, v1
	v_and_b32_e32 v11, s11, v11
	v_cmp_eq_u32_e64 s0, 0, v11
	s_and_b32 exec_lo, exec_lo, s0
	s_cbranch_execz .LBB99_6
; %bb.18:                               ;   in Loop: Header=BB99_7 Depth=1
	v_bfe_u32 v1, v1, s7, 8
	v_lshlrev_b32_e32 v1, 2, v1
	ds_add_u32 v1, v9
	s_branch .LBB99_6
.LBB99_19:
	s_and_b32 s8, s10, 3
	s_cmp_eq_u32 s8, 0
	s_cbranch_scc1 .LBB99_25
; %bb.20:
	s_lshl_b32 s0, s1, 8
	v_mov_b32_e32 v2, 0
	v_add3_u32 v4, s0, s12, v0
	v_mov_b32_e32 v5, 1
	v_mov_b32_e32 v6, 0x8000
	s_lshl_b32 s1, s13, 8
	v_mul_lo_u32 v1, s13, v4
	s_inst_prefetch 0x1
	s_branch .LBB99_22
	.p2align	6
.LBB99_21:                              ;   in Loop: Header=BB99_22 Depth=1
	s_or_b32 exec_lo, exec_lo, s10
	v_add_nc_u32_e32 v1, s1, v1
	v_add_nc_u32_e32 v4, 0x100, v4
	s_add_i32 s8, s8, -1
	s_cmp_lg_u32 s8, 0
	s_cbranch_scc0 .LBB99_25
.LBB99_22:                              ; =>This Inner Loop Header: Depth=1
	s_mov_b32 s10, exec_lo
	v_cmpx_gt_u32_e64 s9, v4
	s_cbranch_execz .LBB99_21
; %bb.23:                               ;   in Loop: Header=BB99_22 Depth=1
	v_lshlrev_b64 v[7:8], 1, v[1:2]
	v_add_co_u32 v7, s0, s5, v7
	v_add_co_ci_u32_e64 v8, null, s6, v8, s0
	global_load_ushort v7, v[7:8], off
	s_waitcnt vmcnt(0)
	v_cmp_lt_i16_e64 s0, -1, v7
	v_cndmask_b32_e64 v8, 0xffff, v6, s0
	v_cmp_o_f16_e64 s0, v7, v7
	v_xor_b32_sdwa v8, v8, v7 dst_sel:DWORD dst_unused:UNUSED_PAD src0_sel:DWORD src1_sel:WORD_0
	v_cndmask_b32_e64 v7, 0xffff, v8, s0
	s_waitcnt lgkmcnt(0)
	v_xor_b32_e32 v8, s4, v7
	v_and_b32_e32 v8, s11, v8
	v_cmp_eq_u32_e64 s0, 0, v8
	s_and_b32 exec_lo, exec_lo, s0
	s_cbranch_execz .LBB99_21
; %bb.24:                               ;   in Loop: Header=BB99_22 Depth=1
	v_bfe_u32 v7, v7, s7, 8
	v_lshlrev_b32_e32 v7, 2, v7
	ds_add_u32 v7, v5
	s_branch .LBB99_21
.LBB99_25:
	s_inst_prefetch 0x2
	s_waitcnt lgkmcnt(0)
	s_barrier
	buffer_gl0_inv
	s_and_saveexec_b32 s0, vcc_lo
	s_cbranch_execz .LBB99_27
; %bb.26:
	ds_read_b32 v2, v3
	v_lshl_or_b32 v0, s18, 8, v0
	v_mov_b32_e32 v1, 0
	v_lshlrev_b64 v[0:1], 1, v[0:1]
	v_add_co_u32 v0, vcc_lo, s2, v0
	v_add_co_ci_u32_e64 v1, null, s3, v1, vcc_lo
	s_waitcnt lgkmcnt(0)
	global_store_short v[0:1], v2, off
.LBB99_27:
	s_endpgm
	.section	.rodata,"a",@progbits
	.p2align	6, 0x0
	.amdhsa_kernel _ZN2at6native6mbtopk23computeBlockDigitCountsIN3c104HalfEjjLi3EEEvNS_4cuda6detail10TensorInfoIKT_T0_EEjPjjSA_iijT1_PSD_Ps
		.amdhsa_group_segment_fixed_size 1024
		.amdhsa_private_segment_fixed_size 0
		.amdhsa_kernarg_size 528
		.amdhsa_user_sgpr_count 6
		.amdhsa_user_sgpr_private_segment_buffer 1
		.amdhsa_user_sgpr_dispatch_ptr 0
		.amdhsa_user_sgpr_queue_ptr 0
		.amdhsa_user_sgpr_kernarg_segment_ptr 1
		.amdhsa_user_sgpr_dispatch_id 0
		.amdhsa_user_sgpr_flat_scratch_init 0
		.amdhsa_user_sgpr_private_segment_size 0
		.amdhsa_wavefront_size32 1
		.amdhsa_uses_dynamic_stack 0
		.amdhsa_system_sgpr_private_segment_wavefront_offset 0
		.amdhsa_system_sgpr_workgroup_id_x 1
		.amdhsa_system_sgpr_workgroup_id_y 1
		.amdhsa_system_sgpr_workgroup_id_z 1
		.amdhsa_system_sgpr_workgroup_info 0
		.amdhsa_system_vgpr_workitem_id 0
		.amdhsa_next_free_vgpr 13
		.amdhsa_next_free_sgpr 26
		.amdhsa_reserve_vcc 1
		.amdhsa_reserve_flat_scratch 0
		.amdhsa_float_round_mode_32 0
		.amdhsa_float_round_mode_16_64 0
		.amdhsa_float_denorm_mode_32 3
		.amdhsa_float_denorm_mode_16_64 3
		.amdhsa_dx10_clamp 1
		.amdhsa_ieee_mode 1
		.amdhsa_fp16_overflow 0
		.amdhsa_workgroup_processor_mode 1
		.amdhsa_memory_ordered 1
		.amdhsa_forward_progress 1
		.amdhsa_shared_vgpr_count 0
		.amdhsa_exception_fp_ieee_invalid_op 0
		.amdhsa_exception_fp_denorm_src 0
		.amdhsa_exception_fp_ieee_div_zero 0
		.amdhsa_exception_fp_ieee_overflow 0
		.amdhsa_exception_fp_ieee_underflow 0
		.amdhsa_exception_fp_ieee_inexact 0
		.amdhsa_exception_int_div_zero 0
	.end_amdhsa_kernel
	.section	.text._ZN2at6native6mbtopk23computeBlockDigitCountsIN3c104HalfEjjLi3EEEvNS_4cuda6detail10TensorInfoIKT_T0_EEjPjjSA_iijT1_PSD_Ps,"axG",@progbits,_ZN2at6native6mbtopk23computeBlockDigitCountsIN3c104HalfEjjLi3EEEvNS_4cuda6detail10TensorInfoIKT_T0_EEjPjjSA_iijT1_PSD_Ps,comdat
.Lfunc_end99:
	.size	_ZN2at6native6mbtopk23computeBlockDigitCountsIN3c104HalfEjjLi3EEEvNS_4cuda6detail10TensorInfoIKT_T0_EEjPjjSA_iijT1_PSD_Ps, .Lfunc_end99-_ZN2at6native6mbtopk23computeBlockDigitCountsIN3c104HalfEjjLi3EEEvNS_4cuda6detail10TensorInfoIKT_T0_EEjPjjSA_iijT1_PSD_Ps
                                        ; -- End function
	.set _ZN2at6native6mbtopk23computeBlockDigitCountsIN3c104HalfEjjLi3EEEvNS_4cuda6detail10TensorInfoIKT_T0_EEjPjjSA_iijT1_PSD_Ps.num_vgpr, 13
	.set _ZN2at6native6mbtopk23computeBlockDigitCountsIN3c104HalfEjjLi3EEEvNS_4cuda6detail10TensorInfoIKT_T0_EEjPjjSA_iijT1_PSD_Ps.num_agpr, 0
	.set _ZN2at6native6mbtopk23computeBlockDigitCountsIN3c104HalfEjjLi3EEEvNS_4cuda6detail10TensorInfoIKT_T0_EEjPjjSA_iijT1_PSD_Ps.numbered_sgpr, 26
	.set _ZN2at6native6mbtopk23computeBlockDigitCountsIN3c104HalfEjjLi3EEEvNS_4cuda6detail10TensorInfoIKT_T0_EEjPjjSA_iijT1_PSD_Ps.num_named_barrier, 0
	.set _ZN2at6native6mbtopk23computeBlockDigitCountsIN3c104HalfEjjLi3EEEvNS_4cuda6detail10TensorInfoIKT_T0_EEjPjjSA_iijT1_PSD_Ps.private_seg_size, 0
	.set _ZN2at6native6mbtopk23computeBlockDigitCountsIN3c104HalfEjjLi3EEEvNS_4cuda6detail10TensorInfoIKT_T0_EEjPjjSA_iijT1_PSD_Ps.uses_vcc, 1
	.set _ZN2at6native6mbtopk23computeBlockDigitCountsIN3c104HalfEjjLi3EEEvNS_4cuda6detail10TensorInfoIKT_T0_EEjPjjSA_iijT1_PSD_Ps.uses_flat_scratch, 0
	.set _ZN2at6native6mbtopk23computeBlockDigitCountsIN3c104HalfEjjLi3EEEvNS_4cuda6detail10TensorInfoIKT_T0_EEjPjjSA_iijT1_PSD_Ps.has_dyn_sized_stack, 0
	.set _ZN2at6native6mbtopk23computeBlockDigitCountsIN3c104HalfEjjLi3EEEvNS_4cuda6detail10TensorInfoIKT_T0_EEjPjjSA_iijT1_PSD_Ps.has_recursion, 0
	.set _ZN2at6native6mbtopk23computeBlockDigitCountsIN3c104HalfEjjLi3EEEvNS_4cuda6detail10TensorInfoIKT_T0_EEjPjjSA_iijT1_PSD_Ps.has_indirect_call, 0
	.section	.AMDGPU.csdata,"",@progbits
; Kernel info:
; codeLenInByte = 1676
; TotalNumSgprs: 28
; NumVgprs: 13
; ScratchSize: 0
; MemoryBound: 0
; FloatMode: 240
; IeeeMode: 1
; LDSByteSize: 1024 bytes/workgroup (compile time only)
; SGPRBlocks: 0
; VGPRBlocks: 1
; NumSGPRsForWavesPerEU: 28
; NumVGPRsForWavesPerEU: 13
; Occupancy: 16
; WaveLimiterHint : 1
; COMPUTE_PGM_RSRC2:SCRATCH_EN: 0
; COMPUTE_PGM_RSRC2:USER_SGPR: 6
; COMPUTE_PGM_RSRC2:TRAP_HANDLER: 0
; COMPUTE_PGM_RSRC2:TGID_X_EN: 1
; COMPUTE_PGM_RSRC2:TGID_Y_EN: 1
; COMPUTE_PGM_RSRC2:TGID_Z_EN: 1
; COMPUTE_PGM_RSRC2:TIDIG_COMP_CNT: 0
	.section	.text._ZN2at6native6mbtopk10gatherTopKIN3c104HalfEjLi3EEEvNS_4cuda6detail10TensorInfoIKT_T0_EESA_SA_bjSA_NS7_IS8_SA_EESA_NS7_IlSA_EESA_jjPS8_PjSF_j,"axG",@progbits,_ZN2at6native6mbtopk10gatherTopKIN3c104HalfEjLi3EEEvNS_4cuda6detail10TensorInfoIKT_T0_EESA_SA_bjSA_NS7_IS8_SA_EESA_NS7_IlSA_EESA_jjPS8_PjSF_j,comdat
	.protected	_ZN2at6native6mbtopk10gatherTopKIN3c104HalfEjLi3EEEvNS_4cuda6detail10TensorInfoIKT_T0_EESA_SA_bjSA_NS7_IS8_SA_EESA_NS7_IlSA_EESA_jjPS8_PjSF_j ; -- Begin function _ZN2at6native6mbtopk10gatherTopKIN3c104HalfEjLi3EEEvNS_4cuda6detail10TensorInfoIKT_T0_EESA_SA_bjSA_NS7_IS8_SA_EESA_NS7_IlSA_EESA_jjPS8_PjSF_j
	.globl	_ZN2at6native6mbtopk10gatherTopKIN3c104HalfEjLi3EEEvNS_4cuda6detail10TensorInfoIKT_T0_EESA_SA_bjSA_NS7_IS8_SA_EESA_NS7_IlSA_EESA_jjPS8_PjSF_j
	.p2align	8
	.type	_ZN2at6native6mbtopk10gatherTopKIN3c104HalfEjLi3EEEvNS_4cuda6detail10TensorInfoIKT_T0_EESA_SA_bjSA_NS7_IS8_SA_EESA_NS7_IlSA_EESA_jjPS8_PjSF_j,@function
_ZN2at6native6mbtopk10gatherTopKIN3c104HalfEjLi3EEEvNS_4cuda6detail10TensorInfoIKT_T0_EESA_SA_bjSA_NS7_IS8_SA_EESA_NS7_IlSA_EESA_jjPS8_PjSF_j: ; @_ZN2at6native6mbtopk10gatherTopKIN3c104HalfEjLi3EEEvNS_4cuda6detail10TensorInfoIKT_T0_EESA_SA_bjSA_NS7_IS8_SA_EESA_NS7_IlSA_EESA_jjPS8_PjSF_j
; %bb.0:
	s_clause 0x1
	s_load_dwordx2 s[0:1], s[4:5], 0x2d8
	s_load_dword s2, s[4:5], 0x2d0
	s_waitcnt lgkmcnt(0)
	s_mul_i32 s1, s1, s8
	s_add_i32 s1, s1, s7
	s_mul_i32 s0, s1, s0
	s_add_i32 s0, s0, s6
	s_cmp_ge_u32 s0, s2
	s_cbranch_scc1 .LBB100_40
; %bb.1:
	s_clause 0x3
	s_load_dwordx8 s[8:15], s[4:5], 0x2a8
	s_load_dwordx2 s[36:37], s[4:5], 0xc
	s_load_dwordx2 s[34:35], s[4:5], 0xfc
	;; [unrolled: 1-line block ×3, first 2 shown]
	s_mov_b32 s39, 0
	s_load_dwordx2 s[2:3], s[4:5], 0x1d0
	s_waitcnt lgkmcnt(0)
	v_cvt_f32_u32_e32 v1, s10
	v_cvt_f32_u32_e32 v2, s37
	s_sub_i32 s1, 0, s10
	v_cvt_f32_u32_e32 v4, s35
	v_cvt_f32_u32_e32 v3, s36
	v_rcp_iflag_f32_e32 v1, v1
	v_rcp_iflag_f32_e32 v2, v2
	v_cvt_f32_u32_e32 v5, s34
	v_rcp_iflag_f32_e32 v4, v4
	v_rcp_iflag_f32_e32 v3, v3
	;; [unrolled: 3-line block ×3, first 2 shown]
	v_mul_f32_e32 v1, 0x4f7ffffe, v1
	v_mul_f32_e32 v2, 0x4f7ffffe, v2
	;; [unrolled: 1-line block ×3, first 2 shown]
	v_cvt_u32_f32_e32 v1, v1
	v_cvt_u32_f32_e32 v2, v2
	;; [unrolled: 1-line block ×3, first 2 shown]
	v_readfirstlane_b32 s11, v1
	v_readfirstlane_b32 s18, v2
	v_mul_f32_e32 v2, 0x4f7ffffe, v4
	v_mul_f32_e32 v4, 0x4f7ffffe, v5
	;; [unrolled: 1-line block ×3, first 2 shown]
	s_mul_i32 s1, s1, s11
	v_cvt_f32_u32_e32 v1, s6
	s_mul_hi_u32 s1, s11, s1
	v_cvt_u32_f32_e32 v2, v2
	s_add_i32 s11, s11, s1
	s_mul_hi_u32 s1, s0, s11
	v_rcp_iflag_f32_e32 v1, v1
	s_mul_i32 s11, s1, s10
	s_add_i32 s16, s1, 1
	s_sub_i32 s11, s0, s11
	s_sub_i32 s17, s11, s10
	s_cmp_ge_u32 s11, s10
	s_cselect_b32 s1, s16, s1
	s_cselect_b32 s11, s17, s11
	s_add_i32 s16, s1, 1
	s_cmp_ge_u32 s11, s10
	v_mul_f32_e32 v1, 0x4f7ffffe, v1
	s_cselect_b32 s38, s16, s1
	s_sub_i32 s1, 0, s37
	s_mul_i32 s28, s38, s10
	s_mul_i32 s1, s1, s18
	s_sub_i32 s11, s0, s28
	s_mul_hi_u32 s1, s18, s1
	v_cvt_u32_f32_e32 v1, v1
	s_add_i32 s18, s18, s1
	s_mul_hi_u32 s1, s38, s18
	v_readfirstlane_b32 s18, v2
	s_mul_i32 s16, s1, s37
	v_cvt_u32_f32_e32 v2, v4
	s_sub_i32 s0, s38, s16
	s_add_i32 s16, s1, 1
	s_sub_i32 s17, s0, s37
	s_cmp_ge_u32 s0, s37
	s_cselect_b32 s1, s16, s1
	s_cselect_b32 s0, s17, s0
	s_add_i32 s16, s1, 1
	s_cmp_ge_u32 s0, s37
	s_cselect_b32 s49, s16, s1
	s_sub_i32 s0, 0, s35
	v_readfirstlane_b32 s1, v3
	s_mul_i32 s0, s0, s18
	s_sub_i32 s16, 0, s36
	s_mul_hi_u32 s0, s18, s0
	v_cvt_u32_f32_e32 v3, v5
	s_add_i32 s18, s18, s0
	s_mul_i32 s16, s16, s1
	s_mul_hi_u32 s0, s38, s18
	s_mul_hi_u32 s16, s1, s16
	s_mul_i32 s17, s0, s35
	s_add_i32 s29, s1, s16
	s_sub_i32 s1, s38, s17
	s_add_i32 s16, s0, 1
	s_sub_i32 s17, s1, s35
	s_cmp_ge_u32 s1, s35
	v_readfirstlane_b32 s18, v3
	s_cselect_b32 s0, s16, s0
	s_cselect_b32 s1, s17, s1
	s_add_i32 s16, s0, 1
	s_cmp_ge_u32 s1, s35
	v_readfirstlane_b32 s1, v2
	s_cselect_b32 s48, s16, s0
	s_sub_i32 s0, 0, s7
	s_sub_i32 s16, 0, s34
	s_mul_i32 s0, s0, s18
	s_mul_i32 s16, s16, s1
	s_mul_hi_u32 s0, s18, s0
	s_mul_hi_u32 s16, s1, s16
	s_add_i32 s18, s18, s0
	s_add_i32 s30, s1, s16
	s_mul_hi_u32 s0, s38, s18
	v_readfirstlane_b32 s18, v1
	s_mul_i32 s17, s0, s7
	s_add_i32 s16, s0, 1
	s_sub_i32 s1, s38, s17
	v_mov_b32_e32 v1, 0
	s_sub_i32 s17, s1, s7
	s_cmp_ge_u32 s1, s7
	s_mul_hi_u32 s50, s49, s29
	s_cselect_b32 s0, s16, s0
	s_cselect_b32 s1, s17, s1
	s_add_i32 s16, s0, 1
	s_cmp_ge_u32 s1, s7
	s_cselect_b32 s33, s16, s0
	s_sub_i32 s0, 0, s6
	s_mul_i32 s0, s0, s18
	s_mul_hi_u32 s16, s18, s0
	s_lshl_b64 s[0:1], s[38:39], 1
	s_add_i32 s31, s18, s16
	s_add_u32 s0, s12, s0
	s_addc_u32 s1, s13, s1
	global_load_ushort v1, v1, s[0:1]
	s_clause 0x4
	s_load_dwordx2 s[42:43], s[4:5], 0x0
	s_load_dwordx4 s[20:23], s[4:5], 0x15c
	s_load_dwordx4 s[16:19], s[4:5], 0x23c
	s_load_dwordx2 s[40:41], s[4:5], 0xf0
	s_load_dwordx4 s[24:27], s[4:5], 0x6c
	v_cmp_ne_u32_e64 s0, 0, v0
	v_cmp_eq_u32_e64 s1, 0, v0
	s_waitcnt lgkmcnt(0)
	s_mul_hi_u32 s27, s48, s30
	s_mul_hi_u32 s23, s33, s31
	s_waitcnt vmcnt(0)
	v_readfirstlane_b32 s19, v1
	s_and_saveexec_b32 s51, s1
	s_cbranch_execz .LBB100_17
; %bb.2:
	s_load_dwordx2 s[12:13], s[4:5], 0x2c8
	s_mov_b32 s29, s39
	s_lshl_b64 s[44:45], s[28:29], 2
	s_add_u32 s28, s14, s44
	s_addc_u32 s29, s15, s45
	s_waitcnt lgkmcnt(0)
	s_add_u32 s30, s12, s44
	s_addc_u32 s31, s13, s45
	s_cmp_lt_u32 s10, 4
	s_cbranch_scc1 .LBB100_14
; %bb.3:
	s_mov_b32 s52, s39
	s_mov_b32 s53, s39
	;; [unrolled: 1-line block ×3, first 2 shown]
.LBB100_4:                              ; =>This Inner Loop Header: Depth=1
	s_add_u32 s28, s14, s44
	s_addc_u32 s29, s15, s45
	s_add_u32 s46, s12, s44
	s_load_dwordx4 s[28:31], s[28:29], 0x0
	s_addc_u32 s47, s13, s45
	s_cmp_ge_u32 s54, s11
	s_cbranch_scc0 .LBB100_11
; %bb.5:                                ;   in Loop: Header=BB100_4 Depth=1
	s_add_i32 s55, s54, 1
	s_cmp_ge_u32 s55, s11
	s_cbranch_scc0 .LBB100_12
.LBB100_6:                              ;   in Loop: Header=BB100_4 Depth=1
	s_add_i32 s55, s55, 1
	s_cmp_ge_u32 s55, s11
	s_cbranch_scc0 .LBB100_13
.LBB100_7:                              ;   in Loop: Header=BB100_4 Depth=1
	s_add_i32 s55, s55, 1
	s_cmp_ge_u32 s55, s11
	s_cbranch_scc1 .LBB100_9
.LBB100_8:                              ;   in Loop: Header=BB100_4 Depth=1
	s_load_dword s46, s[46:47], 0xc
	s_waitcnt lgkmcnt(0)
	s_add_i32 s39, s39, s31
	s_add_i32 s52, s46, s52
.LBB100_9:                              ;   in Loop: Header=BB100_4 Depth=1
	s_waitcnt lgkmcnt(0)
	s_add_i32 s28, s28, s53
	s_add_i32 s28, s28, s29
	;; [unrolled: 1-line block ×4, first 2 shown]
	s_add_u32 s14, s14, 16
	s_addc_u32 s15, s15, 0
	s_add_u32 s12, s12, 16
	s_addc_u32 s13, s13, 0
	s_add_i32 s47, s55, 4
	s_add_u32 s30, s12, s44
	s_addc_u32 s31, s13, s45
	s_add_u32 s28, s14, s44
	s_addc_u32 s29, s15, s45
	s_add_i32 s46, s55, 1
	s_cmp_ge_u32 s47, s10
	s_cbranch_scc1 .LBB100_15
; %bb.10:                               ;   in Loop: Header=BB100_4 Depth=1
	s_mov_b32 s54, s46
	s_branch .LBB100_4
.LBB100_11:                             ;   in Loop: Header=BB100_4 Depth=1
	s_load_dword s55, s[46:47], 0x0
	s_waitcnt lgkmcnt(0)
	s_add_i32 s39, s28, s39
	s_add_i32 s52, s55, s52
	;; [unrolled: 1-line block ×3, first 2 shown]
	s_cmp_ge_u32 s55, s11
	s_cbranch_scc1 .LBB100_6
.LBB100_12:                             ;   in Loop: Header=BB100_4 Depth=1
	s_load_dword s56, s[46:47], 0x4
	s_waitcnt lgkmcnt(0)
	s_add_i32 s39, s39, s29
	s_add_i32 s52, s56, s52
	;; [unrolled: 1-line block ×3, first 2 shown]
	s_cmp_ge_u32 s55, s11
	s_cbranch_scc1 .LBB100_7
.LBB100_13:                             ;   in Loop: Header=BB100_4 Depth=1
	s_load_dword s56, s[46:47], 0x8
	s_waitcnt lgkmcnt(0)
	s_add_i32 s39, s39, s30
	s_add_i32 s52, s56, s52
	;; [unrolled: 1-line block ×3, first 2 shown]
	s_cmp_ge_u32 s55, s11
	s_cbranch_scc0 .LBB100_8
	s_branch .LBB100_9
.LBB100_14:
	s_mov_b32 s52, 0
	s_mov_b32 s53, 0
	;; [unrolled: 1-line block ×3, first 2 shown]
	s_cmp_ge_u32 s12, s10
	s_cbranch_scc0 .LBB100_38
	s_branch .LBB100_16
.LBB100_15:
	s_add_i32 s12, s54, 4
	s_cmp_ge_u32 s12, s10
	s_cbranch_scc0 .LBB100_38
.LBB100_16:
	v_mov_b32_e32 v1, s52
	v_mov_b32_e32 v2, s53
	;; [unrolled: 1-line block ×4, first 2 shown]
	ds_write_b96 v4, v[1:3] offset:1056
.LBB100_17:
	s_or_b32 exec_lo, exec_lo, s51
	s_load_dwordx4 s[12:15], s[4:5], 0xd8
	s_waitcnt lgkmcnt(0)
	s_mul_i32 s15, s9, s11
	s_add_i32 s11, s11, 1
	s_lshl_b32 s28, s15, 8
	s_barrier
	buffer_gl0_inv
	s_sub_i32 s15, s12, s28
	s_add_u32 s30, s15, 0xff
	s_addc_u32 s31, 0, 0
	s_lshr_b64 s[30:31], s[30:31], 8
	s_cmp_lt_u32 s11, s10
	s_mov_b32 s11, 0
	s_cselect_b32 s9, s9, s30
	s_cmp_eq_u32 s9, 0
	s_cbranch_scc1 .LBB100_40
; %bb.18:
	s_mul_i32 s15, s50, s36
	s_mul_i32 s10, s49, s37
	s_sub_i32 s15, s49, s15
	s_sub_i32 s10, s38, s10
	s_add_i32 s29, s50, 1
	s_sub_i32 s30, s15, s36
	s_cmp_ge_u32 s15, s36
	s_mul_i32 s10, s10, s26
	s_cselect_b32 s29, s29, s50
	s_cselect_b32 s15, s30, s15
	s_add_i32 s30, s29, 1
	s_cmp_ge_u32 s15, s36
	s_mul_i32 s15, s48, s35
	s_cselect_b32 s29, s30, s29
	s_mul_i32 s30, s27, s34
	s_mul_i32 s31, s29, s36
	;; [unrolled: 1-line block ×3, first 2 shown]
	s_sub_i32 s26, s49, s31
	s_sub_i32 s24, s48, s30
	s_mul_i32 s25, s26, s25
	s_sub_i32 s15, s38, s15
	s_add_i32 s10, s25, s10
	s_add_i32 s25, s27, 1
	;; [unrolled: 1-line block ×3, first 2 shown]
	s_sub_i32 s26, s24, s34
	s_cmp_ge_u32 s24, s34
	s_mul_i32 s15, s15, s22
	s_cselect_b32 s25, s25, s27
	s_cselect_b32 s24, s26, s24
	s_add_i32 s26, s25, 1
	s_cmp_ge_u32 s24, s34
	s_mul_i32 s7, s33, s7
	s_cselect_b32 s24, s26, s25
	s_mul_i32 s26, s23, s6
	s_mul_i32 s25, s24, s34
	;; [unrolled: 1-line block ×3, first 2 shown]
	s_sub_i32 s25, s48, s25
	s_sub_i32 s7, s38, s7
	s_mul_i32 s21, s25, s21
	v_mov_b32_e32 v5, 0
	s_add_i32 s15, s21, s15
	s_add_i32 s21, s23, 1
	;; [unrolled: 1-line block ×3, first 2 shown]
	s_sub_i32 s15, s33, s26
	ds_read_b96 v[1:3], v5 offset:1056
	s_sub_i32 s22, s15, s6
	s_cmp_ge_u32 s15, s6
	s_mul_i32 s7, s7, s18
	s_cselect_b32 s21, s21, s23
	s_cselect_b32 s15, s22, s15
	s_add_i32 s22, s21, 1
	s_cmp_ge_u32 s15, s6
	s_load_dword s18, s[4:5], 0xe8
	s_cselect_b32 s15, s22, s21
	s_mov_b32 s21, s11
	s_mul_i32 s6, s15, s6
	s_mul_i32 s15, s15, s16
	s_sub_i32 s6, s33, s6
	v_lshrrev_b32_e32 v4, 3, v0
	s_mul_i32 s6, s6, s17
	v_add_nc_u32_e32 v9, -1, v0
	s_add_i32 s16, s6, s7
	s_lshl_b64 s[6:7], s[10:11], 1
	s_add_i32 s16, s16, s15
	s_add_u32 s6, s42, s6
	s_addc_u32 s7, s43, s7
	s_lshl_b64 s[20:21], s[20:21], 1
	s_mov_b32 s17, s11
	s_load_dword s4, s[4:5], 0x1c8
	s_add_u32 s10, s40, s20
	s_addc_u32 s11, s41, s21
	s_lshl_b64 s[16:17], s[16:17], 3
	v_and_b32_e32 v4, 28, v4
	v_lshrrev_b32_e32 v8, 3, v9
	s_add_u32 s15, s2, s16
	s_sext_i32_i16 s2, s19
	s_addc_u32 s16, s3, s17
	s_and_b32 s3, 0xffff, s19
	s_cmp_gt_i32 s2, -1
	s_mov_b32 s2, 0x8000
	v_cmp_o_f16_e64 s17, s19, s19
	s_waitcnt lgkmcnt(0)
	v_add_nc_u32_e32 v6, v1, v2
	v_lshl_add_u32 v7, v0, 2, v4
	v_and_b32_e32 v4, 0x1ffffffc, v8
	v_add_nc_u32_e32 v1, s28, v0
	s_cselect_b32 s2, s2, 0xffff
	v_and_b32_e32 v2, 0xfc, v0
	s_xor_b32 s2, s2, s3
	v_lshlrev_b32_e32 v10, 5, v0
	v_mbcnt_lo_u32_b32 v8, -1, 0
	s_and_b32 s3, s17, exec_lo
	s_cselect_b32 s17, s2, 0xffff
	v_cmp_gt_u32_e64 s2, 32, v0
	v_lshl_add_u32 v0, v9, 2, v4
	v_mul_lo_u32 v4, s18, v1
	v_add_nc_u32_e32 v9, v2, v10
	v_and_b32_e32 v10, 15, v8
	v_bfe_i32 v11, v8, 4, 1
	v_add_nc_u32_e32 v12, -1, v8
	v_mov_b32_e32 v13, 0x8000
	s_bitcmp1_b32 s14, 0
                                        ; implicit-def: $vgpr14
	s_cselect_b32 s3, -1, 0
	s_lshl_b32 s5, s18, 8
	s_branch .LBB100_21
.LBB100_19:                             ;   in Loop: Header=BB100_21 Depth=1
	s_or_b32 exec_lo, exec_lo, s14
	v_add_nc_u32_e32 v6, v17, v6
.LBB100_20:                             ;   in Loop: Header=BB100_21 Depth=1
	v_add_nc_u32_e32 v3, v16, v3
	v_add_nc_u32_e32 v4, s5, v4
	;; [unrolled: 1-line block ×3, first 2 shown]
	s_add_i32 s9, s9, -1
	s_cmp_lg_u32 s9, 0
	s_cbranch_scc0 .LBB100_40
.LBB100_21:                             ; =>This Inner Loop Header: Depth=1
	v_mov_b32_e32 v2, 0
	v_mov_b32_e32 v15, 0
	s_mov_b32 s14, exec_lo
	v_cmpx_gt_u32_e64 s12, v1
	s_cbranch_execz .LBB100_23
; %bb.22:                               ;   in Loop: Header=BB100_21 Depth=1
	v_lshlrev_b64 v[14:15], 1, v[4:5]
	v_add_co_u32 v14, vcc_lo, s6, v14
	v_add_co_ci_u32_e64 v15, null, s7, v15, vcc_lo
	global_load_ushort v14, v[14:15], off
	s_waitcnt vmcnt(0)
	v_cmp_lt_i16_e32 vcc_lo, -1, v14
	v_cndmask_b32_e32 v2, 0xffff, v13, vcc_lo
	v_cmp_o_f16_e32 vcc_lo, v14, v14
	v_xor_b32_sdwa v2, v2, v14 dst_sel:DWORD dst_unused:UNUSED_PAD src0_sel:DWORD src1_sel:WORD_0
	v_cndmask_b32_e32 v15, 0xffff, v2, vcc_lo
	v_cmp_lt_u32_e32 vcc_lo, s17, v15
	v_cndmask_b32_e64 v2, 0, 1, vcc_lo
	v_cmp_gt_u32_e32 vcc_lo, s17, v15
	v_cndmask_b32_e64 v16, 0, 1, vcc_lo
	v_cmp_eq_u32_e32 vcc_lo, s17, v15
	v_cndmask_b32_e64 v2, v16, v2, s3
	v_cndmask_b32_e64 v15, 0, 1, vcc_lo
	v_and_b32_e32 v2, 1, v2
.LBB100_23:                             ;   in Loop: Header=BB100_21 Depth=1
	s_or_b32 exec_lo, exec_lo, s14
	ds_write_b32 v7, v2
	s_waitcnt lgkmcnt(0)
	s_barrier
	buffer_gl0_inv
	s_and_saveexec_b32 s14, s2
	s_cbranch_execz .LBB100_25
; %bb.24:                               ;   in Loop: Header=BB100_21 Depth=1
	ds_read2_b32 v[16:17], v9 offset1:1
	ds_read2_b32 v[18:19], v9 offset0:2 offset1:3
	ds_read2_b32 v[20:21], v9 offset0:4 offset1:5
	;; [unrolled: 1-line block ×3, first 2 shown]
	v_cmp_ne_u32_e32 vcc_lo, 0, v10
	; wave barrier
	s_waitcnt lgkmcnt(3)
	v_add_nc_u32_e32 v17, v17, v16
	s_waitcnt lgkmcnt(2)
	v_add3_u32 v17, v17, v18, v19
	s_waitcnt lgkmcnt(1)
	v_add3_u32 v17, v17, v20, v21
	;; [unrolled: 2-line block ×3, first 2 shown]
	v_mov_b32_dpp v18, v17 row_shr:1 row_mask:0xf bank_mask:0xf
	v_cndmask_b32_e32 v18, 0, v18, vcc_lo
	v_cmp_lt_u32_e32 vcc_lo, 1, v10
	v_add_nc_u32_e32 v17, v18, v17
	v_mov_b32_dpp v18, v17 row_shr:2 row_mask:0xf bank_mask:0xf
	v_cndmask_b32_e32 v18, 0, v18, vcc_lo
	v_cmp_lt_u32_e32 vcc_lo, 3, v10
	v_add_nc_u32_e32 v17, v17, v18
	;; [unrolled: 4-line block ×3, first 2 shown]
	v_mov_b32_dpp v18, v17 row_shr:8 row_mask:0xf bank_mask:0xf
	v_cndmask_b32_e32 v18, 0, v18, vcc_lo
	v_cmp_gt_i32_e32 vcc_lo, 0, v12
	v_add_nc_u32_e32 v17, v17, v18
	v_cndmask_b32_e32 v19, v12, v8, vcc_lo
	ds_swizzle_b32 v18, v17 offset:swizzle(BROADCAST,32,15)
	v_lshlrev_b32_e32 v19, 2, v19
	s_waitcnt lgkmcnt(0)
	v_and_b32_e32 v18, v11, v18
	v_add_nc_u32_e32 v17, v17, v18
	ds_bpermute_b32 v17, v19, v17
	s_waitcnt lgkmcnt(0)
	v_add_nc_u32_e32 v16, v17, v16
	v_cndmask_b32_e64 v22, v16, v2, s1
	ds_write_b32 v9, v22
	; wave barrier
	ds_read2_b32 v[16:17], v9 offset0:1 offset1:2
	ds_read2_b32 v[18:19], v9 offset0:3 offset1:4
	;; [unrolled: 1-line block ×3, first 2 shown]
	ds_read_b32 v23, v9 offset:28
	s_waitcnt lgkmcnt(3)
	v_add_nc_u32_e32 v16, v16, v22
	v_add_nc_u32_e32 v17, v17, v16
	s_waitcnt lgkmcnt(2)
	v_add_nc_u32_e32 v18, v18, v17
	v_add_nc_u32_e32 v19, v19, v18
	;; [unrolled: 3-line block ×3, first 2 shown]
	s_waitcnt lgkmcnt(0)
	v_add_nc_u32_e32 v22, v23, v21
	ds_write2_b32 v9, v16, v17 offset0:1 offset1:2
	ds_write2_b32 v9, v18, v19 offset0:3 offset1:4
	;; [unrolled: 1-line block ×3, first 2 shown]
	ds_write_b32 v9, v22 offset:28
.LBB100_25:                             ;   in Loop: Header=BB100_21 Depth=1
	s_or_b32 exec_lo, exec_lo, s14
	v_mov_b32_e32 v17, 0
	s_waitcnt lgkmcnt(0)
	s_barrier
	buffer_gl0_inv
	s_and_saveexec_b32 s14, s0
; %bb.26:                               ;   in Loop: Header=BB100_21 Depth=1
	ds_read_b32 v17, v0
; %bb.27:                               ;   in Loop: Header=BB100_21 Depth=1
	s_or_b32 exec_lo, exec_lo, s14
	ds_read_b32 v16, v5 offset:1048
	s_mov_b32 s14, exec_lo
	s_waitcnt lgkmcnt(0)
	s_barrier
	buffer_gl0_inv
	v_cmpx_ne_u32_e32 0, v2
	s_cbranch_execz .LBB100_29
; %bb.28:                               ;   in Loop: Header=BB100_21 Depth=1
	v_add_nc_u32_e32 v2, v17, v3
	v_mov_b32_e32 v18, v5
	v_mov_b32_e32 v20, v5
	v_mul_lo_u32 v17, v2, s4
	v_mul_lo_u32 v19, v2, s8
	v_mov_b32_e32 v2, v5
	v_lshlrev_b64 v[17:18], 1, v[17:18]
	v_lshlrev_b64 v[19:20], 3, v[19:20]
	v_add_co_u32 v17, vcc_lo, s10, v17
	v_add_co_ci_u32_e64 v18, null, s11, v18, vcc_lo
	v_add_co_u32 v19, vcc_lo, s15, v19
	v_add_co_ci_u32_e64 v20, null, s16, v20, vcc_lo
	global_store_short v[17:18], v14, off
	global_store_dwordx2 v[19:20], v[1:2], off
.LBB100_29:                             ;   in Loop: Header=BB100_21 Depth=1
	s_or_b32 exec_lo, exec_lo, s14
	v_cmp_le_u32_e32 vcc_lo, s13, v6
	s_cbranch_vccnz .LBB100_20
; %bb.30:                               ;   in Loop: Header=BB100_21 Depth=1
	ds_write_b32 v7, v15
	s_waitcnt lgkmcnt(0)
	s_waitcnt_vscnt null, 0x0
	s_barrier
	buffer_gl0_inv
	s_and_saveexec_b32 s14, s2
	s_cbranch_execz .LBB100_32
; %bb.31:                               ;   in Loop: Header=BB100_21 Depth=1
	ds_read2_b32 v[17:18], v9 offset1:1
	ds_read2_b32 v[19:20], v9 offset0:2 offset1:3
	ds_read2_b32 v[21:22], v9 offset0:4 offset1:5
	;; [unrolled: 1-line block ×3, first 2 shown]
	v_cmp_ne_u32_e32 vcc_lo, 0, v10
	; wave barrier
	s_waitcnt lgkmcnt(3)
	v_add_nc_u32_e32 v2, v18, v17
	s_waitcnt lgkmcnt(2)
	v_add3_u32 v2, v2, v19, v20
	s_waitcnt lgkmcnt(1)
	v_add3_u32 v2, v2, v21, v22
	;; [unrolled: 2-line block ×3, first 2 shown]
	v_mov_b32_dpp v18, v2 row_shr:1 row_mask:0xf bank_mask:0xf
	v_cndmask_b32_e32 v18, 0, v18, vcc_lo
	v_cmp_lt_u32_e32 vcc_lo, 1, v10
	v_add_nc_u32_e32 v2, v18, v2
	v_mov_b32_dpp v18, v2 row_shr:2 row_mask:0xf bank_mask:0xf
	v_cndmask_b32_e32 v18, 0, v18, vcc_lo
	v_cmp_lt_u32_e32 vcc_lo, 3, v10
	v_add_nc_u32_e32 v2, v2, v18
	;; [unrolled: 4-line block ×3, first 2 shown]
	v_mov_b32_dpp v18, v2 row_shr:8 row_mask:0xf bank_mask:0xf
	v_cndmask_b32_e32 v18, 0, v18, vcc_lo
	v_cmp_gt_i32_e32 vcc_lo, 0, v12
	v_add_nc_u32_e32 v2, v2, v18
	v_cndmask_b32_e32 v19, v12, v8, vcc_lo
	ds_swizzle_b32 v18, v2 offset:swizzle(BROADCAST,32,15)
	v_lshlrev_b32_e32 v19, 2, v19
	s_waitcnt lgkmcnt(0)
	v_and_b32_e32 v18, v11, v18
	v_add_nc_u32_e32 v2, v2, v18
	ds_bpermute_b32 v2, v19, v2
	s_waitcnt lgkmcnt(0)
	v_add_nc_u32_e32 v2, v2, v17
	v_cndmask_b32_e64 v2, v2, v15, s1
	ds_write_b32 v9, v2
	; wave barrier
	ds_read2_b32 v[17:18], v9 offset0:1 offset1:2
	ds_read2_b32 v[19:20], v9 offset0:3 offset1:4
	ds_read2_b32 v[21:22], v9 offset0:5 offset1:6
	ds_read_b32 v23, v9 offset:28
	s_waitcnt lgkmcnt(3)
	v_add_nc_u32_e32 v2, v17, v2
	v_add_nc_u32_e32 v17, v18, v2
	s_waitcnt lgkmcnt(2)
	v_add_nc_u32_e32 v18, v19, v17
	v_add_nc_u32_e32 v19, v20, v18
	;; [unrolled: 3-line block ×3, first 2 shown]
	s_waitcnt lgkmcnt(0)
	v_add_nc_u32_e32 v22, v23, v21
	ds_write2_b32 v9, v2, v17 offset0:1 offset1:2
	ds_write2_b32 v9, v18, v19 offset0:3 offset1:4
	;; [unrolled: 1-line block ×3, first 2 shown]
	ds_write_b32 v9, v22 offset:28
.LBB100_32:                             ;   in Loop: Header=BB100_21 Depth=1
	s_or_b32 exec_lo, exec_lo, s14
	v_mov_b32_e32 v2, 0
	s_waitcnt lgkmcnt(0)
	s_barrier
	buffer_gl0_inv
	s_and_saveexec_b32 s14, s0
; %bb.33:                               ;   in Loop: Header=BB100_21 Depth=1
	ds_read_b32 v2, v0
; %bb.34:                               ;   in Loop: Header=BB100_21 Depth=1
	s_or_b32 exec_lo, exec_lo, s14
	ds_read_b32 v17, v5 offset:1048
	s_mov_b32 s14, exec_lo
	s_waitcnt lgkmcnt(0)
	s_barrier
	buffer_gl0_inv
	v_cmpx_ne_u32_e32 0, v15
	s_cbranch_execz .LBB100_19
; %bb.35:                               ;   in Loop: Header=BB100_21 Depth=1
	v_add_nc_u32_e32 v2, v2, v6
	v_cmp_gt_u32_e32 vcc_lo, s13, v2
	s_and_b32 exec_lo, exec_lo, vcc_lo
	s_cbranch_execz .LBB100_19
; %bb.36:                               ;   in Loop: Header=BB100_21 Depth=1
	v_mul_lo_u32 v18, v2, s4
	v_mul_lo_u32 v20, v2, s8
	v_mov_b32_e32 v19, v5
	v_mov_b32_e32 v21, v5
	;; [unrolled: 1-line block ×3, first 2 shown]
	v_lshlrev_b64 v[18:19], 1, v[18:19]
	v_lshlrev_b64 v[20:21], 3, v[20:21]
	v_add_co_u32 v18, vcc_lo, s10, v18
	v_add_co_ci_u32_e64 v19, null, s11, v19, vcc_lo
	v_add_co_u32 v20, vcc_lo, s15, v20
	v_add_co_ci_u32_e64 v21, null, s16, v21, vcc_lo
	global_store_short v[18:19], v14, off
	global_store_dwordx2 v[20:21], v[1:2], off
	s_branch .LBB100_19
	.p2align	6
.LBB100_37:                             ;   in Loop: Header=BB100_38 Depth=1
	s_add_u32 s28, s28, 4
	s_addc_u32 s29, s29, 0
	s_waitcnt lgkmcnt(0)
	s_add_i32 s53, s13, s53
	s_add_u32 s30, s30, 4
	s_addc_u32 s31, s31, 0
	s_add_i32 s12, s12, 1
	s_cmp_lt_u32 s12, s10
	s_cbranch_scc0 .LBB100_16
.LBB100_38:                             ; =>This Inner Loop Header: Depth=1
	s_load_dword s13, s[28:29], 0x0
	s_cmp_ge_u32 s12, s11
	s_cbranch_scc1 .LBB100_37
; %bb.39:                               ;   in Loop: Header=BB100_38 Depth=1
	s_load_dword s14, s[30:31], 0x0
	s_waitcnt lgkmcnt(0)
	s_add_i32 s39, s13, s39
	s_add_i32 s52, s14, s52
	s_branch .LBB100_37
.LBB100_40:
	s_endpgm
	.section	.rodata,"a",@progbits
	.p2align	6, 0x0
	.amdhsa_kernel _ZN2at6native6mbtopk10gatherTopKIN3c104HalfEjLi3EEEvNS_4cuda6detail10TensorInfoIKT_T0_EESA_SA_bjSA_NS7_IS8_SA_EESA_NS7_IlSA_EESA_jjPS8_PjSF_j
		.amdhsa_group_segment_fixed_size 1068
		.amdhsa_private_segment_fixed_size 0
		.amdhsa_kernarg_size 984
		.amdhsa_user_sgpr_count 6
		.amdhsa_user_sgpr_private_segment_buffer 1
		.amdhsa_user_sgpr_dispatch_ptr 0
		.amdhsa_user_sgpr_queue_ptr 0
		.amdhsa_user_sgpr_kernarg_segment_ptr 1
		.amdhsa_user_sgpr_dispatch_id 0
		.amdhsa_user_sgpr_flat_scratch_init 0
		.amdhsa_user_sgpr_private_segment_size 0
		.amdhsa_wavefront_size32 1
		.amdhsa_uses_dynamic_stack 0
		.amdhsa_system_sgpr_private_segment_wavefront_offset 0
		.amdhsa_system_sgpr_workgroup_id_x 1
		.amdhsa_system_sgpr_workgroup_id_y 1
		.amdhsa_system_sgpr_workgroup_id_z 1
		.amdhsa_system_sgpr_workgroup_info 0
		.amdhsa_system_vgpr_workitem_id 0
		.amdhsa_next_free_vgpr 25
		.amdhsa_next_free_sgpr 57
		.amdhsa_reserve_vcc 1
		.amdhsa_reserve_flat_scratch 0
		.amdhsa_float_round_mode_32 0
		.amdhsa_float_round_mode_16_64 0
		.amdhsa_float_denorm_mode_32 3
		.amdhsa_float_denorm_mode_16_64 3
		.amdhsa_dx10_clamp 1
		.amdhsa_ieee_mode 1
		.amdhsa_fp16_overflow 0
		.amdhsa_workgroup_processor_mode 1
		.amdhsa_memory_ordered 1
		.amdhsa_forward_progress 1
		.amdhsa_shared_vgpr_count 0
		.amdhsa_exception_fp_ieee_invalid_op 0
		.amdhsa_exception_fp_denorm_src 0
		.amdhsa_exception_fp_ieee_div_zero 0
		.amdhsa_exception_fp_ieee_overflow 0
		.amdhsa_exception_fp_ieee_underflow 0
		.amdhsa_exception_fp_ieee_inexact 0
		.amdhsa_exception_int_div_zero 0
	.end_amdhsa_kernel
	.section	.text._ZN2at6native6mbtopk10gatherTopKIN3c104HalfEjLi3EEEvNS_4cuda6detail10TensorInfoIKT_T0_EESA_SA_bjSA_NS7_IS8_SA_EESA_NS7_IlSA_EESA_jjPS8_PjSF_j,"axG",@progbits,_ZN2at6native6mbtopk10gatherTopKIN3c104HalfEjLi3EEEvNS_4cuda6detail10TensorInfoIKT_T0_EESA_SA_bjSA_NS7_IS8_SA_EESA_NS7_IlSA_EESA_jjPS8_PjSF_j,comdat
.Lfunc_end100:
	.size	_ZN2at6native6mbtopk10gatherTopKIN3c104HalfEjLi3EEEvNS_4cuda6detail10TensorInfoIKT_T0_EESA_SA_bjSA_NS7_IS8_SA_EESA_NS7_IlSA_EESA_jjPS8_PjSF_j, .Lfunc_end100-_ZN2at6native6mbtopk10gatherTopKIN3c104HalfEjLi3EEEvNS_4cuda6detail10TensorInfoIKT_T0_EESA_SA_bjSA_NS7_IS8_SA_EESA_NS7_IlSA_EESA_jjPS8_PjSF_j
                                        ; -- End function
	.set _ZN2at6native6mbtopk10gatherTopKIN3c104HalfEjLi3EEEvNS_4cuda6detail10TensorInfoIKT_T0_EESA_SA_bjSA_NS7_IS8_SA_EESA_NS7_IlSA_EESA_jjPS8_PjSF_j.num_vgpr, 25
	.set _ZN2at6native6mbtopk10gatherTopKIN3c104HalfEjLi3EEEvNS_4cuda6detail10TensorInfoIKT_T0_EESA_SA_bjSA_NS7_IS8_SA_EESA_NS7_IlSA_EESA_jjPS8_PjSF_j.num_agpr, 0
	.set _ZN2at6native6mbtopk10gatherTopKIN3c104HalfEjLi3EEEvNS_4cuda6detail10TensorInfoIKT_T0_EESA_SA_bjSA_NS7_IS8_SA_EESA_NS7_IlSA_EESA_jjPS8_PjSF_j.numbered_sgpr, 57
	.set _ZN2at6native6mbtopk10gatherTopKIN3c104HalfEjLi3EEEvNS_4cuda6detail10TensorInfoIKT_T0_EESA_SA_bjSA_NS7_IS8_SA_EESA_NS7_IlSA_EESA_jjPS8_PjSF_j.num_named_barrier, 0
	.set _ZN2at6native6mbtopk10gatherTopKIN3c104HalfEjLi3EEEvNS_4cuda6detail10TensorInfoIKT_T0_EESA_SA_bjSA_NS7_IS8_SA_EESA_NS7_IlSA_EESA_jjPS8_PjSF_j.private_seg_size, 0
	.set _ZN2at6native6mbtopk10gatherTopKIN3c104HalfEjLi3EEEvNS_4cuda6detail10TensorInfoIKT_T0_EESA_SA_bjSA_NS7_IS8_SA_EESA_NS7_IlSA_EESA_jjPS8_PjSF_j.uses_vcc, 1
	.set _ZN2at6native6mbtopk10gatherTopKIN3c104HalfEjLi3EEEvNS_4cuda6detail10TensorInfoIKT_T0_EESA_SA_bjSA_NS7_IS8_SA_EESA_NS7_IlSA_EESA_jjPS8_PjSF_j.uses_flat_scratch, 0
	.set _ZN2at6native6mbtopk10gatherTopKIN3c104HalfEjLi3EEEvNS_4cuda6detail10TensorInfoIKT_T0_EESA_SA_bjSA_NS7_IS8_SA_EESA_NS7_IlSA_EESA_jjPS8_PjSF_j.has_dyn_sized_stack, 0
	.set _ZN2at6native6mbtopk10gatherTopKIN3c104HalfEjLi3EEEvNS_4cuda6detail10TensorInfoIKT_T0_EESA_SA_bjSA_NS7_IS8_SA_EESA_NS7_IlSA_EESA_jjPS8_PjSF_j.has_recursion, 0
	.set _ZN2at6native6mbtopk10gatherTopKIN3c104HalfEjLi3EEEvNS_4cuda6detail10TensorInfoIKT_T0_EESA_SA_bjSA_NS7_IS8_SA_EESA_NS7_IlSA_EESA_jjPS8_PjSF_j.has_indirect_call, 0
	.section	.AMDGPU.csdata,"",@progbits
; Kernel info:
; codeLenInByte = 3024
; TotalNumSgprs: 59
; NumVgprs: 25
; ScratchSize: 0
; MemoryBound: 0
; FloatMode: 240
; IeeeMode: 1
; LDSByteSize: 1068 bytes/workgroup (compile time only)
; SGPRBlocks: 0
; VGPRBlocks: 3
; NumSGPRsForWavesPerEU: 59
; NumVGPRsForWavesPerEU: 25
; Occupancy: 16
; WaveLimiterHint : 1
; COMPUTE_PGM_RSRC2:SCRATCH_EN: 0
; COMPUTE_PGM_RSRC2:USER_SGPR: 6
; COMPUTE_PGM_RSRC2:TRAP_HANDLER: 0
; COMPUTE_PGM_RSRC2:TGID_X_EN: 1
; COMPUTE_PGM_RSRC2:TGID_Y_EN: 1
; COMPUTE_PGM_RSRC2:TGID_Z_EN: 1
; COMPUTE_PGM_RSRC2:TIDIG_COMP_CNT: 0
	.section	.text._ZN2at6native6sbtopk10gatherTopKIN3c104HalfEjLi3ELb0EEEvNS_4cuda6detail10TensorInfoIKT_T0_EESA_SA_bSA_SA_NS7_IS8_SA_EESA_NS7_IlSA_EESA_PS8_,"axG",@progbits,_ZN2at6native6sbtopk10gatherTopKIN3c104HalfEjLi3ELb0EEEvNS_4cuda6detail10TensorInfoIKT_T0_EESA_SA_bSA_SA_NS7_IS8_SA_EESA_NS7_IlSA_EESA_PS8_,comdat
	.protected	_ZN2at6native6sbtopk10gatherTopKIN3c104HalfEjLi3ELb0EEEvNS_4cuda6detail10TensorInfoIKT_T0_EESA_SA_bSA_SA_NS7_IS8_SA_EESA_NS7_IlSA_EESA_PS8_ ; -- Begin function _ZN2at6native6sbtopk10gatherTopKIN3c104HalfEjLi3ELb0EEEvNS_4cuda6detail10TensorInfoIKT_T0_EESA_SA_bSA_SA_NS7_IS8_SA_EESA_NS7_IlSA_EESA_PS8_
	.globl	_ZN2at6native6sbtopk10gatherTopKIN3c104HalfEjLi3ELb0EEEvNS_4cuda6detail10TensorInfoIKT_T0_EESA_SA_bSA_SA_NS7_IS8_SA_EESA_NS7_IlSA_EESA_PS8_
	.p2align	8
	.type	_ZN2at6native6sbtopk10gatherTopKIN3c104HalfEjLi3ELb0EEEvNS_4cuda6detail10TensorInfoIKT_T0_EESA_SA_bSA_SA_NS7_IS8_SA_EESA_NS7_IlSA_EESA_PS8_,@function
_ZN2at6native6sbtopk10gatherTopKIN3c104HalfEjLi3ELb0EEEvNS_4cuda6detail10TensorInfoIKT_T0_EESA_SA_bSA_SA_NS7_IS8_SA_EESA_NS7_IlSA_EESA_PS8_: ; @_ZN2at6native6sbtopk10gatherTopKIN3c104HalfEjLi3ELb0EEEvNS_4cuda6detail10TensorInfoIKT_T0_EESA_SA_bSA_SA_NS7_IS8_SA_EESA_NS7_IlSA_EESA_PS8_
; %bb.0:
	s_clause 0x1
	s_load_dwordx2 s[12:13], s[4:5], 0x2b8
	s_load_dwordx4 s[36:39], s[4:5], 0xd8
	s_add_u32 s10, s4, 0x2b8
	s_addc_u32 s11, s5, 0
	s_waitcnt lgkmcnt(0)
	s_mul_i32 s0, s13, s8
	s_add_i32 s0, s0, s7
	s_mul_i32 s60, s0, s12
	s_add_i32 s60, s60, s6
	s_cmp_ge_u32 s60, s39
	s_cbranch_scc1 .LBB101_426
; %bb.1:
	s_clause 0x6
	s_load_dwordx2 s[14:15], s[4:5], 0xc
	s_load_dwordx2 s[56:57], s[4:5], 0xfc
	;; [unrolled: 1-line block ×4, first 2 shown]
	s_load_dwordx4 s[40:43], s[4:5], 0x23c
	s_load_dwordx2 s[0:1], s[4:5], 0x1d0
	; meta instruction
	s_load_dwordx2 s[52:53], s[4:5], 0xf0
	s_mov_b32 s35, 0
	s_waitcnt lgkmcnt(0)
	v_cvt_f32_u32_e32 v1, s15
	v_cvt_f32_u32_e32 v3, s57
	;; [unrolled: 1-line block ×3, first 2 shown]
	v_writelane_b32 v62, s0, 0
	v_cvt_f32_u32_e32 v5, s55
	v_rcp_iflag_f32_e32 v1, v1
	v_rcp_iflag_f32_e32 v3, v3
	;; [unrolled: 1-line block ×3, first 2 shown]
	v_writelane_b32 v62, s1, 1
	s_clause 0x1
	s_load_dword s48, s[4:5], 0xe8
	s_load_dwordx4 s[0:3], s[4:5], 0x6c
	s_waitcnt lgkmcnt(0)
	s_sub_i32 s3, 0, s15
	v_rcp_iflag_f32_e32 v5, v5
	v_cvt_f32_u32_e32 v4, s56
	v_cvt_f32_u32_e32 v6, s54
	v_mul_f32_e32 v1, 0x4f7ffffe, v1
	v_mul_f32_e32 v3, 0x4f7ffffe, v3
	;; [unrolled: 1-line block ×3, first 2 shown]
	v_rcp_iflag_f32_e32 v4, v4
	v_cvt_u32_f32_e32 v1, v1
	v_cvt_u32_f32_e32 v3, v3
	;; [unrolled: 1-line block ×3, first 2 shown]
	v_mul_f32_e32 v5, 0x4f7ffffe, v5
	v_readfirstlane_b32 s7, v1
	v_readfirstlane_b32 s17, v3
	v_rcp_iflag_f32_e32 v1, v6
	v_mul_f32_e32 v4, 0x4f7ffffe, v4
	s_mul_i32 s3, s3, s7
	s_mul_hi_u32 s3, s7, s3
	v_cvt_u32_f32_e32 v3, v4
	s_add_i32 s7, s7, s3
	s_mul_hi_u32 s3, s60, s7
	v_mul_f32_e32 v1, 0x4f7ffffe, v1
	s_mul_i32 s7, s3, s15
	s_add_i32 s13, s3, 1
	s_sub_i32 s7, s60, s7
	v_cvt_u32_f32_e32 v1, v1
	s_sub_i32 s16, s7, s15
	s_cmp_ge_u32 s7, s15
	s_cselect_b32 s3, s13, s3
	s_cselect_b32 s7, s16, s7
	s_add_i32 s13, s3, 1
	s_cmp_ge_u32 s7, s15
	v_readfirstlane_b32 s20, v1
	s_cselect_b32 s7, s13, s3
	s_sub_i32 s3, 0, s57
	v_readfirstlane_b32 s13, v2
	s_mul_i32 s3, s3, s17
	s_sub_i32 s16, 0, s14
	s_mul_hi_u32 s3, s17, s3
	v_cvt_u32_f32_e32 v2, v5
	s_add_i32 s17, s17, s3
	s_mul_i32 s16, s16, s13
	s_mul_hi_u32 s3, s60, s17
	s_mul_hi_u32 s16, s13, s16
	s_mul_i32 s17, s3, s57
	s_add_i32 s13, s13, s16
	s_sub_i32 s16, s60, s17
	s_add_i32 s17, s3, 1
	s_sub_i32 s18, s16, s57
	s_cmp_ge_u32 s16, s57
	v_readfirstlane_b32 s19, v2
	s_cselect_b32 s3, s17, s3
	s_cselect_b32 s16, s18, s16
	s_add_i32 s17, s3, 1
	s_cmp_ge_u32 s16, s57
	v_readfirstlane_b32 s16, v3
	s_cselect_b32 s62, s17, s3
	s_sub_i32 s3, 0, s55
	s_sub_i32 s17, 0, s56
	s_mul_i32 s3, s3, s19
	s_mul_i32 s17, s17, s16
	s_mul_hi_u32 s3, s19, s3
	s_mul_hi_u32 s17, s16, s17
	s_add_i32 s19, s19, s3
	s_add_i32 s16, s16, s17
	s_mul_hi_u32 s3, s60, s19
	s_mul_hi_u32 s13, s7, s13
	s_mul_i32 s18, s3, s55
	s_mul_hi_u32 s64, s62, s16
	s_sub_i32 s17, s60, s18
	s_add_i32 s18, s3, 1
	s_sub_i32 s19, s17, s55
	s_cmp_ge_u32 s17, s55
	s_cselect_b32 s3, s18, s3
	s_cselect_b32 s17, s19, s17
	s_add_i32 s18, s3, 1
	s_cmp_ge_u32 s17, s55
	s_cselect_b32 s61, s18, s3
	s_sub_i32 s3, 0, s54
	s_mul_i32 s3, s3, s20
	s_mul_hi_u32 s17, s20, s3
	v_cmp_eq_u32_e64 s3, 0, v0
	s_add_i32 s20, s20, s17
	s_mul_hi_u32 s63, s61, s20
	s_and_saveexec_b32 s16, s3
	s_cbranch_execz .LBB101_3
; %bb.2:
	v_mov_b32_e32 v1, 0
	v_mov_b32_e32 v2, s36
	;; [unrolled: 1-line block ×3, first 2 shown]
	ds_write_b96 v1, v[1:3] offset:4096
.LBB101_3:
	s_or_b32 exec_lo, exec_lo, s16
	s_mul_i32 s16, s13, s14
	s_mul_i32 s15, s7, s15
	s_sub_i32 s16, s7, s16
	s_sub_i32 s15, s60, s15
	s_add_i32 s17, s13, 1
	s_sub_i32 s18, s16, s14
	s_cmp_ge_u32 s16, s14
	s_waitcnt lgkmcnt(0)
	s_cselect_b32 s13, s17, s13
	s_cselect_b32 s16, s18, s16
	s_add_i32 s17, s13, 1
	s_cmp_ge_u32 s16, s14
	s_barrier
	buffer_gl0_inv
	s_load_dword s16, s[10:11], 0xc
	s_cselect_b32 s13, s17, s13
	s_mul_i32 s15, s15, s2
	s_mul_i32 s14, s13, s14
	;; [unrolled: 1-line block ×3, first 2 shown]
	s_sub_i32 s7, s7, s14
	v_mov_b32_e32 v8, 0
	s_mul_i32 s1, s7, s1
	v_mul_lo_u32 v9, s48, v0
	s_add_i32 s0, s1, s15
	v_mbcnt_lo_u32_b32 v18, -1, 0
	s_add_i32 s34, s0, s13
	v_mov_b32_e32 v10, v8
	s_lshl_b64 s[0:1], s[34:35], 1
	v_cmp_gt_u32_e32 vcc_lo, 32, v0
	s_add_u32 s43, s8, s0
	s_addc_u32 s47, s9, s1
	s_bitcmp1_b32 s38, 0
	v_lshlrev_b64 v[1:2], 1, v[9:10]
	s_cselect_b32 s2, -1, 0
	s_waitcnt lgkmcnt(0)
	s_and_b32 s58, s16, 0xffff
	v_cmp_gt_i32_e64 s0, 4, v18
	s_lshl_b32 s66, s58, 2
	s_bfe_u32 s1, s58, 0x80008
	v_cvt_f32_u32_e32 v3, s66
	s_xor_b32 s65, s2, -1
	s_and_b32 s68, vcc_lo, s0
	v_add_co_u32 v5, vcc_lo, s43, v1
	v_add_co_ci_u32_e64 v6, null, s47, v2, vcc_lo
	v_lshlrev_b64 v[1:2], v18, -1
	v_rcp_iflag_f32_e32 v2, v3
	s_lshl_b32 s67, s1, 3
	s_bfe_u32 s7, s16, 0xb0005
	s_cmpk_gt_u32 s36, 0x600
	v_add_nc_u32_e32 v3, 2, v0
	s_cselect_b32 s69, -1, 0
	s_cmp_gt_u32 s58, 31
	v_cvt_f32_u32_e32 v7, s58
	s_cselect_b32 s70, -1, 0
	s_add_i32 s71, s58, -1
	v_mul_f32_e32 v2, 0x4f7ffffe, v2
	s_add_i32 s13, s71, s36
	s_cmp_lt_u32 s6, s12
	v_max_u32_e32 v3, s36, v3
	s_cselect_b32 s6, 12, 18
	v_cvt_u32_f32_e32 v2, v2
	s_add_u32 s38, s10, s6
	s_addc_u32 s39, s11, 0
	s_add_i32 s7, s7, -1
	s_bfe_u32 s72, s58, 0x30005
	s_and_b32 s6, s7, 0xffff
	v_xad_u32 v3, v0, -1, v3
	s_cmp_gt_u32 s6, 6
	v_readfirstlane_b32 s6, v2
	s_cselect_b32 s73, -1, 0
	s_cmp_lg_u32 s72, 0
	v_not_b32_e32 v17, v1
	s_cselect_b32 s74, -1, 0
	s_sub_i32 s7, 0, s66
	v_lshrrev_b32_e32 v1, 1, v0
	s_mul_i32 s7, s7, s6
	v_add_nc_u32_e32 v4, -2, v3
	s_mul_hi_u32 s7, s6, s7
	v_rcp_iflag_f32_e32 v7, v7
	s_add_i32 s75, s6, s7
	s_movk_i32 s8, 0x1f0
	s_mul_hi_u32 s6, s36, s75
	v_lshrrev_b32_e32 v2, 1, v4
	s_mul_i32 s6, s6, s66
	v_and_or_b32 v22, v1, s8, 0xc00
	s_sub_i32 s6, s36, s6
	v_lshlrev_b32_e32 v19, 2, v0
	s_sub_i32 s8, s6, s66
	s_cmp_ge_u32 s6, s66
	v_add_nc_u32_e32 v1, 1, v2
	s_cselect_b32 s6, s8, s6
	v_mul_f32_e32 v2, 0x4f7ffffe, v7
	s_sub_i32 s8, s6, s66
	s_cmp_ge_u32 s6, s66
	v_and_b32_e32 v12, 7, v1
	s_cselect_b32 s6, s8, s6
	v_cvt_u32_f32_e32 v2, v2
	s_sub_i32 s76, s36, s6
	s_sub_i32 s8, 0, s58
	v_add_nc_u32_e32 v25, s76, v0
	v_and_b32_e32 v26, -8, v1
	v_readfirstlane_b32 s9, v2
	v_and_b32_e32 v23, -2, v3
	v_cmp_lt_u32_e64 s7, 31, v3
	v_mul_lo_u32 v7, v25, s48
	v_lshlrev_b32_e32 v20, 1, v0
	s_mul_i32 s8, s8, s9
	v_cmp_ne_u32_e64 s10, v3, v23
	s_mul_hi_u32 s8, s9, s8
	v_or_b32_e32 v3, 3, v19
	s_add_i32 s77, s9, s8
	s_mov_b32 s49, s48
	v_lshlrev_b64 v[1:2], 1, v[7:8]
	s_mul_hi_u32 s9, s13, s77
	v_lshlrev_b32_e32 v28, 2, v12
	s_mul_i32 s9, s9, s58
	v_mul_lo_u32 v30, s48, v3
	s_sub_i32 s11, s13, s9
	v_add_co_u32 v10, vcc_lo, s43, v1
	v_add3_u32 v1, s58, s36, v0
	s_sub_i32 s12, s11, s58
	s_cmp_ge_u32 s11, s58
	v_add_co_ci_u32_e64 v11, null, s47, v2, vcc_lo
	s_cselect_b32 s12, s12, s11
	v_or_b32_e32 v2, 2, v19
	v_subrev_nc_u32_e32 v1, s6, v1
	s_sub_i32 s14, s12, s58
	s_cmp_ge_u32 s12, s58
	v_cmp_ne_u32_e64 s9, 0, v12
	s_cselect_b32 s14, s14, s12
	v_mad_u64_u32 v[12:13], null, s48, v19, s[48:49]
	v_mul_lo_u32 v29, s48, v2
	v_mul_lo_u32 v32, s48, v1
	s_sub_i32 s78, s13, s14
	v_cmp_eq_u32_e64 s0, 0, v18
	v_cmp_gt_u32_e64 s1, s36, v0
	v_cmp_gt_u32_e64 s15, 2, v0
	v_add_nc_u32_e32 v21, 0xc00, v20
	v_add_nc_u32_e32 v24, v0, v23
	v_cmp_lt_u32_e64 s8, 13, v4
	v_cmp_gt_u32_e64 s11, s76, v19
	v_cmp_gt_u32_e64 s12, s36, v25
	;; [unrolled: 1-line block ×3, first 2 shown]
	v_lshlrev_b32_e32 v31, 2, v9
	v_lshlrev_b32_e32 v33, 3, v0
	v_lshl_or_b32 v34, v18, 2, 0xc00
	v_mov_b32_e32 v39, s37
	v_mov_b32_e32 v35, 0x8000
	v_mov_b32_e32 v36, -1
	v_mov_b32_e32 v38, 0
	v_mov_b32_e32 v27, 0
	;; [unrolled: 1-line block ×3, first 2 shown]
	s_mul_i32 s59, s48, s58
	s_lshl_b32 s80, s58, 3
	s_lshl_b32 s79, s59, 2
	s_lshl_b32 s81, s58, 1
	s_mov_b32 s88, 14
	s_movk_i32 s83, 0x3c00
	s_mov_b32 s84, 0
                                        ; implicit-def: $sgpr82
                                        ; implicit-def: $sgpr87
                                        ; implicit-def: $sgpr86
                                        ; implicit-def: $sgpr89
                                        ; implicit-def: $sgpr85
                                        ; implicit-def: $sgpr93
                                        ; implicit-def: $sgpr94
                                        ; implicit-def: $sgpr90
                                        ; implicit-def: $sgpr92
                                        ; implicit-def: $sgpr91
	s_branch .LBB101_6
.LBB101_4:                              ;   in Loop: Header=BB101_6 Depth=1
	s_or_b32 exec_lo, exec_lo, s17
	v_mov_b32_e32 v39, v4
	s_andn2_b32 s17, s91, exec_lo
	s_and_b32 s16, s16, exec_lo
	s_andn2_b32 s92, s92, exec_lo
	s_or_b32 s91, s17, s16
	s_andn2_b32 s90, s90, exec_lo
	s_andn2_b32 s94, s94, exec_lo
	;; [unrolled: 1-line block ×3, first 2 shown]
	s_orn2_b32 s17, s14, exec_lo
.LBB101_5:                              ;   in Loop: Header=BB101_6 Depth=1
	s_or_b32 exec_lo, exec_lo, s6
	s_and_b32 s6, exec_lo, s17
	s_or_b32 s35, s6, s35
	s_andn2_b32 s6, s85, exec_lo
	s_and_b32 s14, s91, exec_lo
	s_andn2_b32 s16, s89, exec_lo
	s_or_b32 s85, s6, s14
	s_and_b32 s6, s92, exec_lo
	s_andn2_b32 s14, s86, exec_lo
	s_and_b32 s17, s90, exec_lo
	s_or_b32 s89, s16, s6
	s_or_b32 s86, s14, s17
	s_andn2_b32 s6, s87, exec_lo
	s_and_b32 s14, s94, exec_lo
	s_andn2_b32 s16, s82, exec_lo
	s_and_b32 s17, s93, exec_lo
	s_or_b32 s87, s6, s14
	s_or_b32 s82, s16, s17
	s_andn2_b32 exec_lo, exec_lo, s35
	s_cbranch_execz .LBB101_422
.LBB101_6:                              ; =>This Loop Header: Depth=1
                                        ;     Child Loop BB101_11 Depth 2
                                        ;     Child Loop BB101_32 Depth 2
	;; [unrolled: 1-line block ×26, first 2 shown]
	ds_read_b64 v[1:2], v8 offset:4096
	s_waitcnt lgkmcnt(0)
	v_readfirstlane_b32 s95, v1
	s_cmp_lg_u32 s95, 0
	s_cbranch_scc1 .LBB101_51
; %bb.7:                                ;   in Loop: Header=BB101_6 Depth=1
	s_and_b32 vcc_lo, exec_lo, s69
	s_cbranch_vccz .LBB101_19
; %bb.8:                                ;   in Loop: Header=BB101_6 Depth=1
	v_cmp_gt_u32_e32 vcc_lo, 0x601, v2
	s_mov_b32 s16, 0
	s_mov_b32 s6, 0
	s_cbranch_vccz .LBB101_20
; %bb.9:                                ;   in Loop: Header=BB101_6 Depth=1
	global_load_ushort v1, v8, s[38:39]
	global_load_ushort v4, v[5:6], off
	v_mov_b32_e32 v3, v0
	s_mov_b32 s17, 0
	s_waitcnt vmcnt(1)
	v_add_nc_u32_e32 v2, v0, v1
	v_mul_lo_u32 v7, s48, v2
	v_mul_lo_u32 v2, s48, v1
	s_branch .LBB101_11
.LBB101_10:                             ;   in Loop: Header=BB101_11 Depth=2
	s_or_b32 exec_lo, exec_lo, s14
	v_add_nc_u32_e32 v7, v7, v2
	v_mov_b32_e32 v4, v13
	s_andn2_b32 exec_lo, exec_lo, s17
	s_cbranch_execz .LBB101_26
.LBB101_11:                             ;   Parent Loop BB101_6 Depth=1
                                        ; =>  This Inner Loop Header: Depth=2
	v_add_nc_u32_e32 v3, v3, v1
	s_waitcnt lgkmcnt(0)
	v_mov_b32_e32 v14, 0
	v_mov_b32_e32 v13, 0
	s_mov_b32 s14, exec_lo
	v_cmp_le_u32_e32 vcc_lo, s36, v3
	v_cmpx_gt_u32_e64 s36, v3
	s_cbranch_execz .LBB101_13
; %bb.12:                               ;   in Loop: Header=BB101_11 Depth=2
	v_lshlrev_b64 v[15:16], 1, v[7:8]
	v_add_co_u32 v15, s6, s43, v15
	v_add_co_ci_u32_e64 v16, null, s47, v16, s6
	global_load_ushort v13, v[15:16], off
.LBB101_13:                             ;   in Loop: Header=BB101_11 Depth=2
	s_or_b32 exec_lo, exec_lo, s14
	s_waitcnt vmcnt(0)
	v_cmp_lt_i16_e64 s6, -1, v4
	v_cndmask_b32_e64 v15, 0xffff, v35, s6
	v_cmp_o_f16_e64 s6, v4, v4
	v_xor_b32_sdwa v15, v15, v4 dst_sel:DWORD dst_unused:UNUSED_PAD src0_sel:DWORD src1_sel:WORD_0
	v_cndmask_b32_e64 v15, 0xffff, v15, s6
	v_and_b32_e32 v15, v15, v37
	v_cmp_eq_u32_e64 s6, v15, v27
	s_cmp_lg_u32 s6, 0
	s_cselect_b32 s14, -1, 0
	s_and_b32 s14, s0, s14
	s_and_saveexec_b32 s18, s14
	s_cbranch_execz .LBB101_17
; %bb.14:                               ;   in Loop: Header=BB101_11 Depth=2
	s_mov_b32 s21, exec_lo
	s_bcnt1_i32_b32 s19, s6
	v_mbcnt_lo_u32_b32 v14, s21, 0
	s_mov_b32 s20, exec_lo
                                        ; implicit-def: $vgpr15
	v_cmpx_eq_u32_e32 0, v14
; %bb.15:                               ;   in Loop: Header=BB101_11 Depth=2
	s_bcnt1_i32_b32 s14, s21
	s_mul_i32 s14, s19, s14
	v_mov_b32_e32 v15, s14
	ds_add_rtn_u32 v15, v8, v15 offset:4104
; %bb.16:                               ;   in Loop: Header=BB101_11 Depth=2
	s_or_b32 exec_lo, exec_lo, s20
	s_waitcnt lgkmcnt(0)
	v_readfirstlane_b32 s14, v15
	v_mad_u32_u24 v14, s19, v14, s14
.LBB101_17:                             ;   in Loop: Header=BB101_11 Depth=2
	s_or_b32 exec_lo, exec_lo, s18
	ds_bpermute_b32 v14, v8, v14
	s_and_b32 s14, exec_lo, vcc_lo
	s_or_b32 s17, s14, s17
	s_and_saveexec_b32 s14, s6
	s_cbranch_execz .LBB101_10
; %bb.18:                               ;   in Loop: Header=BB101_11 Depth=2
	v_and_b32_e32 v15, s6, v17
	v_bcnt_u32_b32 v15, v15, 0
	v_lshlrev_b32_e32 v15, 1, v15
	s_waitcnt lgkmcnt(0)
	v_lshl_add_u32 v14, v14, 1, v15
	ds_write_b16 v14, v4
	s_branch .LBB101_10
.LBB101_19:                             ;   in Loop: Header=BB101_6 Depth=1
	s_mov_b32 s16, -1
	s_mov_b32 s6, 0
.LBB101_20:                             ;   in Loop: Header=BB101_6 Depth=1
	s_and_b32 vcc_lo, exec_lo, s16
	s_cbranch_vccz .LBB101_49
.LBB101_21:                             ;   in Loop: Header=BB101_6 Depth=1
	s_and_saveexec_b32 s14, s1
	s_cbranch_execz .LBB101_46
; %bb.22:                               ;   in Loop: Header=BB101_6 Depth=1
	global_load_ushort v1, v8, s[38:39]
	global_load_ushort v40, v[5:6], off
	v_mov_b32_e32 v2, v0
	s_mov_b32 s16, exec_lo
	s_waitcnt vmcnt(1)
	v_add_nc_u32_e32 v13, v0, v1
	v_readfirstlane_b32 s17, v1
	v_cmpx_gt_u32_e64 s36, v13
	s_cbranch_execz .LBB101_45
; %bb.23:                               ;   in Loop: Header=BB101_6 Depth=1
	s_mov_b32 s6, 0
	s_mul_i32 s18, s48, s17
                                        ; implicit-def: $vgpr2
                                        ; implicit-def: $vgpr1
                                        ; implicit-def: $vgpr3
	s_and_saveexec_b32 s19, s7
	s_xor_b32 s19, exec_lo, s19
	s_cbranch_execnz .LBB101_29
; %bb.24:                               ;   in Loop: Header=BB101_6 Depth=1
	s_andn2_saveexec_b32 s19, s19
	s_cbranch_execnz .LBB101_40
.LBB101_25:                             ;   in Loop: Header=BB101_6 Depth=1
	s_or_b32 exec_lo, exec_lo, s19
	s_and_saveexec_b32 s18, s6
	s_cbranch_execnz .LBB101_41
	s_branch .LBB101_44
.LBB101_26:                             ;   in Loop: Header=BB101_6 Depth=1
	s_or_b32 exec_lo, exec_lo, s17
	s_waitcnt lgkmcnt(0)
	s_barrier
	buffer_gl0_inv
	s_and_saveexec_b32 s6, s3
	s_cbranch_execz .LBB101_28
; %bb.27:                               ;   in Loop: Header=BB101_6 Depth=1
	ds_read_b32 v1, v8 offset:4104
	s_waitcnt lgkmcnt(0)
	ds_write_b32 v8, v1 offset:4096
.LBB101_28:                             ;   in Loop: Header=BB101_6 Depth=1
	s_or_b32 exec_lo, exec_lo, s6
	s_waitcnt lgkmcnt(0)
	s_mov_b32 s6, -1
	s_barrier
	s_and_b32 vcc_lo, exec_lo, s16
	s_cbranch_vccnz .LBB101_21
	s_branch .LBB101_49
.LBB101_29:                             ;   in Loop: Header=BB101_6 Depth=1
	v_cvt_f32_u32_e32 v1, s17
	v_add_nc_u32_e32 v2, s17, v13
	s_sub_i32 s6, 0, s17
	s_not_b32 s20, s18
	v_rcp_iflag_f32_e32 v1, v1
	v_max_u32_e32 v2, s36, v2
	v_sub_nc_u32_e32 v2, v2, v0
	v_mul_f32_e32 v1, 0x4f7ffffe, v1
	v_cvt_u32_f32_e32 v1, v1
	v_mul_lo_u32 v3, s6, v1
	s_lshl_b32 s6, s17, 1
	v_cmp_ne_u32_e32 vcc_lo, s6, v2
	v_cndmask_b32_e64 v4, 0, 1, vcc_lo
	v_mul_hi_u32 v3, v1, v3
	v_or_b32_e32 v4, s6, v4
	v_add_nc_u32_e32 v1, v1, v3
	v_sub_nc_u32_e32 v2, v2, v4
	v_mul_hi_u32 v1, v2, v1
	v_mul_lo_u32 v3, v1, s17
	v_sub_nc_u32_e32 v2, v2, v3
	v_add_nc_u32_e32 v3, 1, v1
	v_subrev_nc_u32_e32 v4, s17, v2
	v_cmp_le_u32_e64 s6, s17, v2
	v_cndmask_b32_e64 v1, v1, v3, s6
	v_cndmask_b32_e64 v2, v2, v4, s6
	v_add_nc_u32_e32 v3, 1, v1
	v_cmp_le_u32_e64 s6, s17, v2
	v_mul_lo_u32 v2, s48, v13
	v_cndmask_b32_e64 v1, v1, v3, s6
	s_abs_i32 s6, s18
	v_add_co_ci_u32_e64 v1, null, 0, v1, vcc_lo
	v_mul_hi_u32 v3, s6, v1
	v_mul_lo_u32 v1, s6, v1
	s_ashr_i32 s6, s20, 31
	s_cmp_eq_u32 s17, 1
	v_xor_b32_e32 v2, s6, v2
	s_cselect_b32 s20, -1, 0
	v_cmp_eq_u32_e32 vcc_lo, 0, v3
	v_cmp_le_u32_e64 s6, v1, v2
	v_mov_b32_e32 v1, v0
                                        ; implicit-def: $vgpr2
	s_and_b32 s20, vcc_lo, s20
	s_and_b32 s21, s20, s6
	s_mov_b32 s20, -1
	s_and_saveexec_b32 s6, s21
	s_cbranch_execz .LBB101_39
; %bb.30:                               ;   in Loop: Header=BB101_6 Depth=1
	v_add_nc_u32_e32 v14, 1, v13
	s_waitcnt vmcnt(0)
	v_lshlrev_b32_e32 v1, 16, v40
	v_mov_b32_e32 v7, 0
                                        ; implicit-def: $vgpr40
	v_mov_b32_e32 v16, v14
	v_mov_b32_e32 v15, v13
	s_and_saveexec_b32 s20, s8
	s_cbranch_execz .LBB101_34
; %bb.31:                               ;   in Loop: Header=BB101_6 Depth=1
	v_mov_b32_e32 v16, v14
	v_mov_b32_e32 v41, v26
	;; [unrolled: 1-line block ×4, first 2 shown]
	s_mov_b32 s21, 0
	s_mov_b32 s22, 0
.LBB101_32:                             ;   Parent Loop BB101_6 Depth=1
                                        ; =>  This Inner Loop Header: Depth=2
	v_add_nc_u32_e32 v4, 2, v16
	v_mul_lo_u32 v7, v15, s48
	v_add_nc_u32_e32 v14, 4, v16
	v_mul_lo_u32 v2, v16, s49
	;; [unrolled: 2-line block ×3, first 2 shown]
	v_mov_b32_e32 v3, v8
	v_add_nc_u32_e32 v49, 8, v16
	v_mul_lo_u32 v45, v14, s49
	v_mov_b32_e32 v44, v8
	v_add_nc_u32_e32 v51, 10, v16
	v_mul_lo_u32 v47, v40, s49
	v_lshlrev_b64 v[53:54], 1, v[7:8]
	v_mov_b32_e32 v46, v8
	v_mul_lo_u32 v49, v49, s49
	v_lshlrev_b64 v[2:3], 1, v[2:3]
	v_mov_b32_e32 v48, v8
	;; [unrolled: 3-line block ×3, first 2 shown]
	v_lshlrev_b64 v[45:46], 1, v[45:46]
	v_add_co_u32 v53, vcc_lo, s43, v53
	v_mov_b32_e32 v52, v8
	v_lshlrev_b64 v[47:48], 1, v[47:48]
	v_add_co_ci_u32_e64 v54, null, s47, v54, vcc_lo
	v_add_co_u32 v2, vcc_lo, s43, v2
	v_lshlrev_b64 v[49:50], 1, v[49:50]
	v_add_co_ci_u32_e64 v3, null, s47, v3, vcc_lo
	v_add_co_u32 v43, vcc_lo, s43, v43
	;; [unrolled: 3-line block ×3, first 2 shown]
	v_add_co_ci_u32_e64 v46, null, s47, v46, vcc_lo
	v_add_co_u32 v47, vcc_lo, s43, v47
	v_lshrrev_b32_e32 v1, 16, v1
	v_add_co_ci_u32_e64 v48, null, s47, v48, vcc_lo
	v_add_co_u32 v49, vcc_lo, s43, v49
	v_add_co_ci_u32_e64 v50, null, s47, v50, vcc_lo
	v_add_co_u32 v51, vcc_lo, s43, v51
	v_add_co_ci_u32_e64 v52, null, s47, v52, vcc_lo
	s_clause 0x6
	global_load_short_d16_hi v1, v[53:54], off
	global_load_ushort v2, v[2:3], off
	global_load_ushort v3, v[43:44], off
	;; [unrolled: 1-line block ×6, first 2 shown]
	v_add_nc_u32_e32 v7, 2, v15
	v_add_nc_u32_e32 v46, 12, v16
	;; [unrolled: 1-line block ×4, first 2 shown]
	v_mov_b32_e32 v47, v8
	v_mul_lo_u32 v7, v7, s48
	v_mul_lo_u32 v46, v46, s49
	;; [unrolled: 1-line block ×3, first 2 shown]
	v_mov_b32_e32 v49, v8
	v_add_nc_u32_e32 v40, 6, v15
	v_add_nc_u32_e32 v54, 8, v15
	v_add_nc_u32_e32 v56, 10, v15
	v_add_nc_u32_e32 v58, 12, v15
	v_lshlrev_b64 v[50:51], 1, v[7:8]
	v_mul_lo_u32 v7, v14, s48
	v_lshlrev_b64 v[46:47], 1, v[46:47]
	v_lshlrev_b64 v[48:49], 1, v[48:49]
	v_add_nc_u32_e32 v60, 14, v15
	v_add_nc_u32_e32 v41, -8, v41
	s_add_i32 s22, s22, 16
	v_add_nc_u32_e32 v16, 16, v16
	v_add_co_u32 v46, vcc_lo, s43, v46
	v_lshlrev_b64 v[52:53], 1, v[7:8]
	v_mul_lo_u32 v7, v40, s48
	v_add_co_ci_u32_e64 v47, null, s47, v47, vcc_lo
	v_add_co_u32 v48, vcc_lo, s43, v48
	v_add_co_ci_u32_e64 v49, null, s47, v49, vcc_lo
	v_add_co_u32 v50, vcc_lo, s43, v50
	v_add_co_ci_u32_e64 v51, null, s47, v51, vcc_lo
	global_load_ushort v14, v[46:47], off
	v_add_co_u32 v46, vcc_lo, s43, v52
	v_add_co_ci_u32_e64 v47, null, s47, v53, vcc_lo
	v_lshlrev_b64 v[52:53], 1, v[7:8]
	v_mul_lo_u32 v7, v54, s48
	v_add_nc_u32_e32 v15, 16, v15
	v_add_co_u32 v52, vcc_lo, s43, v52
	v_add_co_ci_u32_e64 v53, null, s47, v53, vcc_lo
	v_lshlrev_b64 v[54:55], 1, v[7:8]
	v_mul_lo_u32 v7, v56, s48
	v_add_co_u32 v54, vcc_lo, s43, v54
	v_add_co_ci_u32_e64 v55, null, s47, v55, vcc_lo
	v_lshlrev_b64 v[56:57], 1, v[7:8]
	v_mul_lo_u32 v7, v58, s48
	;; [unrolled: 4-line block ×3, first 2 shown]
	v_add_co_u32 v58, vcc_lo, s43, v58
	v_add_co_ci_u32_e64 v59, null, s47, v59, vcc_lo
	v_lshlrev_b64 v[60:61], 1, v[7:8]
	v_mov_b32_e32 v7, s22
	v_add_co_u32 v60, vcc_lo, s43, v60
	v_add_co_ci_u32_e64 v61, null, s47, v61, vcc_lo
	v_cmp_eq_u32_e32 vcc_lo, 0, v41
	s_clause 0x7
	global_load_short_d16_hi v2, v[50:51], off
	global_load_short_d16_hi v3, v[46:47], off
	;; [unrolled: 1-line block ×3, first 2 shown]
	global_load_ushort v47, v[60:61], off
	global_load_short_d16_hi v43, v[54:55], off
	global_load_short_d16_hi v44, v[56:57], off
	;; [unrolled: 1-line block ×3, first 2 shown]
	global_load_ushort v40, v[48:49], off
	s_or_b32 s21, vcc_lo, s21
	s_waitcnt vmcnt(5)
	ds_write_b128 v42, v[1:4]
	s_waitcnt vmcnt(4)
	v_perm_b32 v46, v47, v14, 0x5040100
	s_waitcnt vmcnt(0)
	v_perm_b32 v1, v40, v47, 0x5040100
	ds_write_b128 v42, v[43:46] offset:16
	v_add_nc_u32_e32 v42, 32, v42
	s_andn2_b32 exec_lo, exec_lo, s21
	s_cbranch_execnz .LBB101_32
; %bb.33:                               ;   in Loop: Header=BB101_6 Depth=1
	s_or_b32 exec_lo, exec_lo, s21
.LBB101_34:                             ;   in Loop: Header=BB101_6 Depth=1
	s_or_b32 exec_lo, exec_lo, s20
	s_and_saveexec_b32 s20, s9
	s_cbranch_execz .LBB101_38
; %bb.35:                               ;   in Loop: Header=BB101_6 Depth=1
	v_lshl_add_u32 v2, v7, 1, v20
	v_mov_b32_e32 v3, v28
	s_mov_b32 s21, 0
	s_inst_prefetch 0x1
	.p2align	6
.LBB101_36:                             ;   Parent Loop BB101_6 Depth=1
                                        ; =>  This Inner Loop Header: Depth=2
	v_mul_lo_u32 v7, v15, s48
	v_mul_lo_u32 v40, v16, s49
	v_mov_b32_e32 v41, v8
	v_add_nc_u32_e32 v3, -4, v3
	v_add_nc_u32_e32 v16, 2, v16
	v_add_nc_u32_e32 v15, 2, v15
	v_lshlrev_b64 v[42:43], 1, v[7:8]
	v_lshlrev_b64 v[40:41], 1, v[40:41]
	v_add_co_u32 v42, vcc_lo, s43, v42
	v_add_co_ci_u32_e64 v43, null, s47, v43, vcc_lo
	v_add_co_u32 v40, vcc_lo, s43, v40
	v_add_co_ci_u32_e64 v41, null, s47, v41, vcc_lo
	s_clause 0x1
	global_load_ushort v4, v[42:43], off
	global_load_ushort v40, v[40:41], off
	v_cmp_eq_u32_e32 vcc_lo, 0, v3
	s_or_b32 s21, vcc_lo, s21
	s_waitcnt vmcnt(1)
	v_alignbit_b32 v1, v4, v1, 16
	s_waitcnt vmcnt(0)
	v_perm_b32 v4, v40, v4, 0x5040100
	ds_write_b32 v2, v1
	v_add_nc_u32_e32 v2, 4, v2
	v_mov_b32_e32 v1, v4
	s_andn2_b32 exec_lo, exec_lo, s21
	s_cbranch_execnz .LBB101_36
; %bb.37:                               ;   in Loop: Header=BB101_6 Depth=1
	s_inst_prefetch 0x2
	s_or_b32 exec_lo, exec_lo, s21
.LBB101_38:                             ;   in Loop: Header=BB101_6 Depth=1
	s_or_b32 exec_lo, exec_lo, s20
	v_add_nc_u32_e32 v13, v13, v23
	v_mov_b32_e32 v1, v24
	s_orn2_b32 s20, s10, exec_lo
	v_add_nc_u32_e32 v2, -1, v13
.LBB101_39:                             ;   in Loop: Header=BB101_6 Depth=1
	s_or_b32 exec_lo, exec_lo, s6
	v_mov_b32_e32 v3, s18
	s_and_b32 s6, s20, exec_lo
	s_andn2_saveexec_b32 s19, s19
	s_cbranch_execz .LBB101_25
.LBB101_40:                             ;   in Loop: Header=BB101_6 Depth=1
	v_mov_b32_e32 v3, s18
	v_mov_b32_e32 v1, v0
	s_or_b32 s6, s6, exec_lo
	s_or_b32 exec_lo, exec_lo, s19
	s_and_saveexec_b32 s18, s6
	s_cbranch_execz .LBB101_44
.LBB101_41:                             ;   in Loop: Header=BB101_6 Depth=1
	v_mul_lo_u32 v7, s48, v13
	s_mov_b32 s19, 0
	s_sub_i32 s6, 0, s17
	.p2align	6
.LBB101_42:                             ;   Parent Loop BB101_6 Depth=1
                                        ; =>  This Inner Loop Header: Depth=2
	v_lshlrev_b64 v[14:15], 1, v[7:8]
	s_waitcnt vmcnt(0)
	v_mov_b32_e32 v2, v40
	v_mov_b32_e32 v4, v13
	v_add_nc_u32_e32 v7, v7, v3
	v_add_co_u32 v14, vcc_lo, s43, v14
	v_add_co_ci_u32_e64 v15, null, s47, v15, vcc_lo
	v_add_nc_u32_e32 v13, s17, v4
	global_load_ushort v40, v[14:15], off
	v_lshlrev_b32_e32 v14, 1, v1
	v_cmp_le_u32_e32 vcc_lo, s36, v13
	v_mov_b32_e32 v1, v4
	ds_write_b16 v14, v2
	s_or_b32 s19, vcc_lo, s19
	s_andn2_b32 exec_lo, exec_lo, s19
	s_cbranch_execnz .LBB101_42
; %bb.43:                               ;   in Loop: Header=BB101_6 Depth=1
	s_or_b32 exec_lo, exec_lo, s19
	v_add_nc_u32_e32 v2, s6, v13
.LBB101_44:                             ;   in Loop: Header=BB101_6 Depth=1
	s_or_b32 exec_lo, exec_lo, s18
.LBB101_45:                             ;   in Loop: Header=BB101_6 Depth=1
	s_or_b32 exec_lo, exec_lo, s16
	v_lshlrev_b32_e32 v1, 1, v2
	s_waitcnt vmcnt(0)
	ds_write_b16 v1, v40
.LBB101_46:                             ;   in Loop: Header=BB101_6 Depth=1
	s_or_b32 exec_lo, exec_lo, s14
	s_waitcnt lgkmcnt(0)
	s_barrier
	buffer_gl0_inv
	s_and_saveexec_b32 s6, s3
; %bb.47:                               ;   in Loop: Header=BB101_6 Depth=1
	v_mov_b32_e32 v1, s36
	ds_write_b32 v8, v1 offset:4096
; %bb.48:                               ;   in Loop: Header=BB101_6 Depth=1
	s_or_b32 exec_lo, exec_lo, s6
	s_mov_b32 s6, -1
	s_waitcnt lgkmcnt(0)
	s_barrier
.LBB101_49:                             ;   in Loop: Header=BB101_6 Depth=1
	s_and_b32 vcc_lo, exec_lo, s6
	s_mov_b32 s95, 0
	s_cbranch_vccz .LBB101_51
; %bb.50:                               ;   in Loop: Header=BB101_6 Depth=1
	buffer_gl0_inv
	ds_read_b32 v1, v8 offset:4096
	s_waitcnt lgkmcnt(0)
	v_readfirstlane_b32 s95, v1
.LBB101_51:                             ;   in Loop: Header=BB101_6 Depth=1
	s_cmp_lt_i32 s95, 1
	s_mov_b32 s6, -1
                                        ; implicit-def: $vgpr1
	s_cbranch_scc1 .LBB101_61
; %bb.52:                               ;   in Loop: Header=BB101_6 Depth=1
	s_and_b32 vcc_lo, exec_lo, s6
	s_cbranch_vccnz .LBB101_72
.LBB101_53:                             ;   in Loop: Header=BB101_6 Depth=1
	s_lshl_b32 s6, s84, 7
	s_and_saveexec_b32 s14, s0
.LBB101_54:                             ;   in Loop: Header=BB101_6 Depth=1
	v_lshl_add_u32 v7, s6, 2, v22
	ds_write_b128 v7, v[1:4]
.LBB101_55:                             ;   in Loop: Header=BB101_6 Depth=1
	s_or_b32 exec_lo, exec_lo, s14
	s_waitcnt lgkmcnt(0)
	s_barrier
	buffer_gl0_inv
	s_and_saveexec_b32 s14, s68
	s_cbranch_execz .LBB101_85
; %bb.56:                               ;   in Loop: Header=BB101_6 Depth=1
	v_mov_b32_e32 v1, 0
	s_andn2_b32 vcc_lo, exec_lo, s70
	s_cbranch_vccnz .LBB101_84
; %bb.57:                               ;   in Loop: Header=BB101_6 Depth=1
	s_andn2_b32 vcc_lo, exec_lo, s73
	s_cbranch_vccnz .LBB101_81
; %bb.58:                               ;   in Loop: Header=BB101_6 Depth=1
	v_lshl_add_u32 v2, s84, 9, v34
	v_mov_b32_e32 v1, 0
	s_mov_b32 s16, 0
	.p2align	6
.LBB101_59:                             ;   Parent Loop BB101_6 Depth=1
                                        ; =>  This Inner Loop Header: Depth=2
	ds_read2_b32 v[3:4], v2 offset1:4
	ds_read2_b32 v[13:14], v2 offset0:8 offset1:12
	ds_read2_b32 v[15:16], v2 offset0:16 offset1:20
	;; [unrolled: 1-line block ×3, first 2 shown]
	v_add_nc_u32_e32 v2, 0x80, v2
	s_add_i32 s16, s16, 8
	s_cmp_eq_u32 s67, s16
	s_waitcnt lgkmcnt(3)
	v_add3_u32 v1, v3, v1, v4
	s_waitcnt lgkmcnt(2)
	v_add3_u32 v1, v13, v1, v14
	;; [unrolled: 2-line block ×4, first 2 shown]
	s_cbranch_scc0 .LBB101_59
; %bb.60:                               ;   in Loop: Header=BB101_6 Depth=1
	s_mov_b32 s16, s67
	s_andn2_b32 vcc_lo, exec_lo, s74
	s_cbranch_vccz .LBB101_82
	s_branch .LBB101_84
.LBB101_61:                             ;   in Loop: Header=BB101_6 Depth=1
	v_mov_b32_e32 v1, 0
	v_mov_b32_e32 v2, 0
	;; [unrolled: 1-line block ×4, first 2 shown]
	s_and_saveexec_b32 s25, s11
	s_cbranch_execz .LBB101_65
; %bb.62:                               ;   in Loop: Header=BB101_6 Depth=1
	v_mov_b32_e32 v13, v19
	s_mov_b32 s26, 0
	s_mov_b32 s27, 0
	;; [unrolled: 1-line block ×6, first 2 shown]
.LBB101_63:                             ;   Parent Loop BB101_6 Depth=1
                                        ; =>  This Inner Loop Header: Depth=2
	v_add_nc_u32_e32 v7, s27, v31
	v_add_nc_u32_e32 v13, s66, v13
	v_lshlrev_b64 v[1:2], 1, v[7:8]
	v_add_nc_u32_e32 v7, s27, v12
	v_lshlrev_b64 v[3:4], 1, v[7:8]
	v_add_nc_u32_e32 v7, s27, v29
	v_add_co_u32 v1, vcc_lo, s43, v1
	v_add_co_ci_u32_e64 v2, null, s47, v2, vcc_lo
	v_lshlrev_b64 v[14:15], 1, v[7:8]
	v_add_nc_u32_e32 v7, s27, v30
	s_add_i32 s27, s27, s79
	global_load_ushort v16, v[1:2], off
	v_add_co_u32 v1, vcc_lo, s43, v3
	v_add_co_ci_u32_e64 v2, null, s47, v4, vcc_lo
	v_add_co_u32 v14, vcc_lo, s43, v14
	v_add_co_ci_u32_e64 v15, null, s47, v15, vcc_lo
	v_lshlrev_b64 v[3:4], 1, v[7:8]
	s_clause 0x1
	global_load_ushort v7, v[1:2], off
	global_load_ushort v14, v[14:15], off
	v_add_co_u32 v1, vcc_lo, s43, v3
	v_add_co_ci_u32_e64 v2, null, s47, v4, vcc_lo
	v_cmp_le_u32_e32 vcc_lo, s76, v13
	global_load_ushort v1, v[1:2], off
	s_waitcnt vmcnt(3)
	v_cmp_lt_i16_e64 s6, -1, v16
	v_cndmask_b32_e64 v2, 0xffff, v35, s6
	s_waitcnt vmcnt(2)
	v_cmp_lt_i16_e64 s6, -1, v7
	v_xor_b32_sdwa v2, v2, v16 dst_sel:DWORD dst_unused:UNUSED_PAD src0_sel:DWORD src1_sel:WORD_0
	s_waitcnt vmcnt(1)
	v_cmp_lt_i16_e64 s14, -1, v14
	v_cndmask_b32_e64 v3, 0xffff, v35, s6
	v_cmp_o_f16_e64 s6, v16, v16
	v_cndmask_b32_e64 v4, 0xffff, v35, s14
	v_xor_b32_sdwa v3, v3, v7 dst_sel:DWORD dst_unused:UNUSED_PAD src0_sel:DWORD src1_sel:WORD_0
	v_cndmask_b32_e64 v2, 0xffff, v2, s6
	v_cmp_o_f16_e64 s6, v7, v7
	v_xor_b32_sdwa v4, v4, v14 dst_sel:DWORD dst_unused:UNUSED_PAD src0_sel:DWORD src1_sel:WORD_0
	s_waitcnt vmcnt(0)
	v_cmp_o_f16_e64 s19, v1, v1
	v_and_b32_e32 v15, v2, v37
	v_cndmask_b32_e64 v3, 0xffff, v3, s6
	v_cmp_lt_i16_e64 s6, -1, v1
	v_bfe_u32 v2, v2, s88, 2
	v_cndmask_b32_e64 v7, 0xffff, v35, s6
	v_cmp_o_f16_e64 s6, v14, v14
	v_cmp_eq_u32_e64 s14, 0, v2
	v_and_b32_e32 v14, v3, v37
	v_bfe_u32 v3, v3, s88, 2
	v_xor_b32_sdwa v7, v7, v1 dst_sel:DWORD dst_unused:UNUSED_PAD src0_sel:DWORD src1_sel:WORD_0
	v_cndmask_b32_e64 v4, 0xffff, v4, s6
	v_cmp_eq_u32_e64 s6, v15, v27
	v_cmp_eq_u32_e64 s16, 1, v2
	;; [unrolled: 1-line block ×4, first 2 shown]
	v_cndmask_b32_e64 v1, 0xffff, v7, s19
	s_and_b32 s14, s6, s14
	v_cmp_eq_u32_e64 s19, v14, v27
	v_cmp_eq_u32_e64 s20, 0, v3
	v_cndmask_b32_e64 v7, 0, 1, s14
	v_cmp_eq_u32_e64 s14, 1, v3
	s_and_b32 s16, s6, s16
	v_and_b32_e32 v2, v4, v37
	v_bfe_u32 v4, v4, s88, 2
	v_cndmask_b32_e64 v14, 0, 1, s16
	v_cmp_eq_u32_e64 s16, 2, v3
	s_and_b32 s17, s6, s17
	s_and_b32 s6, s6, s18
	v_cndmask_b32_e64 v15, 0, 1, s17
	s_and_b32 s20, s19, s20
	s_and_b32 s14, s19, s14
	v_cmp_eq_u32_e64 s17, 3, v3
	v_cndmask_b32_e64 v3, 0, 1, s6
	v_cmp_eq_u32_e64 s6, v2, v27
	v_cmp_eq_u32_e64 s18, 0, v4
	v_cmp_ne_u32_e64 s21, 0, v7
	v_cndmask_b32_e64 v7, 0, 1, s20
	v_cmp_eq_u32_e64 s20, 1, v4
	v_cmp_ne_u32_e64 s22, 0, v14
	v_cndmask_b32_e64 v14, 0, 1, s14
	v_cmp_eq_u32_e64 s14, 2, v4
	s_and_b32 s16, s19, s16
	v_and_b32_e32 v2, v1, v37
	v_bfe_u32 v1, v1, s88, 2
	v_cmp_ne_u32_e64 s23, 0, v15
	v_cndmask_b32_e64 v15, 0, 1, s16
	v_cmp_eq_u32_e64 s16, 3, v4
	s_and_b32 s17, s19, s17
	s_and_b32 s18, s6, s18
	;; [unrolled: 1-line block ×4, first 2 shown]
	v_cmp_ne_u32_e64 s24, 0, v3
	v_cndmask_b32_e64 v3, 0, 1, s17
	v_cmp_eq_u32_e64 s17, v2, v27
	v_cmp_eq_u32_e64 s19, 0, v1
	s_bcnt1_i32_b32 s33, s21
	v_cmp_ne_u32_e64 s21, 0, v7
	v_cndmask_b32_e64 v2, 0, 1, s18
	v_cmp_eq_u32_e64 s18, 1, v1
	v_cndmask_b32_e64 v4, 0, 1, s20
	v_cmp_eq_u32_e64 s20, 2, v1
	;; [unrolled: 2-line block ×3, first 2 shown]
	s_and_b32 s6, s6, s16
	s_bcnt1_i32_b32 s45, s24
	v_cndmask_b32_e64 v1, 0, 1, s6
	v_cmp_ne_u32_e64 s24, 0, v3
	s_and_b32 s16, s17, s19
	s_and_b32 s18, s17, s18
	;; [unrolled: 1-line block ×4, first 2 shown]
	v_cmp_ne_u32_e64 s6, 0, v2
	v_cndmask_b32_e64 v2, 0, 1, s16
	v_cmp_ne_u32_e64 s16, 0, v4
	v_cndmask_b32_e64 v3, 0, 1, s18
	v_cndmask_b32_e64 v4, 0, 1, s19
	v_cmp_ne_u32_e64 s19, 0, v1
	v_cndmask_b32_e64 v1, 0, 1, s14
	s_bcnt1_i32_b32 s34, s22
	v_cmp_ne_u32_e64 s22, 0, v14
	s_bcnt1_i32_b32 s44, s23
	v_cmp_ne_u32_e64 s23, 0, v15
	s_add_i32 s28, s45, s28
	v_cmp_ne_u32_e64 s18, 0, v7
	s_bcnt1_i32_b32 s20, s24
	s_bcnt1_i32_b32 s24, s6
	s_add_i32 s20, s28, s20
	v_cmp_ne_u32_e64 s6, 0, v2
	s_bcnt1_i32_b32 s28, s16
	v_cmp_ne_u32_e64 s14, 0, v3
	v_cmp_ne_u32_e64 s16, 0, v4
	;; [unrolled: 1-line block ×3, first 2 shown]
	s_add_i32 s31, s33, s31
	s_add_i32 s30, s34, s30
	;; [unrolled: 1-line block ×3, first 2 shown]
	s_bcnt1_i32_b32 s21, s21
	s_bcnt1_i32_b32 s22, s22
	;; [unrolled: 1-line block ×3, first 2 shown]
	s_add_i32 s21, s31, s21
	s_add_i32 s22, s30, s22
	;; [unrolled: 1-line block ×3, first 2 shown]
	s_bcnt1_i32_b32 s18, s18
	s_bcnt1_i32_b32 s19, s19
	s_add_i32 s21, s21, s24
	s_add_i32 s22, s22, s28
	;; [unrolled: 1-line block ×4, first 2 shown]
	s_bcnt1_i32_b32 s6, s6
	s_bcnt1_i32_b32 s14, s14
	;; [unrolled: 1-line block ×4, first 2 shown]
	s_add_i32 s31, s21, s6
	s_add_i32 s30, s22, s14
	;; [unrolled: 1-line block ×4, first 2 shown]
	v_mov_b32_e32 v1, s31
	v_mov_b32_e32 v2, s30
	;; [unrolled: 1-line block ×4, first 2 shown]
	s_or_b32 s26, vcc_lo, s26
	s_andn2_b32 exec_lo, exec_lo, s26
	s_cbranch_execnz .LBB101_63
; %bb.64:                               ;   in Loop: Header=BB101_6 Depth=1
	s_or_b32 exec_lo, exec_lo, s26
.LBB101_65:                             ;   in Loop: Header=BB101_6 Depth=1
	s_or_b32 exec_lo, exec_lo, s25
	s_and_saveexec_b32 s18, s12
	s_cbranch_execz .LBB101_71
; %bb.66:                               ;   in Loop: Header=BB101_6 Depth=1
	global_load_ushort v15, v[10:11], off
	v_mov_b32_e32 v7, v32
	v_mov_b32_e32 v13, v25
	s_mov_b32 s19, 0
	s_branch .LBB101_68
.LBB101_67:                             ;   in Loop: Header=BB101_68 Depth=2
	s_or_b32 exec_lo, exec_lo, s14
	s_waitcnt vmcnt(0)
	v_cmp_lt_i16_e64 s6, -1, v15
	s_and_b32 s14, exec_lo, vcc_lo
	v_add_nc_u32_e32 v7, s59, v7
	s_or_b32 s19, s14, s19
	v_cndmask_b32_e64 v16, 0xffff, v35, s6
	v_cmp_o_f16_e64 s6, v15, v15
	v_xor_b32_sdwa v16, v16, v15 dst_sel:DWORD dst_unused:UNUSED_PAD src0_sel:DWORD src1_sel:WORD_0
	v_cndmask_b32_e64 v15, 0xffff, v16, s6
	v_and_b32_e32 v16, v15, v37
	v_bfe_u32 v15, v15, s88, 2
	v_cmp_eq_u32_e32 vcc_lo, v16, v27
	v_cmp_eq_u32_e64 s6, 0, v15
	v_cmp_eq_u32_e64 s14, 1, v15
	;; [unrolled: 1-line block ×4, first 2 shown]
	s_and_b32 s6, vcc_lo, s6
	v_cndmask_b32_e64 v15, 0, 1, s6
	s_and_b32 s6, vcc_lo, s14
	v_cndmask_b32_e64 v16, 0, 1, s6
	;; [unrolled: 2-line block ×3, first 2 shown]
	s_and_b32 s6, vcc_lo, s17
	v_cmp_ne_u32_e32 vcc_lo, 0, v15
	v_cndmask_b32_e64 v41, 0, 1, s6
	v_cmp_ne_u32_e64 s6, 0, v16
	v_cmp_ne_u32_e64 s14, 0, v40
	v_mov_b32_e32 v15, v14
	s_bcnt1_i32_b32 s17, vcc_lo
	v_cmp_ne_u32_e64 s16, 0, v41
	s_bcnt1_i32_b32 s6, s6
	s_bcnt1_i32_b32 s14, s14
	v_add_nc_u32_e32 v1, s17, v1
	v_add_nc_u32_e32 v2, s6, v2
	s_bcnt1_i32_b32 s16, s16
	v_add_nc_u32_e32 v3, s14, v3
	v_add_nc_u32_e32 v4, s16, v4
	s_andn2_b32 exec_lo, exec_lo, s19
	s_cbranch_execz .LBB101_70
.LBB101_68:                             ;   Parent Loop BB101_6 Depth=1
                                        ; =>  This Inner Loop Header: Depth=2
	v_add_nc_u32_e32 v13, s58, v13
	v_mov_b32_e32 v14, 0
	s_mov_b32 s14, exec_lo
	v_cmp_le_u32_e32 vcc_lo, s36, v13
	v_cmpx_gt_u32_e64 s36, v13
	s_cbranch_execz .LBB101_67
; %bb.69:                               ;   in Loop: Header=BB101_68 Depth=2
	v_lshlrev_b64 v[40:41], 1, v[7:8]
	v_add_co_u32 v40, s6, s43, v40
	v_add_co_ci_u32_e64 v41, null, s47, v41, s6
	global_load_ushort v14, v[40:41], off
	s_branch .LBB101_67
.LBB101_70:                             ;   in Loop: Header=BB101_6 Depth=1
	s_or_b32 exec_lo, exec_lo, s19
.LBB101_71:                             ;   in Loop: Header=BB101_6 Depth=1
	s_or_b32 exec_lo, exec_lo, s18
	s_branch .LBB101_53
.LBB101_72:                             ;   in Loop: Header=BB101_6 Depth=1
	s_mul_hi_u32 s6, s95, s75
	v_mov_b32_e32 v1, 0
	s_mul_i32 s6, s6, s66
	v_mov_b32_e32 v2, 0
	s_sub_i32 s6, s95, s6
	v_mov_b32_e32 v3, 0
	s_sub_i32 s14, s6, s66
	s_cmp_ge_u32 s6, s66
	v_mov_b32_e32 v4, 0
	s_cselect_b32 s6, s14, s6
	s_mov_b32 s97, exec_lo
	s_sub_i32 s14, s6, s66
	s_cmp_ge_u32 s6, s66
	s_cselect_b32 s6, s14, s6
	s_sub_i32 s96, s95, s6
	v_cmpx_gt_u32_e64 s96, v19
	s_cbranch_execz .LBB101_76
; %bb.73:                               ;   in Loop: Header=BB101_6 Depth=1
	v_mov_b32_e32 v7, v33
	v_mov_b32_e32 v13, v19
	s_mov_b32 s98, 0
	s_mov_b32 s99, 0
	;; [unrolled: 1-line block ×3, first 2 shown]
	s_mov_b32 vcc_hi, 0
	s_mov_b32 s44, 0
.LBB101_74:                             ;   Parent Loop BB101_6 Depth=1
                                        ; =>  This Inner Loop Header: Depth=2
	ds_read_b64 v[1:2], v7
	v_add_nc_u32_e32 v13, s66, v13
	v_add_nc_u32_e32 v7, s80, v7
	v_cmp_le_u32_e32 vcc_lo, s96, v13
	s_waitcnt lgkmcnt(0)
	v_cmp_lt_i16_e64 s6, -1, v1
	v_cmp_o_f16_e64 s17, v1, v1
	v_cmp_o_f16_e64 s14, v2, v2
	v_cmp_o_f16_sdwa s16, v2, v2 src0_sel:WORD_1 src1_sel:WORD_1
	v_cndmask_b32_e64 v3, 0xffff, v35, s6
	v_cmp_gt_i16_sdwa s6, v1, v36 src0_sel:WORD_1 src1_sel:DWORD
	v_xor_b32_sdwa v3, v3, v1 dst_sel:DWORD dst_unused:UNUSED_PAD src0_sel:DWORD src1_sel:WORD_0
	v_cndmask_b32_e64 v4, 0xffff, v35, s6
	v_cmp_lt_i16_e64 s6, -1, v2
	v_xor_b32_sdwa v4, v4, v1 dst_sel:DWORD dst_unused:UNUSED_PAD src0_sel:DWORD src1_sel:WORD_1
	v_cndmask_b32_e64 v14, 0xffff, v35, s6
	v_cmp_gt_i16_sdwa s6, v2, v36 src0_sel:WORD_1 src1_sel:DWORD
	v_xor_b32_sdwa v14, v14, v2 dst_sel:DWORD dst_unused:UNUSED_PAD src0_sel:DWORD src1_sel:WORD_0
	v_cndmask_b32_e64 v15, 0xffff, v35, s6
	v_cmp_o_f16_sdwa s6, v1, v1 src0_sel:WORD_1 src1_sel:WORD_1
	v_cndmask_b32_e64 v1, 0xffff, v3, s17
	v_cndmask_b32_e64 v3, 0xffff, v14, s14
	v_xor_b32_sdwa v15, v15, v2 dst_sel:DWORD dst_unused:UNUSED_PAD src0_sel:DWORD src1_sel:WORD_1
	v_cndmask_b32_e64 v2, 0xffff, v4, s6
	v_and_b32_e32 v14, v1, v37
	v_bfe_u32 v1, v1, s88, 2
	v_and_b32_e32 v16, v3, v37
	v_cndmask_b32_e64 v4, 0xffff, v15, s16
	v_and_b32_e32 v15, v2, v37
	v_bfe_u32 v2, v2, s88, 2
	v_bfe_u32 v3, v3, s88, 2
	v_cmp_eq_u32_e64 s6, v14, v27
	v_cmp_eq_u32_e64 s18, 0, v1
	v_and_b32_e32 v40, v4, v37
	v_bfe_u32 v4, v4, s88, 2
	v_cmp_eq_u32_e64 s14, v15, v27
	v_cmp_eq_u32_e64 s19, 0, v2
	;; [unrolled: 1-line block ×4, first 2 shown]
	s_and_b32 s18, s6, s18
	v_cmp_eq_u32_e64 s17, v40, v27
	v_cmp_eq_u32_e64 s21, 0, v4
	;; [unrolled: 1-line block ×5, first 2 shown]
	v_cndmask_b32_e64 v1, 0, 1, s18
	s_and_b32 s18, s14, s19
	v_cmp_eq_u32_e64 s23, 1, v2
	v_cmp_eq_u32_e64 s27, 2, v2
	v_cmp_eq_u32_e64 s31, 3, v2
	v_cndmask_b32_e64 v2, 0, 1, s18
	s_and_b32 s18, s16, s20
	v_cmp_eq_u32_e64 s24, 1, v3
	v_cmp_eq_u32_e64 s28, 2, v3
	v_cmp_eq_u32_e64 s33, 3, v3
	;; [unrolled: 5-line block ×3, first 2 shown]
	v_cndmask_b32_e64 v4, 0, 1, s18
	s_and_b32 s18, s6, s22
	v_cndmask_b32_e64 v14, 0, 1, s18
	s_and_b32 s18, s14, s23
	;; [unrolled: 2-line block ×4, first 2 shown]
	v_cmp_ne_u32_e64 s19, 0, v15
	v_cndmask_b32_e64 v40, 0, 1, s18
	s_and_b32 s18, s6, s26
	s_and_b32 s6, s6, s30
	v_cndmask_b32_e64 v41, 0, 1, s18
	s_and_b32 s18, s14, s27
	v_cndmask_b32_e64 v45, 0, 1, s6
	;; [unrolled: 2-line block ×7, first 2 shown]
	v_cndmask_b32_e64 v48, 0, 1, s6
	v_cmp_ne_u32_e64 s6, 0, v1
	v_cmp_ne_u32_e64 s18, 0, v14
	;; [unrolled: 1-line block ×11, first 2 shown]
	s_bcnt1_i32_b32 s6, s6
	s_bcnt1_i32_b32 s18, s18
	s_bcnt1_i32_b32 s22, s22
	s_bcnt1_i32_b32 s26, s26
	v_cmp_ne_u32_e64 s17, 0, v4
	v_cmp_ne_u32_e64 s21, 0, v40
	;; [unrolled: 1-line block ×4, first 2 shown]
	s_bcnt1_i32_b32 s14, s14
	s_bcnt1_i32_b32 s19, s19
	s_bcnt1_i32_b32 s23, s23
	s_bcnt1_i32_b32 s27, s27
	s_add_i32 s6, s6, s44
	s_add_i32 s18, s18, vcc_hi
	s_add_i32 s22, s22, s104
	s_add_i32 s26, s26, s99
	s_bcnt1_i32_b32 s16, s16
	s_bcnt1_i32_b32 s20, s20
	;; [unrolled: 1-line block ×4, first 2 shown]
	s_add_i32 s6, s6, s14
	s_add_i32 s14, s18, s19
	;; [unrolled: 1-line block ×4, first 2 shown]
	s_bcnt1_i32_b32 s17, s17
	s_bcnt1_i32_b32 s21, s21
	;; [unrolled: 1-line block ×4, first 2 shown]
	s_add_i32 s6, s6, s16
	s_add_i32 s14, s14, s20
	;; [unrolled: 1-line block ×5, first 2 shown]
	s_add_i32 vcc_hi, s14, s21
	s_add_i32 s104, s16, s25
	s_add_i32 s99, s18, s29
	v_mov_b32_e32 v1, s44
	v_mov_b32_e32 v2, vcc_hi
	v_mov_b32_e32 v3, s104
	v_mov_b32_e32 v4, s99
	s_or_b32 s98, vcc_lo, s98
	s_andn2_b32 exec_lo, exec_lo, s98
	s_cbranch_execnz .LBB101_74
; %bb.75:                               ;   in Loop: Header=BB101_6 Depth=1
	s_or_b32 exec_lo, exec_lo, s98
.LBB101_76:                             ;   in Loop: Header=BB101_6 Depth=1
	s_or_b32 exec_lo, exec_lo, s97
	v_add_nc_u32_e32 v7, s96, v0
	s_mov_b32 s19, exec_lo
	v_cmpx_gt_u32_e64 s95, v7
	s_cbranch_execz .LBB101_80
; %bb.77:                               ;   in Loop: Header=BB101_6 Depth=1
	v_lshlrev_b32_e32 v13, 1, v7
	s_mov_b32 s20, 0
.LBB101_78:                             ;   Parent Loop BB101_6 Depth=1
                                        ; =>  This Inner Loop Header: Depth=2
	ds_read_u16 v14, v13
	v_add_nc_u32_e32 v7, s58, v7
	v_add_nc_u32_e32 v13, s81, v13
	v_cmp_le_u32_e32 vcc_lo, s95, v7
	s_waitcnt lgkmcnt(0)
	v_cmp_lt_i16_e64 s6, -1, v14
	v_cndmask_b32_e64 v15, 0xffff, v35, s6
	v_cmp_o_f16_e64 s6, v14, v14
	v_xor_b32_sdwa v15, v15, v14 dst_sel:DWORD dst_unused:UNUSED_PAD src0_sel:DWORD src1_sel:WORD_0
	v_cndmask_b32_e64 v14, 0xffff, v15, s6
	v_and_b32_e32 v15, v14, v37
	v_bfe_u32 v14, v14, s88, 2
	v_cmp_eq_u32_e64 s6, v15, v27
	v_cmp_eq_u32_e64 s14, 0, v14
	;; [unrolled: 1-line block ×5, first 2 shown]
	s_and_b32 s14, s6, s14
	v_cndmask_b32_e64 v14, 0, 1, s14
	s_and_b32 s14, s6, s16
	v_cndmask_b32_e64 v15, 0, 1, s14
	s_and_b32 s14, s6, s17
	s_and_b32 s6, s6, s18
	v_cndmask_b32_e64 v16, 0, 1, s14
	v_cndmask_b32_e64 v40, 0, 1, s6
	v_cmp_ne_u32_e64 s6, 0, v14
	v_cmp_ne_u32_e64 s14, 0, v15
	;; [unrolled: 1-line block ×4, first 2 shown]
	s_bcnt1_i32_b32 s6, s6
	s_bcnt1_i32_b32 s14, s14
	v_add_nc_u32_e32 v1, s6, v1
	s_bcnt1_i32_b32 s16, s16
	s_bcnt1_i32_b32 s17, s17
	v_add_nc_u32_e32 v2, s14, v2
	v_add_nc_u32_e32 v3, s16, v3
	;; [unrolled: 1-line block ×3, first 2 shown]
	s_or_b32 s20, vcc_lo, s20
	s_andn2_b32 exec_lo, exec_lo, s20
	s_cbranch_execnz .LBB101_78
; %bb.79:                               ;   in Loop: Header=BB101_6 Depth=1
	s_or_b32 exec_lo, exec_lo, s20
.LBB101_80:                             ;   in Loop: Header=BB101_6 Depth=1
	s_or_b32 exec_lo, exec_lo, s19
	s_lshl_b32 s6, s84, 7
	s_and_saveexec_b32 s14, s0
	s_cbranch_execnz .LBB101_54
	s_branch .LBB101_55
.LBB101_81:                             ;   in Loop: Header=BB101_6 Depth=1
	v_mov_b32_e32 v1, 0
	s_mov_b32 s16, 0
	s_andn2_b32 vcc_lo, exec_lo, s74
	s_cbranch_vccnz .LBB101_84
.LBB101_82:                             ;   in Loop: Header=BB101_6 Depth=1
	s_lshl_b32 s17, s84, 9
	s_lshl_b32 s16, s16, 4
	v_add3_u32 v2, s17, s16, v34
	s_mov_b32 s16, s72
.LBB101_83:                             ;   Parent Loop BB101_6 Depth=1
                                        ; =>  This Inner Loop Header: Depth=2
	ds_read_b32 v3, v2
	v_add_nc_u32_e32 v2, 16, v2
	s_add_i32 s16, s16, -1
	s_cmp_lg_u32 s16, 0
	s_waitcnt lgkmcnt(0)
	v_add_nc_u32_e32 v1, v3, v1
	s_cbranch_scc1 .LBB101_83
.LBB101_84:                             ;   in Loop: Header=BB101_6 Depth=1
	v_add_lshl_u32 v2, s6, v18, 2
	ds_write_b32 v2, v1 offset:3072
.LBB101_85:                             ;   in Loop: Header=BB101_6 Depth=1
	s_or_b32 exec_lo, exec_lo, s14
	s_lshl_b32 s6, s6, 2
	s_waitcnt lgkmcnt(0)
	v_mov_b32_e32 v1, s6
	s_barrier
	buffer_gl0_inv
	v_cmp_eq_u32_e64 s14, 1, v39
	s_lshl_b32 s18, 3, s88
	ds_read_b128 v[1:4], v1 offset:3072
	s_mov_b32 s27, -1
	s_not_b32 s19, s18
	s_mov_b32 s16, 0
	s_andn2_b32 vcc_lo, exec_lo, s65
	s_mov_b32 s24, 0
	s_mov_b32 s23, 0
                                        ; implicit-def: $sgpr25
                                        ; implicit-def: $sgpr26
                                        ; implicit-def: $vgpr7
	s_waitcnt lgkmcnt(0)
	v_readfirstlane_b32 s17, v1
	v_readfirstlane_b32 s20, v2
	;; [unrolled: 1-line block ×4, first 2 shown]
                                        ; implicit-def: $vgpr4
                                        ; implicit-def: $vgpr1
                                        ; implicit-def: $vgpr2
                                        ; implicit-def: $vgpr3
	s_cbranch_vccnz .LBB101_251
; %bb.86:                               ;   in Loop: Header=BB101_6 Depth=1
	s_cmp_eq_u32 s17, 1
	v_mov_b32_e32 v2, v27
	v_mov_b32_e32 v3, v37
	;; [unrolled: 1-line block ×3, first 2 shown]
	s_cselect_b32 s6, -1, 0
	s_mov_b32 s29, -1
	s_and_b32 s6, s6, s14
                                        ; implicit-def: $sgpr26
                                        ; implicit-def: $sgpr25
	s_and_saveexec_b32 s23, s6
	s_cbranch_execz .LBB101_114
; %bb.87:                               ;   in Loop: Header=BB101_6 Depth=1
	ds_read_b32 v1, v8 offset:4096
	s_waitcnt lgkmcnt(0)
	s_barrier
	buffer_gl0_inv
	v_readfirstlane_b32 s27, v1
	s_and_saveexec_b32 s24, s15
; %bb.88:                               ;   in Loop: Header=BB101_6 Depth=1
	ds_write_b16 v21, v8
; %bb.89:                               ;   in Loop: Header=BB101_6 Depth=1
	s_or_b32 exec_lo, exec_lo, s24
	v_and_b32_e32 v2, s19, v27
	v_or_b32_e32 v3, s18, v37
	s_mov_b32 s25, -1
	s_mov_b32 s26, 0
	s_cmp_eq_u32 s27, 0
	s_mov_b32 s24, 0
	s_mov_b32 s28, -1
	s_waitcnt lgkmcnt(0)
	s_barrier
	buffer_gl0_inv
                                        ; implicit-def: $vgpr7
	s_cbranch_scc1 .LBB101_101
; %bb.90:                               ;   in Loop: Header=BB101_6 Depth=1
	s_add_i32 s24, s27, s71
                                        ; implicit-def: $vgpr7
	s_mul_hi_u32 s28, s24, s77
	s_mul_i32 s28, s28, s58
	s_sub_i32 s28, s24, s28
	s_sub_i32 s29, s28, s58
	s_cmp_ge_u32 s28, s58
	s_cselect_b32 s28, s29, s28
	s_sub_i32 s29, s28, s58
	s_cmp_ge_u32 s28, s58
	s_cselect_b32 s28, s29, s28
	s_mov_b32 s29, exec_lo
	s_sub_i32 s30, s24, s28
	s_mov_b32 s28, 0
	s_mov_b32 s24, 0
	v_cmpx_gt_u32_e64 s30, v0
	s_cbranch_execz .LBB101_100
; %bb.91:                               ;   in Loop: Header=BB101_6 Depth=1
	v_mov_b32_e32 v1, v20
	v_mov_b32_e32 v4, v0
                                        ; implicit-def: $sgpr31
	s_inst_prefetch 0x1
	s_branch .LBB101_95
	.p2align	6
.LBB101_92:                             ;   in Loop: Header=BB101_95 Depth=2
	s_or_b32 exec_lo, exec_lo, s33
	s_waitcnt lgkmcnt(0)
	s_barrier
	buffer_gl0_inv
	ds_read_b32 v7, v8 offset:3072
	s_waitcnt lgkmcnt(0)
	s_barrier
	buffer_gl0_inv
	v_cmp_neq_f16_e32 vcc_lo, 0, v7
	s_cbranch_vccnz .LBB101_98
; %bb.93:                               ;   in Loop: Header=BB101_95 Depth=2
	v_add_nc_u32_e32 v4, s58, v4
	v_add_nc_u32_e32 v1, s81, v1
	s_mov_b32 s33, 0
	v_cmp_le_u32_e32 vcc_lo, s30, v4
	s_orn2_b32 s34, vcc_lo, exec_lo
.LBB101_94:                             ;   in Loop: Header=BB101_95 Depth=2
	s_and_b32 s34, exec_lo, s34
	s_or_b32 s24, s34, s24
	s_andn2_b32 s31, s31, exec_lo
	s_and_b32 s33, s33, exec_lo
	s_or_b32 s31, s31, s33
	s_andn2_b32 exec_lo, exec_lo, s24
	s_cbranch_execz .LBB101_99
.LBB101_95:                             ;   Parent Loop BB101_6 Depth=1
                                        ; =>  This Inner Loop Header: Depth=2
	s_mov_b32 s33, exec_lo
	v_cmpx_gt_u32_e64 s27, v4
	s_cbranch_execz .LBB101_92
; %bb.96:                               ;   in Loop: Header=BB101_95 Depth=2
	ds_read_u16 v7, v1
	s_waitcnt lgkmcnt(0)
	v_cmp_lt_i16_e32 vcc_lo, -1, v7
	v_cndmask_b32_e32 v13, 0xffff, v35, vcc_lo
	v_cmp_o_f16_e32 vcc_lo, v7, v7
	v_xor_b32_sdwa v13, v13, v7 dst_sel:DWORD dst_unused:UNUSED_PAD src0_sel:DWORD src1_sel:WORD_0
	v_cndmask_b32_e32 v13, 0xffff, v13, vcc_lo
	v_and_b32_e32 v13, v13, v3
	v_cmp_eq_u32_e32 vcc_lo, v13, v2
	s_and_b32 exec_lo, exec_lo, vcc_lo
	s_cbranch_execz .LBB101_92
; %bb.97:                               ;   in Loop: Header=BB101_95 Depth=2
	v_perm_b32 v7, v7, s83, 0x5040100
	ds_write_b32 v8, v7 offset:3072
	s_branch .LBB101_92
.LBB101_98:                             ;   in Loop: Header=BB101_95 Depth=2
	s_mov_b32 s34, -1
	s_mov_b32 s33, -1
                                        ; implicit-def: $vgpr4
                                        ; implicit-def: $vgpr1
	s_branch .LBB101_94
.LBB101_99:                             ;   in Loop: Header=BB101_6 Depth=1
	s_inst_prefetch 0x2
	s_or_b32 exec_lo, exec_lo, s24
	v_lshrrev_b32_e32 v7, 16, v7
	s_and_b32 s24, s31, exec_lo
.LBB101_100:                            ;   in Loop: Header=BB101_6 Depth=1
	s_or_b32 exec_lo, exec_lo, s29
.LBB101_101:                            ;   in Loop: Header=BB101_6 Depth=1
	s_and_b32 vcc_lo, exec_lo, s28
	s_cbranch_vccz .LBB101_113
; %bb.102:                              ;   in Loop: Header=BB101_6 Depth=1
                                        ; implicit-def: $vgpr7
	s_and_saveexec_b32 s25, s13
	s_cbranch_execz .LBB101_112
; %bb.103:                              ;   in Loop: Header=BB101_6 Depth=1
	v_mov_b32_e32 v7, v9
	v_mov_b32_e32 v1, v0
	s_mov_b32 s26, 0
                                        ; implicit-def: $sgpr27
	s_branch .LBB101_107
.LBB101_104:                            ;   in Loop: Header=BB101_107 Depth=2
	s_or_b32 exec_lo, exec_lo, s28
	s_waitcnt lgkmcnt(0)
	s_barrier
	buffer_gl0_inv
	ds_read_b32 v4, v8 offset:3072
	s_waitcnt lgkmcnt(0)
	s_barrier
	buffer_gl0_inv
	v_cmp_neq_f16_e32 vcc_lo, 0, v4
	s_cbranch_vccnz .LBB101_110
; %bb.105:                              ;   in Loop: Header=BB101_107 Depth=2
	v_add_nc_u32_e32 v1, s58, v1
	v_add_nc_u32_e32 v7, s59, v7
	s_mov_b32 s28, 0
	v_cmp_le_u32_e32 vcc_lo, s78, v1
	s_orn2_b32 s29, vcc_lo, exec_lo
.LBB101_106:                            ;   in Loop: Header=BB101_107 Depth=2
	s_and_b32 s29, exec_lo, s29
	s_or_b32 s26, s29, s26
	s_andn2_b32 s27, s27, exec_lo
	s_and_b32 s28, s28, exec_lo
	s_or_b32 s27, s27, s28
	s_andn2_b32 exec_lo, exec_lo, s26
	s_cbranch_execz .LBB101_111
.LBB101_107:                            ;   Parent Loop BB101_6 Depth=1
                                        ; =>  This Inner Loop Header: Depth=2
	s_mov_b32 s28, exec_lo
	v_cmpx_gt_u32_e64 s36, v1
	s_cbranch_execz .LBB101_104
; %bb.108:                              ;   in Loop: Header=BB101_107 Depth=2
	v_lshlrev_b64 v[13:14], 1, v[7:8]
	v_add_co_u32 v13, vcc_lo, s43, v13
	v_add_co_ci_u32_e64 v14, null, s47, v14, vcc_lo
	global_load_ushort v4, v[13:14], off
	s_waitcnt vmcnt(0)
	v_cmp_lt_i16_e32 vcc_lo, -1, v4
	v_cndmask_b32_e32 v13, 0xffff, v35, vcc_lo
	v_cmp_o_f16_e32 vcc_lo, v4, v4
	v_xor_b32_sdwa v13, v13, v4 dst_sel:DWORD dst_unused:UNUSED_PAD src0_sel:DWORD src1_sel:WORD_0
	v_cndmask_b32_e32 v13, 0xffff, v13, vcc_lo
	v_and_b32_e32 v13, v13, v3
	v_cmp_eq_u32_e32 vcc_lo, v13, v2
	s_and_b32 exec_lo, exec_lo, vcc_lo
	s_cbranch_execz .LBB101_104
; %bb.109:                              ;   in Loop: Header=BB101_107 Depth=2
	v_perm_b32 v4, v4, s83, 0x5040100
	ds_write_b32 v8, v4 offset:3072
	s_branch .LBB101_104
.LBB101_110:                            ;   in Loop: Header=BB101_107 Depth=2
	s_mov_b32 s29, -1
	s_mov_b32 s28, -1
                                        ; implicit-def: $vgpr1
	s_branch .LBB101_106
.LBB101_111:                            ;   in Loop: Header=BB101_6 Depth=1
	s_or_b32 exec_lo, exec_lo, s26
	v_lshrrev_b32_e32 v7, 16, v4
	s_andn2_b32 s24, s24, exec_lo
	s_and_b32 s26, s27, exec_lo
	s_or_b32 s24, s24, s26
.LBB101_112:                            ;   in Loop: Header=BB101_6 Depth=1
	s_or_b32 exec_lo, exec_lo, s25
	s_mov_b32 s25, 0
	s_mov_b32 s26, -1
.LBB101_113:                            ;   in Loop: Header=BB101_6 Depth=1
	s_orn2_b32 s29, s24, exec_lo
.LBB101_114:                            ;   in Loop: Header=BB101_6 Depth=1
	s_or_b32 exec_lo, exec_lo, s23
	s_mov_b32 s27, 0
	s_mov_b32 s24, 0
	;; [unrolled: 1-line block ×3, first 2 shown]
                                        ; implicit-def: $vgpr4
                                        ; implicit-def: $vgpr1
	s_and_saveexec_b32 s28, s29
	s_cbranch_execz .LBB101_250
; %bb.115:                              ;   in Loop: Header=BB101_6 Depth=1
	v_mov_b32_e32 v4, 1
	v_mov_b32_e32 v1, 1
	s_xor_b32 s23, s6, -1
	s_mov_b32 s30, 0
	s_and_saveexec_b32 s6, s23
	s_cbranch_execz .LBB101_124
; %bb.116:                              ;   in Loop: Header=BB101_6 Depth=1
	s_mov_b32 s23, exec_lo
	v_cmpx_ge_u32_e64 s17, v39
	s_xor_b32 s23, exec_lo, s23
	s_cbranch_execz .LBB101_121
; %bb.117:                              ;   in Loop: Header=BB101_6 Depth=1
	ds_read_b32 v1, v8 offset:4096
	v_and_b32_e32 v2, s19, v2
	v_or_b32_e32 v3, s18, v3
	s_waitcnt lgkmcnt(0)
	v_cmp_ne_u32_e32 vcc_lo, 0, v1
	s_cbranch_vccnz .LBB101_121
; %bb.118:                              ;   in Loop: Header=BB101_6 Depth=1
	s_and_saveexec_b32 s24, s3
; %bb.119:                              ;   in Loop: Header=BB101_6 Depth=1
	v_mov_b32_e32 v1, s17
	ds_write_b32 v8, v1 offset:4100
; %bb.120:                              ;   in Loop: Header=BB101_6 Depth=1
	s_or_b32 exec_lo, exec_lo, s24
	s_waitcnt lgkmcnt(0)
	s_barrier
	buffer_gl0_inv
.LBB101_121:                            ;   in Loop: Header=BB101_6 Depth=1
	s_or_saveexec_b32 s23, s23
	v_mov_b32_e32 v1, 8
	v_mov_b32_e32 v4, v39
	s_mov_b32 s24, 0
	s_xor_b32 exec_lo, exec_lo, s23
; %bb.122:                              ;   in Loop: Header=BB101_6 Depth=1
	v_subrev_nc_u32_e32 v4, s17, v39
	v_mov_b32_e32 v1, 0
	s_mov_b32 s24, exec_lo
; %bb.123:                              ;   in Loop: Header=BB101_6 Depth=1
	s_or_b32 exec_lo, exec_lo, s23
	s_and_b32 s30, s24, exec_lo
.LBB101_124:                            ;   in Loop: Header=BB101_6 Depth=1
	s_or_b32 exec_lo, exec_lo, s6
	s_mov_b32 s29, -1
                                        ; implicit-def: $sgpr23
                                        ; implicit-def: $sgpr24
	s_and_saveexec_b32 s6, s30
	s_xor_b32 s6, exec_lo, s6
	s_cbranch_execz .LBB101_247
; %bb.125:                              ;   in Loop: Header=BB101_6 Depth=1
	v_cmp_eq_u32_e32 vcc_lo, 1, v4
	s_cmp_eq_u32 s20, 1
	s_mov_b32 s31, -1
	s_cselect_b32 s23, -1, 0
                                        ; implicit-def: $sgpr24
	s_and_b32 s30, s23, vcc_lo
                                        ; implicit-def: $sgpr23
	s_and_saveexec_b32 s29, s30
	s_cbranch_execz .LBB101_153
; %bb.126:                              ;   in Loop: Header=BB101_6 Depth=1
	ds_read_b32 v7, v8 offset:4096
	s_waitcnt lgkmcnt(0)
	s_barrier
	buffer_gl0_inv
	v_readfirstlane_b32 s33, v7
	s_and_saveexec_b32 s23, s15
; %bb.127:                              ;   in Loop: Header=BB101_6 Depth=1
	ds_write_b16 v21, v8
; %bb.128:                              ;   in Loop: Header=BB101_6 Depth=1
	s_or_b32 exec_lo, exec_lo, s23
	s_lshl_b32 s23, 1, s88
	v_or_b32_e32 v3, s18, v3
	v_and_or_b32 v2, v2, s19, s23
	s_mov_b32 s23, -1
	s_mov_b32 s24, 0
	s_cmp_eq_u32 s33, 0
	s_mov_b32 s31, 0
	s_mov_b32 s34, -1
	s_waitcnt lgkmcnt(0)
	s_barrier
	buffer_gl0_inv
                                        ; implicit-def: $vgpr7
	s_cbranch_scc1 .LBB101_140
; %bb.129:                              ;   in Loop: Header=BB101_6 Depth=1
	s_add_i32 s31, s33, s71
                                        ; implicit-def: $vgpr7
	s_mul_hi_u32 s34, s31, s77
	s_mul_i32 s34, s34, s58
	s_sub_i32 s34, s31, s34
	s_sub_i32 s44, s34, s58
	s_cmp_ge_u32 s34, s58
	s_cselect_b32 s34, s44, s34
	s_sub_i32 s44, s34, s58
	s_cmp_ge_u32 s34, s58
	s_cselect_b32 s34, s44, s34
	s_mov_b32 s44, exec_lo
	s_sub_i32 s45, s31, s34
	s_mov_b32 s34, 0
	s_mov_b32 s31, 0
	v_cmpx_gt_u32_e64 s45, v0
	s_cbranch_execz .LBB101_139
; %bb.130:                              ;   in Loop: Header=BB101_6 Depth=1
	v_mov_b32_e32 v7, v20
	v_mov_b32_e32 v13, v0
                                        ; implicit-def: $sgpr46
	s_inst_prefetch 0x1
	s_branch .LBB101_134
	.p2align	6
.LBB101_131:                            ;   in Loop: Header=BB101_134 Depth=2
	s_or_b32 exec_lo, exec_lo, s50
	s_waitcnt lgkmcnt(0)
	s_barrier
	buffer_gl0_inv
	ds_read_b32 v14, v8 offset:3072
	s_waitcnt lgkmcnt(0)
	s_barrier
	buffer_gl0_inv
	v_cmp_neq_f16_e32 vcc_lo, 0, v14
	s_cbranch_vccnz .LBB101_137
; %bb.132:                              ;   in Loop: Header=BB101_134 Depth=2
	v_add_nc_u32_e32 v13, s58, v13
	v_add_nc_u32_e32 v7, s81, v7
	s_mov_b32 s50, 0
	v_cmp_le_u32_e32 vcc_lo, s45, v13
	s_orn2_b32 s51, vcc_lo, exec_lo
.LBB101_133:                            ;   in Loop: Header=BB101_134 Depth=2
	s_and_b32 s51, exec_lo, s51
	s_or_b32 s31, s51, s31
	s_andn2_b32 s46, s46, exec_lo
	s_and_b32 s50, s50, exec_lo
	s_or_b32 s46, s46, s50
	s_andn2_b32 exec_lo, exec_lo, s31
	s_cbranch_execz .LBB101_138
.LBB101_134:                            ;   Parent Loop BB101_6 Depth=1
                                        ; =>  This Inner Loop Header: Depth=2
	s_mov_b32 s50, exec_lo
	v_cmpx_gt_u32_e64 s33, v13
	s_cbranch_execz .LBB101_131
; %bb.135:                              ;   in Loop: Header=BB101_134 Depth=2
	ds_read_u16 v14, v7
	s_waitcnt lgkmcnt(0)
	v_cmp_lt_i16_e32 vcc_lo, -1, v14
	v_cndmask_b32_e32 v15, 0xffff, v35, vcc_lo
	v_cmp_o_f16_e32 vcc_lo, v14, v14
	v_xor_b32_sdwa v15, v15, v14 dst_sel:DWORD dst_unused:UNUSED_PAD src0_sel:DWORD src1_sel:WORD_0
	v_cndmask_b32_e32 v15, 0xffff, v15, vcc_lo
	v_and_b32_e32 v15, v15, v3
	v_cmp_eq_u32_e32 vcc_lo, v15, v2
	s_and_b32 exec_lo, exec_lo, vcc_lo
	s_cbranch_execz .LBB101_131
; %bb.136:                              ;   in Loop: Header=BB101_134 Depth=2
	v_perm_b32 v14, v14, s83, 0x5040100
	ds_write_b32 v8, v14 offset:3072
	s_branch .LBB101_131
.LBB101_137:                            ;   in Loop: Header=BB101_134 Depth=2
	s_mov_b32 s51, -1
	s_mov_b32 s50, -1
                                        ; implicit-def: $vgpr13
                                        ; implicit-def: $vgpr7
	s_branch .LBB101_133
.LBB101_138:                            ;   in Loop: Header=BB101_6 Depth=1
	s_inst_prefetch 0x2
	s_or_b32 exec_lo, exec_lo, s31
	v_lshrrev_b32_e32 v7, 16, v14
	s_and_b32 s31, s46, exec_lo
.LBB101_139:                            ;   in Loop: Header=BB101_6 Depth=1
	s_or_b32 exec_lo, exec_lo, s44
.LBB101_140:                            ;   in Loop: Header=BB101_6 Depth=1
	s_and_b32 vcc_lo, exec_lo, s34
	s_cbranch_vccz .LBB101_152
; %bb.141:                              ;   in Loop: Header=BB101_6 Depth=1
                                        ; implicit-def: $vgpr7
	s_and_saveexec_b32 s23, s13
	s_cbranch_execz .LBB101_151
; %bb.142:                              ;   in Loop: Header=BB101_6 Depth=1
	v_mov_b32_e32 v7, v9
	v_mov_b32_e32 v13, v0
	s_mov_b32 s24, 0
                                        ; implicit-def: $sgpr33
	s_branch .LBB101_146
.LBB101_143:                            ;   in Loop: Header=BB101_146 Depth=2
	s_or_b32 exec_lo, exec_lo, s34
	s_waitcnt lgkmcnt(0)
	s_barrier
	buffer_gl0_inv
	ds_read_b32 v14, v8 offset:3072
	s_waitcnt lgkmcnt(0)
	s_barrier
	buffer_gl0_inv
	v_cmp_eq_f16_e32 vcc_lo, 0, v14
	s_cbranch_vccz .LBB101_149
; %bb.144:                              ;   in Loop: Header=BB101_146 Depth=2
	v_add_nc_u32_e32 v13, s58, v13
	v_add_nc_u32_e32 v7, s59, v7
	s_mov_b32 s34, 0
	v_cmp_le_u32_e32 vcc_lo, s78, v13
	s_orn2_b32 s44, vcc_lo, exec_lo
.LBB101_145:                            ;   in Loop: Header=BB101_146 Depth=2
	s_and_b32 s44, exec_lo, s44
	s_or_b32 s24, s44, s24
	s_andn2_b32 s33, s33, exec_lo
	s_and_b32 s34, s34, exec_lo
	s_or_b32 s33, s33, s34
	s_andn2_b32 exec_lo, exec_lo, s24
	s_cbranch_execz .LBB101_150
.LBB101_146:                            ;   Parent Loop BB101_6 Depth=1
                                        ; =>  This Inner Loop Header: Depth=2
	s_mov_b32 s34, exec_lo
	v_cmpx_gt_u32_e64 s36, v13
	s_cbranch_execz .LBB101_143
; %bb.147:                              ;   in Loop: Header=BB101_146 Depth=2
	v_lshlrev_b64 v[14:15], 1, v[7:8]
	v_add_co_u32 v14, vcc_lo, s43, v14
	v_add_co_ci_u32_e64 v15, null, s47, v15, vcc_lo
	global_load_ushort v14, v[14:15], off
	s_waitcnt vmcnt(0)
	v_cmp_lt_i16_e32 vcc_lo, -1, v14
	v_cndmask_b32_e32 v15, 0xffff, v35, vcc_lo
	v_cmp_o_f16_e32 vcc_lo, v14, v14
	v_xor_b32_sdwa v15, v15, v14 dst_sel:DWORD dst_unused:UNUSED_PAD src0_sel:DWORD src1_sel:WORD_0
	v_cndmask_b32_e32 v15, 0xffff, v15, vcc_lo
	v_and_b32_e32 v15, v15, v3
	v_cmp_eq_u32_e32 vcc_lo, v15, v2
	s_and_b32 exec_lo, exec_lo, vcc_lo
	s_cbranch_execz .LBB101_143
; %bb.148:                              ;   in Loop: Header=BB101_146 Depth=2
	v_perm_b32 v14, v14, s83, 0x5040100
	ds_write_b32 v8, v14 offset:3072
	s_branch .LBB101_143
.LBB101_149:                            ;   in Loop: Header=BB101_146 Depth=2
	s_mov_b32 s44, -1
	s_mov_b32 s34, -1
                                        ; implicit-def: $vgpr13
	s_branch .LBB101_145
.LBB101_150:                            ;   in Loop: Header=BB101_6 Depth=1
	s_or_b32 exec_lo, exec_lo, s24
	v_lshrrev_b32_e32 v7, 16, v14
	s_andn2_b32 s24, s31, exec_lo
	s_and_b32 s31, s33, exec_lo
	s_or_b32 s31, s24, s31
.LBB101_151:                            ;   in Loop: Header=BB101_6 Depth=1
	s_or_b32 exec_lo, exec_lo, s23
	s_mov_b32 s23, 0
	s_mov_b32 s24, -1
.LBB101_152:                            ;   in Loop: Header=BB101_6 Depth=1
	s_orn2_b32 s31, s31, exec_lo
.LBB101_153:                            ;   in Loop: Header=BB101_6 Depth=1
	s_or_b32 exec_lo, exec_lo, s29
	s_mov_b32 s33, 0
	s_and_saveexec_b32 s29, s31
	s_cbranch_execz .LBB101_246
; %bb.154:                              ;   in Loop: Header=BB101_6 Depth=1
	v_mov_b32_e32 v13, 1
	v_mov_b32_e32 v1, 1
	s_xor_b32 s31, s30, -1
	s_mov_b32 s44, 0
	s_and_saveexec_b32 s30, s31
	s_cbranch_execz .LBB101_163
; %bb.155:                              ;   in Loop: Header=BB101_6 Depth=1
	s_mov_b32 s31, exec_lo
	v_cmpx_ge_u32_e64 s20, v4
	s_xor_b32 s31, exec_lo, s31
	s_cbranch_execz .LBB101_160
; %bb.156:                              ;   in Loop: Header=BB101_6 Depth=1
	ds_read_b32 v1, v8 offset:4096
	s_lshl_b32 s33, 1, s88
	v_or_b32_e32 v3, s18, v3
	v_and_or_b32 v2, v2, s19, s33
	s_waitcnt lgkmcnt(0)
	v_cmp_ne_u32_e32 vcc_lo, 0, v1
	s_cbranch_vccnz .LBB101_160
; %bb.157:                              ;   in Loop: Header=BB101_6 Depth=1
	s_and_saveexec_b32 s33, s3
; %bb.158:                              ;   in Loop: Header=BB101_6 Depth=1
	v_mov_b32_e32 v1, s20
	ds_write_b32 v8, v1 offset:4100
; %bb.159:                              ;   in Loop: Header=BB101_6 Depth=1
	s_or_b32 exec_lo, exec_lo, s33
	s_waitcnt lgkmcnt(0)
	s_barrier
	buffer_gl0_inv
.LBB101_160:                            ;   in Loop: Header=BB101_6 Depth=1
	s_or_saveexec_b32 s31, s31
	v_mov_b32_e32 v1, 8
	s_mov_b32 s33, 0
	s_xor_b32 exec_lo, exec_lo, s31
; %bb.161:                              ;   in Loop: Header=BB101_6 Depth=1
	v_subrev_nc_u32_e32 v4, s20, v4
	v_mov_b32_e32 v1, 0
	s_mov_b32 s33, exec_lo
; %bb.162:                              ;   in Loop: Header=BB101_6 Depth=1
	s_or_b32 exec_lo, exec_lo, s31
	v_mov_b32_e32 v13, v4
	s_and_b32 s44, s33, exec_lo
.LBB101_163:                            ;   in Loop: Header=BB101_6 Depth=1
	s_or_b32 exec_lo, exec_lo, s30
	s_mov_b32 s34, -1
                                        ; implicit-def: $sgpr31
                                        ; implicit-def: $sgpr33
	s_and_saveexec_b32 s30, s44
	s_cbranch_execz .LBB101_245
; %bb.164:                              ;   in Loop: Header=BB101_6 Depth=1
	v_cmp_eq_u32_e32 vcc_lo, 1, v13
	s_cmp_eq_u32 s21, 1
	s_mov_b32 s44, -1
	s_cselect_b32 s31, -1, 0
                                        ; implicit-def: $sgpr33
	s_and_b32 s95, s31, vcc_lo
                                        ; implicit-def: $sgpr31
	s_and_saveexec_b32 s34, s95
	s_cbranch_execz .LBB101_192
; %bb.165:                              ;   in Loop: Header=BB101_6 Depth=1
	ds_read_b32 v4, v8 offset:4096
	s_waitcnt lgkmcnt(0)
	s_barrier
	buffer_gl0_inv
	v_readfirstlane_b32 s45, v4
	s_and_saveexec_b32 s31, s15
; %bb.166:                              ;   in Loop: Header=BB101_6 Depth=1
	ds_write_b16 v21, v8
; %bb.167:                              ;   in Loop: Header=BB101_6 Depth=1
	s_or_b32 exec_lo, exec_lo, s31
	s_lshl_b32 s31, 2, s88
	v_or_b32_e32 v3, s18, v3
	v_and_or_b32 v2, v2, s19, s31
	s_mov_b32 s31, -1
	s_mov_b32 s33, 0
	s_cmp_eq_u32 s45, 0
	s_mov_b32 s44, 0
	s_mov_b32 s46, -1
	s_waitcnt lgkmcnt(0)
	s_barrier
	buffer_gl0_inv
                                        ; implicit-def: $vgpr7
	s_cbranch_scc1 .LBB101_179
; %bb.168:                              ;   in Loop: Header=BB101_6 Depth=1
	s_add_i32 s44, s45, s71
	s_mov_b32 s96, exec_lo
	s_mul_hi_u32 s46, s44, s77
                                        ; implicit-def: $vgpr7
	s_mul_i32 s46, s46, s58
	s_sub_i32 s46, s44, s46
	s_sub_i32 s50, s46, s58
	s_cmp_ge_u32 s46, s58
	s_cselect_b32 s46, s50, s46
	s_sub_i32 s50, s46, s58
	s_cmp_ge_u32 s46, s58
	s_cselect_b32 s46, s50, s46
	s_sub_i32 s97, s44, s46
	s_mov_b32 s46, 0
	s_mov_b32 s44, 0
	v_cmpx_gt_u32_e64 s97, v0
	s_cbranch_execz .LBB101_178
; %bb.169:                              ;   in Loop: Header=BB101_6 Depth=1
	v_mov_b32_e32 v4, v20
	v_mov_b32_e32 v7, v0
                                        ; implicit-def: $sgpr98
	s_inst_prefetch 0x1
	s_branch .LBB101_173
	.p2align	6
.LBB101_170:                            ;   in Loop: Header=BB101_173 Depth=2
	s_or_b32 exec_lo, exec_lo, s50
	s_waitcnt lgkmcnt(0)
	s_barrier
	buffer_gl0_inv
	ds_read_b32 v14, v8 offset:3072
	s_waitcnt lgkmcnt(0)
	s_barrier
	buffer_gl0_inv
	v_cmp_neq_f16_e32 vcc_lo, 0, v14
	s_cbranch_vccnz .LBB101_176
; %bb.171:                              ;   in Loop: Header=BB101_173 Depth=2
	v_add_nc_u32_e32 v7, s58, v7
	v_add_nc_u32_e32 v4, s81, v4
	s_mov_b32 s50, 0
	v_cmp_le_u32_e32 vcc_lo, s97, v7
	s_orn2_b32 s51, vcc_lo, exec_lo
.LBB101_172:                            ;   in Loop: Header=BB101_173 Depth=2
	s_and_b32 s51, exec_lo, s51
	s_or_b32 s44, s51, s44
	s_andn2_b32 s51, s98, exec_lo
	s_and_b32 s50, s50, exec_lo
	s_or_b32 s98, s51, s50
	s_andn2_b32 exec_lo, exec_lo, s44
	s_cbranch_execz .LBB101_177
.LBB101_173:                            ;   Parent Loop BB101_6 Depth=1
                                        ; =>  This Inner Loop Header: Depth=2
	s_mov_b32 s50, exec_lo
	v_cmpx_gt_u32_e64 s45, v7
	s_cbranch_execz .LBB101_170
; %bb.174:                              ;   in Loop: Header=BB101_173 Depth=2
	ds_read_u16 v14, v4
	s_waitcnt lgkmcnt(0)
	v_cmp_lt_i16_e32 vcc_lo, -1, v14
	v_cndmask_b32_e32 v15, 0xffff, v35, vcc_lo
	v_cmp_o_f16_e32 vcc_lo, v14, v14
	v_xor_b32_sdwa v15, v15, v14 dst_sel:DWORD dst_unused:UNUSED_PAD src0_sel:DWORD src1_sel:WORD_0
	v_cndmask_b32_e32 v15, 0xffff, v15, vcc_lo
	v_and_b32_e32 v15, v15, v3
	v_cmp_eq_u32_e32 vcc_lo, v15, v2
	s_and_b32 exec_lo, exec_lo, vcc_lo
	s_cbranch_execz .LBB101_170
; %bb.175:                              ;   in Loop: Header=BB101_173 Depth=2
	v_perm_b32 v14, v14, s83, 0x5040100
	ds_write_b32 v8, v14 offset:3072
	s_branch .LBB101_170
.LBB101_176:                            ;   in Loop: Header=BB101_173 Depth=2
	s_mov_b32 s51, -1
	s_mov_b32 s50, -1
                                        ; implicit-def: $vgpr7
                                        ; implicit-def: $vgpr4
	s_branch .LBB101_172
.LBB101_177:                            ;   in Loop: Header=BB101_6 Depth=1
	s_inst_prefetch 0x2
	s_or_b32 exec_lo, exec_lo, s44
	v_lshrrev_b32_e32 v7, 16, v14
	s_and_b32 s44, s98, exec_lo
.LBB101_178:                            ;   in Loop: Header=BB101_6 Depth=1
	s_or_b32 exec_lo, exec_lo, s96
.LBB101_179:                            ;   in Loop: Header=BB101_6 Depth=1
	s_and_b32 vcc_lo, exec_lo, s46
	s_cbranch_vccz .LBB101_191
; %bb.180:                              ;   in Loop: Header=BB101_6 Depth=1
                                        ; implicit-def: $vgpr7
	s_and_saveexec_b32 s31, s13
	s_cbranch_execz .LBB101_190
; %bb.181:                              ;   in Loop: Header=BB101_6 Depth=1
	v_mov_b32_e32 v7, v9
	v_mov_b32_e32 v4, v0
	s_mov_b32 s33, 0
                                        ; implicit-def: $sgpr45
	s_branch .LBB101_185
.LBB101_182:                            ;   in Loop: Header=BB101_185 Depth=2
	s_or_b32 exec_lo, exec_lo, s46
	s_waitcnt lgkmcnt(0)
	s_barrier
	buffer_gl0_inv
	ds_read_b32 v14, v8 offset:3072
	s_waitcnt lgkmcnt(0)
	s_barrier
	buffer_gl0_inv
	v_cmp_eq_f16_e32 vcc_lo, 0, v14
	s_cbranch_vccz .LBB101_188
; %bb.183:                              ;   in Loop: Header=BB101_185 Depth=2
	v_add_nc_u32_e32 v4, s58, v4
	v_add_nc_u32_e32 v7, s59, v7
	s_mov_b32 s46, 0
	v_cmp_le_u32_e32 vcc_lo, s78, v4
	s_orn2_b32 s50, vcc_lo, exec_lo
.LBB101_184:                            ;   in Loop: Header=BB101_185 Depth=2
	s_and_b32 s50, exec_lo, s50
	s_or_b32 s33, s50, s33
	s_andn2_b32 s45, s45, exec_lo
	s_and_b32 s46, s46, exec_lo
	s_or_b32 s45, s45, s46
	s_andn2_b32 exec_lo, exec_lo, s33
	s_cbranch_execz .LBB101_189
.LBB101_185:                            ;   Parent Loop BB101_6 Depth=1
                                        ; =>  This Inner Loop Header: Depth=2
	s_mov_b32 s46, exec_lo
	v_cmpx_gt_u32_e64 s36, v4
	s_cbranch_execz .LBB101_182
; %bb.186:                              ;   in Loop: Header=BB101_185 Depth=2
	v_lshlrev_b64 v[14:15], 1, v[7:8]
	v_add_co_u32 v14, vcc_lo, s43, v14
	v_add_co_ci_u32_e64 v15, null, s47, v15, vcc_lo
	global_load_ushort v14, v[14:15], off
	s_waitcnt vmcnt(0)
	v_cmp_lt_i16_e32 vcc_lo, -1, v14
	v_cndmask_b32_e32 v15, 0xffff, v35, vcc_lo
	v_cmp_o_f16_e32 vcc_lo, v14, v14
	v_xor_b32_sdwa v15, v15, v14 dst_sel:DWORD dst_unused:UNUSED_PAD src0_sel:DWORD src1_sel:WORD_0
	v_cndmask_b32_e32 v15, 0xffff, v15, vcc_lo
	v_and_b32_e32 v15, v15, v3
	v_cmp_eq_u32_e32 vcc_lo, v15, v2
	s_and_b32 exec_lo, exec_lo, vcc_lo
	s_cbranch_execz .LBB101_182
; %bb.187:                              ;   in Loop: Header=BB101_185 Depth=2
	v_perm_b32 v14, v14, s83, 0x5040100
	ds_write_b32 v8, v14 offset:3072
	s_branch .LBB101_182
.LBB101_188:                            ;   in Loop: Header=BB101_185 Depth=2
	s_mov_b32 s50, -1
	s_mov_b32 s46, -1
                                        ; implicit-def: $vgpr4
	s_branch .LBB101_184
.LBB101_189:                            ;   in Loop: Header=BB101_6 Depth=1
	s_or_b32 exec_lo, exec_lo, s33
	v_lshrrev_b32_e32 v7, 16, v14
	s_andn2_b32 s33, s44, exec_lo
	s_and_b32 s44, s45, exec_lo
	s_or_b32 s44, s33, s44
.LBB101_190:                            ;   in Loop: Header=BB101_6 Depth=1
	s_or_b32 exec_lo, exec_lo, s31
	s_mov_b32 s31, 0
	s_mov_b32 s33, -1
.LBB101_191:                            ;   in Loop: Header=BB101_6 Depth=1
	s_orn2_b32 s44, s44, exec_lo
.LBB101_192:                            ;   in Loop: Header=BB101_6 Depth=1
	s_or_b32 exec_lo, exec_lo, s34
	s_mov_b32 s45, 0
	s_and_saveexec_b32 s34, s44
	s_cbranch_execz .LBB101_244
; %bb.193:                              ;   in Loop: Header=BB101_6 Depth=1
	v_mov_b32_e32 v4, 1
	v_mov_b32_e32 v1, 1
	s_xor_b32 s46, s95, -1
	s_and_saveexec_b32 s44, s46
	s_cbranch_execz .LBB101_202
; %bb.194:                              ;   in Loop: Header=BB101_6 Depth=1
	s_mov_b32 s45, exec_lo
	v_cmpx_ge_u32_e64 s21, v13
	s_xor_b32 s45, exec_lo, s45
	s_cbranch_execz .LBB101_199
; %bb.195:                              ;   in Loop: Header=BB101_6 Depth=1
	ds_read_b32 v1, v8 offset:4096
	s_lshl_b32 s46, 2, s88
	v_or_b32_e32 v3, s18, v3
	v_and_or_b32 v2, v2, s19, s46
	s_waitcnt lgkmcnt(0)
	v_cmp_ne_u32_e32 vcc_lo, 0, v1
	s_cbranch_vccnz .LBB101_199
; %bb.196:                              ;   in Loop: Header=BB101_6 Depth=1
	s_and_saveexec_b32 s46, s3
; %bb.197:                              ;   in Loop: Header=BB101_6 Depth=1
	v_mov_b32_e32 v1, s21
	ds_write_b32 v8, v1 offset:4100
; %bb.198:                              ;   in Loop: Header=BB101_6 Depth=1
	s_or_b32 exec_lo, exec_lo, s46
	s_waitcnt lgkmcnt(0)
	s_barrier
	buffer_gl0_inv
.LBB101_199:                            ;   in Loop: Header=BB101_6 Depth=1
	s_or_saveexec_b32 s45, s45
	v_mov_b32_e32 v1, 8
	s_mov_b32 s46, 0
	s_xor_b32 exec_lo, exec_lo, s45
; %bb.200:                              ;   in Loop: Header=BB101_6 Depth=1
	v_subrev_nc_u32_e32 v13, s21, v13
	v_mov_b32_e32 v1, 0
	s_mov_b32 s46, exec_lo
; %bb.201:                              ;   in Loop: Header=BB101_6 Depth=1
	s_or_b32 exec_lo, exec_lo, s45
	v_mov_b32_e32 v4, v13
	s_and_b32 s45, s46, exec_lo
.LBB101_202:                            ;   in Loop: Header=BB101_6 Depth=1
	s_or_b32 exec_lo, exec_lo, s44
	s_mov_b32 s44, -1
                                        ; implicit-def: $sgpr98
                                        ; implicit-def: $sgpr97
	s_and_saveexec_b32 s95, s45
	s_cbranch_execz .LBB101_243
; %bb.203:                              ;   in Loop: Header=BB101_6 Depth=1
	v_cmp_eq_u32_e32 vcc_lo, 1, v4
	s_cmp_eq_u32 s22, 1
	s_mov_b32 s45, -1
	s_cselect_b32 s44, -1, 0
                                        ; implicit-def: $sgpr98
                                        ; implicit-def: $sgpr97
	s_and_b32 s96, s44, vcc_lo
	s_and_saveexec_b32 s99, s96
	s_cbranch_execz .LBB101_231
; %bb.204:                              ;   in Loop: Header=BB101_6 Depth=1
	ds_read_b32 v7, v8 offset:4096
	s_waitcnt lgkmcnt(0)
	s_barrier
	buffer_gl0_inv
	v_readfirstlane_b32 s45, v7
	s_and_saveexec_b32 s44, s15
; %bb.205:                              ;   in Loop: Header=BB101_6 Depth=1
	ds_write_b16 v21, v8
; %bb.206:                              ;   in Loop: Header=BB101_6 Depth=1
	s_or_b32 exec_lo, exec_lo, s44
	v_or_b32_e32 v2, s18, v2
	v_or_b32_e32 v3, s18, v3
	s_mov_b32 s97, -1
	s_mov_b32 s98, 0
	s_cmp_eq_u32 s45, 0
	s_mov_b32 s44, 0
	s_mov_b32 s46, -1
	s_waitcnt lgkmcnt(0)
	s_barrier
	buffer_gl0_inv
                                        ; implicit-def: $vgpr7
	s_cbranch_scc1 .LBB101_218
; %bb.207:                              ;   in Loop: Header=BB101_6 Depth=1
	s_add_i32 s44, s45, s71
	s_mov_b32 s104, exec_lo
	s_mul_hi_u32 s46, s44, s77
                                        ; implicit-def: $vgpr7
	s_mul_i32 s46, s46, s58
	s_sub_i32 s46, s44, s46
	s_sub_i32 s50, s46, s58
	s_cmp_ge_u32 s46, s58
	s_cselect_b32 s46, s50, s46
	s_sub_i32 s50, s46, s58
	s_cmp_ge_u32 s46, s58
	s_cselect_b32 s46, s50, s46
	s_sub_i32 vcc_hi, s44, s46
	s_mov_b32 s46, 0
	s_mov_b32 s44, 0
	v_cmpx_gt_u32_e64 vcc_hi, v0
	s_cbranch_execz .LBB101_217
; %bb.208:                              ;   in Loop: Header=BB101_6 Depth=1
	v_mov_b32_e32 v7, v20
	v_mov_b32_e32 v13, v0
                                        ; implicit-def: $sgpr50
	s_inst_prefetch 0x1
	s_branch .LBB101_212
	.p2align	6
.LBB101_209:                            ;   in Loop: Header=BB101_212 Depth=2
	s_or_b32 exec_lo, exec_lo, s51
	s_waitcnt lgkmcnt(0)
	s_barrier
	buffer_gl0_inv
	ds_read_b32 v14, v8 offset:3072
	s_waitcnt lgkmcnt(0)
	s_barrier
	buffer_gl0_inv
	v_cmp_neq_f16_e32 vcc_lo, 0, v14
	s_cbranch_vccnz .LBB101_215
; %bb.210:                              ;   in Loop: Header=BB101_212 Depth=2
	v_add_nc_u32_e32 v13, s58, v13
	v_add_nc_u32_e32 v7, s81, v7
	s_mov_b32 s51, 0
	v_cmp_le_u32_e32 vcc_lo, vcc_hi, v13
	s_orn2_b32 vcc_lo, vcc_lo, exec_lo
.LBB101_211:                            ;   in Loop: Header=BB101_212 Depth=2
	s_and_b32 vcc_lo, exec_lo, vcc_lo
	s_or_b32 s44, vcc_lo, s44
	s_andn2_b32 s50, s50, exec_lo
	s_and_b32 s51, s51, exec_lo
	s_or_b32 s50, s50, s51
	s_andn2_b32 exec_lo, exec_lo, s44
	s_cbranch_execz .LBB101_216
.LBB101_212:                            ;   Parent Loop BB101_6 Depth=1
                                        ; =>  This Inner Loop Header: Depth=2
	s_mov_b32 s51, exec_lo
	v_cmpx_gt_u32_e64 s45, v13
	s_cbranch_execz .LBB101_209
; %bb.213:                              ;   in Loop: Header=BB101_212 Depth=2
	ds_read_u16 v14, v7
	s_waitcnt lgkmcnt(0)
	v_cmp_lt_i16_e32 vcc_lo, -1, v14
	v_cndmask_b32_e32 v15, 0xffff, v35, vcc_lo
	v_cmp_o_f16_e32 vcc_lo, v14, v14
	v_xor_b32_sdwa v15, v15, v14 dst_sel:DWORD dst_unused:UNUSED_PAD src0_sel:DWORD src1_sel:WORD_0
	v_cndmask_b32_e32 v15, 0xffff, v15, vcc_lo
	v_and_b32_e32 v15, v15, v3
	v_cmp_eq_u32_e32 vcc_lo, v15, v2
	s_and_b32 exec_lo, exec_lo, vcc_lo
	s_cbranch_execz .LBB101_209
; %bb.214:                              ;   in Loop: Header=BB101_212 Depth=2
	v_perm_b32 v14, v14, s83, 0x5040100
	ds_write_b32 v8, v14 offset:3072
	s_branch .LBB101_209
.LBB101_215:                            ;   in Loop: Header=BB101_212 Depth=2
	s_mov_b32 vcc_lo, -1
	s_mov_b32 s51, -1
                                        ; implicit-def: $vgpr13
                                        ; implicit-def: $vgpr7
	s_branch .LBB101_211
.LBB101_216:                            ;   in Loop: Header=BB101_6 Depth=1
	s_inst_prefetch 0x2
	s_or_b32 exec_lo, exec_lo, s44
	v_lshrrev_b32_e32 v7, 16, v14
	s_and_b32 s44, s50, exec_lo
.LBB101_217:                            ;   in Loop: Header=BB101_6 Depth=1
	s_or_b32 exec_lo, exec_lo, s104
.LBB101_218:                            ;   in Loop: Header=BB101_6 Depth=1
	s_and_b32 vcc_lo, exec_lo, s46
	s_cbranch_vccz .LBB101_230
; %bb.219:                              ;   in Loop: Header=BB101_6 Depth=1
                                        ; implicit-def: $vgpr7
	s_and_saveexec_b32 s45, s13
	s_cbranch_execz .LBB101_229
; %bb.220:                              ;   in Loop: Header=BB101_6 Depth=1
	v_mov_b32_e32 v7, v9
	v_mov_b32_e32 v13, v0
	s_mov_b32 s46, 0
                                        ; implicit-def: $sgpr97
	s_branch .LBB101_224
.LBB101_221:                            ;   in Loop: Header=BB101_224 Depth=2
	s_or_b32 exec_lo, exec_lo, s50
	s_waitcnt lgkmcnt(0)
	s_barrier
	buffer_gl0_inv
	ds_read_b32 v14, v8 offset:3072
	s_waitcnt lgkmcnt(0)
	s_barrier
	buffer_gl0_inv
	v_cmp_eq_f16_e32 vcc_lo, 0, v14
	s_cbranch_vccz .LBB101_227
; %bb.222:                              ;   in Loop: Header=BB101_224 Depth=2
	v_add_nc_u32_e32 v13, s58, v13
	v_add_nc_u32_e32 v7, s59, v7
	s_mov_b32 s50, 0
	v_cmp_le_u32_e32 vcc_lo, s78, v13
	s_orn2_b32 s51, vcc_lo, exec_lo
.LBB101_223:                            ;   in Loop: Header=BB101_224 Depth=2
	s_and_b32 s51, exec_lo, s51
	s_or_b32 s46, s51, s46
	s_andn2_b32 s51, s97, exec_lo
	s_and_b32 s50, s50, exec_lo
	s_or_b32 s97, s51, s50
	s_andn2_b32 exec_lo, exec_lo, s46
	s_cbranch_execz .LBB101_228
.LBB101_224:                            ;   Parent Loop BB101_6 Depth=1
                                        ; =>  This Inner Loop Header: Depth=2
	s_mov_b32 s50, exec_lo
	v_cmpx_gt_u32_e64 s36, v13
	s_cbranch_execz .LBB101_221
; %bb.225:                              ;   in Loop: Header=BB101_224 Depth=2
	v_lshlrev_b64 v[14:15], 1, v[7:8]
	v_add_co_u32 v14, vcc_lo, s43, v14
	v_add_co_ci_u32_e64 v15, null, s47, v15, vcc_lo
	global_load_ushort v14, v[14:15], off
	s_waitcnt vmcnt(0)
	v_cmp_lt_i16_e32 vcc_lo, -1, v14
	v_cndmask_b32_e32 v15, 0xffff, v35, vcc_lo
	v_cmp_o_f16_e32 vcc_lo, v14, v14
	v_xor_b32_sdwa v15, v15, v14 dst_sel:DWORD dst_unused:UNUSED_PAD src0_sel:DWORD src1_sel:WORD_0
	v_cndmask_b32_e32 v15, 0xffff, v15, vcc_lo
	v_and_b32_e32 v15, v15, v3
	v_cmp_eq_u32_e32 vcc_lo, v15, v2
	s_and_b32 exec_lo, exec_lo, vcc_lo
	s_cbranch_execz .LBB101_221
; %bb.226:                              ;   in Loop: Header=BB101_224 Depth=2
	v_perm_b32 v14, v14, s83, 0x5040100
	ds_write_b32 v8, v14 offset:3072
	s_branch .LBB101_221
.LBB101_227:                            ;   in Loop: Header=BB101_224 Depth=2
	s_mov_b32 s51, -1
	s_mov_b32 s50, -1
                                        ; implicit-def: $vgpr13
	s_branch .LBB101_223
.LBB101_228:                            ;   in Loop: Header=BB101_6 Depth=1
	s_or_b32 exec_lo, exec_lo, s46
	v_lshrrev_b32_e32 v7, 16, v14
	s_andn2_b32 s44, s44, exec_lo
	s_and_b32 s46, s97, exec_lo
	s_or_b32 s44, s44, s46
.LBB101_229:                            ;   in Loop: Header=BB101_6 Depth=1
	s_or_b32 exec_lo, exec_lo, s45
	s_mov_b32 s97, 0
	s_mov_b32 s98, -1
.LBB101_230:                            ;   in Loop: Header=BB101_6 Depth=1
	s_orn2_b32 s45, s44, exec_lo
.LBB101_231:                            ;   in Loop: Header=BB101_6 Depth=1
	s_or_b32 exec_lo, exec_lo, s99
	s_mov_b32 s46, 0
	s_and_saveexec_b32 s44, s45
	s_cbranch_execz .LBB101_242
; %bb.232:                              ;   in Loop: Header=BB101_6 Depth=1
	v_mov_b32_e32 v1, 1
	v_mov_b32_e32 v13, 1
	s_xor_b32 s46, s96, -1
	s_and_saveexec_b32 s45, s46
	s_cbranch_execz .LBB101_241
; %bb.233:                              ;   in Loop: Header=BB101_6 Depth=1
	s_mov_b32 s46, exec_lo
	v_cmpx_ge_u32_e64 s22, v4
	s_xor_b32 s46, exec_lo, s46
	s_cbranch_execz .LBB101_238
; %bb.234:                              ;   in Loop: Header=BB101_6 Depth=1
	ds_read_b32 v1, v8 offset:4096
	v_or_b32_e32 v2, s18, v2
	v_or_b32_e32 v3, s18, v3
	s_waitcnt lgkmcnt(0)
	v_cmp_ne_u32_e32 vcc_lo, 0, v1
	s_cbranch_vccnz .LBB101_238
; %bb.235:                              ;   in Loop: Header=BB101_6 Depth=1
	s_and_saveexec_b32 s50, s3
; %bb.236:                              ;   in Loop: Header=BB101_6 Depth=1
	v_mov_b32_e32 v1, s22
	ds_write_b32 v8, v1 offset:4100
; %bb.237:                              ;   in Loop: Header=BB101_6 Depth=1
	s_or_b32 exec_lo, exec_lo, s50
	s_waitcnt lgkmcnt(0)
	s_barrier
	buffer_gl0_inv
.LBB101_238:                            ;   in Loop: Header=BB101_6 Depth=1
	s_andn2_saveexec_b32 s46, s46
; %bb.239:                              ;   in Loop: Header=BB101_6 Depth=1
	v_subrev_nc_u32_e32 v4, s22, v4
; %bb.240:                              ;   in Loop: Header=BB101_6 Depth=1
	s_or_b32 exec_lo, exec_lo, s46
	v_mov_b32_e32 v1, 8
	v_mov_b32_e32 v13, v4
.LBB101_241:                            ;   in Loop: Header=BB101_6 Depth=1
	s_or_b32 exec_lo, exec_lo, s45
	v_mov_b32_e32 v4, v13
	s_mov_b32 s46, exec_lo
.LBB101_242:                            ;   in Loop: Header=BB101_6 Depth=1
	s_or_b32 exec_lo, exec_lo, s44
	s_orn2_b32 s44, s46, exec_lo
.LBB101_243:                            ;   in Loop: Header=BB101_6 Depth=1
	s_or_b32 exec_lo, exec_lo, s95
	v_mov_b32_e32 v13, v4
	s_andn2_b32 s33, s33, exec_lo
	s_and_b32 s45, s98, exec_lo
	s_andn2_b32 s31, s31, exec_lo
	s_and_b32 s46, s97, exec_lo
	s_or_b32 s33, s33, s45
	s_or_b32 s31, s31, s46
	s_and_b32 s45, s44, exec_lo
.LBB101_244:                            ;   in Loop: Header=BB101_6 Depth=1
	s_or_b32 exec_lo, exec_lo, s34
	s_orn2_b32 s34, s45, exec_lo
.LBB101_245:                            ;   in Loop: Header=BB101_6 Depth=1
	s_or_b32 exec_lo, exec_lo, s30
	v_mov_b32_e32 v4, v13
	s_andn2_b32 s24, s24, exec_lo
	s_and_b32 s30, s33, exec_lo
	s_andn2_b32 s23, s23, exec_lo
	s_and_b32 s31, s31, exec_lo
	s_or_b32 s24, s24, s30
	s_or_b32 s23, s23, s31
	s_and_b32 s33, s34, exec_lo
.LBB101_246:                            ;   in Loop: Header=BB101_6 Depth=1
	s_or_b32 exec_lo, exec_lo, s29
	s_orn2_b32 s29, s33, exec_lo
.LBB101_247:                            ;   in Loop: Header=BB101_6 Depth=1
	s_or_b32 exec_lo, exec_lo, s6
	s_mov_b32 s6, 0
	s_mov_b32 s30, 0
	s_and_saveexec_b32 s31, s29
	s_xor_b32 s29, exec_lo, s31
; %bb.248:                              ;   in Loop: Header=BB101_6 Depth=1
	v_cmp_ne_u32_e32 vcc_lo, 8, v1
	v_cmp_eq_u32_e64 s6, 8, v1
	s_and_b32 s30, vcc_lo, exec_lo
	s_and_b32 s6, s6, exec_lo
; %bb.249:                              ;   in Loop: Header=BB101_6 Depth=1
	s_or_b32 exec_lo, exec_lo, s29
	s_andn2_b32 s26, s26, exec_lo
	s_and_b32 s24, s24, exec_lo
	s_andn2_b32 s25, s25, exec_lo
	s_and_b32 s23, s23, exec_lo
	s_or_b32 s26, s26, s24
	s_or_b32 s25, s25, s23
	s_and_b32 s23, s30, exec_lo
	s_and_b32 s24, s6, exec_lo
.LBB101_250:                            ;   in Loop: Header=BB101_6 Depth=1
	s_or_b32 exec_lo, exec_lo, s28
.LBB101_251:                            ;   in Loop: Header=BB101_6 Depth=1
	s_and_b32 vcc_lo, exec_lo, s27
	s_cbranch_vccz .LBB101_265
; %bb.252:                              ;   in Loop: Header=BB101_6 Depth=1
	s_cmp_eq_u32 s22, 1
	s_mov_b32 s26, -1
	s_cselect_b32 s6, -1, 0
                                        ; implicit-def: $sgpr16
	s_and_b32 s6, s6, s14
                                        ; implicit-def: $sgpr14
	s_and_saveexec_b32 s25, s6
	s_cbranch_execz .LBB101_281
; %bb.253:                              ;   in Loop: Header=BB101_6 Depth=1
	ds_read_b32 v1, v8 offset:4096
	s_waitcnt lgkmcnt(0)
	s_barrier
	buffer_gl0_inv
	v_readfirstlane_b32 s27, v1
	s_and_saveexec_b32 s14, s15
; %bb.254:                              ;   in Loop: Header=BB101_6 Depth=1
	ds_write_b16 v21, v8
; %bb.255:                              ;   in Loop: Header=BB101_6 Depth=1
	s_or_b32 exec_lo, exec_lo, s14
	v_or_b32_e32 v27, s18, v27
	v_or_b32_e32 v37, s18, v37
	s_mov_b32 s16, -1
	s_mov_b32 s14, 0
	s_cmp_eq_u32 s27, 0
	s_mov_b32 s26, 0
	s_mov_b32 s28, -1
	s_waitcnt lgkmcnt(0)
	s_barrier
	buffer_gl0_inv
                                        ; implicit-def: $vgpr38
	s_cbranch_scc1 .LBB101_268
; %bb.256:                              ;   in Loop: Header=BB101_6 Depth=1
	s_add_i32 s26, s27, s71
                                        ; implicit-def: $vgpr38
	s_mul_hi_u32 s28, s26, s77
	s_mul_i32 s28, s28, s58
	s_sub_i32 s28, s26, s28
	s_sub_i32 s29, s28, s58
	s_cmp_ge_u32 s28, s58
	s_cselect_b32 s28, s29, s28
	s_sub_i32 s29, s28, s58
	s_cmp_ge_u32 s28, s58
	s_cselect_b32 s28, s29, s28
	s_mov_b32 s29, exec_lo
	s_sub_i32 s30, s26, s28
	s_mov_b32 s28, 0
	s_mov_b32 s26, 0
	v_cmpx_gt_u32_e64 s30, v0
	s_cbranch_execz .LBB101_267
; %bb.257:                              ;   in Loop: Header=BB101_6 Depth=1
	v_mov_b32_e32 v1, v20
	v_mov_b32_e32 v2, v0
                                        ; implicit-def: $sgpr31
	s_inst_prefetch 0x1
	s_branch .LBB101_261
	.p2align	6
.LBB101_258:                            ;   in Loop: Header=BB101_261 Depth=2
	s_or_b32 exec_lo, exec_lo, s33
	s_waitcnt lgkmcnt(0)
	s_barrier
	buffer_gl0_inv
	ds_read_b32 v3, v8 offset:3072
	s_waitcnt lgkmcnt(0)
	s_barrier
	buffer_gl0_inv
	v_cmp_neq_f16_e32 vcc_lo, 0, v3
	s_cbranch_vccnz .LBB101_264
; %bb.259:                              ;   in Loop: Header=BB101_261 Depth=2
	v_add_nc_u32_e32 v2, s58, v2
	v_add_nc_u32_e32 v1, s81, v1
	s_mov_b32 s33, 0
	v_cmp_le_u32_e32 vcc_lo, s30, v2
	s_orn2_b32 s34, vcc_lo, exec_lo
.LBB101_260:                            ;   in Loop: Header=BB101_261 Depth=2
	s_and_b32 s34, exec_lo, s34
	s_or_b32 s26, s34, s26
	s_andn2_b32 s31, s31, exec_lo
	s_and_b32 s33, s33, exec_lo
	s_or_b32 s31, s31, s33
	s_andn2_b32 exec_lo, exec_lo, s26
	s_cbranch_execz .LBB101_266
.LBB101_261:                            ;   Parent Loop BB101_6 Depth=1
                                        ; =>  This Inner Loop Header: Depth=2
	s_mov_b32 s33, exec_lo
	v_cmpx_gt_u32_e64 s27, v2
	s_cbranch_execz .LBB101_258
; %bb.262:                              ;   in Loop: Header=BB101_261 Depth=2
	ds_read_u16 v3, v1
	s_waitcnt lgkmcnt(0)
	v_cmp_lt_i16_e32 vcc_lo, -1, v3
	v_cndmask_b32_e32 v4, 0xffff, v35, vcc_lo
	v_cmp_o_f16_e32 vcc_lo, v3, v3
	v_xor_b32_sdwa v4, v4, v3 dst_sel:DWORD dst_unused:UNUSED_PAD src0_sel:DWORD src1_sel:WORD_0
	v_cndmask_b32_e32 v4, 0xffff, v4, vcc_lo
	v_and_b32_e32 v4, v4, v37
	v_cmp_eq_u32_e32 vcc_lo, v4, v27
	s_and_b32 exec_lo, exec_lo, vcc_lo
	s_cbranch_execz .LBB101_258
; %bb.263:                              ;   in Loop: Header=BB101_261 Depth=2
	v_perm_b32 v3, v3, s83, 0x5040100
	ds_write_b32 v8, v3 offset:3072
	s_branch .LBB101_258
.LBB101_264:                            ;   in Loop: Header=BB101_261 Depth=2
	s_mov_b32 s34, -1
	s_mov_b32 s33, -1
                                        ; implicit-def: $vgpr2
                                        ; implicit-def: $vgpr1
	s_branch .LBB101_260
.LBB101_265:                            ;   in Loop: Header=BB101_6 Depth=1
	v_mov_b32_e32 v27, v2
	v_mov_b32_e32 v37, v3
	;; [unrolled: 1-line block ×3, first 2 shown]
	s_mov_b32 s14, 0
	s_and_saveexec_b32 s6, s24
	s_cbranch_execnz .LBB101_418
	s_branch .LBB101_419
.LBB101_266:                            ;   in Loop: Header=BB101_6 Depth=1
	s_inst_prefetch 0x2
	s_or_b32 exec_lo, exec_lo, s26
	v_lshrrev_b32_e32 v38, 16, v3
	s_and_b32 s26, s31, exec_lo
.LBB101_267:                            ;   in Loop: Header=BB101_6 Depth=1
	s_or_b32 exec_lo, exec_lo, s29
.LBB101_268:                            ;   in Loop: Header=BB101_6 Depth=1
	s_and_b32 vcc_lo, exec_lo, s28
	s_cbranch_vccz .LBB101_280
; %bb.269:                              ;   in Loop: Header=BB101_6 Depth=1
                                        ; implicit-def: $vgpr38
	s_and_saveexec_b32 s14, s13
	s_cbranch_execz .LBB101_279
; %bb.270:                              ;   in Loop: Header=BB101_6 Depth=1
	v_mov_b32_e32 v7, v9
	v_mov_b32_e32 v1, v0
	s_mov_b32 s16, 0
                                        ; implicit-def: $sgpr27
	s_branch .LBB101_274
.LBB101_271:                            ;   in Loop: Header=BB101_274 Depth=2
	s_or_b32 exec_lo, exec_lo, s28
	s_waitcnt lgkmcnt(0)
	s_barrier
	buffer_gl0_inv
	ds_read_b32 v2, v8 offset:3072
	s_waitcnt lgkmcnt(0)
	s_barrier
	buffer_gl0_inv
	v_cmp_neq_f16_e32 vcc_lo, 0, v2
	s_cbranch_vccnz .LBB101_277
; %bb.272:                              ;   in Loop: Header=BB101_274 Depth=2
	v_add_nc_u32_e32 v1, s58, v1
	v_add_nc_u32_e32 v7, s59, v7
	s_mov_b32 s28, 0
	v_cmp_le_u32_e32 vcc_lo, s78, v1
	s_orn2_b32 s29, vcc_lo, exec_lo
.LBB101_273:                            ;   in Loop: Header=BB101_274 Depth=2
	s_and_b32 s29, exec_lo, s29
	s_or_b32 s16, s29, s16
	s_andn2_b32 s27, s27, exec_lo
	s_and_b32 s28, s28, exec_lo
	s_or_b32 s27, s27, s28
	s_andn2_b32 exec_lo, exec_lo, s16
	s_cbranch_execz .LBB101_278
.LBB101_274:                            ;   Parent Loop BB101_6 Depth=1
                                        ; =>  This Inner Loop Header: Depth=2
	s_mov_b32 s28, exec_lo
	v_cmpx_gt_u32_e64 s36, v1
	s_cbranch_execz .LBB101_271
; %bb.275:                              ;   in Loop: Header=BB101_274 Depth=2
	v_lshlrev_b64 v[2:3], 1, v[7:8]
	v_add_co_u32 v2, vcc_lo, s43, v2
	v_add_co_ci_u32_e64 v3, null, s47, v3, vcc_lo
	global_load_ushort v2, v[2:3], off
	s_waitcnt vmcnt(0)
	v_cmp_lt_i16_e32 vcc_lo, -1, v2
	v_cndmask_b32_e32 v3, 0xffff, v35, vcc_lo
	v_cmp_o_f16_e32 vcc_lo, v2, v2
	v_xor_b32_sdwa v3, v3, v2 dst_sel:DWORD dst_unused:UNUSED_PAD src0_sel:DWORD src1_sel:WORD_0
	v_cndmask_b32_e32 v3, 0xffff, v3, vcc_lo
	v_and_b32_e32 v3, v3, v37
	v_cmp_eq_u32_e32 vcc_lo, v3, v27
	s_and_b32 exec_lo, exec_lo, vcc_lo
	s_cbranch_execz .LBB101_271
; %bb.276:                              ;   in Loop: Header=BB101_274 Depth=2
	v_perm_b32 v2, v2, s83, 0x5040100
	ds_write_b32 v8, v2 offset:3072
	s_branch .LBB101_271
.LBB101_277:                            ;   in Loop: Header=BB101_274 Depth=2
	s_mov_b32 s29, -1
	s_mov_b32 s28, -1
                                        ; implicit-def: $vgpr1
	s_branch .LBB101_273
.LBB101_278:                            ;   in Loop: Header=BB101_6 Depth=1
	s_or_b32 exec_lo, exec_lo, s16
	s_andn2_b32 s16, s26, exec_lo
	s_and_b32 s26, s27, exec_lo
	v_lshrrev_b32_e32 v38, 16, v2
	s_or_b32 s26, s16, s26
.LBB101_279:                            ;   in Loop: Header=BB101_6 Depth=1
	s_or_b32 exec_lo, exec_lo, s14
	s_mov_b32 s16, 0
	s_mov_b32 s14, -1
.LBB101_280:                            ;   in Loop: Header=BB101_6 Depth=1
	s_orn2_b32 s26, s26, exec_lo
.LBB101_281:                            ;   in Loop: Header=BB101_6 Depth=1
	s_or_b32 exec_lo, exec_lo, s25
                                        ; implicit-def: $vgpr4
                                        ; implicit-def: $vgpr1
	s_and_saveexec_b32 s25, s26
	s_cbranch_execz .LBB101_417
; %bb.282:                              ;   in Loop: Header=BB101_6 Depth=1
	v_mov_b32_e32 v4, 1
	v_mov_b32_e32 v1, 1
	s_xor_b32 s26, s6, -1
	s_mov_b32 s28, 0
	s_and_saveexec_b32 s6, s26
	s_cbranch_execz .LBB101_291
; %bb.283:                              ;   in Loop: Header=BB101_6 Depth=1
	s_mov_b32 s26, exec_lo
	v_cmpx_ge_u32_e64 s22, v39
	s_xor_b32 s26, exec_lo, s26
	s_cbranch_execz .LBB101_288
; %bb.284:                              ;   in Loop: Header=BB101_6 Depth=1
	ds_read_b32 v1, v8 offset:4096
	v_or_b32_e32 v27, s18, v27
	v_or_b32_e32 v37, s18, v37
	s_waitcnt lgkmcnt(0)
	v_cmp_ne_u32_e32 vcc_lo, 0, v1
	s_cbranch_vccnz .LBB101_288
; %bb.285:                              ;   in Loop: Header=BB101_6 Depth=1
	s_and_saveexec_b32 s27, s3
; %bb.286:                              ;   in Loop: Header=BB101_6 Depth=1
	v_mov_b32_e32 v1, s22
	ds_write_b32 v8, v1 offset:4100
; %bb.287:                              ;   in Loop: Header=BB101_6 Depth=1
	s_or_b32 exec_lo, exec_lo, s27
	s_waitcnt lgkmcnt(0)
	s_barrier
	buffer_gl0_inv
.LBB101_288:                            ;   in Loop: Header=BB101_6 Depth=1
	s_or_saveexec_b32 s26, s26
	v_mov_b32_e32 v1, 5
	s_mov_b32 s27, 0
	s_xor_b32 exec_lo, exec_lo, s26
; %bb.289:                              ;   in Loop: Header=BB101_6 Depth=1
	v_subrev_nc_u32_e32 v39, s22, v39
	v_mov_b32_e32 v1, 0
	s_mov_b32 s27, exec_lo
; %bb.290:                              ;   in Loop: Header=BB101_6 Depth=1
	s_or_b32 exec_lo, exec_lo, s26
	v_mov_b32_e32 v4, v39
	s_and_b32 s28, s27, exec_lo
.LBB101_291:                            ;   in Loop: Header=BB101_6 Depth=1
	s_or_b32 exec_lo, exec_lo, s6
	s_mov_b32 s27, -1
                                        ; implicit-def: $sgpr22
                                        ; implicit-def: $sgpr26
	s_and_saveexec_b32 s6, s28
	s_xor_b32 s6, exec_lo, s6
	s_cbranch_execz .LBB101_414
; %bb.292:                              ;   in Loop: Header=BB101_6 Depth=1
	v_cmp_eq_u32_e32 vcc_lo, 1, v4
	s_cmp_eq_u32 s21, 1
	s_mov_b32 s29, -1
	s_cselect_b32 s22, -1, 0
                                        ; implicit-def: $sgpr26
	s_and_b32 s28, s22, vcc_lo
                                        ; implicit-def: $sgpr22
	s_and_saveexec_b32 s27, s28
	s_cbranch_execz .LBB101_320
; %bb.293:                              ;   in Loop: Header=BB101_6 Depth=1
	ds_read_b32 v2, v8 offset:4096
	s_waitcnt lgkmcnt(0)
	s_barrier
	buffer_gl0_inv
	v_readfirstlane_b32 s30, v2
	s_and_saveexec_b32 s22, s15
; %bb.294:                              ;   in Loop: Header=BB101_6 Depth=1
	ds_write_b16 v21, v8
; %bb.295:                              ;   in Loop: Header=BB101_6 Depth=1
	s_or_b32 exec_lo, exec_lo, s22
	s_lshl_b32 s22, 2, s88
	v_or_b32_e32 v37, s18, v37
	v_and_or_b32 v27, v27, s19, s22
	s_mov_b32 s22, -1
	s_mov_b32 s26, 0
	s_cmp_eq_u32 s30, 0
	s_mov_b32 s29, 0
	s_mov_b32 s31, -1
	s_waitcnt lgkmcnt(0)
	s_barrier
	buffer_gl0_inv
                                        ; implicit-def: $vgpr38
	s_cbranch_scc1 .LBB101_307
; %bb.296:                              ;   in Loop: Header=BB101_6 Depth=1
	s_add_i32 s29, s30, s71
                                        ; implicit-def: $vgpr38
	s_mul_hi_u32 s31, s29, s77
	s_mul_i32 s31, s31, s58
	s_sub_i32 s31, s29, s31
	s_sub_i32 s33, s31, s58
	s_cmp_ge_u32 s31, s58
	s_cselect_b32 s31, s33, s31
	s_sub_i32 s33, s31, s58
	s_cmp_ge_u32 s31, s58
	s_cselect_b32 s31, s33, s31
	s_mov_b32 s33, exec_lo
	s_sub_i32 s34, s29, s31
	s_mov_b32 s31, 0
	s_mov_b32 s29, 0
	v_cmpx_gt_u32_e64 s34, v0
	s_cbranch_execz .LBB101_306
; %bb.297:                              ;   in Loop: Header=BB101_6 Depth=1
	v_mov_b32_e32 v2, v20
	v_mov_b32_e32 v3, v0
                                        ; implicit-def: $sgpr44
	s_inst_prefetch 0x1
	s_branch .LBB101_301
	.p2align	6
.LBB101_298:                            ;   in Loop: Header=BB101_301 Depth=2
	s_or_b32 exec_lo, exec_lo, s45
	s_waitcnt lgkmcnt(0)
	s_barrier
	buffer_gl0_inv
	ds_read_b32 v7, v8 offset:3072
	s_waitcnt lgkmcnt(0)
	s_barrier
	buffer_gl0_inv
	v_cmp_neq_f16_e32 vcc_lo, 0, v7
	s_cbranch_vccnz .LBB101_304
; %bb.299:                              ;   in Loop: Header=BB101_301 Depth=2
	v_add_nc_u32_e32 v3, s58, v3
	v_add_nc_u32_e32 v2, s81, v2
	s_mov_b32 s45, 0
	v_cmp_le_u32_e32 vcc_lo, s34, v3
	s_orn2_b32 s46, vcc_lo, exec_lo
.LBB101_300:                            ;   in Loop: Header=BB101_301 Depth=2
	s_and_b32 s46, exec_lo, s46
	s_or_b32 s29, s46, s29
	s_andn2_b32 s44, s44, exec_lo
	s_and_b32 s45, s45, exec_lo
	s_or_b32 s44, s44, s45
	s_andn2_b32 exec_lo, exec_lo, s29
	s_cbranch_execz .LBB101_305
.LBB101_301:                            ;   Parent Loop BB101_6 Depth=1
                                        ; =>  This Inner Loop Header: Depth=2
	s_mov_b32 s45, exec_lo
	v_cmpx_gt_u32_e64 s30, v3
	s_cbranch_execz .LBB101_298
; %bb.302:                              ;   in Loop: Header=BB101_301 Depth=2
	ds_read_u16 v7, v2
	s_waitcnt lgkmcnt(0)
	v_cmp_lt_i16_e32 vcc_lo, -1, v7
	v_cndmask_b32_e32 v13, 0xffff, v35, vcc_lo
	v_cmp_o_f16_e32 vcc_lo, v7, v7
	v_xor_b32_sdwa v13, v13, v7 dst_sel:DWORD dst_unused:UNUSED_PAD src0_sel:DWORD src1_sel:WORD_0
	v_cndmask_b32_e32 v13, 0xffff, v13, vcc_lo
	v_and_b32_e32 v13, v13, v37
	v_cmp_eq_u32_e32 vcc_lo, v13, v27
	s_and_b32 exec_lo, exec_lo, vcc_lo
	s_cbranch_execz .LBB101_298
; %bb.303:                              ;   in Loop: Header=BB101_301 Depth=2
	v_perm_b32 v7, v7, s83, 0x5040100
	ds_write_b32 v8, v7 offset:3072
	s_branch .LBB101_298
.LBB101_304:                            ;   in Loop: Header=BB101_301 Depth=2
	s_mov_b32 s46, -1
	s_mov_b32 s45, -1
                                        ; implicit-def: $vgpr3
                                        ; implicit-def: $vgpr2
	s_branch .LBB101_300
.LBB101_305:                            ;   in Loop: Header=BB101_6 Depth=1
	s_inst_prefetch 0x2
	s_or_b32 exec_lo, exec_lo, s29
	v_lshrrev_b32_e32 v38, 16, v7
	s_and_b32 s29, s44, exec_lo
.LBB101_306:                            ;   in Loop: Header=BB101_6 Depth=1
	s_or_b32 exec_lo, exec_lo, s33
.LBB101_307:                            ;   in Loop: Header=BB101_6 Depth=1
	s_and_b32 vcc_lo, exec_lo, s31
	s_cbranch_vccz .LBB101_319
; %bb.308:                              ;   in Loop: Header=BB101_6 Depth=1
                                        ; implicit-def: $vgpr38
	s_and_saveexec_b32 s22, s13
	s_cbranch_execz .LBB101_318
; %bb.309:                              ;   in Loop: Header=BB101_6 Depth=1
	v_mov_b32_e32 v7, v9
	v_mov_b32_e32 v2, v0
	s_mov_b32 s26, 0
                                        ; implicit-def: $sgpr30
	s_branch .LBB101_313
.LBB101_310:                            ;   in Loop: Header=BB101_313 Depth=2
	s_or_b32 exec_lo, exec_lo, s31
	s_waitcnt lgkmcnt(0)
	s_barrier
	buffer_gl0_inv
	ds_read_b32 v3, v8 offset:3072
	s_waitcnt lgkmcnt(0)
	s_barrier
	buffer_gl0_inv
	v_cmp_eq_f16_e32 vcc_lo, 0, v3
	s_cbranch_vccz .LBB101_316
; %bb.311:                              ;   in Loop: Header=BB101_313 Depth=2
	v_add_nc_u32_e32 v2, s58, v2
	v_add_nc_u32_e32 v7, s59, v7
	s_mov_b32 s31, 0
	v_cmp_le_u32_e32 vcc_lo, s78, v2
	s_orn2_b32 s33, vcc_lo, exec_lo
.LBB101_312:                            ;   in Loop: Header=BB101_313 Depth=2
	s_and_b32 s33, exec_lo, s33
	s_or_b32 s26, s33, s26
	s_andn2_b32 s30, s30, exec_lo
	s_and_b32 s31, s31, exec_lo
	s_or_b32 s30, s30, s31
	s_andn2_b32 exec_lo, exec_lo, s26
	s_cbranch_execz .LBB101_317
.LBB101_313:                            ;   Parent Loop BB101_6 Depth=1
                                        ; =>  This Inner Loop Header: Depth=2
	s_mov_b32 s31, exec_lo
	v_cmpx_gt_u32_e64 s36, v2
	s_cbranch_execz .LBB101_310
; %bb.314:                              ;   in Loop: Header=BB101_313 Depth=2
	v_lshlrev_b64 v[13:14], 1, v[7:8]
	v_add_co_u32 v13, vcc_lo, s43, v13
	v_add_co_ci_u32_e64 v14, null, s47, v14, vcc_lo
	global_load_ushort v3, v[13:14], off
	s_waitcnt vmcnt(0)
	v_cmp_lt_i16_e32 vcc_lo, -1, v3
	v_cndmask_b32_e32 v13, 0xffff, v35, vcc_lo
	v_cmp_o_f16_e32 vcc_lo, v3, v3
	v_xor_b32_sdwa v13, v13, v3 dst_sel:DWORD dst_unused:UNUSED_PAD src0_sel:DWORD src1_sel:WORD_0
	v_cndmask_b32_e32 v13, 0xffff, v13, vcc_lo
	v_and_b32_e32 v13, v13, v37
	v_cmp_eq_u32_e32 vcc_lo, v13, v27
	s_and_b32 exec_lo, exec_lo, vcc_lo
	s_cbranch_execz .LBB101_310
; %bb.315:                              ;   in Loop: Header=BB101_313 Depth=2
	v_perm_b32 v3, v3, s83, 0x5040100
	ds_write_b32 v8, v3 offset:3072
	s_branch .LBB101_310
.LBB101_316:                            ;   in Loop: Header=BB101_313 Depth=2
	s_mov_b32 s33, -1
	s_mov_b32 s31, -1
                                        ; implicit-def: $vgpr2
	s_branch .LBB101_312
.LBB101_317:                            ;   in Loop: Header=BB101_6 Depth=1
	s_or_b32 exec_lo, exec_lo, s26
	v_lshrrev_b32_e32 v38, 16, v3
	s_andn2_b32 s26, s29, exec_lo
	s_and_b32 s29, s30, exec_lo
	s_or_b32 s29, s26, s29
.LBB101_318:                            ;   in Loop: Header=BB101_6 Depth=1
	s_or_b32 exec_lo, exec_lo, s22
	s_mov_b32 s22, 0
	s_mov_b32 s26, -1
.LBB101_319:                            ;   in Loop: Header=BB101_6 Depth=1
	s_orn2_b32 s29, s29, exec_lo
.LBB101_320:                            ;   in Loop: Header=BB101_6 Depth=1
	s_or_b32 exec_lo, exec_lo, s27
	s_mov_b32 s30, 0
	s_and_saveexec_b32 s27, s29
	s_cbranch_execz .LBB101_413
; %bb.321:                              ;   in Loop: Header=BB101_6 Depth=1
	v_mov_b32_e32 v2, 1
	v_mov_b32_e32 v1, 1
	s_xor_b32 s29, s28, -1
	s_mov_b32 s31, 0
	s_and_saveexec_b32 s28, s29
	s_cbranch_execz .LBB101_330
; %bb.322:                              ;   in Loop: Header=BB101_6 Depth=1
	s_mov_b32 s29, exec_lo
	v_cmpx_ge_u32_e64 s21, v4
	s_xor_b32 s29, exec_lo, s29
	s_cbranch_execz .LBB101_327
; %bb.323:                              ;   in Loop: Header=BB101_6 Depth=1
	ds_read_b32 v1, v8 offset:4096
	s_lshl_b32 s30, 2, s88
	v_or_b32_e32 v37, s18, v37
	v_and_or_b32 v27, v27, s19, s30
	s_waitcnt lgkmcnt(0)
	v_cmp_ne_u32_e32 vcc_lo, 0, v1
	s_cbranch_vccnz .LBB101_327
; %bb.324:                              ;   in Loop: Header=BB101_6 Depth=1
	s_and_saveexec_b32 s30, s3
; %bb.325:                              ;   in Loop: Header=BB101_6 Depth=1
	v_mov_b32_e32 v1, s21
	ds_write_b32 v8, v1 offset:4100
; %bb.326:                              ;   in Loop: Header=BB101_6 Depth=1
	s_or_b32 exec_lo, exec_lo, s30
	s_waitcnt lgkmcnt(0)
	s_barrier
	buffer_gl0_inv
.LBB101_327:                            ;   in Loop: Header=BB101_6 Depth=1
	s_or_saveexec_b32 s29, s29
	v_mov_b32_e32 v1, 5
	s_mov_b32 s30, 0
	s_xor_b32 exec_lo, exec_lo, s29
; %bb.328:                              ;   in Loop: Header=BB101_6 Depth=1
	v_subrev_nc_u32_e32 v4, s21, v4
	v_mov_b32_e32 v1, 0
	s_mov_b32 s30, exec_lo
; %bb.329:                              ;   in Loop: Header=BB101_6 Depth=1
	s_or_b32 exec_lo, exec_lo, s29
	v_mov_b32_e32 v2, v4
	s_and_b32 s31, s30, exec_lo
.LBB101_330:                            ;   in Loop: Header=BB101_6 Depth=1
	s_or_b32 exec_lo, exec_lo, s28
	s_mov_b32 s30, -1
                                        ; implicit-def: $sgpr28
                                        ; implicit-def: $sgpr29
	s_and_saveexec_b32 s21, s31
	s_cbranch_execz .LBB101_412
; %bb.331:                              ;   in Loop: Header=BB101_6 Depth=1
	v_cmp_eq_u32_e32 vcc_lo, 1, v2
	s_cmp_eq_u32 s20, 1
	s_mov_b32 s33, -1
	s_cselect_b32 s28, -1, 0
                                        ; implicit-def: $sgpr29
	s_and_b32 s31, s28, vcc_lo
                                        ; implicit-def: $sgpr28
	s_and_saveexec_b32 s30, s31
	s_cbranch_execz .LBB101_359
; %bb.332:                              ;   in Loop: Header=BB101_6 Depth=1
	ds_read_b32 v3, v8 offset:4096
	s_waitcnt lgkmcnt(0)
	s_barrier
	buffer_gl0_inv
	v_readfirstlane_b32 s34, v3
	s_and_saveexec_b32 s28, s15
; %bb.333:                              ;   in Loop: Header=BB101_6 Depth=1
	ds_write_b16 v21, v8
; %bb.334:                              ;   in Loop: Header=BB101_6 Depth=1
	s_or_b32 exec_lo, exec_lo, s28
	s_lshl_b32 s28, 1, s88
	v_or_b32_e32 v37, s18, v37
	v_and_or_b32 v27, v27, s19, s28
	s_mov_b32 s28, -1
	s_mov_b32 s29, 0
	s_cmp_eq_u32 s34, 0
	s_mov_b32 s33, 0
	s_mov_b32 s44, -1
	s_waitcnt lgkmcnt(0)
	s_barrier
	buffer_gl0_inv
                                        ; implicit-def: $vgpr38
	s_cbranch_scc1 .LBB101_346
; %bb.335:                              ;   in Loop: Header=BB101_6 Depth=1
	s_add_i32 s33, s34, s71
                                        ; implicit-def: $vgpr38
	s_mul_hi_u32 s44, s33, s77
	s_mul_i32 s44, s44, s58
	s_sub_i32 s44, s33, s44
	s_sub_i32 s45, s44, s58
	s_cmp_ge_u32 s44, s58
	s_cselect_b32 s44, s45, s44
	s_sub_i32 s45, s44, s58
	s_cmp_ge_u32 s44, s58
	s_cselect_b32 s44, s45, s44
	s_mov_b32 s45, exec_lo
	s_sub_i32 s46, s33, s44
	s_mov_b32 s44, 0
	s_mov_b32 s33, 0
	v_cmpx_gt_u32_e64 s46, v0
	s_cbranch_execz .LBB101_345
; %bb.336:                              ;   in Loop: Header=BB101_6 Depth=1
	v_mov_b32_e32 v3, v20
	v_mov_b32_e32 v4, v0
                                        ; implicit-def: $sgpr95
	s_inst_prefetch 0x1
	s_branch .LBB101_340
	.p2align	6
.LBB101_337:                            ;   in Loop: Header=BB101_340 Depth=2
	s_or_b32 exec_lo, exec_lo, s50
	s_waitcnt lgkmcnt(0)
	s_barrier
	buffer_gl0_inv
	ds_read_b32 v7, v8 offset:3072
	s_waitcnt lgkmcnt(0)
	s_barrier
	buffer_gl0_inv
	v_cmp_neq_f16_e32 vcc_lo, 0, v7
	s_cbranch_vccnz .LBB101_343
; %bb.338:                              ;   in Loop: Header=BB101_340 Depth=2
	v_add_nc_u32_e32 v4, s58, v4
	v_add_nc_u32_e32 v3, s81, v3
	s_mov_b32 s50, 0
	v_cmp_le_u32_e32 vcc_lo, s46, v4
	s_orn2_b32 s51, vcc_lo, exec_lo
.LBB101_339:                            ;   in Loop: Header=BB101_340 Depth=2
	s_and_b32 s51, exec_lo, s51
	s_or_b32 s33, s51, s33
	s_andn2_b32 s51, s95, exec_lo
	s_and_b32 s50, s50, exec_lo
	s_or_b32 s95, s51, s50
	s_andn2_b32 exec_lo, exec_lo, s33
	s_cbranch_execz .LBB101_344
.LBB101_340:                            ;   Parent Loop BB101_6 Depth=1
                                        ; =>  This Inner Loop Header: Depth=2
	s_mov_b32 s50, exec_lo
	v_cmpx_gt_u32_e64 s34, v4
	s_cbranch_execz .LBB101_337
; %bb.341:                              ;   in Loop: Header=BB101_340 Depth=2
	ds_read_u16 v7, v3
	s_waitcnt lgkmcnt(0)
	v_cmp_lt_i16_e32 vcc_lo, -1, v7
	v_cndmask_b32_e32 v13, 0xffff, v35, vcc_lo
	v_cmp_o_f16_e32 vcc_lo, v7, v7
	v_xor_b32_sdwa v13, v13, v7 dst_sel:DWORD dst_unused:UNUSED_PAD src0_sel:DWORD src1_sel:WORD_0
	v_cndmask_b32_e32 v13, 0xffff, v13, vcc_lo
	v_and_b32_e32 v13, v13, v37
	v_cmp_eq_u32_e32 vcc_lo, v13, v27
	s_and_b32 exec_lo, exec_lo, vcc_lo
	s_cbranch_execz .LBB101_337
; %bb.342:                              ;   in Loop: Header=BB101_340 Depth=2
	v_perm_b32 v7, v7, s83, 0x5040100
	ds_write_b32 v8, v7 offset:3072
	s_branch .LBB101_337
.LBB101_343:                            ;   in Loop: Header=BB101_340 Depth=2
	s_mov_b32 s51, -1
	s_mov_b32 s50, -1
                                        ; implicit-def: $vgpr4
                                        ; implicit-def: $vgpr3
	s_branch .LBB101_339
.LBB101_344:                            ;   in Loop: Header=BB101_6 Depth=1
	s_inst_prefetch 0x2
	s_or_b32 exec_lo, exec_lo, s33
	v_lshrrev_b32_e32 v38, 16, v7
	s_and_b32 s33, s95, exec_lo
.LBB101_345:                            ;   in Loop: Header=BB101_6 Depth=1
	s_or_b32 exec_lo, exec_lo, s45
.LBB101_346:                            ;   in Loop: Header=BB101_6 Depth=1
	s_and_b32 vcc_lo, exec_lo, s44
	s_cbranch_vccz .LBB101_358
; %bb.347:                              ;   in Loop: Header=BB101_6 Depth=1
                                        ; implicit-def: $vgpr38
	s_and_saveexec_b32 s28, s13
	s_cbranch_execz .LBB101_357
; %bb.348:                              ;   in Loop: Header=BB101_6 Depth=1
	v_mov_b32_e32 v7, v9
	v_mov_b32_e32 v3, v0
	s_mov_b32 s29, 0
                                        ; implicit-def: $sgpr34
	s_branch .LBB101_352
.LBB101_349:                            ;   in Loop: Header=BB101_352 Depth=2
	s_or_b32 exec_lo, exec_lo, s44
	s_waitcnt lgkmcnt(0)
	s_barrier
	buffer_gl0_inv
	ds_read_b32 v4, v8 offset:3072
	s_waitcnt lgkmcnt(0)
	s_barrier
	buffer_gl0_inv
	v_cmp_eq_f16_e32 vcc_lo, 0, v4
	s_cbranch_vccz .LBB101_355
; %bb.350:                              ;   in Loop: Header=BB101_352 Depth=2
	v_add_nc_u32_e32 v3, s58, v3
	v_add_nc_u32_e32 v7, s59, v7
	s_mov_b32 s44, 0
	v_cmp_le_u32_e32 vcc_lo, s78, v3
	s_orn2_b32 s45, vcc_lo, exec_lo
.LBB101_351:                            ;   in Loop: Header=BB101_352 Depth=2
	s_and_b32 s45, exec_lo, s45
	s_or_b32 s29, s45, s29
	s_andn2_b32 s34, s34, exec_lo
	s_and_b32 s44, s44, exec_lo
	s_or_b32 s34, s34, s44
	s_andn2_b32 exec_lo, exec_lo, s29
	s_cbranch_execz .LBB101_356
.LBB101_352:                            ;   Parent Loop BB101_6 Depth=1
                                        ; =>  This Inner Loop Header: Depth=2
	s_mov_b32 s44, exec_lo
	v_cmpx_gt_u32_e64 s36, v3
	s_cbranch_execz .LBB101_349
; %bb.353:                              ;   in Loop: Header=BB101_352 Depth=2
	v_lshlrev_b64 v[13:14], 1, v[7:8]
	v_add_co_u32 v13, vcc_lo, s43, v13
	v_add_co_ci_u32_e64 v14, null, s47, v14, vcc_lo
	global_load_ushort v4, v[13:14], off
	s_waitcnt vmcnt(0)
	v_cmp_lt_i16_e32 vcc_lo, -1, v4
	v_cndmask_b32_e32 v13, 0xffff, v35, vcc_lo
	v_cmp_o_f16_e32 vcc_lo, v4, v4
	v_xor_b32_sdwa v13, v13, v4 dst_sel:DWORD dst_unused:UNUSED_PAD src0_sel:DWORD src1_sel:WORD_0
	v_cndmask_b32_e32 v13, 0xffff, v13, vcc_lo
	v_and_b32_e32 v13, v13, v37
	v_cmp_eq_u32_e32 vcc_lo, v13, v27
	s_and_b32 exec_lo, exec_lo, vcc_lo
	s_cbranch_execz .LBB101_349
; %bb.354:                              ;   in Loop: Header=BB101_352 Depth=2
	v_perm_b32 v4, v4, s83, 0x5040100
	ds_write_b32 v8, v4 offset:3072
	s_branch .LBB101_349
.LBB101_355:                            ;   in Loop: Header=BB101_352 Depth=2
	s_mov_b32 s45, -1
	s_mov_b32 s44, -1
                                        ; implicit-def: $vgpr3
	s_branch .LBB101_351
.LBB101_356:                            ;   in Loop: Header=BB101_6 Depth=1
	s_or_b32 exec_lo, exec_lo, s29
	v_lshrrev_b32_e32 v38, 16, v4
	s_andn2_b32 s29, s33, exec_lo
	s_and_b32 s33, s34, exec_lo
	s_or_b32 s33, s29, s33
.LBB101_357:                            ;   in Loop: Header=BB101_6 Depth=1
	s_or_b32 exec_lo, exec_lo, s28
	s_mov_b32 s28, 0
	s_mov_b32 s29, -1
.LBB101_358:                            ;   in Loop: Header=BB101_6 Depth=1
	s_orn2_b32 s33, s33, exec_lo
.LBB101_359:                            ;   in Loop: Header=BB101_6 Depth=1
	s_or_b32 exec_lo, exec_lo, s30
	s_mov_b32 s34, 0
	s_and_saveexec_b32 s30, s33
	s_cbranch_execz .LBB101_411
; %bb.360:                              ;   in Loop: Header=BB101_6 Depth=1
	v_mov_b32_e32 v3, 1
	v_mov_b32_e32 v1, 1
	s_xor_b32 s33, s31, -1
	s_mov_b32 s44, 0
	s_and_saveexec_b32 s31, s33
	s_cbranch_execz .LBB101_369
; %bb.361:                              ;   in Loop: Header=BB101_6 Depth=1
	s_mov_b32 s33, exec_lo
	v_cmpx_ge_u32_e64 s20, v2
	s_xor_b32 s33, exec_lo, s33
	s_cbranch_execz .LBB101_366
; %bb.362:                              ;   in Loop: Header=BB101_6 Depth=1
	ds_read_b32 v1, v8 offset:4096
	s_lshl_b32 s34, 1, s88
	v_or_b32_e32 v37, s18, v37
	v_and_or_b32 v27, v27, s19, s34
	s_waitcnt lgkmcnt(0)
	v_cmp_ne_u32_e32 vcc_lo, 0, v1
	s_cbranch_vccnz .LBB101_366
; %bb.363:                              ;   in Loop: Header=BB101_6 Depth=1
	s_and_saveexec_b32 s34, s3
; %bb.364:                              ;   in Loop: Header=BB101_6 Depth=1
	v_mov_b32_e32 v1, s20
	ds_write_b32 v8, v1 offset:4100
; %bb.365:                              ;   in Loop: Header=BB101_6 Depth=1
	s_or_b32 exec_lo, exec_lo, s34
	s_waitcnt lgkmcnt(0)
	s_barrier
	buffer_gl0_inv
.LBB101_366:                            ;   in Loop: Header=BB101_6 Depth=1
	s_or_saveexec_b32 s33, s33
	v_mov_b32_e32 v1, 5
	s_mov_b32 s34, 0
	s_xor_b32 exec_lo, exec_lo, s33
; %bb.367:                              ;   in Loop: Header=BB101_6 Depth=1
	v_subrev_nc_u32_e32 v2, s20, v2
	v_mov_b32_e32 v1, 0
	s_mov_b32 s34, exec_lo
; %bb.368:                              ;   in Loop: Header=BB101_6 Depth=1
	s_or_b32 exec_lo, exec_lo, s33
	v_mov_b32_e32 v3, v2
	s_and_b32 s44, s34, exec_lo
.LBB101_369:                            ;   in Loop: Header=BB101_6 Depth=1
	s_or_b32 exec_lo, exec_lo, s31
	s_mov_b32 s31, -1
                                        ; implicit-def: $sgpr34
                                        ; implicit-def: $sgpr33
	s_and_saveexec_b32 s20, s44
	s_cbranch_execz .LBB101_410
; %bb.370:                              ;   in Loop: Header=BB101_6 Depth=1
	v_cmp_eq_u32_e32 vcc_lo, 1, v3
	s_cmp_eq_u32 s17, 1
	s_mov_b32 s45, -1
	s_cselect_b32 s31, -1, 0
                                        ; implicit-def: $sgpr34
                                        ; implicit-def: $sgpr33
	s_and_b32 s31, s31, vcc_lo
	s_and_saveexec_b32 s95, s31
	s_cbranch_execz .LBB101_398
; %bb.371:                              ;   in Loop: Header=BB101_6 Depth=1
	ds_read_b32 v2, v8 offset:4096
	s_waitcnt lgkmcnt(0)
	s_barrier
	buffer_gl0_inv
	v_readfirstlane_b32 s45, v2
	s_and_saveexec_b32 s33, s15
; %bb.372:                              ;   in Loop: Header=BB101_6 Depth=1
	ds_write_b16 v21, v8
; %bb.373:                              ;   in Loop: Header=BB101_6 Depth=1
	s_or_b32 exec_lo, exec_lo, s33
	v_and_b32_e32 v27, s19, v27
	v_or_b32_e32 v37, s18, v37
	s_mov_b32 s33, -1
	s_mov_b32 s34, 0
	s_cmp_eq_u32 s45, 0
	s_mov_b32 s44, 0
	s_mov_b32 s46, -1
	s_waitcnt lgkmcnt(0)
	s_barrier
	buffer_gl0_inv
                                        ; implicit-def: $vgpr38
	s_cbranch_scc1 .LBB101_385
; %bb.374:                              ;   in Loop: Header=BB101_6 Depth=1
	s_add_i32 s44, s45, s71
	s_mov_b32 s96, exec_lo
	s_mul_hi_u32 s46, s44, s77
                                        ; implicit-def: $vgpr38
	s_mul_i32 s46, s46, s58
	s_sub_i32 s46, s44, s46
	s_sub_i32 s50, s46, s58
	s_cmp_ge_u32 s46, s58
	s_cselect_b32 s46, s50, s46
	s_sub_i32 s50, s46, s58
	s_cmp_ge_u32 s46, s58
	s_cselect_b32 s46, s50, s46
	s_sub_i32 s97, s44, s46
	s_mov_b32 s46, 0
	s_mov_b32 s44, 0
	v_cmpx_gt_u32_e64 s97, v0
	s_cbranch_execz .LBB101_384
; %bb.375:                              ;   in Loop: Header=BB101_6 Depth=1
	v_mov_b32_e32 v2, v20
	v_mov_b32_e32 v4, v0
                                        ; implicit-def: $sgpr98
	s_inst_prefetch 0x1
	s_branch .LBB101_379
	.p2align	6
.LBB101_376:                            ;   in Loop: Header=BB101_379 Depth=2
	s_or_b32 exec_lo, exec_lo, s50
	s_waitcnt lgkmcnt(0)
	s_barrier
	buffer_gl0_inv
	ds_read_b32 v7, v8 offset:3072
	s_waitcnt lgkmcnt(0)
	s_barrier
	buffer_gl0_inv
	v_cmp_neq_f16_e32 vcc_lo, 0, v7
	s_cbranch_vccnz .LBB101_382
; %bb.377:                              ;   in Loop: Header=BB101_379 Depth=2
	v_add_nc_u32_e32 v4, s58, v4
	v_add_nc_u32_e32 v2, s81, v2
	s_mov_b32 s50, 0
	v_cmp_le_u32_e32 vcc_lo, s97, v4
	s_orn2_b32 s51, vcc_lo, exec_lo
.LBB101_378:                            ;   in Loop: Header=BB101_379 Depth=2
	s_and_b32 s51, exec_lo, s51
	s_or_b32 s44, s51, s44
	s_andn2_b32 s51, s98, exec_lo
	s_and_b32 s50, s50, exec_lo
	s_or_b32 s98, s51, s50
	s_andn2_b32 exec_lo, exec_lo, s44
	s_cbranch_execz .LBB101_383
.LBB101_379:                            ;   Parent Loop BB101_6 Depth=1
                                        ; =>  This Inner Loop Header: Depth=2
	s_mov_b32 s50, exec_lo
	v_cmpx_gt_u32_e64 s45, v4
	s_cbranch_execz .LBB101_376
; %bb.380:                              ;   in Loop: Header=BB101_379 Depth=2
	ds_read_u16 v7, v2
	s_waitcnt lgkmcnt(0)
	v_cmp_lt_i16_e32 vcc_lo, -1, v7
	v_cndmask_b32_e32 v13, 0xffff, v35, vcc_lo
	v_cmp_o_f16_e32 vcc_lo, v7, v7
	v_xor_b32_sdwa v13, v13, v7 dst_sel:DWORD dst_unused:UNUSED_PAD src0_sel:DWORD src1_sel:WORD_0
	v_cndmask_b32_e32 v13, 0xffff, v13, vcc_lo
	v_and_b32_e32 v13, v13, v37
	v_cmp_eq_u32_e32 vcc_lo, v13, v27
	s_and_b32 exec_lo, exec_lo, vcc_lo
	s_cbranch_execz .LBB101_376
; %bb.381:                              ;   in Loop: Header=BB101_379 Depth=2
	v_perm_b32 v7, v7, s83, 0x5040100
	ds_write_b32 v8, v7 offset:3072
	s_branch .LBB101_376
.LBB101_382:                            ;   in Loop: Header=BB101_379 Depth=2
	s_mov_b32 s51, -1
	s_mov_b32 s50, -1
                                        ; implicit-def: $vgpr4
                                        ; implicit-def: $vgpr2
	s_branch .LBB101_378
.LBB101_383:                            ;   in Loop: Header=BB101_6 Depth=1
	s_inst_prefetch 0x2
	s_or_b32 exec_lo, exec_lo, s44
	v_lshrrev_b32_e32 v38, 16, v7
	s_and_b32 s44, s98, exec_lo
.LBB101_384:                            ;   in Loop: Header=BB101_6 Depth=1
	s_or_b32 exec_lo, exec_lo, s96
.LBB101_385:                            ;   in Loop: Header=BB101_6 Depth=1
	s_and_b32 vcc_lo, exec_lo, s46
	s_cbranch_vccz .LBB101_397
; %bb.386:                              ;   in Loop: Header=BB101_6 Depth=1
                                        ; implicit-def: $vgpr38
	s_and_saveexec_b32 s33, s13
	s_cbranch_execz .LBB101_396
; %bb.387:                              ;   in Loop: Header=BB101_6 Depth=1
	v_mov_b32_e32 v7, v9
	v_mov_b32_e32 v2, v0
	s_mov_b32 s34, 0
                                        ; implicit-def: $sgpr45
	s_branch .LBB101_391
.LBB101_388:                            ;   in Loop: Header=BB101_391 Depth=2
	s_or_b32 exec_lo, exec_lo, s46
	s_waitcnt lgkmcnt(0)
	s_barrier
	buffer_gl0_inv
	ds_read_b32 v4, v8 offset:3072
	s_waitcnt lgkmcnt(0)
	s_barrier
	buffer_gl0_inv
	v_cmp_eq_f16_e32 vcc_lo, 0, v4
	s_cbranch_vccz .LBB101_394
; %bb.389:                              ;   in Loop: Header=BB101_391 Depth=2
	v_add_nc_u32_e32 v2, s58, v2
	v_add_nc_u32_e32 v7, s59, v7
	s_mov_b32 s46, 0
	v_cmp_le_u32_e32 vcc_lo, s78, v2
	s_orn2_b32 s50, vcc_lo, exec_lo
.LBB101_390:                            ;   in Loop: Header=BB101_391 Depth=2
	s_and_b32 s50, exec_lo, s50
	s_or_b32 s34, s50, s34
	s_andn2_b32 s45, s45, exec_lo
	s_and_b32 s46, s46, exec_lo
	s_or_b32 s45, s45, s46
	s_andn2_b32 exec_lo, exec_lo, s34
	s_cbranch_execz .LBB101_395
.LBB101_391:                            ;   Parent Loop BB101_6 Depth=1
                                        ; =>  This Inner Loop Header: Depth=2
	s_mov_b32 s46, exec_lo
	v_cmpx_gt_u32_e64 s36, v2
	s_cbranch_execz .LBB101_388
; %bb.392:                              ;   in Loop: Header=BB101_391 Depth=2
	v_lshlrev_b64 v[13:14], 1, v[7:8]
	v_add_co_u32 v13, vcc_lo, s43, v13
	v_add_co_ci_u32_e64 v14, null, s47, v14, vcc_lo
	global_load_ushort v4, v[13:14], off
	s_waitcnt vmcnt(0)
	v_cmp_lt_i16_e32 vcc_lo, -1, v4
	v_cndmask_b32_e32 v13, 0xffff, v35, vcc_lo
	v_cmp_o_f16_e32 vcc_lo, v4, v4
	v_xor_b32_sdwa v13, v13, v4 dst_sel:DWORD dst_unused:UNUSED_PAD src0_sel:DWORD src1_sel:WORD_0
	v_cndmask_b32_e32 v13, 0xffff, v13, vcc_lo
	v_and_b32_e32 v13, v13, v37
	v_cmp_eq_u32_e32 vcc_lo, v13, v27
	s_and_b32 exec_lo, exec_lo, vcc_lo
	s_cbranch_execz .LBB101_388
; %bb.393:                              ;   in Loop: Header=BB101_391 Depth=2
	v_perm_b32 v4, v4, s83, 0x5040100
	ds_write_b32 v8, v4 offset:3072
	s_branch .LBB101_388
.LBB101_394:                            ;   in Loop: Header=BB101_391 Depth=2
	s_mov_b32 s50, -1
	s_mov_b32 s46, -1
                                        ; implicit-def: $vgpr2
	s_branch .LBB101_390
.LBB101_395:                            ;   in Loop: Header=BB101_6 Depth=1
	s_or_b32 exec_lo, exec_lo, s34
	v_lshrrev_b32_e32 v38, 16, v4
	s_andn2_b32 s34, s44, exec_lo
	s_and_b32 s44, s45, exec_lo
	s_or_b32 s44, s34, s44
.LBB101_396:                            ;   in Loop: Header=BB101_6 Depth=1
	s_or_b32 exec_lo, exec_lo, s33
	s_mov_b32 s33, 0
	s_mov_b32 s34, -1
.LBB101_397:                            ;   in Loop: Header=BB101_6 Depth=1
	s_orn2_b32 s45, s44, exec_lo
.LBB101_398:                            ;   in Loop: Header=BB101_6 Depth=1
	s_or_b32 exec_lo, exec_lo, s95
	s_mov_b32 s46, 0
	s_and_saveexec_b32 s44, s45
	s_cbranch_execz .LBB101_409
; %bb.399:                              ;   in Loop: Header=BB101_6 Depth=1
	v_mov_b32_e32 v1, 1
	v_mov_b32_e32 v2, 1
	s_xor_b32 s45, s31, -1
	s_and_saveexec_b32 s31, s45
	s_cbranch_execz .LBB101_408
; %bb.400:                              ;   in Loop: Header=BB101_6 Depth=1
	s_mov_b32 s45, exec_lo
	v_cmpx_ge_u32_e64 s17, v3
	s_xor_b32 s45, exec_lo, s45
	s_cbranch_execz .LBB101_405
; %bb.401:                              ;   in Loop: Header=BB101_6 Depth=1
	ds_read_b32 v1, v8 offset:4096
	v_and_b32_e32 v27, s19, v27
	v_or_b32_e32 v37, s18, v37
	s_waitcnt lgkmcnt(0)
	v_cmp_ne_u32_e32 vcc_lo, 0, v1
	s_cbranch_vccnz .LBB101_405
; %bb.402:                              ;   in Loop: Header=BB101_6 Depth=1
	s_and_saveexec_b32 s18, s3
; %bb.403:                              ;   in Loop: Header=BB101_6 Depth=1
	v_mov_b32_e32 v1, s17
	ds_write_b32 v8, v1 offset:4100
; %bb.404:                              ;   in Loop: Header=BB101_6 Depth=1
	s_or_b32 exec_lo, exec_lo, s18
	s_waitcnt lgkmcnt(0)
	s_barrier
	buffer_gl0_inv
.LBB101_405:                            ;   in Loop: Header=BB101_6 Depth=1
	s_andn2_saveexec_b32 s18, s45
; %bb.406:                              ;   in Loop: Header=BB101_6 Depth=1
	v_subrev_nc_u32_e32 v3, s17, v3
; %bb.407:                              ;   in Loop: Header=BB101_6 Depth=1
	s_or_b32 exec_lo, exec_lo, s18
	v_mov_b32_e32 v1, 5
	v_mov_b32_e32 v2, v3
.LBB101_408:                            ;   in Loop: Header=BB101_6 Depth=1
	s_or_b32 exec_lo, exec_lo, s31
	v_mov_b32_e32 v3, v2
	s_mov_b32 s46, exec_lo
.LBB101_409:                            ;   in Loop: Header=BB101_6 Depth=1
	s_or_b32 exec_lo, exec_lo, s44
	s_orn2_b32 s31, s46, exec_lo
.LBB101_410:                            ;   in Loop: Header=BB101_6 Depth=1
	s_or_b32 exec_lo, exec_lo, s20
	s_andn2_b32 s17, s29, exec_lo
	s_and_b32 s18, s34, exec_lo
	s_andn2_b32 s19, s28, exec_lo
	s_and_b32 s20, s33, exec_lo
	v_mov_b32_e32 v2, v3
	s_or_b32 s29, s17, s18
	s_or_b32 s28, s19, s20
	s_and_b32 s34, s31, exec_lo
.LBB101_411:                            ;   in Loop: Header=BB101_6 Depth=1
	s_or_b32 exec_lo, exec_lo, s30
	s_orn2_b32 s30, s34, exec_lo
.LBB101_412:                            ;   in Loop: Header=BB101_6 Depth=1
	s_or_b32 exec_lo, exec_lo, s21
	s_andn2_b32 s17, s26, exec_lo
	s_and_b32 s18, s29, exec_lo
	s_andn2_b32 s19, s22, exec_lo
	s_and_b32 s20, s28, exec_lo
	v_mov_b32_e32 v4, v2
	s_or_b32 s26, s17, s18
	s_or_b32 s22, s19, s20
	s_and_b32 s30, s30, exec_lo
.LBB101_413:                            ;   in Loop: Header=BB101_6 Depth=1
	s_or_b32 exec_lo, exec_lo, s27
	s_orn2_b32 s27, s30, exec_lo
.LBB101_414:                            ;   in Loop: Header=BB101_6 Depth=1
	s_or_b32 exec_lo, exec_lo, s6
	s_mov_b32 s6, s24
	s_mov_b32 s17, s23
	s_and_saveexec_b32 s18, s27
; %bb.415:                              ;   in Loop: Header=BB101_6 Depth=1
	v_cmp_ne_u32_e32 vcc_lo, 5, v1
	v_cmp_eq_u32_e64 s6, 5, v1
	s_andn2_b32 s17, s23, exec_lo
	s_andn2_b32 s19, s24, exec_lo
	s_and_b32 s20, vcc_lo, exec_lo
	s_and_b32 s6, s6, exec_lo
	s_or_b32 s17, s17, s20
	s_or_b32 s6, s19, s6
; %bb.416:                              ;   in Loop: Header=BB101_6 Depth=1
	s_or_b32 exec_lo, exec_lo, s18
	s_andn2_b32 s14, s14, exec_lo
	s_and_b32 s18, s26, exec_lo
	s_andn2_b32 s16, s16, exec_lo
	s_and_b32 s19, s22, exec_lo
	s_or_b32 s14, s14, s18
	s_or_b32 s16, s16, s19
	s_andn2_b32 s18, s23, exec_lo
	s_and_b32 s17, s17, exec_lo
	s_andn2_b32 s19, s24, exec_lo
	s_and_b32 s6, s6, exec_lo
	s_or_b32 s23, s18, s17
	s_or_b32 s24, s19, s6
.LBB101_417:                            ;   in Loop: Header=BB101_6 Depth=1
	s_or_b32 exec_lo, exec_lo, s25
	s_mov_b32 s25, 0
	s_mov_b32 s26, 0
	s_and_saveexec_b32 s6, s24
.LBB101_418:                            ;   in Loop: Header=BB101_6 Depth=1
	v_mov_b32_e32 v1, 0
	s_or_b32 s23, s23, exec_lo
.LBB101_419:                            ;   in Loop: Header=BB101_6 Depth=1
	s_or_b32 exec_lo, exec_lo, s6
	s_andn2_b32 s6, s92, exec_lo
	s_and_b32 s14, s14, exec_lo
	s_andn2_b32 s18, s90, exec_lo
	s_and_b32 s16, s16, exec_lo
	v_mov_b32_e32 v39, v4
	s_or_b32 s92, s6, s14
	s_or_b32 s90, s18, s16
	s_andn2_b32 s6, s94, exec_lo
	s_and_b32 s14, s26, exec_lo
	s_andn2_b32 s16, s93, exec_lo
	s_and_b32 s18, s25, exec_lo
	s_mov_b32 s17, -1
	s_andn2_b32 s91, s91, exec_lo
	s_or_b32 s94, s6, s14
	s_or_b32 s93, s16, s18
	s_and_saveexec_b32 s6, s23
	s_xor_b32 s6, exec_lo, s6
	s_cbranch_execz .LBB101_5
; %bb.420:                              ;   in Loop: Header=BB101_6 Depth=1
	s_mov_b32 s14, -1
	s_mov_b32 s16, -1
	s_mov_b32 s17, exec_lo
	v_cmpx_eq_u32_e32 0, v1
	s_cbranch_execz .LBB101_4
; %bb.421:                              ;   in Loop: Header=BB101_6 Depth=1
	s_xor_b32 s84, s84, 1
	s_add_i32 s18, s88, -2
	s_cmp_eq_u32 s88, 0
	s_mov_b32 s88, s18
	s_cselect_b32 s14, -1, 0
	s_xor_b32 s16, exec_lo, -1
	s_orn2_b32 s14, s14, exec_lo
	s_branch .LBB101_4
.LBB101_422:
	s_or_b32 exec_lo, exec_lo, s35
	s_xor_b32 s7, s89, -1
	s_xor_b32 s12, s86, -1
	;; [unrolled: 1-line block ×5, first 2 shown]
	s_mov_b32 s9, 0
	s_and_saveexec_b32 s10, s8
	s_xor_b32 s8, exec_lo, s10
	s_cbranch_execnz .LBB101_427
; %bb.423:
	s_andn2_saveexec_b32 s0, s8
	s_cbranch_execnz .LBB101_446
.LBB101_424:
	s_or_b32 exec_lo, exec_lo, s0
	s_and_saveexec_b32 s0, s9
.LBB101_425:
	; divergent unreachable
.LBB101_426:
	s_endpgm
.LBB101_427:
	s_mov_b32 s10, 0
	s_and_saveexec_b32 s9, s11
	s_xor_b32 s9, exec_lo, s9
	s_cbranch_execz .LBB101_444
; %bb.428:
	s_mov_b32 s11, 0
	s_and_saveexec_b32 s10, s12
	s_xor_b32 s10, exec_lo, s10
	s_cbranch_execz .LBB101_442
; %bb.429:
	;; [unrolled: 5-line block ×3, first 2 shown]
	s_and_saveexec_b32 s7, s6
	s_xor_b32 s6, exec_lo, s7
; %bb.431:
	v_and_b32_e32 v1, 0x8000, v27
	v_mov_b32_e32 v2, 0xffff
	v_cmp_eq_u32_e32 vcc_lo, 0, v1
	v_cndmask_b32_e32 v1, 0x8000, v2, vcc_lo
	v_xor_b32_e32 v38, v1, v27
; %bb.432:
	s_or_b32 exec_lo, exec_lo, s6
	s_and_saveexec_b32 s6, s3
; %bb.433:
	v_mov_b32_e32 v1, 0
	ds_write_b32 v1, v1 offset:4108
; %bb.434:
	s_or_b32 exec_lo, exec_lo, s6
	v_mov_b32_e32 v9, 0
	s_waitcnt lgkmcnt(0)
	s_barrier
	buffer_gl0_inv
	s_and_saveexec_b32 s3, s1
	s_cbranch_execz .LBB101_436
; %bb.435:
	global_load_ushort v9, v[5:6], off
.LBB101_436:
	s_or_b32 exec_lo, exec_lo, s3
	s_load_dwordx4 s[16:19], s[4:5], 0x15c
	s_mul_i32 s6, s64, s56
	s_add_i32 s12, s36, 31
	s_mul_i32 s3, s62, s57
	s_sub_i32 s6, s62, s6
	s_andn2_b32 s12, s12, 31
	s_sub_i32 s3, s60, s3
	s_add_i32 s7, s64, 1
	s_sub_i32 s13, s6, s56
	s_cmp_ge_u32 s6, s56
	v_mov_b32_e32 v8, 0x8000
	s_cselect_b32 s7, s7, s64
	s_cselect_b32 s6, s13, s6
	s_add_i32 s13, s7, 1
	s_cmp_ge_u32 s6, s56
	v_cmp_lt_i16_e32 vcc_lo, -1, v38
	s_cselect_b32 s6, s13, s7
	s_add_i32 s13, s63, 1
	s_mul_i32 s7, s6, s56
	v_readlane_b32 s20, v62, 0
	s_sub_i32 s7, s62, s7
	s_waitcnt lgkmcnt(0)
	s_mul_i32 s3, s3, s18
	s_mul_i32 s7, s7, s17
	;; [unrolled: 1-line block ×3, first 2 shown]
	s_add_i32 s3, s7, s3
	s_mul_i32 s7, s61, s55
	s_add_i32 s6, s3, s6
	s_mul_i32 s3, s63, s54
	s_sub_i32 s7, s60, s7
	s_sub_i32 s3, s61, s3
	v_cndmask_b32_e32 v1, 0xffff, v8, vcc_lo
	s_sub_i32 s14, s3, s54
	s_cmp_ge_u32 s3, s54
	s_mul_i32 s7, s7, s42
	s_cselect_b32 s13, s13, s63
	s_cselect_b32 s3, s14, s3
	s_add_i32 s14, s13, 1
	s_cmp_ge_u32 s3, s54
	v_xor_b32_sdwa v1, v1, v38 dst_sel:DWORD dst_unused:UNUSED_PAD src0_sel:DWORD src1_sel:WORD_0
	s_cselect_b32 s3, s14, s13
	s_clause 0x1
	s_load_dword s13, s[4:5], 0x1c8
	s_load_dword s5, s[4:5], 0x2a8
	s_mul_i32 s14, s3, s54
	v_cmp_o_f16_e32 vcc_lo, v38, v38
	s_sub_i32 s4, s61, s14
	s_mul_i32 s3, s3, s40
	s_mul_i32 s4, s4, s41
	v_readlane_b32 s21, v62, 1
	s_add_i32 s4, s4, s7
	s_mov_b32 s7, 0
	s_add_i32 s16, s4, s3
	s_lshl_b64 s[14:15], s[6:7], 1
	s_mov_b32 s17, s7
	s_add_u32 s6, s52, s14
	v_cndmask_b32_e32 v7, 0xffff, v1, vcc_lo
	s_addc_u32 s14, s53, s15
	s_lshl_b64 s[16:17], s[16:17], 3
	v_cmp_gt_u32_e32 vcc_lo, s12, v0
	s_add_u32 s15, s20, s16
	s_mov_b32 s18, -1
	s_addc_u32 s16, s21, s17
	s_mov_b32 s3, 0
	s_and_saveexec_b32 s17, vcc_lo
	s_cbranch_execnz .LBB101_447
; %bb.437:
	s_or_b32 exec_lo, exec_lo, s17
	s_and_saveexec_b32 s2, s18
	s_cbranch_execnz .LBB101_464
.LBB101_438:
	s_or_b32 exec_lo, exec_lo, s2
	s_and_saveexec_b32 s0, s3
	s_xor_b32 s0, exec_lo, s0
	s_cbranch_execnz .LBB101_487
.LBB101_439:
	s_or_b32 exec_lo, exec_lo, s0
	s_and_b32 s12, s7, exec_lo
.LBB101_440:
	s_andn2_saveexec_b32 s0, s11
	s_cbranch_execnz .LBB101_489
.LBB101_441:
	s_or_b32 exec_lo, exec_lo, s0
	s_and_b32 s11, s12, exec_lo
.LBB101_442:
	s_andn2_saveexec_b32 s0, s10
	s_cbranch_execnz .LBB101_488
.LBB101_443:
	s_or_b32 exec_lo, exec_lo, s0
	s_and_b32 s10, s11, exec_lo
.LBB101_444:
	s_andn2_saveexec_b32 s0, s9
	s_cbranch_execnz .LBB101_483
.LBB101_445:
	s_or_b32 exec_lo, exec_lo, s0
	s_and_b32 s9, s10, exec_lo
	s_andn2_saveexec_b32 s0, s8
	s_cbranch_execz .LBB101_424
.LBB101_446:
	s_or_b32 s9, s9, exec_lo
	s_trap 2
	s_or_b32 exec_lo, exec_lo, s0
	s_and_saveexec_b32 s0, s9
	s_cbranch_execnz .LBB101_425
	s_branch .LBB101_426
.LBB101_447:
	v_add_nc_u32_e32 v1, s58, v0
	v_mov_b32_e32 v2, 0
	v_mov_b32_e32 v3, v0
	s_mov_b32 s18, 0
                                        ; implicit-def: $sgpr19
                                        ; implicit-def: $vgpr11
	v_mul_lo_u32 v1, s48, v1
	s_branch .LBB101_449
.LBB101_448:                            ;   in Loop: Header=BB101_449 Depth=1
	s_or_b32 exec_lo, exec_lo, s21
	s_xor_b32 s3, s20, -1
	s_and_b32 s4, exec_lo, s4
	v_mov_b32_e32 v3, v10
	s_or_b32 s18, s4, s18
	s_waitcnt vmcnt(0)
	v_mov_b32_e32 v9, v12
	s_andn2_b32 s4, s19, exec_lo
	s_and_b32 s3, s3, exec_lo
	s_or_b32 s19, s4, s3
	s_andn2_b32 exec_lo, exec_lo, s18
	s_cbranch_execz .LBB101_463
.LBB101_449:                            ; =>This Inner Loop Header: Depth=1
	v_add_nc_u32_e32 v10, s58, v3
	v_mov_b32_e32 v12, 0
	s_mov_b32 s4, exec_lo
	v_cmpx_gt_u32_e64 s36, v10
	s_cbranch_execz .LBB101_451
; %bb.450:                              ;   in Loop: Header=BB101_449 Depth=1
	v_lshlrev_b64 v[12:13], 1, v[1:2]
	v_add_co_u32 v12, s3, s43, v12
	v_add_co_ci_u32_e64 v13, null, s47, v13, s3
	global_load_ushort v12, v[12:13], off
.LBB101_451:                            ;   in Loop: Header=BB101_449 Depth=1
	s_or_b32 exec_lo, exec_lo, s4
	s_mov_b32 s20, 0
	s_mov_b32 s4, exec_lo
	v_cmpx_gt_u32_e64 s36, v3
	s_cbranch_execz .LBB101_453
; %bb.452:                              ;   in Loop: Header=BB101_449 Depth=1
	s_waitcnt vmcnt(0)
	v_cmp_lt_i16_e64 s3, -1, v9
	v_cndmask_b32_e64 v4, 0xffff, v8, s3
	v_cmp_o_f16_e64 s3, v9, v9
	v_xor_b32_sdwa v4, v4, v9 dst_sel:DWORD dst_unused:UNUSED_PAD src0_sel:DWORD src1_sel:WORD_0
	v_cndmask_b32_e64 v4, 0xffff, v4, s3
	v_cmp_gt_u32_e64 s3, v4, v7
	v_cndmask_b32_e64 v13, 0, 1, s3
	v_cmp_lt_u32_e64 s3, v4, v7
	v_cndmask_b32_e64 v4, 0, 1, s3
	v_cndmask_b32_e64 v4, v4, v13, s2
	v_and_b32_e32 v4, 1, v4
	v_cmp_eq_u32_e64 s3, 1, v4
	s_and_b32 s20, s3, exec_lo
.LBB101_453:                            ;   in Loop: Header=BB101_449 Depth=1
	s_or_b32 exec_lo, exec_lo, s4
	v_cndmask_b32_e64 v4, 0, 1, s20
	v_cmp_ne_u32_e64 s3, 0, v4
	s_cmp_lg_u32 s3, 0
	s_cselect_b32 s4, -1, 0
	s_and_b32 s4, s0, s4
	s_and_saveexec_b32 s21, s4
	s_cbranch_execz .LBB101_457
; %bb.454:                              ;   in Loop: Header=BB101_449 Depth=1
	s_mov_b32 s24, exec_lo
	s_bcnt1_i32_b32 s22, s3
	v_mbcnt_lo_u32_b32 v4, s24, 0
	s_mov_b32 s23, exec_lo
                                        ; implicit-def: $vgpr11
	v_cmpx_eq_u32_e32 0, v4
	s_cbranch_execz .LBB101_456
; %bb.455:                              ;   in Loop: Header=BB101_449 Depth=1
	s_bcnt1_i32_b32 s4, s24
	s_mul_i32 s4, s22, s4
	s_waitcnt lgkmcnt(0)
	v_mov_b32_e32 v11, s4
	ds_add_rtn_u32 v11, v2, v11 offset:4108
.LBB101_456:                            ;   in Loop: Header=BB101_449 Depth=1
	s_or_b32 exec_lo, exec_lo, s23
	s_waitcnt lgkmcnt(0)
	v_readfirstlane_b32 s4, v11
	v_mad_u32_u24 v11, s22, v4, s4
.LBB101_457:                            ;   in Loop: Header=BB101_449 Depth=1
	s_or_b32 exec_lo, exec_lo, s21
	s_waitcnt lgkmcnt(0)
	ds_bpermute_b32 v11, v2, v11
	s_mov_b32 s4, -1
	s_mov_b32 s22, -1
	s_and_saveexec_b32 s21, s20
	s_cbranch_execz .LBB101_461
; %bb.458:                              ;   in Loop: Header=BB101_449 Depth=1
	v_and_b32_e32 v4, s3, v17
	s_mov_b32 s20, 0
	s_mov_b32 s22, exec_lo
	s_waitcnt lgkmcnt(0)
	v_bcnt_u32_b32 v4, v4, v11
	v_cmpx_gt_u32_e64 s37, v4
	s_cbranch_execz .LBB101_460
; %bb.459:                              ;   in Loop: Header=BB101_449 Depth=1
	v_mul_lo_u32 v13, v4, s13
	v_mul_lo_u32 v15, v4, s5
	v_mov_b32_e32 v14, v2
	v_mov_b32_e32 v16, v2
	;; [unrolled: 1-line block ×3, first 2 shown]
	s_mov_b32 s20, exec_lo
	v_lshlrev_b64 v[13:14], 1, v[13:14]
	v_lshlrev_b64 v[15:16], 3, v[15:16]
	v_add_co_u32 v13, s3, s6, v13
	v_add_co_ci_u32_e64 v14, null, s14, v14, s3
	v_add_co_u32 v15, s3, s15, v15
	v_add_co_ci_u32_e64 v16, null, s16, v16, s3
	s_waitcnt vmcnt(0)
	global_store_short v[13:14], v9, off
	global_store_dwordx2 v[15:16], v[3:4], off
.LBB101_460:                            ;   in Loop: Header=BB101_449 Depth=1
	s_or_b32 exec_lo, exec_lo, s22
	s_orn2_b32 s22, s20, exec_lo
.LBB101_461:                            ;   in Loop: Header=BB101_449 Depth=1
	s_or_b32 exec_lo, exec_lo, s21
	s_mov_b32 s20, -1
	s_and_saveexec_b32 s21, s22
	s_cbranch_execz .LBB101_448
; %bb.462:                              ;   in Loop: Header=BB101_449 Depth=1
	v_cmp_le_u32_e64 s3, s12, v10
	v_add_nc_u32_e32 v1, s59, v1
	s_xor_b32 s20, exec_lo, -1
	s_orn2_b32 s4, s3, exec_lo
	s_branch .LBB101_448
.LBB101_463:
	s_or_b32 exec_lo, exec_lo, s18
	s_mov_b32 s3, exec_lo
	s_orn2_b32 s18, s19, exec_lo
	s_or_b32 exec_lo, exec_lo, s17
	s_and_saveexec_b32 s2, s18
	s_cbranch_execz .LBB101_438
.LBB101_464:
	s_waitcnt vmcnt(0)
	v_mov_b32_e32 v9, 0
	s_waitcnt lgkmcnt(0)
	s_waitcnt_vscnt null, 0x0
	s_barrier
	buffer_gl0_inv
	s_and_saveexec_b32 s4, s1
	s_cbranch_execz .LBB101_466
; %bb.465:
	global_load_ushort v9, v[5:6], off
.LBB101_466:
	s_or_b32 exec_lo, exec_lo, s4
	s_mov_b32 s1, 0
	s_and_saveexec_b32 s4, vcc_lo
	s_cbranch_execz .LBB101_486
; %bb.467:
	v_add_nc_u32_e32 v1, s58, v0
	v_mov_b32_e32 v3, 0
	v_mov_b32_e32 v4, 0x8000
	s_mov_b32 s7, 0
                                        ; implicit-def: $sgpr17
                                        ; implicit-def: $vgpr6
	v_mul_lo_u32 v2, s48, v1
	s_branch .LBB101_470
.LBB101_468:                            ;   in Loop: Header=BB101_470 Depth=1
	s_or_b32 exec_lo, exec_lo, s19
	s_orn2_b32 s20, s21, exec_lo
	s_orn2_b32 s18, s18, exec_lo
.LBB101_469:                            ;   in Loop: Header=BB101_470 Depth=1
	s_or_b32 exec_lo, exec_lo, s1
	s_xor_b32 s1, s20, -1
	s_and_b32 s18, exec_lo, s18
	v_mov_b32_e32 v0, v5
	s_or_b32 s7, s18, s7
	v_mov_b32_e32 v9, v8
	s_andn2_b32 s17, s17, exec_lo
	s_and_b32 s1, s1, exec_lo
	s_or_b32 s17, s17, s1
	s_andn2_b32 exec_lo, exec_lo, s7
	s_cbranch_execz .LBB101_484
.LBB101_470:                            ; =>This Inner Loop Header: Depth=1
	v_add_nc_u32_e32 v5, s58, v0
	v_mov_b32_e32 v8, 0
	s_mov_b32 s1, exec_lo
	v_cmpx_gt_u32_e64 s36, v5
	s_cbranch_execz .LBB101_472
; %bb.471:                              ;   in Loop: Header=BB101_470 Depth=1
	v_lshlrev_b64 v[10:11], 1, v[2:3]
	v_add_co_u32 v10, vcc_lo, s43, v10
	v_add_co_ci_u32_e64 v11, null, s47, v11, vcc_lo
	global_load_ushort v8, v[10:11], off
.LBB101_472:                            ;   in Loop: Header=BB101_470 Depth=1
	s_or_b32 exec_lo, exec_lo, s1
	s_waitcnt vmcnt(0)
	v_cmp_lt_i16_e32 vcc_lo, -1, v9
	v_cndmask_b32_e32 v1, 0xffff, v4, vcc_lo
	v_cmp_o_f16_e32 vcc_lo, v9, v9
	v_xor_b32_sdwa v1, v1, v9 dst_sel:DWORD dst_unused:UNUSED_PAD src0_sel:DWORD src1_sel:WORD_0
	v_cndmask_b32_e32 v1, 0xffff, v1, vcc_lo
	v_cmp_gt_u32_e32 vcc_lo, s36, v0
	v_cmp_eq_u32_e64 s1, v1, v7
	s_and_b32 s19, vcc_lo, s1
	v_cndmask_b32_e64 v1, 0, 1, s19
	v_cmp_ne_u32_e32 vcc_lo, 0, v1
	s_cmp_lg_u32 vcc_lo, 0
	s_cselect_b32 s1, -1, 0
	s_and_b32 s1, s0, s1
	s_and_saveexec_b32 s18, s1
	s_cbranch_execz .LBB101_476
; %bb.473:                              ;   in Loop: Header=BB101_470 Depth=1
	s_mov_b32 s22, exec_lo
	s_bcnt1_i32_b32 s20, vcc_lo
	v_mbcnt_lo_u32_b32 v1, s22, 0
	s_mov_b32 s21, exec_lo
                                        ; implicit-def: $vgpr6
	v_cmpx_eq_u32_e32 0, v1
; %bb.474:                              ;   in Loop: Header=BB101_470 Depth=1
	s_bcnt1_i32_b32 s1, s22
	s_mul_i32 s1, s20, s1
	v_mov_b32_e32 v6, s1
	ds_add_rtn_u32 v6, v3, v6 offset:4108
; %bb.475:                              ;   in Loop: Header=BB101_470 Depth=1
	s_or_b32 exec_lo, exec_lo, s21
	s_waitcnt lgkmcnt(0)
	v_readfirstlane_b32 s1, v6
	v_mad_u32_u24 v6, s20, v1, s1
.LBB101_476:                            ;   in Loop: Header=BB101_470 Depth=1
	s_or_b32 exec_lo, exec_lo, s18
	ds_bpermute_b32 v6, v3, v6
	s_cmp_eq_u32 vcc_lo, 0
	s_mov_b32 s18, -1
	s_cselect_b32 s20, -1, 0
	s_waitcnt lgkmcnt(0)
	v_cmp_gt_u32_e64 s1, s37, v6
	s_or_b32 s21, s20, s1
	s_mov_b32 s20, -1
	s_and_saveexec_b32 s1, s21
	s_cbranch_execz .LBB101_469
; %bb.477:                              ;   in Loop: Header=BB101_470 Depth=1
	v_and_b32_e32 v1, vcc_lo, v17
	v_sub_nc_u32_e32 v10, s37, v6
	s_mov_b32 s21, -1
	v_bcnt_u32_b32 v1, v1, 0
	v_bcnt_u32_b32 v1, 0, v1
	v_cmp_gt_u32_e32 vcc_lo, v10, v1
	s_and_b32 s22, s19, vcc_lo
	s_and_saveexec_b32 s19, s22
	s_cbranch_execz .LBB101_481
; %bb.478:                              ;   in Loop: Header=BB101_470 Depth=1
	v_add_nc_u32_e32 v1, v6, v1
	s_mov_b32 s20, 0
	s_mov_b32 s21, exec_lo
	v_cmpx_gt_u32_e64 s37, v1
; %bb.479:                              ;   in Loop: Header=BB101_470 Depth=1
	v_mul_lo_u32 v10, v1, s13
	v_mul_lo_u32 v12, v1, s5
	v_mov_b32_e32 v11, v3
	v_mov_b32_e32 v13, v3
	;; [unrolled: 1-line block ×3, first 2 shown]
	s_mov_b32 s20, exec_lo
	v_lshlrev_b64 v[10:11], 1, v[10:11]
	v_lshlrev_b64 v[12:13], 3, v[12:13]
	v_add_co_u32 v10, vcc_lo, s6, v10
	v_add_co_ci_u32_e64 v11, null, s14, v11, vcc_lo
	v_add_co_u32 v12, vcc_lo, s15, v12
	v_add_co_ci_u32_e64 v13, null, s16, v13, vcc_lo
	global_store_short v[10:11], v9, off
	global_store_dwordx2 v[12:13], v[0:1], off
; %bb.480:                              ;   in Loop: Header=BB101_470 Depth=1
	s_or_b32 exec_lo, exec_lo, s21
	s_xor_b32 s21, exec_lo, -1
	s_orn2_b32 s20, s20, exec_lo
.LBB101_481:                            ;   in Loop: Header=BB101_470 Depth=1
	s_or_b32 exec_lo, exec_lo, s19
	s_and_saveexec_b32 s19, s20
	s_cbranch_execz .LBB101_468
; %bb.482:                              ;   in Loop: Header=BB101_470 Depth=1
	v_cmp_le_u32_e32 vcc_lo, s12, v5
	v_add_nc_u32_e32 v2, s59, v2
	s_or_b32 s21, s21, exec_lo
	s_orn2_b32 s18, vcc_lo, exec_lo
	s_branch .LBB101_468
.LBB101_483:
	s_or_b32 s10, s10, exec_lo
	s_trap 2
	s_branch .LBB101_445
.LBB101_484:
	s_or_b32 exec_lo, exec_lo, s7
	s_mov_b32 s0, 0
	s_and_saveexec_b32 s1, s17
	s_xor_b32 s1, exec_lo, s1
	s_cbranch_execnz .LBB101_490
.LBB101_485:
	s_or_b32 exec_lo, exec_lo, s1
	s_and_b32 s1, s0, exec_lo
.LBB101_486:
	s_or_b32 exec_lo, exec_lo, s4
	s_and_b32 s7, s1, exec_lo
	s_andn2_b32 s3, s3, exec_lo
	s_or_b32 exec_lo, exec_lo, s2
	s_and_saveexec_b32 s0, s3
	s_xor_b32 s0, exec_lo, s0
	s_cbranch_execz .LBB101_439
.LBB101_487:
	s_or_b32 s7, s7, exec_lo
	s_trap 2
	s_branch .LBB101_439
.LBB101_488:
	s_or_b32 s11, s11, exec_lo
	s_trap 2
	s_branch .LBB101_443
.LBB101_489:
	s_or_b32 s12, s12, exec_lo
	s_trap 2
	s_branch .LBB101_441
.LBB101_490:
	s_mov_b32 s0, exec_lo
	s_trap 2
	s_branch .LBB101_485
	.section	.rodata,"a",@progbits
	.p2align	6, 0x0
	.amdhsa_kernel _ZN2at6native6sbtopk10gatherTopKIN3c104HalfEjLi3ELb0EEEvNS_4cuda6detail10TensorInfoIKT_T0_EESA_SA_bSA_SA_NS7_IS8_SA_EESA_NS7_IlSA_EESA_PS8_
		.amdhsa_group_segment_fixed_size 4112
		.amdhsa_private_segment_fixed_size 0
		.amdhsa_kernarg_size 952
		.amdhsa_user_sgpr_count 6
		.amdhsa_user_sgpr_private_segment_buffer 1
		.amdhsa_user_sgpr_dispatch_ptr 0
		.amdhsa_user_sgpr_queue_ptr 0
		.amdhsa_user_sgpr_kernarg_segment_ptr 1
		.amdhsa_user_sgpr_dispatch_id 0
		.amdhsa_user_sgpr_flat_scratch_init 0
		.amdhsa_user_sgpr_private_segment_size 0
		.amdhsa_wavefront_size32 1
		.amdhsa_uses_dynamic_stack 0
		.amdhsa_system_sgpr_private_segment_wavefront_offset 0
		.amdhsa_system_sgpr_workgroup_id_x 1
		.amdhsa_system_sgpr_workgroup_id_y 1
		.amdhsa_system_sgpr_workgroup_id_z 1
		.amdhsa_system_sgpr_workgroup_info 0
		.amdhsa_system_vgpr_workitem_id 0
		.amdhsa_next_free_vgpr 63
		.amdhsa_next_free_sgpr 105
		.amdhsa_reserve_vcc 1
		.amdhsa_reserve_flat_scratch 0
		.amdhsa_float_round_mode_32 0
		.amdhsa_float_round_mode_16_64 0
		.amdhsa_float_denorm_mode_32 3
		.amdhsa_float_denorm_mode_16_64 3
		.amdhsa_dx10_clamp 1
		.amdhsa_ieee_mode 1
		.amdhsa_fp16_overflow 0
		.amdhsa_workgroup_processor_mode 1
		.amdhsa_memory_ordered 1
		.amdhsa_forward_progress 1
		.amdhsa_shared_vgpr_count 0
		.amdhsa_exception_fp_ieee_invalid_op 0
		.amdhsa_exception_fp_denorm_src 0
		.amdhsa_exception_fp_ieee_div_zero 0
		.amdhsa_exception_fp_ieee_overflow 0
		.amdhsa_exception_fp_ieee_underflow 0
		.amdhsa_exception_fp_ieee_inexact 0
		.amdhsa_exception_int_div_zero 0
	.end_amdhsa_kernel
	.section	.text._ZN2at6native6sbtopk10gatherTopKIN3c104HalfEjLi3ELb0EEEvNS_4cuda6detail10TensorInfoIKT_T0_EESA_SA_bSA_SA_NS7_IS8_SA_EESA_NS7_IlSA_EESA_PS8_,"axG",@progbits,_ZN2at6native6sbtopk10gatherTopKIN3c104HalfEjLi3ELb0EEEvNS_4cuda6detail10TensorInfoIKT_T0_EESA_SA_bSA_SA_NS7_IS8_SA_EESA_NS7_IlSA_EESA_PS8_,comdat
.Lfunc_end101:
	.size	_ZN2at6native6sbtopk10gatherTopKIN3c104HalfEjLi3ELb0EEEvNS_4cuda6detail10TensorInfoIKT_T0_EESA_SA_bSA_SA_NS7_IS8_SA_EESA_NS7_IlSA_EESA_PS8_, .Lfunc_end101-_ZN2at6native6sbtopk10gatherTopKIN3c104HalfEjLi3ELb0EEEvNS_4cuda6detail10TensorInfoIKT_T0_EESA_SA_bSA_SA_NS7_IS8_SA_EESA_NS7_IlSA_EESA_PS8_
                                        ; -- End function
	.set _ZN2at6native6sbtopk10gatherTopKIN3c104HalfEjLi3ELb0EEEvNS_4cuda6detail10TensorInfoIKT_T0_EESA_SA_bSA_SA_NS7_IS8_SA_EESA_NS7_IlSA_EESA_PS8_.num_vgpr, 63
	.set _ZN2at6native6sbtopk10gatherTopKIN3c104HalfEjLi3ELb0EEEvNS_4cuda6detail10TensorInfoIKT_T0_EESA_SA_bSA_SA_NS7_IS8_SA_EESA_NS7_IlSA_EESA_PS8_.num_agpr, 0
	.set _ZN2at6native6sbtopk10gatherTopKIN3c104HalfEjLi3ELb0EEEvNS_4cuda6detail10TensorInfoIKT_T0_EESA_SA_bSA_SA_NS7_IS8_SA_EESA_NS7_IlSA_EESA_PS8_.numbered_sgpr, 105
	.set _ZN2at6native6sbtopk10gatherTopKIN3c104HalfEjLi3ELb0EEEvNS_4cuda6detail10TensorInfoIKT_T0_EESA_SA_bSA_SA_NS7_IS8_SA_EESA_NS7_IlSA_EESA_PS8_.num_named_barrier, 0
	.set _ZN2at6native6sbtopk10gatherTopKIN3c104HalfEjLi3ELb0EEEvNS_4cuda6detail10TensorInfoIKT_T0_EESA_SA_bSA_SA_NS7_IS8_SA_EESA_NS7_IlSA_EESA_PS8_.private_seg_size, 0
	.set _ZN2at6native6sbtopk10gatherTopKIN3c104HalfEjLi3ELb0EEEvNS_4cuda6detail10TensorInfoIKT_T0_EESA_SA_bSA_SA_NS7_IS8_SA_EESA_NS7_IlSA_EESA_PS8_.uses_vcc, 1
	.set _ZN2at6native6sbtopk10gatherTopKIN3c104HalfEjLi3ELb0EEEvNS_4cuda6detail10TensorInfoIKT_T0_EESA_SA_bSA_SA_NS7_IS8_SA_EESA_NS7_IlSA_EESA_PS8_.uses_flat_scratch, 0
	.set _ZN2at6native6sbtopk10gatherTopKIN3c104HalfEjLi3ELb0EEEvNS_4cuda6detail10TensorInfoIKT_T0_EESA_SA_bSA_SA_NS7_IS8_SA_EESA_NS7_IlSA_EESA_PS8_.has_dyn_sized_stack, 0
	.set _ZN2at6native6sbtopk10gatherTopKIN3c104HalfEjLi3ELb0EEEvNS_4cuda6detail10TensorInfoIKT_T0_EESA_SA_bSA_SA_NS7_IS8_SA_EESA_NS7_IlSA_EESA_PS8_.has_recursion, 0
	.set _ZN2at6native6sbtopk10gatherTopKIN3c104HalfEjLi3ELb0EEEvNS_4cuda6detail10TensorInfoIKT_T0_EESA_SA_bSA_SA_NS7_IS8_SA_EESA_NS7_IlSA_EESA_PS8_.has_indirect_call, 0
	.section	.AMDGPU.csdata,"",@progbits
; Kernel info:
; codeLenInByte = 17092
; TotalNumSgprs: 107
; NumVgprs: 63
; ScratchSize: 0
; MemoryBound: 0
; FloatMode: 240
; IeeeMode: 1
; LDSByteSize: 4112 bytes/workgroup (compile time only)
; SGPRBlocks: 0
; VGPRBlocks: 7
; NumSGPRsForWavesPerEU: 107
; NumVGPRsForWavesPerEU: 63
; Occupancy: 16
; WaveLimiterHint : 1
; COMPUTE_PGM_RSRC2:SCRATCH_EN: 0
; COMPUTE_PGM_RSRC2:USER_SGPR: 6
; COMPUTE_PGM_RSRC2:TRAP_HANDLER: 0
; COMPUTE_PGM_RSRC2:TGID_X_EN: 1
; COMPUTE_PGM_RSRC2:TGID_Y_EN: 1
; COMPUTE_PGM_RSRC2:TGID_Z_EN: 1
; COMPUTE_PGM_RSRC2:TIDIG_COMP_CNT: 0
	.section	.text._ZN2at6native6mbtopk23computeBlockDigitCountsIN3c104HalfEjjLin1EEEvNS_4cuda6detail10TensorInfoIKT_T0_EEjPjjSA_iijT1_PSD_Ps,"axG",@progbits,_ZN2at6native6mbtopk23computeBlockDigitCountsIN3c104HalfEjjLin1EEEvNS_4cuda6detail10TensorInfoIKT_T0_EEjPjjSA_iijT1_PSD_Ps,comdat
	.protected	_ZN2at6native6mbtopk23computeBlockDigitCountsIN3c104HalfEjjLin1EEEvNS_4cuda6detail10TensorInfoIKT_T0_EEjPjjSA_iijT1_PSD_Ps ; -- Begin function _ZN2at6native6mbtopk23computeBlockDigitCountsIN3c104HalfEjjLin1EEEvNS_4cuda6detail10TensorInfoIKT_T0_EEjPjjSA_iijT1_PSD_Ps
	.globl	_ZN2at6native6mbtopk23computeBlockDigitCountsIN3c104HalfEjjLin1EEEvNS_4cuda6detail10TensorInfoIKT_T0_EEjPjjSA_iijT1_PSD_Ps
	.p2align	8
	.type	_ZN2at6native6mbtopk23computeBlockDigitCountsIN3c104HalfEjjLin1EEEvNS_4cuda6detail10TensorInfoIKT_T0_EEjPjjSA_iijT1_PSD_Ps,@function
_ZN2at6native6mbtopk23computeBlockDigitCountsIN3c104HalfEjjLin1EEEvNS_4cuda6detail10TensorInfoIKT_T0_EEjPjjSA_iijT1_PSD_Ps: ; @_ZN2at6native6mbtopk23computeBlockDigitCountsIN3c104HalfEjjLin1EEEvNS_4cuda6detail10TensorInfoIKT_T0_EEjPjjSA_iijT1_PSD_Ps
; %bb.0:
	s_clause 0x2
	s_load_dwordx2 s[10:11], s[4:5], 0xf8
	s_load_dwordx4 s[12:15], s[4:5], 0xe8
	s_load_dwordx2 s[0:1], s[4:5], 0x110
	s_waitcnt lgkmcnt(0)
	v_cvt_f32_u32_e32 v1, s10
	s_sub_i32 s3, 0, s10
	s_mul_i32 s1, s1, s8
	s_add_i32 s1, s1, s7
	v_rcp_iflag_f32_e32 v1, v1
	s_mul_i32 s16, s1, s0
	s_mov_b32 s7, 0
	s_add_i32 s16, s16, s6
	v_mul_f32_e32 v1, 0x4f7ffffe, v1
	v_cvt_u32_f32_e32 v1, v1
	v_readfirstlane_b32 s2, v1
	s_mul_i32 s3, s3, s2
	s_mul_hi_u32 s0, s2, s3
	s_add_i32 s2, s2, s0
	s_mul_hi_u32 s0, s16, s2
	s_mul_i32 s1, s0, s10
	s_add_i32 s2, s0, 1
	s_sub_i32 s1, s16, s1
	s_sub_i32 s3, s1, s10
	s_cmp_ge_u32 s1, s10
	s_cselect_b32 s0, s2, s0
	s_cselect_b32 s1, s3, s1
	s_add_i32 s2, s0, 1
	s_cmp_ge_u32 s1, s10
	s_cselect_b32 s6, s2, s0
	s_cmp_ge_u32 s6, s12
	s_cbranch_scc1 .LBB102_30
; %bb.1:
	s_clause 0x1
	s_load_dwordx4 s[0:3], s[4:5], 0x100
	s_load_dword s8, s[4:5], 0xd0
	s_lshl_b64 s[18:19], s[6:7], 2
	s_mov_b32 s17, s6
	s_waitcnt lgkmcnt(0)
	s_add_u32 s0, s0, s18
	s_addc_u32 s1, s1, s19
	s_cmp_lt_i32 s8, 2
	s_cbranch_scc1 .LBB102_4
; %bb.2:
	s_add_i32 s18, s8, -1
	s_mov_b32 s19, 0
	s_add_i32 s12, s8, 1
	s_lshl_b64 s[20:21], s[18:19], 2
	s_mov_b32 s17, s6
	s_add_u32 s7, s4, s20
	s_addc_u32 s9, s5, s21
	s_add_u32 s8, s7, 8
	s_addc_u32 s9, s9, 0
	s_mov_b32 s7, s19
	s_inst_prefetch 0x1
	.p2align	6
.LBB102_3:                              ; =>This Inner Loop Header: Depth=1
	s_clause 0x1
	s_load_dword s18, s[8:9], 0x0
	s_load_dword s19, s[8:9], 0x64
	s_mov_b32 s22, s17
	s_waitcnt lgkmcnt(0)
	v_cvt_f32_u32_e32 v1, s18
	s_sub_i32 s21, 0, s18
	v_rcp_iflag_f32_e32 v1, v1
	v_mul_f32_e32 v1, 0x4f7ffffe, v1
	v_cvt_u32_f32_e32 v1, v1
	v_readfirstlane_b32 s20, v1
	s_mul_i32 s21, s21, s20
	s_mul_hi_u32 s21, s20, s21
	s_add_i32 s20, s20, s21
	s_mul_hi_u32 s17, s17, s20
	s_mul_i32 s20, s17, s18
	s_add_i32 s21, s17, 1
	s_sub_i32 s20, s22, s20
	s_sub_i32 s23, s20, s18
	s_cmp_ge_u32 s20, s18
	s_cselect_b32 s17, s21, s17
	s_cselect_b32 s20, s23, s20
	s_add_i32 s21, s17, 1
	s_cmp_ge_u32 s20, s18
	s_cselect_b32 s17, s21, s17
	s_add_i32 s12, s12, -1
	s_mul_i32 s18, s17, s18
	s_sub_i32 s18, s22, s18
	s_mul_i32 s18, s19, s18
	s_add_i32 s7, s18, s7
	s_add_u32 s8, s8, -4
	s_addc_u32 s9, s9, -1
	s_cmp_gt_u32 s12, 2
	s_cbranch_scc1 .LBB102_3
.LBB102_4:
	s_inst_prefetch 0x2
	s_load_dword s8, s[0:1], 0x0
	v_cmp_gt_u32_e32 vcc_lo, 0x100, v0
	v_lshlrev_b32_e32 v3, 2, v0
	s_and_saveexec_b32 s0, vcc_lo
; %bb.5:
	v_mov_b32_e32 v1, 0
	ds_write_b32 v3, v1
; %bb.6:
	s_or_b32 exec_lo, exec_lo, s0
	s_load_dword s9, s[4:5], 0xd8
	s_mul_i32 s0, s6, s10
	s_waitcnt lgkmcnt(0)
	s_sub_i32 s0, s16, s0
	s_barrier
	s_mul_i32 s1, s15, s0
	s_add_i32 s6, s0, 1
	s_lshl_b32 s12, s1, 8
	buffer_gl0_inv
	s_sub_i32 s1, s9, s12
	s_add_u32 s0, s1, 0xff
	s_addc_u32 s1, 0, 0
	s_lshr_b64 s[0:1], s[0:1], 8
	s_cmp_lt_u32 s6, s10
	s_mov_b32 s1, 0
	s_cselect_b32 s10, s15, s0
	s_cmp_lt_i32 s10, 1
	s_cbranch_scc1 .LBB102_28
; %bb.7:
	s_clause 0x1
	s_load_dword s0, s[4:5], 0x6c
	s_load_dwordx2 s[4:5], s[4:5], 0x0
	s_waitcnt lgkmcnt(0)
	s_mul_i32 s0, s0, s17
	s_add_i32 s0, s0, s7
	s_lshl_b64 s[6:7], s[0:1], 1
	s_add_u32 s4, s4, s6
	s_addc_u32 s5, s5, s7
	s_and_b32 s6, s14, 0xff
	s_cmp_lt_u32 s10, 4
	s_cbranch_scc1 .LBB102_22
; %bb.8:
	v_add_nc_u32_e32 v1, s12, v0
	v_mov_b32_e32 v9, 1
	v_mov_b32_e32 v10, 0x8000
	s_and_b32 s1, s10, 0x7ffffffc
	s_lshl_b32 s7, s13, 10
	v_add_nc_u32_e32 v4, 0x300, v1
	v_add_nc_u32_e32 v2, 0x200, v1
	;; [unrolled: 1-line block ×3, first 2 shown]
	v_mul_lo_u32 v8, s13, v1
	s_mov_b32 s14, 0
	v_mul_lo_u32 v5, s13, v4
	v_mul_lo_u32 v6, s13, v2
	;; [unrolled: 1-line block ×3, first 2 shown]
	v_mov_b32_e32 v2, 0
	s_mov_b32 s15, 0
	s_branch .LBB102_10
.LBB102_9:                              ;   in Loop: Header=BB102_10 Depth=1
	s_or_b32 exec_lo, exec_lo, s17
	v_add_nc_u32_e32 v4, 0x400, v4
	s_add_i32 s15, s15, 4
	s_add_i32 s14, s14, s7
	s_cmp_eq_u32 s1, s15
	s_cbranch_scc1 .LBB102_22
.LBB102_10:                             ; =>This Inner Loop Header: Depth=1
	v_add_nc_u32_e32 v1, 0xfffffd00, v4
	s_mov_b32 s17, exec_lo
	v_cmpx_gt_u32_e64 s9, v1
	s_cbranch_execz .LBB102_13
; %bb.11:                               ;   in Loop: Header=BB102_10 Depth=1
	v_add_nc_u32_e32 v1, s14, v8
	v_lshlrev_b64 v[11:12], 1, v[1:2]
	v_add_co_u32 v11, s0, s4, v11
	v_add_co_ci_u32_e64 v12, null, s5, v12, s0
	global_load_ushort v1, v[11:12], off
	s_waitcnt vmcnt(0)
	v_cmp_lt_i16_e64 s0, -1, v1
	v_cndmask_b32_e64 v11, 0xffff, v10, s0
	v_cmp_o_f16_e64 s0, v1, v1
	v_xor_b32_sdwa v11, v11, v1 dst_sel:DWORD dst_unused:UNUSED_PAD src0_sel:DWORD src1_sel:WORD_0
	v_cndmask_b32_e64 v1, 0xffff, v11, s0
	v_xor_b32_e32 v11, s8, v1
	v_and_b32_e32 v11, s11, v11
	v_cmp_eq_u32_e64 s0, 0, v11
	s_and_b32 exec_lo, exec_lo, s0
; %bb.12:                               ;   in Loop: Header=BB102_10 Depth=1
	v_bfe_u32 v1, v1, s6, 8
	v_lshlrev_b32_e32 v1, 2, v1
	ds_add_u32 v1, v9
.LBB102_13:                             ;   in Loop: Header=BB102_10 Depth=1
	s_or_b32 exec_lo, exec_lo, s17
	v_add_nc_u32_e32 v1, 0xfffffe00, v4
	s_mov_b32 s17, exec_lo
	v_cmpx_gt_u32_e64 s9, v1
	s_cbranch_execz .LBB102_16
; %bb.14:                               ;   in Loop: Header=BB102_10 Depth=1
	v_add_nc_u32_e32 v1, s14, v7
	v_lshlrev_b64 v[11:12], 1, v[1:2]
	v_add_co_u32 v11, s0, s4, v11
	v_add_co_ci_u32_e64 v12, null, s5, v12, s0
	global_load_ushort v1, v[11:12], off
	s_waitcnt vmcnt(0)
	v_cmp_lt_i16_e64 s0, -1, v1
	v_cndmask_b32_e64 v11, 0xffff, v10, s0
	v_cmp_o_f16_e64 s0, v1, v1
	v_xor_b32_sdwa v11, v11, v1 dst_sel:DWORD dst_unused:UNUSED_PAD src0_sel:DWORD src1_sel:WORD_0
	v_cndmask_b32_e64 v1, 0xffff, v11, s0
	v_xor_b32_e32 v11, s8, v1
	v_and_b32_e32 v11, s11, v11
	v_cmp_eq_u32_e64 s0, 0, v11
	s_and_b32 exec_lo, exec_lo, s0
; %bb.15:                               ;   in Loop: Header=BB102_10 Depth=1
	v_bfe_u32 v1, v1, s6, 8
	v_lshlrev_b32_e32 v1, 2, v1
	ds_add_u32 v1, v9
.LBB102_16:                             ;   in Loop: Header=BB102_10 Depth=1
	s_or_b32 exec_lo, exec_lo, s17
	;; [unrolled: 26-line block ×3, first 2 shown]
	s_mov_b32 s17, exec_lo
	v_cmpx_gt_u32_e64 s9, v4
	s_cbranch_execz .LBB102_9
; %bb.20:                               ;   in Loop: Header=BB102_10 Depth=1
	v_add_nc_u32_e32 v1, s14, v5
	v_lshlrev_b64 v[11:12], 1, v[1:2]
	v_add_co_u32 v11, s0, s4, v11
	v_add_co_ci_u32_e64 v12, null, s5, v12, s0
	global_load_ushort v1, v[11:12], off
	s_waitcnt vmcnt(0)
	v_cmp_lt_i16_e64 s0, -1, v1
	v_cndmask_b32_e64 v11, 0xffff, v10, s0
	v_cmp_o_f16_e64 s0, v1, v1
	v_xor_b32_sdwa v11, v11, v1 dst_sel:DWORD dst_unused:UNUSED_PAD src0_sel:DWORD src1_sel:WORD_0
	v_cndmask_b32_e64 v1, 0xffff, v11, s0
	v_xor_b32_e32 v11, s8, v1
	v_and_b32_e32 v11, s11, v11
	v_cmp_eq_u32_e64 s0, 0, v11
	s_and_b32 exec_lo, exec_lo, s0
	s_cbranch_execz .LBB102_9
; %bb.21:                               ;   in Loop: Header=BB102_10 Depth=1
	v_bfe_u32 v1, v1, s6, 8
	v_lshlrev_b32_e32 v1, 2, v1
	ds_add_u32 v1, v9
	s_branch .LBB102_9
.LBB102_22:
	s_and_b32 s7, s10, 3
	s_cmp_eq_u32 s7, 0
	s_cbranch_scc1 .LBB102_28
; %bb.23:
	s_lshl_b32 s0, s1, 8
	v_mov_b32_e32 v2, 0
	v_add3_u32 v4, s0, s12, v0
	v_mov_b32_e32 v5, 1
	v_mov_b32_e32 v6, 0x8000
	s_lshl_b32 s1, s13, 8
	v_mul_lo_u32 v1, s13, v4
	s_inst_prefetch 0x1
	s_branch .LBB102_25
	.p2align	6
.LBB102_24:                             ;   in Loop: Header=BB102_25 Depth=1
	s_or_b32 exec_lo, exec_lo, s10
	v_add_nc_u32_e32 v1, s1, v1
	v_add_nc_u32_e32 v4, 0x100, v4
	s_add_i32 s7, s7, -1
	s_cmp_lg_u32 s7, 0
	s_cbranch_scc0 .LBB102_28
.LBB102_25:                             ; =>This Inner Loop Header: Depth=1
	s_mov_b32 s10, exec_lo
	v_cmpx_gt_u32_e64 s9, v4
	s_cbranch_execz .LBB102_24
; %bb.26:                               ;   in Loop: Header=BB102_25 Depth=1
	v_lshlrev_b64 v[7:8], 1, v[1:2]
	v_add_co_u32 v7, s0, s4, v7
	v_add_co_ci_u32_e64 v8, null, s5, v8, s0
	global_load_ushort v7, v[7:8], off
	s_waitcnt vmcnt(0)
	v_cmp_lt_i16_e64 s0, -1, v7
	v_cndmask_b32_e64 v8, 0xffff, v6, s0
	v_cmp_o_f16_e64 s0, v7, v7
	v_xor_b32_sdwa v8, v8, v7 dst_sel:DWORD dst_unused:UNUSED_PAD src0_sel:DWORD src1_sel:WORD_0
	v_cndmask_b32_e64 v7, 0xffff, v8, s0
	v_xor_b32_e32 v8, s8, v7
	v_and_b32_e32 v8, s11, v8
	v_cmp_eq_u32_e64 s0, 0, v8
	s_and_b32 exec_lo, exec_lo, s0
	s_cbranch_execz .LBB102_24
; %bb.27:                               ;   in Loop: Header=BB102_25 Depth=1
	v_bfe_u32 v7, v7, s6, 8
	v_lshlrev_b32_e32 v7, 2, v7
	ds_add_u32 v7, v5
	s_branch .LBB102_24
.LBB102_28:
	s_inst_prefetch 0x2
	s_waitcnt lgkmcnt(0)
	s_barrier
	buffer_gl0_inv
	s_and_saveexec_b32 s0, vcc_lo
	s_cbranch_execz .LBB102_30
; %bb.29:
	ds_read_b32 v2, v3
	v_lshl_or_b32 v0, s16, 8, v0
	v_mov_b32_e32 v1, 0
	v_lshlrev_b64 v[0:1], 1, v[0:1]
	v_add_co_u32 v0, vcc_lo, s2, v0
	v_add_co_ci_u32_e64 v1, null, s3, v1, vcc_lo
	s_waitcnt lgkmcnt(0)
	global_store_short v[0:1], v2, off
.LBB102_30:
	s_endpgm
	.section	.rodata,"a",@progbits
	.p2align	6, 0x0
	.amdhsa_kernel _ZN2at6native6mbtopk23computeBlockDigitCountsIN3c104HalfEjjLin1EEEvNS_4cuda6detail10TensorInfoIKT_T0_EEjPjjSA_iijT1_PSD_Ps
		.amdhsa_group_segment_fixed_size 1024
		.amdhsa_private_segment_fixed_size 0
		.amdhsa_kernarg_size 528
		.amdhsa_user_sgpr_count 6
		.amdhsa_user_sgpr_private_segment_buffer 1
		.amdhsa_user_sgpr_dispatch_ptr 0
		.amdhsa_user_sgpr_queue_ptr 0
		.amdhsa_user_sgpr_kernarg_segment_ptr 1
		.amdhsa_user_sgpr_dispatch_id 0
		.amdhsa_user_sgpr_flat_scratch_init 0
		.amdhsa_user_sgpr_private_segment_size 0
		.amdhsa_wavefront_size32 1
		.amdhsa_uses_dynamic_stack 0
		.amdhsa_system_sgpr_private_segment_wavefront_offset 0
		.amdhsa_system_sgpr_workgroup_id_x 1
		.amdhsa_system_sgpr_workgroup_id_y 1
		.amdhsa_system_sgpr_workgroup_id_z 1
		.amdhsa_system_sgpr_workgroup_info 0
		.amdhsa_system_vgpr_workitem_id 0
		.amdhsa_next_free_vgpr 13
		.amdhsa_next_free_sgpr 24
		.amdhsa_reserve_vcc 1
		.amdhsa_reserve_flat_scratch 0
		.amdhsa_float_round_mode_32 0
		.amdhsa_float_round_mode_16_64 0
		.amdhsa_float_denorm_mode_32 3
		.amdhsa_float_denorm_mode_16_64 3
		.amdhsa_dx10_clamp 1
		.amdhsa_ieee_mode 1
		.amdhsa_fp16_overflow 0
		.amdhsa_workgroup_processor_mode 1
		.amdhsa_memory_ordered 1
		.amdhsa_forward_progress 1
		.amdhsa_shared_vgpr_count 0
		.amdhsa_exception_fp_ieee_invalid_op 0
		.amdhsa_exception_fp_denorm_src 0
		.amdhsa_exception_fp_ieee_div_zero 0
		.amdhsa_exception_fp_ieee_overflow 0
		.amdhsa_exception_fp_ieee_underflow 0
		.amdhsa_exception_fp_ieee_inexact 0
		.amdhsa_exception_int_div_zero 0
	.end_amdhsa_kernel
	.section	.text._ZN2at6native6mbtopk23computeBlockDigitCountsIN3c104HalfEjjLin1EEEvNS_4cuda6detail10TensorInfoIKT_T0_EEjPjjSA_iijT1_PSD_Ps,"axG",@progbits,_ZN2at6native6mbtopk23computeBlockDigitCountsIN3c104HalfEjjLin1EEEvNS_4cuda6detail10TensorInfoIKT_T0_EEjPjjSA_iijT1_PSD_Ps,comdat
.Lfunc_end102:
	.size	_ZN2at6native6mbtopk23computeBlockDigitCountsIN3c104HalfEjjLin1EEEvNS_4cuda6detail10TensorInfoIKT_T0_EEjPjjSA_iijT1_PSD_Ps, .Lfunc_end102-_ZN2at6native6mbtopk23computeBlockDigitCountsIN3c104HalfEjjLin1EEEvNS_4cuda6detail10TensorInfoIKT_T0_EEjPjjSA_iijT1_PSD_Ps
                                        ; -- End function
	.set _ZN2at6native6mbtopk23computeBlockDigitCountsIN3c104HalfEjjLin1EEEvNS_4cuda6detail10TensorInfoIKT_T0_EEjPjjSA_iijT1_PSD_Ps.num_vgpr, 13
	.set _ZN2at6native6mbtopk23computeBlockDigitCountsIN3c104HalfEjjLin1EEEvNS_4cuda6detail10TensorInfoIKT_T0_EEjPjjSA_iijT1_PSD_Ps.num_agpr, 0
	.set _ZN2at6native6mbtopk23computeBlockDigitCountsIN3c104HalfEjjLin1EEEvNS_4cuda6detail10TensorInfoIKT_T0_EEjPjjSA_iijT1_PSD_Ps.numbered_sgpr, 24
	.set _ZN2at6native6mbtopk23computeBlockDigitCountsIN3c104HalfEjjLin1EEEvNS_4cuda6detail10TensorInfoIKT_T0_EEjPjjSA_iijT1_PSD_Ps.num_named_barrier, 0
	.set _ZN2at6native6mbtopk23computeBlockDigitCountsIN3c104HalfEjjLin1EEEvNS_4cuda6detail10TensorInfoIKT_T0_EEjPjjSA_iijT1_PSD_Ps.private_seg_size, 0
	.set _ZN2at6native6mbtopk23computeBlockDigitCountsIN3c104HalfEjjLin1EEEvNS_4cuda6detail10TensorInfoIKT_T0_EEjPjjSA_iijT1_PSD_Ps.uses_vcc, 1
	.set _ZN2at6native6mbtopk23computeBlockDigitCountsIN3c104HalfEjjLin1EEEvNS_4cuda6detail10TensorInfoIKT_T0_EEjPjjSA_iijT1_PSD_Ps.uses_flat_scratch, 0
	.set _ZN2at6native6mbtopk23computeBlockDigitCountsIN3c104HalfEjjLin1EEEvNS_4cuda6detail10TensorInfoIKT_T0_EEjPjjSA_iijT1_PSD_Ps.has_dyn_sized_stack, 0
	.set _ZN2at6native6mbtopk23computeBlockDigitCountsIN3c104HalfEjjLin1EEEvNS_4cuda6detail10TensorInfoIKT_T0_EEjPjjSA_iijT1_PSD_Ps.has_recursion, 0
	.set _ZN2at6native6mbtopk23computeBlockDigitCountsIN3c104HalfEjjLin1EEEvNS_4cuda6detail10TensorInfoIKT_T0_EEjPjjSA_iijT1_PSD_Ps.has_indirect_call, 0
	.section	.AMDGPU.csdata,"",@progbits
; Kernel info:
; codeLenInByte = 1672
; TotalNumSgprs: 26
; NumVgprs: 13
; ScratchSize: 0
; MemoryBound: 0
; FloatMode: 240
; IeeeMode: 1
; LDSByteSize: 1024 bytes/workgroup (compile time only)
; SGPRBlocks: 0
; VGPRBlocks: 1
; NumSGPRsForWavesPerEU: 26
; NumVGPRsForWavesPerEU: 13
; Occupancy: 16
; WaveLimiterHint : 1
; COMPUTE_PGM_RSRC2:SCRATCH_EN: 0
; COMPUTE_PGM_RSRC2:USER_SGPR: 6
; COMPUTE_PGM_RSRC2:TRAP_HANDLER: 0
; COMPUTE_PGM_RSRC2:TGID_X_EN: 1
; COMPUTE_PGM_RSRC2:TGID_Y_EN: 1
; COMPUTE_PGM_RSRC2:TGID_Z_EN: 1
; COMPUTE_PGM_RSRC2:TIDIG_COMP_CNT: 0
	.section	.text._ZN2at6native6mbtopk10gatherTopKIN3c104HalfEjLin1EEEvNS_4cuda6detail10TensorInfoIKT_T0_EESA_SA_bjSA_NS7_IS8_SA_EESA_NS7_IlSA_EESA_jjPS8_PjSF_j,"axG",@progbits,_ZN2at6native6mbtopk10gatherTopKIN3c104HalfEjLin1EEEvNS_4cuda6detail10TensorInfoIKT_T0_EESA_SA_bjSA_NS7_IS8_SA_EESA_NS7_IlSA_EESA_jjPS8_PjSF_j,comdat
	.protected	_ZN2at6native6mbtopk10gatherTopKIN3c104HalfEjLin1EEEvNS_4cuda6detail10TensorInfoIKT_T0_EESA_SA_bjSA_NS7_IS8_SA_EESA_NS7_IlSA_EESA_jjPS8_PjSF_j ; -- Begin function _ZN2at6native6mbtopk10gatherTopKIN3c104HalfEjLin1EEEvNS_4cuda6detail10TensorInfoIKT_T0_EESA_SA_bjSA_NS7_IS8_SA_EESA_NS7_IlSA_EESA_jjPS8_PjSF_j
	.globl	_ZN2at6native6mbtopk10gatherTopKIN3c104HalfEjLin1EEEvNS_4cuda6detail10TensorInfoIKT_T0_EESA_SA_bjSA_NS7_IS8_SA_EESA_NS7_IlSA_EESA_jjPS8_PjSF_j
	.p2align	8
	.type	_ZN2at6native6mbtopk10gatherTopKIN3c104HalfEjLin1EEEvNS_4cuda6detail10TensorInfoIKT_T0_EESA_SA_bjSA_NS7_IS8_SA_EESA_NS7_IlSA_EESA_jjPS8_PjSF_j,@function
_ZN2at6native6mbtopk10gatherTopKIN3c104HalfEjLin1EEEvNS_4cuda6detail10TensorInfoIKT_T0_EESA_SA_bjSA_NS7_IS8_SA_EESA_NS7_IlSA_EESA_jjPS8_PjSF_j: ; @_ZN2at6native6mbtopk10gatherTopKIN3c104HalfEjLin1EEEvNS_4cuda6detail10TensorInfoIKT_T0_EESA_SA_bjSA_NS7_IS8_SA_EESA_NS7_IlSA_EESA_jjPS8_PjSF_j
; %bb.0:
	s_clause 0x1
	s_load_dwordx2 s[0:1], s[4:5], 0x2d8
	s_load_dword s2, s[4:5], 0x2d0
	s_waitcnt lgkmcnt(0)
	s_mul_i32 s1, s1, s8
	s_add_i32 s1, s1, s7
	s_mul_i32 s13, s1, s0
	s_add_i32 s13, s13, s6
	s_cmp_ge_u32 s13, s2
	s_cbranch_scc1 .LBB103_49
; %bb.1:
	s_clause 0x1
	s_load_dwordx4 s[8:11], s[4:5], 0x2a8
	s_load_dword s0, s[4:5], 0xd0
	s_mov_b32 s7, 0
	s_waitcnt lgkmcnt(0)
	v_cvt_f32_u32_e32 v1, s10
	s_sub_i32 s2, 0, s10
	v_rcp_iflag_f32_e32 v1, v1
	v_mul_f32_e32 v1, 0x4f7ffffe, v1
	v_cvt_u32_f32_e32 v1, v1
	v_readfirstlane_b32 s1, v1
	s_mul_i32 s2, s2, s1
	s_mul_hi_u32 s2, s1, s2
	s_add_i32 s1, s1, s2
	s_mul_hi_u32 s1, s13, s1
	s_mul_i32 s2, s1, s10
	s_add_i32 s3, s1, 1
	s_sub_i32 s2, s13, s2
	s_sub_i32 s6, s2, s10
	s_cmp_ge_u32 s2, s10
	s_cselect_b32 s1, s3, s1
	s_cselect_b32 s2, s6, s2
	s_add_i32 s3, s1, 1
	s_cmp_ge_u32 s2, s10
	s_cselect_b32 s16, s3, s1
	s_cmp_lt_i32 s0, 2
	s_mov_b32 s6, s16
	s_cbranch_scc1 .LBB103_4
; %bb.2:
	s_add_i32 s6, s0, -1
	s_add_i32 s2, s0, 1
	s_lshl_b64 s[14:15], s[6:7], 2
	s_mov_b32 s6, s16
	s_add_u32 s0, s4, s14
	s_addc_u32 s1, s5, s15
	s_add_u32 s0, s0, 8
	s_addc_u32 s1, s1, 0
	s_inst_prefetch 0x1
	.p2align	6
.LBB103_3:                              ; =>This Inner Loop Header: Depth=1
	s_clause 0x1
	s_load_dword s3, s[0:1], 0x0
	s_load_dword s11, s[0:1], 0x64
	s_mov_b32 s15, s6
	s_waitcnt lgkmcnt(0)
	v_cvt_f32_u32_e32 v1, s3
	s_sub_i32 s14, 0, s3
	v_rcp_iflag_f32_e32 v1, v1
	v_mul_f32_e32 v1, 0x4f7ffffe, v1
	v_cvt_u32_f32_e32 v1, v1
	v_readfirstlane_b32 s12, v1
	s_mul_i32 s14, s14, s12
	s_mul_hi_u32 s14, s12, s14
	s_add_i32 s12, s12, s14
	s_mul_hi_u32 s6, s6, s12
	s_mul_i32 s12, s6, s3
	s_add_i32 s14, s6, 1
	s_sub_i32 s12, s15, s12
	s_sub_i32 s17, s12, s3
	s_cmp_ge_u32 s12, s3
	s_cselect_b32 s6, s14, s6
	s_cselect_b32 s12, s17, s12
	s_add_i32 s14, s6, 1
	s_cmp_ge_u32 s12, s3
	s_cselect_b32 s6, s14, s6
	s_add_i32 s2, s2, -1
	s_mul_i32 s3, s6, s3
	s_sub_i32 s3, s15, s3
	s_mul_i32 s3, s11, s3
	s_add_i32 s7, s3, s7
	s_add_u32 s0, s0, -4
	s_addc_u32 s1, s1, -1
	s_cmp_gt_u32 s2, 2
	s_cbranch_scc1 .LBB103_3
.LBB103_4:
	s_inst_prefetch 0x2
	s_load_dword s2, s[4:5], 0x1c0
	s_add_u32 s0, s4, 0xf0
	s_addc_u32 s1, s5, 0
	s_mov_b32 s19, 0
	s_mov_b32 s11, s16
	s_waitcnt lgkmcnt(0)
	s_cmp_lt_i32 s2, 2
	s_cbranch_scc1 .LBB103_7
; %bb.5:
	s_add_i32 s18, s2, -1
	s_add_i32 s12, s2, 1
	s_lshl_b64 s[14:15], s[18:19], 2
	s_mov_b32 s11, s16
	s_add_u32 s2, s0, s14
	s_addc_u32 s3, s1, s15
	s_add_u32 s2, s2, 8
	s_addc_u32 s3, s3, 0
	s_inst_prefetch 0x1
	.p2align	6
.LBB103_6:                              ; =>This Inner Loop Header: Depth=1
	s_clause 0x1
	s_load_dword s14, s[2:3], 0x0
	s_load_dword s15, s[2:3], 0x64
	s_mov_b32 s20, s11
	s_waitcnt lgkmcnt(0)
	v_cvt_f32_u32_e32 v1, s14
	s_sub_i32 s18, 0, s14
	v_rcp_iflag_f32_e32 v1, v1
	v_mul_f32_e32 v1, 0x4f7ffffe, v1
	v_cvt_u32_f32_e32 v1, v1
	v_readfirstlane_b32 s17, v1
	s_mul_i32 s18, s18, s17
	s_mul_hi_u32 s18, s17, s18
	s_add_i32 s17, s17, s18
	s_mul_hi_u32 s11, s11, s17
	s_mul_i32 s17, s11, s14
	s_add_i32 s18, s11, 1
	s_sub_i32 s17, s20, s17
	s_sub_i32 s21, s17, s14
	s_cmp_ge_u32 s17, s14
	s_cselect_b32 s11, s18, s11
	s_cselect_b32 s17, s21, s17
	s_add_i32 s18, s11, 1
	s_cmp_ge_u32 s17, s14
	s_cselect_b32 s11, s18, s11
	s_add_i32 s12, s12, -1
	s_mul_i32 s14, s11, s14
	s_sub_i32 s14, s20, s14
	s_mul_i32 s14, s15, s14
	s_add_i32 s19, s14, s19
	s_add_u32 s2, s2, -4
	s_addc_u32 s3, s3, -1
	s_cmp_gt_u32 s12, 2
	s_cbranch_scc1 .LBB103_6
.LBB103_7:
	s_inst_prefetch 0x2
	s_clause 0x1
	s_load_dword s18, s[4:5], 0x6c
	s_load_dword s2, s[4:5], 0x2a0
	s_add_u32 s3, s4, 0x1d0
	s_addc_u32 s14, s5, 0
	s_mov_b32 s21, 0
	s_mov_b32 s20, s16
	s_waitcnt lgkmcnt(0)
	s_cmp_lt_i32 s2, 2
	s_cbranch_scc1 .LBB103_10
; %bb.8:
	s_add_i32 s20, s2, -1
	s_add_i32 s12, s2, 1
	s_lshl_b64 s[22:23], s[20:21], 2
	s_mov_b32 s20, s16
	s_add_u32 s2, s3, s22
	s_addc_u32 s3, s14, s23
	s_add_u32 s2, s2, 8
	s_addc_u32 s3, s3, 0
	s_inst_prefetch 0x1
	.p2align	6
.LBB103_9:                              ; =>This Inner Loop Header: Depth=1
	s_clause 0x1
	s_load_dword s14, s[2:3], 0x0
	s_load_dword s15, s[2:3], 0x64
	s_mov_b32 s23, s20
	s_waitcnt lgkmcnt(0)
	v_cvt_f32_u32_e32 v1, s14
	s_sub_i32 s22, 0, s14
	v_rcp_iflag_f32_e32 v1, v1
	v_mul_f32_e32 v1, 0x4f7ffffe, v1
	v_cvt_u32_f32_e32 v1, v1
	v_readfirstlane_b32 s17, v1
	s_mul_i32 s22, s22, s17
	s_mul_hi_u32 s22, s17, s22
	s_add_i32 s17, s17, s22
	s_mul_hi_u32 s17, s20, s17
	s_mul_i32 s20, s17, s14
	s_add_i32 s22, s17, 1
	s_sub_i32 s20, s23, s20
	s_sub_i32 s24, s20, s14
	s_cmp_ge_u32 s20, s14
	s_cselect_b32 s17, s22, s17
	s_cselect_b32 s20, s24, s20
	s_add_i32 s22, s17, 1
	s_cmp_ge_u32 s20, s14
	s_cselect_b32 s20, s22, s17
	s_add_i32 s12, s12, -1
	s_mul_i32 s14, s20, s14
	s_sub_i32 s14, s23, s14
	s_mul_i32 s14, s15, s14
	s_add_i32 s21, s14, s21
	s_add_u32 s2, s2, -4
	s_addc_u32 s3, s3, -1
	s_cmp_gt_u32 s12, 2
	s_cbranch_scc1 .LBB103_9
.LBB103_10:
	s_inst_prefetch 0x2
	s_clause 0x1
	s_load_dword s36, s[0:1], 0x6c
	s_load_dwordx4 s[0:3], s[4:5], 0x2b8
	s_mov_b32 s17, 0
	s_mul_i32 s12, s16, s10
	v_mov_b32_e32 v1, 0
	s_lshl_b64 s[14:15], s[16:17], 1
	s_sub_i32 s16, s13, s12
	s_waitcnt lgkmcnt(0)
	s_add_u32 s0, s0, s14
	s_addc_u32 s1, s1, s15
	global_load_ushort v1, v1, s[0:1]
	s_clause 0x2
	s_load_dwordx2 s[26:27], s[4:5], 0x0
	s_load_dwordx2 s[24:25], s[4:5], 0xf0
	;; [unrolled: 1-line block ×3, first 2 shown]
	v_cmp_ne_u32_e64 s0, 0, v0
	v_cmp_eq_u32_e64 s1, 0, v0
	s_waitcnt vmcnt(0)
	v_readfirstlane_b32 s33, v1
	s_and_saveexec_b32 s37, s1
	s_cbranch_execz .LBB103_26
; %bb.11:
	s_load_dwordx2 s[28:29], s[4:5], 0x2c8
	s_mov_b32 s13, s17
	s_mov_b32 s38, 0
	s_lshl_b64 s[30:31], s[12:13], 2
	s_mov_b32 s39, 0
	s_add_u32 s12, s2, s30
	s_addc_u32 s13, s3, s31
	s_waitcnt lgkmcnt(0)
	s_add_u32 s14, s28, s30
	s_addc_u32 s15, s29, s31
	s_cmp_lt_u32 s10, 4
	s_cbranch_scc1 .LBB103_23
; %bb.12:
	s_mov_b32 s40, 0
.LBB103_13:                             ; =>This Inner Loop Header: Depth=1
	s_add_u32 s12, s2, s30
	s_addc_u32 s13, s3, s31
	s_add_u32 s34, s28, s30
	s_load_dwordx4 s[12:15], s[12:13], 0x0
	s_addc_u32 s35, s29, s31
	s_cmp_ge_u32 s40, s16
	s_cbranch_scc0 .LBB103_20
; %bb.14:                               ;   in Loop: Header=BB103_13 Depth=1
	s_add_i32 s41, s40, 1
	s_cmp_ge_u32 s41, s16
	s_cbranch_scc0 .LBB103_21
.LBB103_15:                             ;   in Loop: Header=BB103_13 Depth=1
	s_add_i32 s41, s41, 1
	s_cmp_ge_u32 s41, s16
	s_cbranch_scc0 .LBB103_22
.LBB103_16:                             ;   in Loop: Header=BB103_13 Depth=1
	s_add_i32 s41, s41, 1
	s_cmp_ge_u32 s41, s16
	s_cbranch_scc1 .LBB103_18
.LBB103_17:                             ;   in Loop: Header=BB103_13 Depth=1
	s_load_dword s34, s[34:35], 0xc
	s_waitcnt lgkmcnt(0)
	s_add_i32 s17, s17, s15
	s_add_i32 s38, s34, s38
.LBB103_18:                             ;   in Loop: Header=BB103_13 Depth=1
	s_waitcnt lgkmcnt(0)
	s_add_i32 s12, s12, s39
	s_add_i32 s12, s12, s13
	;; [unrolled: 1-line block ×4, first 2 shown]
	s_add_u32 s2, s2, 16
	s_addc_u32 s3, s3, 0
	s_add_u32 s28, s28, 16
	s_addc_u32 s29, s29, 0
	s_add_i32 s35, s41, 4
	s_add_u32 s14, s28, s30
	s_addc_u32 s15, s29, s31
	s_add_u32 s12, s2, s30
	s_addc_u32 s13, s3, s31
	s_add_i32 s34, s41, 1
	s_cmp_ge_u32 s35, s10
	s_cbranch_scc1 .LBB103_24
; %bb.19:                               ;   in Loop: Header=BB103_13 Depth=1
	s_mov_b32 s40, s34
	s_branch .LBB103_13
.LBB103_20:                             ;   in Loop: Header=BB103_13 Depth=1
	s_load_dword s41, s[34:35], 0x0
	s_waitcnt lgkmcnt(0)
	s_add_i32 s17, s12, s17
	s_add_i32 s38, s41, s38
	s_add_i32 s41, s40, 1
	s_cmp_ge_u32 s41, s16
	s_cbranch_scc1 .LBB103_15
.LBB103_21:                             ;   in Loop: Header=BB103_13 Depth=1
	s_load_dword s42, s[34:35], 0x4
	s_waitcnt lgkmcnt(0)
	s_add_i32 s17, s17, s13
	s_add_i32 s38, s42, s38
	;; [unrolled: 1-line block ×3, first 2 shown]
	s_cmp_ge_u32 s41, s16
	s_cbranch_scc1 .LBB103_16
.LBB103_22:                             ;   in Loop: Header=BB103_13 Depth=1
	s_load_dword s42, s[34:35], 0x8
	s_waitcnt lgkmcnt(0)
	s_add_i32 s17, s17, s14
	s_add_i32 s38, s42, s38
	;; [unrolled: 1-line block ×3, first 2 shown]
	s_cmp_ge_u32 s41, s16
	s_cbranch_scc0 .LBB103_17
	s_branch .LBB103_18
.LBB103_23:
	s_mov_b32 s2, 0
	s_cmp_ge_u32 s2, s10
	s_cbranch_scc0 .LBB103_47
	s_branch .LBB103_25
.LBB103_24:
	s_add_i32 s2, s40, 4
	s_cmp_ge_u32 s2, s10
	s_cbranch_scc0 .LBB103_47
.LBB103_25:
	v_mov_b32_e32 v1, s38
	v_mov_b32_e32 v2, s39
	;; [unrolled: 1-line block ×4, first 2 shown]
	ds_write_b96 v4, v[1:3] offset:1056
.LBB103_26:
	s_or_b32 exec_lo, exec_lo, s37
	s_clause 0x1
	s_load_dword s17, s[4:5], 0x23c
	s_load_dwordx4 s[12:15], s[4:5], 0xd8
	s_mul_i32 s2, s9, s16
	s_add_i32 s16, s16, 1
	s_lshl_b32 s28, s2, 8
	s_waitcnt lgkmcnt(0)
	s_barrier
	buffer_gl0_inv
	s_sub_i32 s2, s12, s28
	s_add_u32 s2, s2, 0xff
	s_addc_u32 s3, 0, 0
	s_lshr_b64 s[2:3], s[2:3], 8
	s_cmp_lt_u32 s16, s10
	s_mov_b32 s3, 0
	s_cselect_b32 s9, s9, s2
	s_cmp_eq_u32 s9, 0
	s_cbranch_scc1 .LBB103_49
; %bb.27:
	v_mov_b32_e32 v5, 0
	s_mul_i32 s2, s36, s11
	s_mul_i32 s6, s18, s6
	s_load_dword s18, s[4:5], 0xe8
	s_add_i32 s10, s2, s19
	ds_read_b96 v[1:3], v5 offset:1056
	s_add_i32 s2, s6, s7
	s_mul_i32 s11, s17, s20
	s_lshl_b64 s[6:7], s[2:3], 1
	s_add_i32 s2, s11, s21
	s_mov_b32 s11, s3
	v_lshrrev_b32_e32 v4, 3, v0
	v_add_nc_u32_e32 v9, -1, v0
	s_add_u32 s6, s26, s6
	s_addc_u32 s7, s27, s7
	s_lshl_b64 s[10:11], s[10:11], 1
	s_load_dword s4, s[4:5], 0x1c8
	s_add_u32 s10, s24, s10
	s_addc_u32 s11, s25, s11
	s_lshl_b64 s[2:3], s[2:3], 3
	v_and_b32_e32 v4, 28, v4
	v_lshrrev_b32_e32 v8, 3, v9
	s_add_u32 s15, s22, s2
	s_sext_i32_i16 s2, s33
	s_addc_u32 s16, s23, s3
	s_and_b32 s3, 0xffff, s33
	s_cmp_gt_i32 s2, -1
	s_mov_b32 s2, 0x8000
	v_cmp_o_f16_e64 s17, s33, s33
	s_waitcnt lgkmcnt(0)
	v_add_nc_u32_e32 v6, v1, v2
	v_lshl_add_u32 v7, v0, 2, v4
	v_and_b32_e32 v4, 0x1ffffffc, v8
	v_add_nc_u32_e32 v1, s28, v0
	s_cselect_b32 s2, s2, 0xffff
	v_and_b32_e32 v2, 0xfc, v0
	s_xor_b32 s2, s2, s3
	v_lshlrev_b32_e32 v10, 5, v0
	v_mbcnt_lo_u32_b32 v8, -1, 0
	s_and_b32 s3, s17, exec_lo
	s_cselect_b32 s17, s2, 0xffff
	v_cmp_gt_u32_e64 s2, 32, v0
	v_lshl_add_u32 v0, v9, 2, v4
	v_mul_lo_u32 v4, s18, v1
	v_add_nc_u32_e32 v9, v2, v10
	v_and_b32_e32 v10, 15, v8
	v_bfe_i32 v11, v8, 4, 1
	v_add_nc_u32_e32 v12, -1, v8
	v_mov_b32_e32 v13, 0x8000
	s_bitcmp1_b32 s14, 0
                                        ; implicit-def: $vgpr14
	s_cselect_b32 s3, -1, 0
	s_lshl_b32 s5, s18, 8
	s_branch .LBB103_30
.LBB103_28:                             ;   in Loop: Header=BB103_30 Depth=1
	s_or_b32 exec_lo, exec_lo, s14
	v_add_nc_u32_e32 v6, v17, v6
.LBB103_29:                             ;   in Loop: Header=BB103_30 Depth=1
	v_add_nc_u32_e32 v3, v16, v3
	v_add_nc_u32_e32 v4, s5, v4
	v_add_nc_u32_e32 v1, 0x100, v1
	s_add_i32 s9, s9, -1
	s_cmp_lg_u32 s9, 0
	s_cbranch_scc0 .LBB103_49
.LBB103_30:                             ; =>This Inner Loop Header: Depth=1
	v_mov_b32_e32 v2, 0
	v_mov_b32_e32 v15, 0
	s_mov_b32 s14, exec_lo
	v_cmpx_gt_u32_e64 s12, v1
	s_cbranch_execz .LBB103_32
; %bb.31:                               ;   in Loop: Header=BB103_30 Depth=1
	v_lshlrev_b64 v[14:15], 1, v[4:5]
	v_add_co_u32 v14, vcc_lo, s6, v14
	v_add_co_ci_u32_e64 v15, null, s7, v15, vcc_lo
	global_load_ushort v14, v[14:15], off
	s_waitcnt vmcnt(0)
	v_cmp_lt_i16_e32 vcc_lo, -1, v14
	v_cndmask_b32_e32 v2, 0xffff, v13, vcc_lo
	v_cmp_o_f16_e32 vcc_lo, v14, v14
	v_xor_b32_sdwa v2, v2, v14 dst_sel:DWORD dst_unused:UNUSED_PAD src0_sel:DWORD src1_sel:WORD_0
	v_cndmask_b32_e32 v15, 0xffff, v2, vcc_lo
	v_cmp_lt_u32_e32 vcc_lo, s17, v15
	v_cndmask_b32_e64 v2, 0, 1, vcc_lo
	v_cmp_gt_u32_e32 vcc_lo, s17, v15
	v_cndmask_b32_e64 v16, 0, 1, vcc_lo
	v_cmp_eq_u32_e32 vcc_lo, s17, v15
	v_cndmask_b32_e64 v2, v16, v2, s3
	v_cndmask_b32_e64 v15, 0, 1, vcc_lo
	v_and_b32_e32 v2, 1, v2
.LBB103_32:                             ;   in Loop: Header=BB103_30 Depth=1
	s_or_b32 exec_lo, exec_lo, s14
	ds_write_b32 v7, v2
	s_waitcnt lgkmcnt(0)
	s_barrier
	buffer_gl0_inv
	s_and_saveexec_b32 s14, s2
	s_cbranch_execz .LBB103_34
; %bb.33:                               ;   in Loop: Header=BB103_30 Depth=1
	ds_read2_b32 v[16:17], v9 offset1:1
	ds_read2_b32 v[18:19], v9 offset0:2 offset1:3
	ds_read2_b32 v[20:21], v9 offset0:4 offset1:5
	;; [unrolled: 1-line block ×3, first 2 shown]
	v_cmp_ne_u32_e32 vcc_lo, 0, v10
	; wave barrier
	s_waitcnt lgkmcnt(3)
	v_add_nc_u32_e32 v17, v17, v16
	s_waitcnt lgkmcnt(2)
	v_add3_u32 v17, v17, v18, v19
	s_waitcnt lgkmcnt(1)
	v_add3_u32 v17, v17, v20, v21
	;; [unrolled: 2-line block ×3, first 2 shown]
	v_mov_b32_dpp v18, v17 row_shr:1 row_mask:0xf bank_mask:0xf
	v_cndmask_b32_e32 v18, 0, v18, vcc_lo
	v_cmp_lt_u32_e32 vcc_lo, 1, v10
	v_add_nc_u32_e32 v17, v18, v17
	v_mov_b32_dpp v18, v17 row_shr:2 row_mask:0xf bank_mask:0xf
	v_cndmask_b32_e32 v18, 0, v18, vcc_lo
	v_cmp_lt_u32_e32 vcc_lo, 3, v10
	v_add_nc_u32_e32 v17, v17, v18
	;; [unrolled: 4-line block ×3, first 2 shown]
	v_mov_b32_dpp v18, v17 row_shr:8 row_mask:0xf bank_mask:0xf
	v_cndmask_b32_e32 v18, 0, v18, vcc_lo
	v_cmp_gt_i32_e32 vcc_lo, 0, v12
	v_add_nc_u32_e32 v17, v17, v18
	v_cndmask_b32_e32 v19, v12, v8, vcc_lo
	ds_swizzle_b32 v18, v17 offset:swizzle(BROADCAST,32,15)
	v_lshlrev_b32_e32 v19, 2, v19
	s_waitcnt lgkmcnt(0)
	v_and_b32_e32 v18, v11, v18
	v_add_nc_u32_e32 v17, v17, v18
	ds_bpermute_b32 v17, v19, v17
	s_waitcnt lgkmcnt(0)
	v_add_nc_u32_e32 v16, v17, v16
	v_cndmask_b32_e64 v22, v16, v2, s1
	ds_write_b32 v9, v22
	; wave barrier
	ds_read2_b32 v[16:17], v9 offset0:1 offset1:2
	ds_read2_b32 v[18:19], v9 offset0:3 offset1:4
	ds_read2_b32 v[20:21], v9 offset0:5 offset1:6
	ds_read_b32 v23, v9 offset:28
	s_waitcnt lgkmcnt(3)
	v_add_nc_u32_e32 v16, v16, v22
	v_add_nc_u32_e32 v17, v17, v16
	s_waitcnt lgkmcnt(2)
	v_add_nc_u32_e32 v18, v18, v17
	v_add_nc_u32_e32 v19, v19, v18
	;; [unrolled: 3-line block ×3, first 2 shown]
	s_waitcnt lgkmcnt(0)
	v_add_nc_u32_e32 v22, v23, v21
	ds_write2_b32 v9, v16, v17 offset0:1 offset1:2
	ds_write2_b32 v9, v18, v19 offset0:3 offset1:4
	;; [unrolled: 1-line block ×3, first 2 shown]
	ds_write_b32 v9, v22 offset:28
.LBB103_34:                             ;   in Loop: Header=BB103_30 Depth=1
	s_or_b32 exec_lo, exec_lo, s14
	v_mov_b32_e32 v17, 0
	s_waitcnt lgkmcnt(0)
	s_barrier
	buffer_gl0_inv
	s_and_saveexec_b32 s14, s0
; %bb.35:                               ;   in Loop: Header=BB103_30 Depth=1
	ds_read_b32 v17, v0
; %bb.36:                               ;   in Loop: Header=BB103_30 Depth=1
	s_or_b32 exec_lo, exec_lo, s14
	ds_read_b32 v16, v5 offset:1048
	s_mov_b32 s14, exec_lo
	s_waitcnt lgkmcnt(0)
	s_barrier
	buffer_gl0_inv
	v_cmpx_ne_u32_e32 0, v2
	s_cbranch_execz .LBB103_38
; %bb.37:                               ;   in Loop: Header=BB103_30 Depth=1
	v_add_nc_u32_e32 v2, v17, v3
	v_mov_b32_e32 v18, v5
	v_mov_b32_e32 v20, v5
	v_mul_lo_u32 v17, v2, s4
	v_mul_lo_u32 v19, v2, s8
	v_mov_b32_e32 v2, v5
	v_lshlrev_b64 v[17:18], 1, v[17:18]
	v_lshlrev_b64 v[19:20], 3, v[19:20]
	v_add_co_u32 v17, vcc_lo, s10, v17
	v_add_co_ci_u32_e64 v18, null, s11, v18, vcc_lo
	v_add_co_u32 v19, vcc_lo, s15, v19
	v_add_co_ci_u32_e64 v20, null, s16, v20, vcc_lo
	global_store_short v[17:18], v14, off
	global_store_dwordx2 v[19:20], v[1:2], off
.LBB103_38:                             ;   in Loop: Header=BB103_30 Depth=1
	s_or_b32 exec_lo, exec_lo, s14
	v_cmp_le_u32_e32 vcc_lo, s13, v6
	s_cbranch_vccnz .LBB103_29
; %bb.39:                               ;   in Loop: Header=BB103_30 Depth=1
	ds_write_b32 v7, v15
	s_waitcnt lgkmcnt(0)
	s_waitcnt_vscnt null, 0x0
	s_barrier
	buffer_gl0_inv
	s_and_saveexec_b32 s14, s2
	s_cbranch_execz .LBB103_41
; %bb.40:                               ;   in Loop: Header=BB103_30 Depth=1
	ds_read2_b32 v[17:18], v9 offset1:1
	ds_read2_b32 v[19:20], v9 offset0:2 offset1:3
	ds_read2_b32 v[21:22], v9 offset0:4 offset1:5
	;; [unrolled: 1-line block ×3, first 2 shown]
	v_cmp_ne_u32_e32 vcc_lo, 0, v10
	; wave barrier
	s_waitcnt lgkmcnt(3)
	v_add_nc_u32_e32 v2, v18, v17
	s_waitcnt lgkmcnt(2)
	v_add3_u32 v2, v2, v19, v20
	s_waitcnt lgkmcnt(1)
	v_add3_u32 v2, v2, v21, v22
	;; [unrolled: 2-line block ×3, first 2 shown]
	v_mov_b32_dpp v18, v2 row_shr:1 row_mask:0xf bank_mask:0xf
	v_cndmask_b32_e32 v18, 0, v18, vcc_lo
	v_cmp_lt_u32_e32 vcc_lo, 1, v10
	v_add_nc_u32_e32 v2, v18, v2
	v_mov_b32_dpp v18, v2 row_shr:2 row_mask:0xf bank_mask:0xf
	v_cndmask_b32_e32 v18, 0, v18, vcc_lo
	v_cmp_lt_u32_e32 vcc_lo, 3, v10
	v_add_nc_u32_e32 v2, v2, v18
	;; [unrolled: 4-line block ×3, first 2 shown]
	v_mov_b32_dpp v18, v2 row_shr:8 row_mask:0xf bank_mask:0xf
	v_cndmask_b32_e32 v18, 0, v18, vcc_lo
	v_cmp_gt_i32_e32 vcc_lo, 0, v12
	v_add_nc_u32_e32 v2, v2, v18
	v_cndmask_b32_e32 v19, v12, v8, vcc_lo
	ds_swizzle_b32 v18, v2 offset:swizzle(BROADCAST,32,15)
	v_lshlrev_b32_e32 v19, 2, v19
	s_waitcnt lgkmcnt(0)
	v_and_b32_e32 v18, v11, v18
	v_add_nc_u32_e32 v2, v2, v18
	ds_bpermute_b32 v2, v19, v2
	s_waitcnt lgkmcnt(0)
	v_add_nc_u32_e32 v2, v2, v17
	v_cndmask_b32_e64 v2, v2, v15, s1
	ds_write_b32 v9, v2
	; wave barrier
	ds_read2_b32 v[17:18], v9 offset0:1 offset1:2
	ds_read2_b32 v[19:20], v9 offset0:3 offset1:4
	;; [unrolled: 1-line block ×3, first 2 shown]
	ds_read_b32 v23, v9 offset:28
	s_waitcnt lgkmcnt(3)
	v_add_nc_u32_e32 v2, v17, v2
	v_add_nc_u32_e32 v17, v18, v2
	s_waitcnt lgkmcnt(2)
	v_add_nc_u32_e32 v18, v19, v17
	v_add_nc_u32_e32 v19, v20, v18
	;; [unrolled: 3-line block ×3, first 2 shown]
	s_waitcnt lgkmcnt(0)
	v_add_nc_u32_e32 v22, v23, v21
	ds_write2_b32 v9, v2, v17 offset0:1 offset1:2
	ds_write2_b32 v9, v18, v19 offset0:3 offset1:4
	;; [unrolled: 1-line block ×3, first 2 shown]
	ds_write_b32 v9, v22 offset:28
.LBB103_41:                             ;   in Loop: Header=BB103_30 Depth=1
	s_or_b32 exec_lo, exec_lo, s14
	v_mov_b32_e32 v2, 0
	s_waitcnt lgkmcnt(0)
	s_barrier
	buffer_gl0_inv
	s_and_saveexec_b32 s14, s0
; %bb.42:                               ;   in Loop: Header=BB103_30 Depth=1
	ds_read_b32 v2, v0
; %bb.43:                               ;   in Loop: Header=BB103_30 Depth=1
	s_or_b32 exec_lo, exec_lo, s14
	ds_read_b32 v17, v5 offset:1048
	s_mov_b32 s14, exec_lo
	s_waitcnt lgkmcnt(0)
	s_barrier
	buffer_gl0_inv
	v_cmpx_ne_u32_e32 0, v15
	s_cbranch_execz .LBB103_28
; %bb.44:                               ;   in Loop: Header=BB103_30 Depth=1
	v_add_nc_u32_e32 v2, v2, v6
	v_cmp_gt_u32_e32 vcc_lo, s13, v2
	s_and_b32 exec_lo, exec_lo, vcc_lo
	s_cbranch_execz .LBB103_28
; %bb.45:                               ;   in Loop: Header=BB103_30 Depth=1
	v_mul_lo_u32 v18, v2, s4
	v_mul_lo_u32 v20, v2, s8
	v_mov_b32_e32 v19, v5
	v_mov_b32_e32 v21, v5
	;; [unrolled: 1-line block ×3, first 2 shown]
	v_lshlrev_b64 v[18:19], 1, v[18:19]
	v_lshlrev_b64 v[20:21], 3, v[20:21]
	v_add_co_u32 v18, vcc_lo, s10, v18
	v_add_co_ci_u32_e64 v19, null, s11, v19, vcc_lo
	v_add_co_u32 v20, vcc_lo, s15, v20
	v_add_co_ci_u32_e64 v21, null, s16, v21, vcc_lo
	global_store_short v[18:19], v14, off
	global_store_dwordx2 v[20:21], v[1:2], off
	s_branch .LBB103_28
	.p2align	6
.LBB103_46:                             ;   in Loop: Header=BB103_47 Depth=1
	s_add_u32 s12, s12, 4
	s_addc_u32 s13, s13, 0
	s_waitcnt lgkmcnt(0)
	s_add_i32 s39, s3, s39
	s_add_u32 s14, s14, 4
	s_addc_u32 s15, s15, 0
	s_add_i32 s2, s2, 1
	s_cmp_lt_u32 s2, s10
	s_cbranch_scc0 .LBB103_25
.LBB103_47:                             ; =>This Inner Loop Header: Depth=1
	s_load_dword s3, s[12:13], 0x0
	s_cmp_ge_u32 s2, s16
	s_cbranch_scc1 .LBB103_46
; %bb.48:                               ;   in Loop: Header=BB103_47 Depth=1
	s_load_dword s28, s[14:15], 0x0
	s_waitcnt lgkmcnt(0)
	s_add_i32 s17, s3, s17
	s_add_i32 s38, s28, s38
	s_branch .LBB103_46
.LBB103_49:
	s_endpgm
	.section	.rodata,"a",@progbits
	.p2align	6, 0x0
	.amdhsa_kernel _ZN2at6native6mbtopk10gatherTopKIN3c104HalfEjLin1EEEvNS_4cuda6detail10TensorInfoIKT_T0_EESA_SA_bjSA_NS7_IS8_SA_EESA_NS7_IlSA_EESA_jjPS8_PjSF_j
		.amdhsa_group_segment_fixed_size 1068
		.amdhsa_private_segment_fixed_size 0
		.amdhsa_kernarg_size 984
		.amdhsa_user_sgpr_count 6
		.amdhsa_user_sgpr_private_segment_buffer 1
		.amdhsa_user_sgpr_dispatch_ptr 0
		.amdhsa_user_sgpr_queue_ptr 0
		.amdhsa_user_sgpr_kernarg_segment_ptr 1
		.amdhsa_user_sgpr_dispatch_id 0
		.amdhsa_user_sgpr_flat_scratch_init 0
		.amdhsa_user_sgpr_private_segment_size 0
		.amdhsa_wavefront_size32 1
		.amdhsa_uses_dynamic_stack 0
		.amdhsa_system_sgpr_private_segment_wavefront_offset 0
		.amdhsa_system_sgpr_workgroup_id_x 1
		.amdhsa_system_sgpr_workgroup_id_y 1
		.amdhsa_system_sgpr_workgroup_id_z 1
		.amdhsa_system_sgpr_workgroup_info 0
		.amdhsa_system_vgpr_workitem_id 0
		.amdhsa_next_free_vgpr 25
		.amdhsa_next_free_sgpr 43
		.amdhsa_reserve_vcc 1
		.amdhsa_reserve_flat_scratch 0
		.amdhsa_float_round_mode_32 0
		.amdhsa_float_round_mode_16_64 0
		.amdhsa_float_denorm_mode_32 3
		.amdhsa_float_denorm_mode_16_64 3
		.amdhsa_dx10_clamp 1
		.amdhsa_ieee_mode 1
		.amdhsa_fp16_overflow 0
		.amdhsa_workgroup_processor_mode 1
		.amdhsa_memory_ordered 1
		.amdhsa_forward_progress 1
		.amdhsa_shared_vgpr_count 0
		.amdhsa_exception_fp_ieee_invalid_op 0
		.amdhsa_exception_fp_denorm_src 0
		.amdhsa_exception_fp_ieee_div_zero 0
		.amdhsa_exception_fp_ieee_overflow 0
		.amdhsa_exception_fp_ieee_underflow 0
		.amdhsa_exception_fp_ieee_inexact 0
		.amdhsa_exception_int_div_zero 0
	.end_amdhsa_kernel
	.section	.text._ZN2at6native6mbtopk10gatherTopKIN3c104HalfEjLin1EEEvNS_4cuda6detail10TensorInfoIKT_T0_EESA_SA_bjSA_NS7_IS8_SA_EESA_NS7_IlSA_EESA_jjPS8_PjSF_j,"axG",@progbits,_ZN2at6native6mbtopk10gatherTopKIN3c104HalfEjLin1EEEvNS_4cuda6detail10TensorInfoIKT_T0_EESA_SA_bjSA_NS7_IS8_SA_EESA_NS7_IlSA_EESA_jjPS8_PjSF_j,comdat
.Lfunc_end103:
	.size	_ZN2at6native6mbtopk10gatherTopKIN3c104HalfEjLin1EEEvNS_4cuda6detail10TensorInfoIKT_T0_EESA_SA_bjSA_NS7_IS8_SA_EESA_NS7_IlSA_EESA_jjPS8_PjSF_j, .Lfunc_end103-_ZN2at6native6mbtopk10gatherTopKIN3c104HalfEjLin1EEEvNS_4cuda6detail10TensorInfoIKT_T0_EESA_SA_bjSA_NS7_IS8_SA_EESA_NS7_IlSA_EESA_jjPS8_PjSF_j
                                        ; -- End function
	.set _ZN2at6native6mbtopk10gatherTopKIN3c104HalfEjLin1EEEvNS_4cuda6detail10TensorInfoIKT_T0_EESA_SA_bjSA_NS7_IS8_SA_EESA_NS7_IlSA_EESA_jjPS8_PjSF_j.num_vgpr, 25
	.set _ZN2at6native6mbtopk10gatherTopKIN3c104HalfEjLin1EEEvNS_4cuda6detail10TensorInfoIKT_T0_EESA_SA_bjSA_NS7_IS8_SA_EESA_NS7_IlSA_EESA_jjPS8_PjSF_j.num_agpr, 0
	.set _ZN2at6native6mbtopk10gatherTopKIN3c104HalfEjLin1EEEvNS_4cuda6detail10TensorInfoIKT_T0_EESA_SA_bjSA_NS7_IS8_SA_EESA_NS7_IlSA_EESA_jjPS8_PjSF_j.numbered_sgpr, 43
	.set _ZN2at6native6mbtopk10gatherTopKIN3c104HalfEjLin1EEEvNS_4cuda6detail10TensorInfoIKT_T0_EESA_SA_bjSA_NS7_IS8_SA_EESA_NS7_IlSA_EESA_jjPS8_PjSF_j.num_named_barrier, 0
	.set _ZN2at6native6mbtopk10gatherTopKIN3c104HalfEjLin1EEEvNS_4cuda6detail10TensorInfoIKT_T0_EESA_SA_bjSA_NS7_IS8_SA_EESA_NS7_IlSA_EESA_jjPS8_PjSF_j.private_seg_size, 0
	.set _ZN2at6native6mbtopk10gatherTopKIN3c104HalfEjLin1EEEvNS_4cuda6detail10TensorInfoIKT_T0_EESA_SA_bjSA_NS7_IS8_SA_EESA_NS7_IlSA_EESA_jjPS8_PjSF_j.uses_vcc, 1
	.set _ZN2at6native6mbtopk10gatherTopKIN3c104HalfEjLin1EEEvNS_4cuda6detail10TensorInfoIKT_T0_EESA_SA_bjSA_NS7_IS8_SA_EESA_NS7_IlSA_EESA_jjPS8_PjSF_j.uses_flat_scratch, 0
	.set _ZN2at6native6mbtopk10gatherTopKIN3c104HalfEjLin1EEEvNS_4cuda6detail10TensorInfoIKT_T0_EESA_SA_bjSA_NS7_IS8_SA_EESA_NS7_IlSA_EESA_jjPS8_PjSF_j.has_dyn_sized_stack, 0
	.set _ZN2at6native6mbtopk10gatherTopKIN3c104HalfEjLin1EEEvNS_4cuda6detail10TensorInfoIKT_T0_EESA_SA_bjSA_NS7_IS8_SA_EESA_NS7_IlSA_EESA_jjPS8_PjSF_j.has_recursion, 0
	.set _ZN2at6native6mbtopk10gatherTopKIN3c104HalfEjLin1EEEvNS_4cuda6detail10TensorInfoIKT_T0_EESA_SA_bjSA_NS7_IS8_SA_EESA_NS7_IlSA_EESA_jjPS8_PjSF_j.has_indirect_call, 0
	.section	.AMDGPU.csdata,"",@progbits
; Kernel info:
; codeLenInByte = 3152
; TotalNumSgprs: 45
; NumVgprs: 25
; ScratchSize: 0
; MemoryBound: 0
; FloatMode: 240
; IeeeMode: 1
; LDSByteSize: 1068 bytes/workgroup (compile time only)
; SGPRBlocks: 0
; VGPRBlocks: 3
; NumSGPRsForWavesPerEU: 45
; NumVGPRsForWavesPerEU: 25
; Occupancy: 16
; WaveLimiterHint : 1
; COMPUTE_PGM_RSRC2:SCRATCH_EN: 0
; COMPUTE_PGM_RSRC2:USER_SGPR: 6
; COMPUTE_PGM_RSRC2:TRAP_HANDLER: 0
; COMPUTE_PGM_RSRC2:TGID_X_EN: 1
; COMPUTE_PGM_RSRC2:TGID_Y_EN: 1
; COMPUTE_PGM_RSRC2:TGID_Z_EN: 1
; COMPUTE_PGM_RSRC2:TIDIG_COMP_CNT: 0
	.section	.text._ZN2at6native6sbtopk10gatherTopKIN3c104HalfEjLin1ELb0EEEvNS_4cuda6detail10TensorInfoIKT_T0_EESA_SA_bSA_SA_NS7_IS8_SA_EESA_NS7_IlSA_EESA_PS8_,"axG",@progbits,_ZN2at6native6sbtopk10gatherTopKIN3c104HalfEjLin1ELb0EEEvNS_4cuda6detail10TensorInfoIKT_T0_EESA_SA_bSA_SA_NS7_IS8_SA_EESA_NS7_IlSA_EESA_PS8_,comdat
	.protected	_ZN2at6native6sbtopk10gatherTopKIN3c104HalfEjLin1ELb0EEEvNS_4cuda6detail10TensorInfoIKT_T0_EESA_SA_bSA_SA_NS7_IS8_SA_EESA_NS7_IlSA_EESA_PS8_ ; -- Begin function _ZN2at6native6sbtopk10gatherTopKIN3c104HalfEjLin1ELb0EEEvNS_4cuda6detail10TensorInfoIKT_T0_EESA_SA_bSA_SA_NS7_IS8_SA_EESA_NS7_IlSA_EESA_PS8_
	.globl	_ZN2at6native6sbtopk10gatherTopKIN3c104HalfEjLin1ELb0EEEvNS_4cuda6detail10TensorInfoIKT_T0_EESA_SA_bSA_SA_NS7_IS8_SA_EESA_NS7_IlSA_EESA_PS8_
	.p2align	8
	.type	_ZN2at6native6sbtopk10gatherTopKIN3c104HalfEjLin1ELb0EEEvNS_4cuda6detail10TensorInfoIKT_T0_EESA_SA_bSA_SA_NS7_IS8_SA_EESA_NS7_IlSA_EESA_PS8_,@function
_ZN2at6native6sbtopk10gatherTopKIN3c104HalfEjLin1ELb0EEEvNS_4cuda6detail10TensorInfoIKT_T0_EESA_SA_bSA_SA_NS7_IS8_SA_EESA_NS7_IlSA_EESA_PS8_: ; @_ZN2at6native6sbtopk10gatherTopKIN3c104HalfEjLin1ELb0EEEvNS_4cuda6detail10TensorInfoIKT_T0_EESA_SA_bSA_SA_NS7_IS8_SA_EESA_NS7_IlSA_EESA_PS8_
; %bb.0:
	s_clause 0x1
	s_load_dwordx2 s[12:13], s[4:5], 0x2b8
	s_load_dwordx4 s[36:39], s[4:5], 0xd8
	s_add_u32 s10, s4, 0x2b8
	s_addc_u32 s11, s5, 0
	s_waitcnt lgkmcnt(0)
	s_mul_i32 s0, s13, s8
	s_add_i32 s0, s0, s7
	s_mul_i32 s0, s0, s12
	s_add_i32 s51, s0, s6
	s_cmp_ge_u32 s51, s39
	s_cbranch_scc1 .LBB104_435
; %bb.1:
	s_clause 0x1
	s_load_dword s2, s[4:5], 0xd0
	s_load_dword s40, s[4:5], 0xe8
	s_mov_b32 s1, 0
	s_mov_b32 s0, s51
	s_waitcnt lgkmcnt(0)
	s_cmp_lt_i32 s2, 2
	s_cbranch_scc1 .LBB104_4
; %bb.2:
	s_add_i32 s0, s2, -1
	s_add_i32 s7, s2, 1
	s_lshl_b64 s[8:9], s[0:1], 2
	s_add_u32 s0, s4, s8
	s_addc_u32 s3, s5, s9
	s_add_u32 s2, s0, 8
	s_addc_u32 s3, s3, 0
	s_mov_b32 s0, s51
	s_inst_prefetch 0x1
	.p2align	6
.LBB104_3:                              ; =>This Inner Loop Header: Depth=1
	s_clause 0x1
	s_load_dword s8, s[2:3], 0x0
	s_load_dword s9, s[2:3], 0x64
	s_mov_b32 s15, s0
	s_waitcnt lgkmcnt(0)
	v_cvt_f32_u32_e32 v1, s8
	s_sub_i32 s14, 0, s8
	v_rcp_iflag_f32_e32 v1, v1
	v_mul_f32_e32 v1, 0x4f7ffffe, v1
	v_cvt_u32_f32_e32 v1, v1
	v_readfirstlane_b32 s13, v1
	s_mul_i32 s14, s14, s13
	s_mul_hi_u32 s14, s13, s14
	s_add_i32 s13, s13, s14
	s_mul_hi_u32 s0, s0, s13
	s_mul_i32 s13, s0, s8
	s_add_i32 s14, s0, 1
	s_sub_i32 s13, s15, s13
	s_sub_i32 s16, s13, s8
	s_cmp_ge_u32 s13, s8
	s_cselect_b32 s0, s14, s0
	s_cselect_b32 s13, s16, s13
	s_add_i32 s14, s0, 1
	s_cmp_ge_u32 s13, s8
	s_cselect_b32 s0, s14, s0
	s_add_i32 s7, s7, -1
	s_mul_i32 s8, s0, s8
	s_sub_i32 s8, s15, s8
	s_mul_i32 s8, s9, s8
	s_add_i32 s1, s8, s1
	s_add_u32 s2, s2, -4
	s_addc_u32 s3, s3, -1
	s_cmp_gt_u32 s7, 2
	s_cbranch_scc1 .LBB104_3
.LBB104_4:
	s_inst_prefetch 0x2
	s_load_dword s7, s[4:5], 0x1c0
	s_add_u32 s2, s4, 0xf0
	s_addc_u32 s3, s5, 0
	s_mov_b32 s35, 0
	s_mov_b32 s53, s51
	s_waitcnt lgkmcnt(0)
	s_cmp_lt_i32 s7, 2
	s_cbranch_scc1 .LBB104_7
; %bb.5:
	s_add_i32 s34, s7, -1
	s_add_i32 s7, s7, 1
	s_lshl_b64 s[8:9], s[34:35], 2
	s_mov_b32 s53, s51
	s_add_u32 s8, s2, s8
	s_addc_u32 s9, s3, s9
	s_add_u32 s8, s8, 8
	s_addc_u32 s9, s9, 0
	s_inst_prefetch 0x1
	.p2align	6
.LBB104_6:                              ; =>This Inner Loop Header: Depth=1
	s_clause 0x1
	s_load_dword s13, s[8:9], 0x0
	s_load_dword s14, s[8:9], 0x64
	s_mov_b32 s17, s53
	s_waitcnt lgkmcnt(0)
	v_cvt_f32_u32_e32 v1, s13
	s_sub_i32 s16, 0, s13
	v_rcp_iflag_f32_e32 v1, v1
	v_mul_f32_e32 v1, 0x4f7ffffe, v1
	v_cvt_u32_f32_e32 v1, v1
	v_readfirstlane_b32 s15, v1
	s_mul_i32 s16, s16, s15
	s_mul_hi_u32 s16, s15, s16
	s_add_i32 s15, s15, s16
	s_mul_hi_u32 s15, s53, s15
	s_mul_i32 s16, s15, s13
	s_add_i32 s18, s15, 1
	s_sub_i32 s16, s53, s16
	s_sub_i32 s19, s16, s13
	s_cmp_ge_u32 s16, s13
	s_cselect_b32 s15, s18, s15
	s_cselect_b32 s16, s19, s16
	s_add_i32 s18, s15, 1
	s_cmp_ge_u32 s16, s13
	s_cselect_b32 s53, s18, s15
	s_add_i32 s7, s7, -1
	s_mul_i32 s13, s53, s13
	s_sub_i32 s13, s17, s13
	s_mul_i32 s13, s14, s13
	s_add_i32 s35, s13, s35
	s_add_u32 s8, s8, -4
	s_addc_u32 s9, s9, -1
	s_cmp_gt_u32 s7, 2
	s_cbranch_scc1 .LBB104_6
.LBB104_7:
	s_inst_prefetch 0x2
	s_clause 0x1
	s_load_dword s7, s[4:5], 0x6c
	s_load_dword s8, s[4:5], 0x2a0
	s_add_u32 s9, s4, 0x1d0
	s_addc_u32 s14, s5, 0
	s_mov_b32 s43, 0
	s_waitcnt lgkmcnt(0)
	s_cmp_lt_i32 s8, 2
	s_cbranch_scc1 .LBB104_10
; %bb.8:
	s_add_i32 s42, s8, -1
	s_add_i32 s13, s8, 1
	s_lshl_b64 s[16:17], s[42:43], 2
	s_add_u32 s8, s9, s16
	s_addc_u32 s9, s14, s17
	s_add_u32 s8, s8, 8
	s_addc_u32 s9, s9, 0
	s_inst_prefetch 0x1
	.p2align	6
.LBB104_9:                              ; =>This Inner Loop Header: Depth=1
	s_clause 0x1
	s_load_dword s14, s[8:9], 0x0
	s_load_dword s15, s[8:9], 0x64
	s_mov_b32 s18, s51
	s_waitcnt lgkmcnt(0)
	v_cvt_f32_u32_e32 v1, s14
	s_sub_i32 s17, 0, s14
	v_rcp_iflag_f32_e32 v1, v1
	v_mul_f32_e32 v1, 0x4f7ffffe, v1
	v_cvt_u32_f32_e32 v1, v1
	v_readfirstlane_b32 s16, v1
	s_mul_i32 s17, s17, s16
	s_mul_hi_u32 s17, s16, s17
	s_add_i32 s16, s16, s17
	s_mul_hi_u32 s16, s51, s16
	s_mul_i32 s17, s16, s14
	s_add_i32 s19, s16, 1
	s_sub_i32 s17, s51, s17
	s_sub_i32 s20, s17, s14
	s_cmp_ge_u32 s17, s14
	s_cselect_b32 s16, s19, s16
	s_cselect_b32 s17, s20, s17
	s_add_i32 s19, s16, 1
	s_cmp_ge_u32 s17, s14
	s_cselect_b32 s51, s19, s16
	s_add_i32 s13, s13, -1
	s_mul_i32 s14, s51, s14
	s_sub_i32 s14, s18, s14
	s_mul_i32 s14, s15, s14
	s_add_i32 s43, s14, s43
	s_add_u32 s8, s8, -4
	s_addc_u32 s9, s9, -1
	s_cmp_gt_u32 s13, 2
	s_cbranch_scc1 .LBB104_9
.LBB104_10:
	s_inst_prefetch 0x2
	s_clause 0x3
	s_load_dword s54, s[2:3], 0x6c
	s_load_dwordx2 s[8:9], s[4:5], 0x0
	s_load_dwordx2 s[46:47], s[4:5], 0xf0
	;; [unrolled: 1-line block ×3, first 2 shown]
	v_cmp_eq_u32_e64 s3, 0, v0
	s_mov_b32 s49, 0
	s_and_saveexec_b32 s2, s3
	s_cbranch_execz .LBB104_12
; %bb.11:
	v_mov_b32_e32 v1, 0
	v_mov_b32_e32 v2, s36
	;; [unrolled: 1-line block ×3, first 2 shown]
	ds_write_b96 v1, v[1:3] offset:4096
.LBB104_12:
	s_or_b32 exec_lo, exec_lo, s2
	s_waitcnt lgkmcnt(0)
	s_barrier
	buffer_gl0_inv
	s_load_dword s13, s[10:11], 0xc
	s_load_dword s55, s[4:5], 0x23c
	s_mul_i32 s0, s7, s0
	v_mov_b32_e32 v9, 0
	s_add_i32 s48, s0, s1
	v_mul_lo_u32 v7, s40, v0
	s_lshl_b64 s[0:1], s[48:49], 1
	v_mbcnt_lo_u32_b32 v19, -1, 0
	v_mov_b32_e32 v8, v9
	s_add_u32 s42, s8, s0
	s_addc_u32 s48, s9, s1
	s_bitcmp1_b32 s38, 0
	v_cmp_gt_u32_e32 vcc_lo, 32, v0
	s_cselect_b32 s2, -1, 0
	v_lshlrev_b64 v[1:2], 1, v[7:8]
	v_cmp_gt_i32_e64 s0, 4, v19
	s_xor_b32 s56, s2, -1
	s_movk_i32 s8, 0x1f0
	v_lshlrev_b32_e32 v18, 2, v0
	v_lshlrev_b32_e32 v20, 1, v0
	s_waitcnt lgkmcnt(0)
	s_and_b32 s50, s13, 0xffff
	s_and_b32 s59, vcc_lo, s0
	s_lshl_b32 s57, s50, 2
	v_add_co_u32 v5, vcc_lo, s42, v1
	v_cvt_f32_u32_e32 v3, s57
	v_add_co_ci_u32_e64 v6, null, s48, v2, vcc_lo
	v_lshlrev_b64 v[1:2], v19, -1
	s_bfe_u32 s1, s50, 0x80008
	v_rcp_iflag_f32_e32 v2, v3
	s_bfe_u32 s7, s13, 0xb0005
	s_lshl_b32 s58, s1, 3
	s_cmpk_gt_u32 s36, 0x600
	v_add_nc_u32_e32 v3, 2, v0
	s_cselect_b32 s60, -1, 0
	s_cmp_gt_u32 s50, 31
	v_cvt_f32_u32_e32 v8, s50
	s_cselect_b32 s61, -1, 0
	s_add_i32 s62, s50, -1
	v_mul_f32_e32 v2, 0x4f7ffffe, v2
	s_add_i32 s13, s62, s36
	s_cmp_lt_u32 s6, s12
	v_max_u32_e32 v3, s36, v3
	s_cselect_b32 s6, 12, 18
	v_cvt_u32_f32_e32 v2, v2
	s_add_u32 s38, s10, s6
	s_addc_u32 s39, s11, 0
	s_add_i32 s7, s7, -1
	s_bfe_u32 s63, s50, 0x30005
	s_and_b32 s6, s7, 0xffff
	v_xad_u32 v3, v0, -1, v3
	s_cmp_gt_u32 s6, 6
	v_readfirstlane_b32 s6, v2
	s_cselect_b32 s64, -1, 0
	s_cmp_lg_u32 s63, 0
	v_not_b32_e32 v17, v1
	s_cselect_b32 s65, -1, 0
	s_sub_i32 s7, 0, s57
	v_lshrrev_b32_e32 v1, 1, v0
	s_mul_i32 s7, s7, s6
	v_add_nc_u32_e32 v4, -2, v3
	s_mul_hi_u32 s7, s6, s7
	v_rcp_iflag_f32_e32 v8, v8
	s_add_i32 s66, s6, s7
	v_and_or_b32 v22, v1, s8, 0xc00
	s_mul_hi_u32 s6, s36, s66
	v_lshrrev_b32_e32 v2, 1, v4
	s_mul_i32 s6, s6, s57
	v_and_b32_e32 v23, -2, v3
	s_sub_i32 s6, s36, s6
	v_cmp_lt_u32_e64 s7, 31, v3
	s_sub_i32 s8, s6, s57
	s_cmp_ge_u32 s6, s57
	v_add_nc_u32_e32 v1, 1, v2
	s_cselect_b32 s6, s8, s6
	v_mul_f32_e32 v2, 0x4f7ffffe, v8
	s_sub_i32 s8, s6, s57
	s_cmp_ge_u32 s6, s57
	v_and_b32_e32 v12, 7, v1
	s_cselect_b32 s6, s8, s6
	v_cvt_u32_f32_e32 v2, v2
	s_sub_i32 s67, s36, s6
	s_sub_i32 s8, 0, s50
	v_add_nc_u32_e32 v25, s67, v0
	v_and_b32_e32 v26, -8, v1
	v_readfirstlane_b32 s9, v2
	v_cmp_ne_u32_e64 s10, v3, v23
	v_or_b32_e32 v3, 3, v18
	v_mul_lo_u32 v8, v25, s40
	s_mov_b32 s41, s40
	s_mul_i32 s8, s8, s9
	v_lshlrev_b32_e32 v28, 2, v12
	s_mul_hi_u32 s8, s9, s8
	v_mul_lo_u32 v30, s40, v3
	s_add_i32 s68, s9, s8
	v_cmp_eq_u32_e64 s0, 0, v19
	v_lshlrev_b64 v[1:2], 1, v[8:9]
	s_mul_hi_u32 s9, s13, s68
	v_cmp_gt_u32_e64 s1, s36, v0
	s_mul_i32 s9, s9, s50
	v_cmp_gt_u32_e64 s15, 2, v0
	s_sub_i32 s11, s13, s9
	v_add_co_u32 v10, vcc_lo, s42, v1
	v_add3_u32 v1, s50, s36, v0
	s_sub_i32 s12, s11, s50
	s_cmp_ge_u32 s11, s50
	v_add_co_ci_u32_e64 v11, null, s48, v2, vcc_lo
	s_cselect_b32 s12, s12, s11
	v_or_b32_e32 v2, 2, v18
	v_subrev_nc_u32_e32 v1, s6, v1
	s_sub_i32 s14, s12, s50
	s_cmp_ge_u32 s12, s50
	v_cmp_ne_u32_e64 s9, 0, v12
	s_cselect_b32 s14, s14, s12
	v_mad_u64_u32 v[12:13], null, s40, v18, s[40:41]
	v_mul_lo_u32 v29, s40, v2
	v_mul_lo_u32 v32, s40, v1
	s_sub_i32 s69, s13, s14
	v_add_nc_u32_e32 v21, 0xc00, v20
	v_add_nc_u32_e32 v24, v0, v23
	v_cmp_lt_u32_e64 s8, 13, v4
	v_cmp_gt_u32_e64 s11, s67, v18
	v_cmp_gt_u32_e64 s12, s36, v25
	;; [unrolled: 1-line block ×3, first 2 shown]
	v_lshlrev_b32_e32 v31, 2, v7
	v_lshlrev_b32_e32 v33, 3, v0
	v_lshl_or_b32 v34, v19, 2, 0xc00
	v_mov_b32_e32 v39, s37
	v_mov_b32_e32 v35, 0x8000
	v_mov_b32_e32 v36, -1
	v_mov_b32_e32 v38, 0
	v_mov_b32_e32 v27, 0
	;; [unrolled: 1-line block ×3, first 2 shown]
	s_mul_i32 s52, s40, s50
	s_lshl_b32 s71, s50, 3
	s_lshl_b32 s70, s52, 2
	;; [unrolled: 1-line block ×3, first 2 shown]
	s_mov_b32 s79, 14
	s_movk_i32 s74, 0x3c00
	s_mov_b32 s75, 0
                                        ; implicit-def: $sgpr73
                                        ; implicit-def: $sgpr78
                                        ; implicit-def: $sgpr77
                                        ; implicit-def: $sgpr80
                                        ; implicit-def: $sgpr76
                                        ; implicit-def: $sgpr84
                                        ; implicit-def: $sgpr85
                                        ; implicit-def: $sgpr81
                                        ; implicit-def: $sgpr83
                                        ; implicit-def: $sgpr82
	s_branch .LBB104_15
.LBB104_13:                             ;   in Loop: Header=BB104_15 Depth=1
	s_or_b32 exec_lo, exec_lo, s17
	v_mov_b32_e32 v39, v4
	s_andn2_b32 s17, s82, exec_lo
	s_and_b32 s16, s16, exec_lo
	s_andn2_b32 s83, s83, exec_lo
	s_or_b32 s82, s17, s16
	s_andn2_b32 s81, s81, exec_lo
	s_andn2_b32 s85, s85, exec_lo
	;; [unrolled: 1-line block ×3, first 2 shown]
	s_orn2_b32 s17, s14, exec_lo
.LBB104_14:                             ;   in Loop: Header=BB104_15 Depth=1
	s_or_b32 exec_lo, exec_lo, s6
	s_and_b32 s6, exec_lo, s17
	s_or_b32 s49, s6, s49
	s_andn2_b32 s6, s76, exec_lo
	s_and_b32 s14, s82, exec_lo
	s_andn2_b32 s16, s80, exec_lo
	s_or_b32 s76, s6, s14
	s_and_b32 s6, s83, exec_lo
	s_andn2_b32 s14, s77, exec_lo
	s_and_b32 s17, s81, exec_lo
	s_or_b32 s80, s16, s6
	s_or_b32 s77, s14, s17
	s_andn2_b32 s6, s78, exec_lo
	s_and_b32 s14, s85, exec_lo
	s_andn2_b32 s16, s73, exec_lo
	s_and_b32 s17, s84, exec_lo
	s_or_b32 s78, s6, s14
	s_or_b32 s73, s16, s17
	s_andn2_b32 exec_lo, exec_lo, s49
	s_cbranch_execz .LBB104_431
.LBB104_15:                             ; =>This Loop Header: Depth=1
                                        ;     Child Loop BB104_20 Depth 2
                                        ;     Child Loop BB104_41 Depth 2
	;; [unrolled: 1-line block ×26, first 2 shown]
	ds_read_b64 v[1:2], v9 offset:4096
	s_waitcnt lgkmcnt(0)
	v_readfirstlane_b32 s86, v1
	s_cmp_lg_u32 s86, 0
	s_cbranch_scc1 .LBB104_60
; %bb.16:                               ;   in Loop: Header=BB104_15 Depth=1
	s_and_b32 vcc_lo, exec_lo, s60
	s_cbranch_vccz .LBB104_28
; %bb.17:                               ;   in Loop: Header=BB104_15 Depth=1
	v_cmp_gt_u32_e32 vcc_lo, 0x601, v2
	s_mov_b32 s16, 0
	s_mov_b32 s6, 0
	s_cbranch_vccz .LBB104_29
; %bb.18:                               ;   in Loop: Header=BB104_15 Depth=1
	global_load_ushort v1, v9, s[38:39]
	global_load_ushort v4, v[5:6], off
	v_mov_b32_e32 v3, v0
	s_mov_b32 s17, 0
	s_waitcnt vmcnt(1)
	v_add_nc_u32_e32 v2, v0, v1
	v_mul_lo_u32 v8, s40, v2
	v_mul_lo_u32 v2, s40, v1
	s_branch .LBB104_20
.LBB104_19:                             ;   in Loop: Header=BB104_20 Depth=2
	s_or_b32 exec_lo, exec_lo, s14
	v_add_nc_u32_e32 v8, v8, v2
	v_mov_b32_e32 v4, v13
	s_andn2_b32 exec_lo, exec_lo, s17
	s_cbranch_execz .LBB104_35
.LBB104_20:                             ;   Parent Loop BB104_15 Depth=1
                                        ; =>  This Inner Loop Header: Depth=2
	v_add_nc_u32_e32 v3, v3, v1
	s_waitcnt lgkmcnt(0)
	v_mov_b32_e32 v14, 0
	v_mov_b32_e32 v13, 0
	s_mov_b32 s14, exec_lo
	v_cmp_le_u32_e32 vcc_lo, s36, v3
	v_cmpx_gt_u32_e64 s36, v3
	s_cbranch_execz .LBB104_22
; %bb.21:                               ;   in Loop: Header=BB104_20 Depth=2
	v_lshlrev_b64 v[15:16], 1, v[8:9]
	v_add_co_u32 v15, s6, s42, v15
	v_add_co_ci_u32_e64 v16, null, s48, v16, s6
	global_load_ushort v13, v[15:16], off
.LBB104_22:                             ;   in Loop: Header=BB104_20 Depth=2
	s_or_b32 exec_lo, exec_lo, s14
	s_waitcnt vmcnt(0)
	v_cmp_lt_i16_e64 s6, -1, v4
	v_cndmask_b32_e64 v15, 0xffff, v35, s6
	v_cmp_o_f16_e64 s6, v4, v4
	v_xor_b32_sdwa v15, v15, v4 dst_sel:DWORD dst_unused:UNUSED_PAD src0_sel:DWORD src1_sel:WORD_0
	v_cndmask_b32_e64 v15, 0xffff, v15, s6
	v_and_b32_e32 v15, v15, v37
	v_cmp_eq_u32_e64 s6, v15, v27
	s_cmp_lg_u32 s6, 0
	s_cselect_b32 s14, -1, 0
	s_and_b32 s14, s0, s14
	s_and_saveexec_b32 s18, s14
	s_cbranch_execz .LBB104_26
; %bb.23:                               ;   in Loop: Header=BB104_20 Depth=2
	s_mov_b32 s21, exec_lo
	s_bcnt1_i32_b32 s19, s6
	v_mbcnt_lo_u32_b32 v14, s21, 0
	s_mov_b32 s20, exec_lo
                                        ; implicit-def: $vgpr15
	v_cmpx_eq_u32_e32 0, v14
; %bb.24:                               ;   in Loop: Header=BB104_20 Depth=2
	s_bcnt1_i32_b32 s14, s21
	s_mul_i32 s14, s19, s14
	v_mov_b32_e32 v15, s14
	ds_add_rtn_u32 v15, v9, v15 offset:4104
; %bb.25:                               ;   in Loop: Header=BB104_20 Depth=2
	s_or_b32 exec_lo, exec_lo, s20
	s_waitcnt lgkmcnt(0)
	v_readfirstlane_b32 s14, v15
	v_mad_u32_u24 v14, s19, v14, s14
.LBB104_26:                             ;   in Loop: Header=BB104_20 Depth=2
	s_or_b32 exec_lo, exec_lo, s18
	ds_bpermute_b32 v14, v9, v14
	s_and_b32 s14, exec_lo, vcc_lo
	s_or_b32 s17, s14, s17
	s_and_saveexec_b32 s14, s6
	s_cbranch_execz .LBB104_19
; %bb.27:                               ;   in Loop: Header=BB104_20 Depth=2
	v_and_b32_e32 v15, s6, v17
	v_bcnt_u32_b32 v15, v15, 0
	v_lshlrev_b32_e32 v15, 1, v15
	s_waitcnt lgkmcnt(0)
	v_lshl_add_u32 v14, v14, 1, v15
	ds_write_b16 v14, v4
	s_branch .LBB104_19
.LBB104_28:                             ;   in Loop: Header=BB104_15 Depth=1
	s_mov_b32 s16, -1
	s_mov_b32 s6, 0
.LBB104_29:                             ;   in Loop: Header=BB104_15 Depth=1
	s_and_b32 vcc_lo, exec_lo, s16
	s_cbranch_vccz .LBB104_58
.LBB104_30:                             ;   in Loop: Header=BB104_15 Depth=1
	s_and_saveexec_b32 s14, s1
	s_cbranch_execz .LBB104_55
; %bb.31:                               ;   in Loop: Header=BB104_15 Depth=1
	global_load_ushort v1, v9, s[38:39]
	global_load_ushort v40, v[5:6], off
	v_mov_b32_e32 v2, v0
	s_mov_b32 s16, exec_lo
	s_waitcnt vmcnt(1)
	v_add_nc_u32_e32 v13, v0, v1
	v_readfirstlane_b32 s17, v1
	v_cmpx_gt_u32_e64 s36, v13
	s_cbranch_execz .LBB104_54
; %bb.32:                               ;   in Loop: Header=BB104_15 Depth=1
	s_mov_b32 s6, 0
	s_mul_i32 s18, s40, s17
                                        ; implicit-def: $vgpr2
                                        ; implicit-def: $vgpr1
                                        ; implicit-def: $vgpr3
	s_and_saveexec_b32 s19, s7
	s_xor_b32 s19, exec_lo, s19
	s_cbranch_execnz .LBB104_38
; %bb.33:                               ;   in Loop: Header=BB104_15 Depth=1
	s_andn2_saveexec_b32 s19, s19
	s_cbranch_execnz .LBB104_49
.LBB104_34:                             ;   in Loop: Header=BB104_15 Depth=1
	s_or_b32 exec_lo, exec_lo, s19
	s_and_saveexec_b32 s18, s6
	s_cbranch_execnz .LBB104_50
	s_branch .LBB104_53
.LBB104_35:                             ;   in Loop: Header=BB104_15 Depth=1
	s_or_b32 exec_lo, exec_lo, s17
	s_waitcnt lgkmcnt(0)
	s_barrier
	buffer_gl0_inv
	s_and_saveexec_b32 s6, s3
	s_cbranch_execz .LBB104_37
; %bb.36:                               ;   in Loop: Header=BB104_15 Depth=1
	ds_read_b32 v1, v9 offset:4104
	s_waitcnt lgkmcnt(0)
	ds_write_b32 v9, v1 offset:4096
.LBB104_37:                             ;   in Loop: Header=BB104_15 Depth=1
	s_or_b32 exec_lo, exec_lo, s6
	s_waitcnt lgkmcnt(0)
	s_mov_b32 s6, -1
	s_barrier
	s_and_b32 vcc_lo, exec_lo, s16
	s_cbranch_vccnz .LBB104_30
	s_branch .LBB104_58
.LBB104_38:                             ;   in Loop: Header=BB104_15 Depth=1
	v_cvt_f32_u32_e32 v1, s17
	v_add_nc_u32_e32 v2, s17, v13
	s_sub_i32 s6, 0, s17
	s_not_b32 s20, s18
	v_rcp_iflag_f32_e32 v1, v1
	v_max_u32_e32 v2, s36, v2
	v_sub_nc_u32_e32 v2, v2, v0
	v_mul_f32_e32 v1, 0x4f7ffffe, v1
	v_cvt_u32_f32_e32 v1, v1
	v_mul_lo_u32 v3, s6, v1
	s_lshl_b32 s6, s17, 1
	v_cmp_ne_u32_e32 vcc_lo, s6, v2
	v_cndmask_b32_e64 v4, 0, 1, vcc_lo
	v_mul_hi_u32 v3, v1, v3
	v_or_b32_e32 v4, s6, v4
	v_add_nc_u32_e32 v1, v1, v3
	v_sub_nc_u32_e32 v2, v2, v4
	v_mul_hi_u32 v1, v2, v1
	v_mul_lo_u32 v3, v1, s17
	v_sub_nc_u32_e32 v2, v2, v3
	v_add_nc_u32_e32 v3, 1, v1
	v_subrev_nc_u32_e32 v4, s17, v2
	v_cmp_le_u32_e64 s6, s17, v2
	v_cndmask_b32_e64 v1, v1, v3, s6
	v_cndmask_b32_e64 v2, v2, v4, s6
	v_add_nc_u32_e32 v3, 1, v1
	v_cmp_le_u32_e64 s6, s17, v2
	v_mul_lo_u32 v2, s40, v13
	v_cndmask_b32_e64 v1, v1, v3, s6
	s_abs_i32 s6, s18
	v_add_co_ci_u32_e64 v1, null, 0, v1, vcc_lo
	v_mul_hi_u32 v3, s6, v1
	v_mul_lo_u32 v1, s6, v1
	s_ashr_i32 s6, s20, 31
	s_cmp_eq_u32 s17, 1
	v_xor_b32_e32 v2, s6, v2
	s_cselect_b32 s20, -1, 0
	v_cmp_eq_u32_e32 vcc_lo, 0, v3
	v_cmp_le_u32_e64 s6, v1, v2
	v_mov_b32_e32 v1, v0
                                        ; implicit-def: $vgpr2
	s_and_b32 s20, vcc_lo, s20
	s_and_b32 s21, s20, s6
	s_mov_b32 s20, -1
	s_and_saveexec_b32 s6, s21
	s_cbranch_execz .LBB104_48
; %bb.39:                               ;   in Loop: Header=BB104_15 Depth=1
	v_add_nc_u32_e32 v14, 1, v13
	s_waitcnt vmcnt(0)
	v_lshlrev_b32_e32 v1, 16, v40
	v_mov_b32_e32 v8, 0
                                        ; implicit-def: $vgpr40
	v_mov_b32_e32 v16, v14
	v_mov_b32_e32 v15, v13
	s_and_saveexec_b32 s20, s8
	s_cbranch_execz .LBB104_43
; %bb.40:                               ;   in Loop: Header=BB104_15 Depth=1
	v_mov_b32_e32 v16, v14
	v_mov_b32_e32 v41, v26
	;; [unrolled: 1-line block ×4, first 2 shown]
	s_mov_b32 s21, 0
	s_mov_b32 s22, 0
.LBB104_41:                             ;   Parent Loop BB104_15 Depth=1
                                        ; =>  This Inner Loop Header: Depth=2
	v_add_nc_u32_e32 v4, 2, v16
	v_mul_lo_u32 v8, v15, s40
	v_add_nc_u32_e32 v14, 4, v16
	v_mul_lo_u32 v2, v16, s41
	v_add_nc_u32_e32 v40, 6, v16
	v_mul_lo_u32 v43, v4, s41
	v_mov_b32_e32 v3, v9
	v_add_nc_u32_e32 v49, 8, v16
	v_mul_lo_u32 v45, v14, s41
	v_mov_b32_e32 v44, v9
	v_add_nc_u32_e32 v51, 10, v16
	v_mul_lo_u32 v47, v40, s41
	v_lshlrev_b64 v[53:54], 1, v[8:9]
	v_mov_b32_e32 v46, v9
	v_mul_lo_u32 v49, v49, s41
	v_lshlrev_b64 v[2:3], 1, v[2:3]
	v_mov_b32_e32 v48, v9
	;; [unrolled: 3-line block ×3, first 2 shown]
	v_lshlrev_b64 v[45:46], 1, v[45:46]
	v_add_co_u32 v53, vcc_lo, s42, v53
	v_mov_b32_e32 v52, v9
	v_lshlrev_b64 v[47:48], 1, v[47:48]
	v_add_co_ci_u32_e64 v54, null, s48, v54, vcc_lo
	v_add_co_u32 v2, vcc_lo, s42, v2
	v_lshlrev_b64 v[49:50], 1, v[49:50]
	v_add_co_ci_u32_e64 v3, null, s48, v3, vcc_lo
	v_add_co_u32 v43, vcc_lo, s42, v43
	v_lshlrev_b64 v[51:52], 1, v[51:52]
	v_add_co_ci_u32_e64 v44, null, s48, v44, vcc_lo
	v_add_co_u32 v45, vcc_lo, s42, v45
	v_add_co_ci_u32_e64 v46, null, s48, v46, vcc_lo
	v_add_co_u32 v47, vcc_lo, s42, v47
	v_lshrrev_b32_e32 v1, 16, v1
	v_add_co_ci_u32_e64 v48, null, s48, v48, vcc_lo
	v_add_co_u32 v49, vcc_lo, s42, v49
	v_add_co_ci_u32_e64 v50, null, s48, v50, vcc_lo
	v_add_co_u32 v51, vcc_lo, s42, v51
	v_add_co_ci_u32_e64 v52, null, s48, v52, vcc_lo
	s_clause 0x6
	global_load_short_d16_hi v1, v[53:54], off
	global_load_ushort v2, v[2:3], off
	global_load_ushort v3, v[43:44], off
	;; [unrolled: 1-line block ×6, first 2 shown]
	v_add_nc_u32_e32 v8, 2, v15
	v_add_nc_u32_e32 v46, 12, v16
	v_add_nc_u32_e32 v48, 14, v16
	v_add_nc_u32_e32 v14, 4, v15
	v_mov_b32_e32 v47, v9
	v_mul_lo_u32 v8, v8, s40
	v_mul_lo_u32 v46, v46, s41
	;; [unrolled: 1-line block ×3, first 2 shown]
	v_mov_b32_e32 v49, v9
	v_add_nc_u32_e32 v40, 6, v15
	v_add_nc_u32_e32 v54, 8, v15
	;; [unrolled: 1-line block ×4, first 2 shown]
	v_lshlrev_b64 v[50:51], 1, v[8:9]
	v_mul_lo_u32 v8, v14, s40
	v_lshlrev_b64 v[46:47], 1, v[46:47]
	v_lshlrev_b64 v[48:49], 1, v[48:49]
	v_add_nc_u32_e32 v60, 14, v15
	v_add_nc_u32_e32 v41, -8, v41
	s_add_i32 s22, s22, 16
	v_add_nc_u32_e32 v16, 16, v16
	v_add_co_u32 v46, vcc_lo, s42, v46
	v_lshlrev_b64 v[52:53], 1, v[8:9]
	v_mul_lo_u32 v8, v40, s40
	v_add_co_ci_u32_e64 v47, null, s48, v47, vcc_lo
	v_add_co_u32 v48, vcc_lo, s42, v48
	v_add_co_ci_u32_e64 v49, null, s48, v49, vcc_lo
	v_add_co_u32 v50, vcc_lo, s42, v50
	v_add_co_ci_u32_e64 v51, null, s48, v51, vcc_lo
	global_load_ushort v14, v[46:47], off
	v_add_co_u32 v46, vcc_lo, s42, v52
	v_add_co_ci_u32_e64 v47, null, s48, v53, vcc_lo
	v_lshlrev_b64 v[52:53], 1, v[8:9]
	v_mul_lo_u32 v8, v54, s40
	v_add_nc_u32_e32 v15, 16, v15
	v_add_co_u32 v52, vcc_lo, s42, v52
	v_add_co_ci_u32_e64 v53, null, s48, v53, vcc_lo
	v_lshlrev_b64 v[54:55], 1, v[8:9]
	v_mul_lo_u32 v8, v56, s40
	v_add_co_u32 v54, vcc_lo, s42, v54
	v_add_co_ci_u32_e64 v55, null, s48, v55, vcc_lo
	v_lshlrev_b64 v[56:57], 1, v[8:9]
	v_mul_lo_u32 v8, v58, s40
	;; [unrolled: 4-line block ×3, first 2 shown]
	v_add_co_u32 v58, vcc_lo, s42, v58
	v_add_co_ci_u32_e64 v59, null, s48, v59, vcc_lo
	v_lshlrev_b64 v[60:61], 1, v[8:9]
	v_mov_b32_e32 v8, s22
	v_add_co_u32 v60, vcc_lo, s42, v60
	v_add_co_ci_u32_e64 v61, null, s48, v61, vcc_lo
	v_cmp_eq_u32_e32 vcc_lo, 0, v41
	s_clause 0x7
	global_load_short_d16_hi v2, v[50:51], off
	global_load_short_d16_hi v3, v[46:47], off
	;; [unrolled: 1-line block ×3, first 2 shown]
	global_load_ushort v47, v[60:61], off
	global_load_short_d16_hi v43, v[54:55], off
	global_load_short_d16_hi v44, v[56:57], off
	;; [unrolled: 1-line block ×3, first 2 shown]
	global_load_ushort v40, v[48:49], off
	s_or_b32 s21, vcc_lo, s21
	s_waitcnt vmcnt(5)
	ds_write_b128 v42, v[1:4]
	s_waitcnt vmcnt(4)
	v_perm_b32 v46, v47, v14, 0x5040100
	s_waitcnt vmcnt(0)
	v_perm_b32 v1, v40, v47, 0x5040100
	ds_write_b128 v42, v[43:46] offset:16
	v_add_nc_u32_e32 v42, 32, v42
	s_andn2_b32 exec_lo, exec_lo, s21
	s_cbranch_execnz .LBB104_41
; %bb.42:                               ;   in Loop: Header=BB104_15 Depth=1
	s_or_b32 exec_lo, exec_lo, s21
.LBB104_43:                             ;   in Loop: Header=BB104_15 Depth=1
	s_or_b32 exec_lo, exec_lo, s20
	s_and_saveexec_b32 s20, s9
	s_cbranch_execz .LBB104_47
; %bb.44:                               ;   in Loop: Header=BB104_15 Depth=1
	v_lshl_add_u32 v2, v8, 1, v20
	v_mov_b32_e32 v3, v28
	s_mov_b32 s21, 0
	s_inst_prefetch 0x1
	.p2align	6
.LBB104_45:                             ;   Parent Loop BB104_15 Depth=1
                                        ; =>  This Inner Loop Header: Depth=2
	v_mul_lo_u32 v8, v15, s40
	v_mul_lo_u32 v40, v16, s41
	v_mov_b32_e32 v41, v9
	v_add_nc_u32_e32 v3, -4, v3
	v_add_nc_u32_e32 v16, 2, v16
	v_add_nc_u32_e32 v15, 2, v15
	v_lshlrev_b64 v[42:43], 1, v[8:9]
	v_lshlrev_b64 v[40:41], 1, v[40:41]
	v_add_co_u32 v42, vcc_lo, s42, v42
	v_add_co_ci_u32_e64 v43, null, s48, v43, vcc_lo
	v_add_co_u32 v40, vcc_lo, s42, v40
	v_add_co_ci_u32_e64 v41, null, s48, v41, vcc_lo
	s_clause 0x1
	global_load_ushort v4, v[42:43], off
	global_load_ushort v40, v[40:41], off
	v_cmp_eq_u32_e32 vcc_lo, 0, v3
	s_or_b32 s21, vcc_lo, s21
	s_waitcnt vmcnt(1)
	v_alignbit_b32 v1, v4, v1, 16
	s_waitcnt vmcnt(0)
	v_perm_b32 v4, v40, v4, 0x5040100
	ds_write_b32 v2, v1
	v_add_nc_u32_e32 v2, 4, v2
	v_mov_b32_e32 v1, v4
	s_andn2_b32 exec_lo, exec_lo, s21
	s_cbranch_execnz .LBB104_45
; %bb.46:                               ;   in Loop: Header=BB104_15 Depth=1
	s_inst_prefetch 0x2
	s_or_b32 exec_lo, exec_lo, s21
.LBB104_47:                             ;   in Loop: Header=BB104_15 Depth=1
	s_or_b32 exec_lo, exec_lo, s20
	v_add_nc_u32_e32 v13, v13, v23
	v_mov_b32_e32 v1, v24
	s_orn2_b32 s20, s10, exec_lo
	v_add_nc_u32_e32 v2, -1, v13
.LBB104_48:                             ;   in Loop: Header=BB104_15 Depth=1
	s_or_b32 exec_lo, exec_lo, s6
	v_mov_b32_e32 v3, s18
	s_and_b32 s6, s20, exec_lo
	s_andn2_saveexec_b32 s19, s19
	s_cbranch_execz .LBB104_34
.LBB104_49:                             ;   in Loop: Header=BB104_15 Depth=1
	v_mov_b32_e32 v3, s18
	v_mov_b32_e32 v1, v0
	s_or_b32 s6, s6, exec_lo
	s_or_b32 exec_lo, exec_lo, s19
	s_and_saveexec_b32 s18, s6
	s_cbranch_execz .LBB104_53
.LBB104_50:                             ;   in Loop: Header=BB104_15 Depth=1
	v_mul_lo_u32 v8, s40, v13
	s_mov_b32 s19, 0
	s_sub_i32 s6, 0, s17
	.p2align	6
.LBB104_51:                             ;   Parent Loop BB104_15 Depth=1
                                        ; =>  This Inner Loop Header: Depth=2
	v_lshlrev_b64 v[14:15], 1, v[8:9]
	s_waitcnt vmcnt(0)
	v_mov_b32_e32 v2, v40
	v_mov_b32_e32 v4, v13
	v_add_nc_u32_e32 v8, v8, v3
	v_add_co_u32 v14, vcc_lo, s42, v14
	v_add_co_ci_u32_e64 v15, null, s48, v15, vcc_lo
	v_add_nc_u32_e32 v13, s17, v4
	global_load_ushort v40, v[14:15], off
	v_lshlrev_b32_e32 v14, 1, v1
	v_cmp_le_u32_e32 vcc_lo, s36, v13
	v_mov_b32_e32 v1, v4
	ds_write_b16 v14, v2
	s_or_b32 s19, vcc_lo, s19
	s_andn2_b32 exec_lo, exec_lo, s19
	s_cbranch_execnz .LBB104_51
; %bb.52:                               ;   in Loop: Header=BB104_15 Depth=1
	s_or_b32 exec_lo, exec_lo, s19
	v_add_nc_u32_e32 v2, s6, v13
.LBB104_53:                             ;   in Loop: Header=BB104_15 Depth=1
	s_or_b32 exec_lo, exec_lo, s18
.LBB104_54:                             ;   in Loop: Header=BB104_15 Depth=1
	s_or_b32 exec_lo, exec_lo, s16
	v_lshlrev_b32_e32 v1, 1, v2
	s_waitcnt vmcnt(0)
	ds_write_b16 v1, v40
.LBB104_55:                             ;   in Loop: Header=BB104_15 Depth=1
	s_or_b32 exec_lo, exec_lo, s14
	s_waitcnt lgkmcnt(0)
	s_barrier
	buffer_gl0_inv
	s_and_saveexec_b32 s6, s3
; %bb.56:                               ;   in Loop: Header=BB104_15 Depth=1
	v_mov_b32_e32 v1, s36
	ds_write_b32 v9, v1 offset:4096
; %bb.57:                               ;   in Loop: Header=BB104_15 Depth=1
	s_or_b32 exec_lo, exec_lo, s6
	s_mov_b32 s6, -1
	s_waitcnt lgkmcnt(0)
	s_barrier
.LBB104_58:                             ;   in Loop: Header=BB104_15 Depth=1
	s_and_b32 vcc_lo, exec_lo, s6
	s_mov_b32 s86, 0
	s_cbranch_vccz .LBB104_60
; %bb.59:                               ;   in Loop: Header=BB104_15 Depth=1
	buffer_gl0_inv
	ds_read_b32 v1, v9 offset:4096
	s_waitcnt lgkmcnt(0)
	v_readfirstlane_b32 s86, v1
.LBB104_60:                             ;   in Loop: Header=BB104_15 Depth=1
	s_cmp_lt_i32 s86, 1
	s_mov_b32 s6, -1
                                        ; implicit-def: $vgpr1
	s_cbranch_scc1 .LBB104_70
; %bb.61:                               ;   in Loop: Header=BB104_15 Depth=1
	s_and_b32 vcc_lo, exec_lo, s6
	s_cbranch_vccnz .LBB104_81
.LBB104_62:                             ;   in Loop: Header=BB104_15 Depth=1
	s_lshl_b32 s6, s75, 7
	s_and_saveexec_b32 s14, s0
.LBB104_63:                             ;   in Loop: Header=BB104_15 Depth=1
	v_lshl_add_u32 v8, s6, 2, v22
	ds_write_b128 v8, v[1:4]
.LBB104_64:                             ;   in Loop: Header=BB104_15 Depth=1
	s_or_b32 exec_lo, exec_lo, s14
	s_waitcnt lgkmcnt(0)
	s_barrier
	buffer_gl0_inv
	s_and_saveexec_b32 s14, s59
	s_cbranch_execz .LBB104_94
; %bb.65:                               ;   in Loop: Header=BB104_15 Depth=1
	v_mov_b32_e32 v1, 0
	s_andn2_b32 vcc_lo, exec_lo, s61
	s_cbranch_vccnz .LBB104_93
; %bb.66:                               ;   in Loop: Header=BB104_15 Depth=1
	s_andn2_b32 vcc_lo, exec_lo, s64
	s_cbranch_vccnz .LBB104_90
; %bb.67:                               ;   in Loop: Header=BB104_15 Depth=1
	v_lshl_add_u32 v2, s75, 9, v34
	v_mov_b32_e32 v1, 0
	s_mov_b32 s16, 0
	.p2align	6
.LBB104_68:                             ;   Parent Loop BB104_15 Depth=1
                                        ; =>  This Inner Loop Header: Depth=2
	ds_read2_b32 v[3:4], v2 offset1:4
	ds_read2_b32 v[13:14], v2 offset0:8 offset1:12
	ds_read2_b32 v[15:16], v2 offset0:16 offset1:20
	;; [unrolled: 1-line block ×3, first 2 shown]
	v_add_nc_u32_e32 v2, 0x80, v2
	s_add_i32 s16, s16, 8
	s_cmp_eq_u32 s58, s16
	s_waitcnt lgkmcnt(3)
	v_add3_u32 v1, v3, v1, v4
	s_waitcnt lgkmcnt(2)
	v_add3_u32 v1, v13, v1, v14
	;; [unrolled: 2-line block ×4, first 2 shown]
	s_cbranch_scc0 .LBB104_68
; %bb.69:                               ;   in Loop: Header=BB104_15 Depth=1
	s_mov_b32 s16, s58
	s_andn2_b32 vcc_lo, exec_lo, s65
	s_cbranch_vccz .LBB104_91
	s_branch .LBB104_93
.LBB104_70:                             ;   in Loop: Header=BB104_15 Depth=1
	v_mov_b32_e32 v1, 0
	v_mov_b32_e32 v2, 0
	;; [unrolled: 1-line block ×4, first 2 shown]
	s_and_saveexec_b32 s25, s11
	s_cbranch_execz .LBB104_74
; %bb.71:                               ;   in Loop: Header=BB104_15 Depth=1
	v_mov_b32_e32 v13, v18
	s_mov_b32 s26, 0
	s_mov_b32 s27, 0
	;; [unrolled: 1-line block ×6, first 2 shown]
.LBB104_72:                             ;   Parent Loop BB104_15 Depth=1
                                        ; =>  This Inner Loop Header: Depth=2
	v_add_nc_u32_e32 v8, s27, v31
	v_add_nc_u32_e32 v13, s57, v13
	v_lshlrev_b64 v[1:2], 1, v[8:9]
	v_add_nc_u32_e32 v8, s27, v12
	v_lshlrev_b64 v[3:4], 1, v[8:9]
	v_add_nc_u32_e32 v8, s27, v29
	v_add_co_u32 v1, vcc_lo, s42, v1
	v_add_co_ci_u32_e64 v2, null, s48, v2, vcc_lo
	v_lshlrev_b64 v[14:15], 1, v[8:9]
	v_add_nc_u32_e32 v8, s27, v30
	s_add_i32 s27, s27, s70
	global_load_ushort v16, v[1:2], off
	v_add_co_u32 v1, vcc_lo, s42, v3
	v_add_co_ci_u32_e64 v2, null, s48, v4, vcc_lo
	v_add_co_u32 v14, vcc_lo, s42, v14
	v_add_co_ci_u32_e64 v15, null, s48, v15, vcc_lo
	v_lshlrev_b64 v[3:4], 1, v[8:9]
	s_clause 0x1
	global_load_ushort v8, v[1:2], off
	global_load_ushort v14, v[14:15], off
	v_add_co_u32 v1, vcc_lo, s42, v3
	v_add_co_ci_u32_e64 v2, null, s48, v4, vcc_lo
	v_cmp_le_u32_e32 vcc_lo, s67, v13
	global_load_ushort v1, v[1:2], off
	s_waitcnt vmcnt(3)
	v_cmp_lt_i16_e64 s6, -1, v16
	v_cndmask_b32_e64 v2, 0xffff, v35, s6
	s_waitcnt vmcnt(2)
	v_cmp_lt_i16_e64 s6, -1, v8
	v_xor_b32_sdwa v2, v2, v16 dst_sel:DWORD dst_unused:UNUSED_PAD src0_sel:DWORD src1_sel:WORD_0
	s_waitcnt vmcnt(1)
	v_cmp_lt_i16_e64 s14, -1, v14
	v_cndmask_b32_e64 v3, 0xffff, v35, s6
	v_cmp_o_f16_e64 s6, v16, v16
	v_cndmask_b32_e64 v4, 0xffff, v35, s14
	v_xor_b32_sdwa v3, v3, v8 dst_sel:DWORD dst_unused:UNUSED_PAD src0_sel:DWORD src1_sel:WORD_0
	v_cndmask_b32_e64 v2, 0xffff, v2, s6
	v_cmp_o_f16_e64 s6, v8, v8
	v_xor_b32_sdwa v4, v4, v14 dst_sel:DWORD dst_unused:UNUSED_PAD src0_sel:DWORD src1_sel:WORD_0
	s_waitcnt vmcnt(0)
	v_cmp_o_f16_e64 s19, v1, v1
	v_and_b32_e32 v15, v2, v37
	v_cndmask_b32_e64 v3, 0xffff, v3, s6
	v_cmp_lt_i16_e64 s6, -1, v1
	v_bfe_u32 v2, v2, s79, 2
	v_cndmask_b32_e64 v8, 0xffff, v35, s6
	v_cmp_o_f16_e64 s6, v14, v14
	v_cmp_eq_u32_e64 s14, 0, v2
	v_and_b32_e32 v14, v3, v37
	v_bfe_u32 v3, v3, s79, 2
	v_xor_b32_sdwa v8, v8, v1 dst_sel:DWORD dst_unused:UNUSED_PAD src0_sel:DWORD src1_sel:WORD_0
	v_cndmask_b32_e64 v4, 0xffff, v4, s6
	v_cmp_eq_u32_e64 s6, v15, v27
	v_cmp_eq_u32_e64 s16, 1, v2
	;; [unrolled: 1-line block ×4, first 2 shown]
	v_cndmask_b32_e64 v1, 0xffff, v8, s19
	s_and_b32 s14, s6, s14
	v_cmp_eq_u32_e64 s19, v14, v27
	v_cmp_eq_u32_e64 s20, 0, v3
	v_cndmask_b32_e64 v8, 0, 1, s14
	v_cmp_eq_u32_e64 s14, 1, v3
	s_and_b32 s16, s6, s16
	v_and_b32_e32 v2, v4, v37
	v_bfe_u32 v4, v4, s79, 2
	v_cndmask_b32_e64 v14, 0, 1, s16
	v_cmp_eq_u32_e64 s16, 2, v3
	s_and_b32 s17, s6, s17
	s_and_b32 s6, s6, s18
	v_cndmask_b32_e64 v15, 0, 1, s17
	s_and_b32 s20, s19, s20
	s_and_b32 s14, s19, s14
	v_cmp_eq_u32_e64 s17, 3, v3
	v_cndmask_b32_e64 v3, 0, 1, s6
	v_cmp_eq_u32_e64 s6, v2, v27
	v_cmp_eq_u32_e64 s18, 0, v4
	v_cmp_ne_u32_e64 s21, 0, v8
	v_cndmask_b32_e64 v8, 0, 1, s20
	v_cmp_eq_u32_e64 s20, 1, v4
	v_cmp_ne_u32_e64 s22, 0, v14
	v_cndmask_b32_e64 v14, 0, 1, s14
	v_cmp_eq_u32_e64 s14, 2, v4
	s_and_b32 s16, s19, s16
	v_and_b32_e32 v2, v1, v37
	v_bfe_u32 v1, v1, s79, 2
	v_cmp_ne_u32_e64 s23, 0, v15
	v_cndmask_b32_e64 v15, 0, 1, s16
	v_cmp_eq_u32_e64 s16, 3, v4
	s_and_b32 s17, s19, s17
	s_and_b32 s18, s6, s18
	;; [unrolled: 1-line block ×4, first 2 shown]
	v_cmp_ne_u32_e64 s24, 0, v3
	v_cndmask_b32_e64 v3, 0, 1, s17
	v_cmp_eq_u32_e64 s17, v2, v27
	v_cmp_eq_u32_e64 s19, 0, v1
	s_bcnt1_i32_b32 s33, s21
	v_cmp_ne_u32_e64 s21, 0, v8
	v_cndmask_b32_e64 v2, 0, 1, s18
	v_cmp_eq_u32_e64 s18, 1, v1
	v_cndmask_b32_e64 v4, 0, 1, s20
	v_cmp_eq_u32_e64 s20, 2, v1
	v_cndmask_b32_e64 v8, 0, 1, s14
	v_cmp_eq_u32_e64 s14, 3, v1
	s_and_b32 s6, s6, s16
	s_bcnt1_i32_b32 s88, s24
	v_cndmask_b32_e64 v1, 0, 1, s6
	v_cmp_ne_u32_e64 s24, 0, v3
	s_and_b32 s16, s17, s19
	s_and_b32 s18, s17, s18
	;; [unrolled: 1-line block ×4, first 2 shown]
	v_cmp_ne_u32_e64 s6, 0, v2
	v_cndmask_b32_e64 v2, 0, 1, s16
	v_cmp_ne_u32_e64 s16, 0, v4
	v_cndmask_b32_e64 v3, 0, 1, s18
	v_cndmask_b32_e64 v4, 0, 1, s19
	v_cmp_ne_u32_e64 s19, 0, v1
	v_cndmask_b32_e64 v1, 0, 1, s14
	s_bcnt1_i32_b32 s34, s22
	v_cmp_ne_u32_e64 s22, 0, v14
	s_bcnt1_i32_b32 s87, s23
	v_cmp_ne_u32_e64 s23, 0, v15
	s_add_i32 s28, s88, s28
	v_cmp_ne_u32_e64 s18, 0, v8
	s_bcnt1_i32_b32 s20, s24
	s_bcnt1_i32_b32 s24, s6
	s_add_i32 s20, s28, s20
	v_cmp_ne_u32_e64 s6, 0, v2
	s_bcnt1_i32_b32 s28, s16
	v_cmp_ne_u32_e64 s14, 0, v3
	v_cmp_ne_u32_e64 s16, 0, v4
	;; [unrolled: 1-line block ×3, first 2 shown]
	s_add_i32 s31, s33, s31
	s_add_i32 s30, s34, s30
	;; [unrolled: 1-line block ×3, first 2 shown]
	s_bcnt1_i32_b32 s21, s21
	s_bcnt1_i32_b32 s22, s22
	;; [unrolled: 1-line block ×3, first 2 shown]
	s_add_i32 s21, s31, s21
	s_add_i32 s22, s30, s22
	;; [unrolled: 1-line block ×3, first 2 shown]
	s_bcnt1_i32_b32 s18, s18
	s_bcnt1_i32_b32 s19, s19
	s_add_i32 s21, s21, s24
	s_add_i32 s22, s22, s28
	;; [unrolled: 1-line block ×4, first 2 shown]
	s_bcnt1_i32_b32 s6, s6
	s_bcnt1_i32_b32 s14, s14
	;; [unrolled: 1-line block ×4, first 2 shown]
	s_add_i32 s31, s21, s6
	s_add_i32 s30, s22, s14
	;; [unrolled: 1-line block ×4, first 2 shown]
	v_mov_b32_e32 v1, s31
	v_mov_b32_e32 v2, s30
	;; [unrolled: 1-line block ×4, first 2 shown]
	s_or_b32 s26, vcc_lo, s26
	s_andn2_b32 exec_lo, exec_lo, s26
	s_cbranch_execnz .LBB104_72
; %bb.73:                               ;   in Loop: Header=BB104_15 Depth=1
	s_or_b32 exec_lo, exec_lo, s26
.LBB104_74:                             ;   in Loop: Header=BB104_15 Depth=1
	s_or_b32 exec_lo, exec_lo, s25
	s_and_saveexec_b32 s18, s12
	s_cbranch_execz .LBB104_80
; %bb.75:                               ;   in Loop: Header=BB104_15 Depth=1
	global_load_ushort v15, v[10:11], off
	v_mov_b32_e32 v8, v32
	v_mov_b32_e32 v13, v25
	s_mov_b32 s19, 0
	s_branch .LBB104_77
.LBB104_76:                             ;   in Loop: Header=BB104_77 Depth=2
	s_or_b32 exec_lo, exec_lo, s14
	s_waitcnt vmcnt(0)
	v_cmp_lt_i16_e64 s6, -1, v15
	s_and_b32 s14, exec_lo, vcc_lo
	v_add_nc_u32_e32 v8, s52, v8
	s_or_b32 s19, s14, s19
	v_cndmask_b32_e64 v16, 0xffff, v35, s6
	v_cmp_o_f16_e64 s6, v15, v15
	v_xor_b32_sdwa v16, v16, v15 dst_sel:DWORD dst_unused:UNUSED_PAD src0_sel:DWORD src1_sel:WORD_0
	v_cndmask_b32_e64 v15, 0xffff, v16, s6
	v_and_b32_e32 v16, v15, v37
	v_bfe_u32 v15, v15, s79, 2
	v_cmp_eq_u32_e32 vcc_lo, v16, v27
	v_cmp_eq_u32_e64 s6, 0, v15
	v_cmp_eq_u32_e64 s14, 1, v15
	;; [unrolled: 1-line block ×4, first 2 shown]
	s_and_b32 s6, vcc_lo, s6
	v_cndmask_b32_e64 v15, 0, 1, s6
	s_and_b32 s6, vcc_lo, s14
	v_cndmask_b32_e64 v16, 0, 1, s6
	;; [unrolled: 2-line block ×3, first 2 shown]
	s_and_b32 s6, vcc_lo, s17
	v_cmp_ne_u32_e32 vcc_lo, 0, v15
	v_cndmask_b32_e64 v41, 0, 1, s6
	v_cmp_ne_u32_e64 s6, 0, v16
	v_cmp_ne_u32_e64 s14, 0, v40
	v_mov_b32_e32 v15, v14
	s_bcnt1_i32_b32 s17, vcc_lo
	v_cmp_ne_u32_e64 s16, 0, v41
	s_bcnt1_i32_b32 s6, s6
	s_bcnt1_i32_b32 s14, s14
	v_add_nc_u32_e32 v1, s17, v1
	v_add_nc_u32_e32 v2, s6, v2
	s_bcnt1_i32_b32 s16, s16
	v_add_nc_u32_e32 v3, s14, v3
	v_add_nc_u32_e32 v4, s16, v4
	s_andn2_b32 exec_lo, exec_lo, s19
	s_cbranch_execz .LBB104_79
.LBB104_77:                             ;   Parent Loop BB104_15 Depth=1
                                        ; =>  This Inner Loop Header: Depth=2
	v_add_nc_u32_e32 v13, s50, v13
	v_mov_b32_e32 v14, 0
	s_mov_b32 s14, exec_lo
	v_cmp_le_u32_e32 vcc_lo, s36, v13
	v_cmpx_gt_u32_e64 s36, v13
	s_cbranch_execz .LBB104_76
; %bb.78:                               ;   in Loop: Header=BB104_77 Depth=2
	v_lshlrev_b64 v[40:41], 1, v[8:9]
	v_add_co_u32 v40, s6, s42, v40
	v_add_co_ci_u32_e64 v41, null, s48, v41, s6
	global_load_ushort v14, v[40:41], off
	s_branch .LBB104_76
.LBB104_79:                             ;   in Loop: Header=BB104_15 Depth=1
	s_or_b32 exec_lo, exec_lo, s19
.LBB104_80:                             ;   in Loop: Header=BB104_15 Depth=1
	s_or_b32 exec_lo, exec_lo, s18
	s_branch .LBB104_62
.LBB104_81:                             ;   in Loop: Header=BB104_15 Depth=1
	s_mul_hi_u32 s6, s86, s66
	v_mov_b32_e32 v1, 0
	s_mul_i32 s6, s6, s57
	v_mov_b32_e32 v2, 0
	s_sub_i32 s6, s86, s6
	v_mov_b32_e32 v3, 0
	s_sub_i32 s14, s6, s57
	s_cmp_ge_u32 s6, s57
	v_mov_b32_e32 v4, 0
	s_cselect_b32 s6, s14, s6
	s_mov_b32 s88, exec_lo
	s_sub_i32 s14, s6, s57
	s_cmp_ge_u32 s6, s57
	s_cselect_b32 s6, s14, s6
	s_sub_i32 s87, s86, s6
	v_cmpx_gt_u32_e64 s87, v18
	s_cbranch_execz .LBB104_85
; %bb.82:                               ;   in Loop: Header=BB104_15 Depth=1
	v_mov_b32_e32 v8, v33
	v_mov_b32_e32 v13, v18
	s_mov_b32 s89, 0
	s_mov_b32 s90, 0
	;; [unrolled: 1-line block ×5, first 2 shown]
.LBB104_83:                             ;   Parent Loop BB104_15 Depth=1
                                        ; =>  This Inner Loop Header: Depth=2
	ds_read_b64 v[1:2], v8
	v_add_nc_u32_e32 v13, s57, v13
	v_add_nc_u32_e32 v8, s71, v8
	v_cmp_le_u32_e32 vcc_lo, s87, v13
	s_waitcnt lgkmcnt(0)
	v_cmp_lt_i16_e64 s6, -1, v1
	v_cmp_o_f16_e64 s17, v1, v1
	v_cmp_o_f16_e64 s14, v2, v2
	v_cmp_o_f16_sdwa s16, v2, v2 src0_sel:WORD_1 src1_sel:WORD_1
	v_cndmask_b32_e64 v3, 0xffff, v35, s6
	v_cmp_gt_i16_sdwa s6, v1, v36 src0_sel:WORD_1 src1_sel:DWORD
	v_xor_b32_sdwa v3, v3, v1 dst_sel:DWORD dst_unused:UNUSED_PAD src0_sel:DWORD src1_sel:WORD_0
	v_cndmask_b32_e64 v4, 0xffff, v35, s6
	v_cmp_lt_i16_e64 s6, -1, v2
	v_xor_b32_sdwa v4, v4, v1 dst_sel:DWORD dst_unused:UNUSED_PAD src0_sel:DWORD src1_sel:WORD_1
	v_cndmask_b32_e64 v14, 0xffff, v35, s6
	v_cmp_gt_i16_sdwa s6, v2, v36 src0_sel:WORD_1 src1_sel:DWORD
	v_xor_b32_sdwa v14, v14, v2 dst_sel:DWORD dst_unused:UNUSED_PAD src0_sel:DWORD src1_sel:WORD_0
	v_cndmask_b32_e64 v15, 0xffff, v35, s6
	v_cmp_o_f16_sdwa s6, v1, v1 src0_sel:WORD_1 src1_sel:WORD_1
	v_cndmask_b32_e64 v1, 0xffff, v3, s17
	v_cndmask_b32_e64 v3, 0xffff, v14, s14
	v_xor_b32_sdwa v15, v15, v2 dst_sel:DWORD dst_unused:UNUSED_PAD src0_sel:DWORD src1_sel:WORD_1
	v_cndmask_b32_e64 v2, 0xffff, v4, s6
	v_and_b32_e32 v14, v1, v37
	v_bfe_u32 v1, v1, s79, 2
	v_and_b32_e32 v16, v3, v37
	v_cndmask_b32_e64 v4, 0xffff, v15, s16
	v_and_b32_e32 v15, v2, v37
	v_bfe_u32 v2, v2, s79, 2
	v_bfe_u32 v3, v3, s79, 2
	v_cmp_eq_u32_e64 s6, v14, v27
	v_cmp_eq_u32_e64 s18, 0, v1
	v_and_b32_e32 v40, v4, v37
	v_bfe_u32 v4, v4, s79, 2
	v_cmp_eq_u32_e64 s14, v15, v27
	v_cmp_eq_u32_e64 s19, 0, v2
	;; [unrolled: 1-line block ×4, first 2 shown]
	s_and_b32 s18, s6, s18
	v_cmp_eq_u32_e64 s17, v40, v27
	v_cmp_eq_u32_e64 s21, 0, v4
	;; [unrolled: 1-line block ×5, first 2 shown]
	v_cndmask_b32_e64 v1, 0, 1, s18
	s_and_b32 s18, s14, s19
	v_cmp_eq_u32_e64 s23, 1, v2
	v_cmp_eq_u32_e64 s27, 2, v2
	v_cmp_eq_u32_e64 s31, 3, v2
	v_cndmask_b32_e64 v2, 0, 1, s18
	s_and_b32 s18, s16, s20
	v_cmp_eq_u32_e64 s24, 1, v3
	v_cmp_eq_u32_e64 s28, 2, v3
	v_cmp_eq_u32_e64 s33, 3, v3
	;; [unrolled: 5-line block ×3, first 2 shown]
	v_cndmask_b32_e64 v4, 0, 1, s18
	s_and_b32 s18, s6, s22
	v_cndmask_b32_e64 v14, 0, 1, s18
	s_and_b32 s18, s14, s23
	;; [unrolled: 2-line block ×4, first 2 shown]
	v_cmp_ne_u32_e64 s19, 0, v15
	v_cndmask_b32_e64 v40, 0, 1, s18
	s_and_b32 s18, s6, s26
	s_and_b32 s6, s6, s30
	v_cndmask_b32_e64 v41, 0, 1, s18
	s_and_b32 s18, s14, s27
	v_cndmask_b32_e64 v45, 0, 1, s6
	;; [unrolled: 2-line block ×7, first 2 shown]
	v_cndmask_b32_e64 v48, 0, 1, s6
	v_cmp_ne_u32_e64 s6, 0, v1
	v_cmp_ne_u32_e64 s18, 0, v14
	;; [unrolled: 1-line block ×11, first 2 shown]
	s_bcnt1_i32_b32 s6, s6
	s_bcnt1_i32_b32 s18, s18
	;; [unrolled: 1-line block ×4, first 2 shown]
	v_cmp_ne_u32_e64 s17, 0, v4
	v_cmp_ne_u32_e64 s21, 0, v40
	;; [unrolled: 1-line block ×4, first 2 shown]
	s_bcnt1_i32_b32 s14, s14
	s_bcnt1_i32_b32 s19, s19
	s_bcnt1_i32_b32 s23, s23
	s_bcnt1_i32_b32 s27, s27
	s_add_i32 s6, s6, s93
	s_add_i32 s18, s18, s92
	s_add_i32 s22, s22, s91
	s_add_i32 s26, s26, s90
	s_bcnt1_i32_b32 s16, s16
	s_bcnt1_i32_b32 s20, s20
	s_bcnt1_i32_b32 s24, s24
	s_bcnt1_i32_b32 s28, s28
	s_add_i32 s6, s6, s14
	s_add_i32 s14, s18, s19
	s_add_i32 s18, s22, s23
	s_add_i32 s19, s26, s27
	;; [unrolled: 8-line block ×3, first 2 shown]
	s_add_i32 s93, s6, s17
	s_add_i32 s92, s14, s21
	;; [unrolled: 1-line block ×4, first 2 shown]
	v_mov_b32_e32 v1, s93
	v_mov_b32_e32 v2, s92
	;; [unrolled: 1-line block ×4, first 2 shown]
	s_or_b32 s89, vcc_lo, s89
	s_andn2_b32 exec_lo, exec_lo, s89
	s_cbranch_execnz .LBB104_83
; %bb.84:                               ;   in Loop: Header=BB104_15 Depth=1
	s_or_b32 exec_lo, exec_lo, s89
.LBB104_85:                             ;   in Loop: Header=BB104_15 Depth=1
	s_or_b32 exec_lo, exec_lo, s88
	v_add_nc_u32_e32 v8, s87, v0
	s_mov_b32 s19, exec_lo
	v_cmpx_gt_u32_e64 s86, v8
	s_cbranch_execz .LBB104_89
; %bb.86:                               ;   in Loop: Header=BB104_15 Depth=1
	v_lshlrev_b32_e32 v13, 1, v8
	s_mov_b32 s20, 0
.LBB104_87:                             ;   Parent Loop BB104_15 Depth=1
                                        ; =>  This Inner Loop Header: Depth=2
	ds_read_u16 v14, v13
	v_add_nc_u32_e32 v8, s50, v8
	v_add_nc_u32_e32 v13, s72, v13
	v_cmp_le_u32_e32 vcc_lo, s86, v8
	s_waitcnt lgkmcnt(0)
	v_cmp_lt_i16_e64 s6, -1, v14
	v_cndmask_b32_e64 v15, 0xffff, v35, s6
	v_cmp_o_f16_e64 s6, v14, v14
	v_xor_b32_sdwa v15, v15, v14 dst_sel:DWORD dst_unused:UNUSED_PAD src0_sel:DWORD src1_sel:WORD_0
	v_cndmask_b32_e64 v14, 0xffff, v15, s6
	v_and_b32_e32 v15, v14, v37
	v_bfe_u32 v14, v14, s79, 2
	v_cmp_eq_u32_e64 s6, v15, v27
	v_cmp_eq_u32_e64 s14, 0, v14
	;; [unrolled: 1-line block ×5, first 2 shown]
	s_and_b32 s14, s6, s14
	v_cndmask_b32_e64 v14, 0, 1, s14
	s_and_b32 s14, s6, s16
	v_cndmask_b32_e64 v15, 0, 1, s14
	s_and_b32 s14, s6, s17
	s_and_b32 s6, s6, s18
	v_cndmask_b32_e64 v16, 0, 1, s14
	v_cndmask_b32_e64 v40, 0, 1, s6
	v_cmp_ne_u32_e64 s6, 0, v14
	v_cmp_ne_u32_e64 s14, 0, v15
	;; [unrolled: 1-line block ×4, first 2 shown]
	s_bcnt1_i32_b32 s6, s6
	s_bcnt1_i32_b32 s14, s14
	v_add_nc_u32_e32 v1, s6, v1
	s_bcnt1_i32_b32 s16, s16
	s_bcnt1_i32_b32 s17, s17
	v_add_nc_u32_e32 v2, s14, v2
	v_add_nc_u32_e32 v3, s16, v3
	;; [unrolled: 1-line block ×3, first 2 shown]
	s_or_b32 s20, vcc_lo, s20
	s_andn2_b32 exec_lo, exec_lo, s20
	s_cbranch_execnz .LBB104_87
; %bb.88:                               ;   in Loop: Header=BB104_15 Depth=1
	s_or_b32 exec_lo, exec_lo, s20
.LBB104_89:                             ;   in Loop: Header=BB104_15 Depth=1
	s_or_b32 exec_lo, exec_lo, s19
	s_lshl_b32 s6, s75, 7
	s_and_saveexec_b32 s14, s0
	s_cbranch_execnz .LBB104_63
	s_branch .LBB104_64
.LBB104_90:                             ;   in Loop: Header=BB104_15 Depth=1
	v_mov_b32_e32 v1, 0
	s_mov_b32 s16, 0
	s_andn2_b32 vcc_lo, exec_lo, s65
	s_cbranch_vccnz .LBB104_93
.LBB104_91:                             ;   in Loop: Header=BB104_15 Depth=1
	s_lshl_b32 s17, s75, 9
	s_lshl_b32 s16, s16, 4
	v_add3_u32 v2, s17, s16, v34
	s_mov_b32 s16, s63
.LBB104_92:                             ;   Parent Loop BB104_15 Depth=1
                                        ; =>  This Inner Loop Header: Depth=2
	ds_read_b32 v3, v2
	v_add_nc_u32_e32 v2, 16, v2
	s_add_i32 s16, s16, -1
	s_cmp_lg_u32 s16, 0
	s_waitcnt lgkmcnt(0)
	v_add_nc_u32_e32 v1, v3, v1
	s_cbranch_scc1 .LBB104_92
.LBB104_93:                             ;   in Loop: Header=BB104_15 Depth=1
	v_add_lshl_u32 v2, s6, v19, 2
	ds_write_b32 v2, v1 offset:3072
.LBB104_94:                             ;   in Loop: Header=BB104_15 Depth=1
	s_or_b32 exec_lo, exec_lo, s14
	s_lshl_b32 s6, s6, 2
	s_waitcnt lgkmcnt(0)
	v_mov_b32_e32 v1, s6
	s_barrier
	buffer_gl0_inv
	v_cmp_eq_u32_e64 s14, 1, v39
	s_lshl_b32 s18, 3, s79
	ds_read_b128 v[1:4], v1 offset:3072
	s_mov_b32 s27, -1
	s_not_b32 s19, s18
	s_mov_b32 s16, 0
	s_andn2_b32 vcc_lo, exec_lo, s56
	s_mov_b32 s24, 0
	s_mov_b32 s23, 0
                                        ; implicit-def: $sgpr25
                                        ; implicit-def: $sgpr26
                                        ; implicit-def: $vgpr8
	s_waitcnt lgkmcnt(0)
	v_readfirstlane_b32 s17, v1
	v_readfirstlane_b32 s20, v2
	;; [unrolled: 1-line block ×4, first 2 shown]
                                        ; implicit-def: $vgpr4
                                        ; implicit-def: $vgpr1
                                        ; implicit-def: $vgpr2
                                        ; implicit-def: $vgpr3
	s_cbranch_vccnz .LBB104_260
; %bb.95:                               ;   in Loop: Header=BB104_15 Depth=1
	s_cmp_eq_u32 s17, 1
	v_mov_b32_e32 v2, v27
	v_mov_b32_e32 v3, v37
	;; [unrolled: 1-line block ×3, first 2 shown]
	s_cselect_b32 s6, -1, 0
	s_mov_b32 s29, -1
	s_and_b32 s6, s6, s14
                                        ; implicit-def: $sgpr26
                                        ; implicit-def: $sgpr25
	s_and_saveexec_b32 s23, s6
	s_cbranch_execz .LBB104_123
; %bb.96:                               ;   in Loop: Header=BB104_15 Depth=1
	ds_read_b32 v1, v9 offset:4096
	s_waitcnt lgkmcnt(0)
	s_barrier
	buffer_gl0_inv
	v_readfirstlane_b32 s27, v1
	s_and_saveexec_b32 s24, s15
; %bb.97:                               ;   in Loop: Header=BB104_15 Depth=1
	ds_write_b16 v21, v9
; %bb.98:                               ;   in Loop: Header=BB104_15 Depth=1
	s_or_b32 exec_lo, exec_lo, s24
	v_and_b32_e32 v2, s19, v27
	v_or_b32_e32 v3, s18, v37
	s_mov_b32 s25, -1
	s_mov_b32 s26, 0
	s_cmp_eq_u32 s27, 0
	s_mov_b32 s24, 0
	s_mov_b32 s28, -1
	s_waitcnt lgkmcnt(0)
	s_barrier
	buffer_gl0_inv
                                        ; implicit-def: $vgpr8
	s_cbranch_scc1 .LBB104_110
; %bb.99:                               ;   in Loop: Header=BB104_15 Depth=1
	s_add_i32 s24, s27, s62
                                        ; implicit-def: $vgpr8
	s_mul_hi_u32 s28, s24, s68
	s_mul_i32 s28, s28, s50
	s_sub_i32 s28, s24, s28
	s_sub_i32 s29, s28, s50
	s_cmp_ge_u32 s28, s50
	s_cselect_b32 s28, s29, s28
	s_sub_i32 s29, s28, s50
	s_cmp_ge_u32 s28, s50
	s_cselect_b32 s28, s29, s28
	s_mov_b32 s29, exec_lo
	s_sub_i32 s30, s24, s28
	s_mov_b32 s28, 0
	s_mov_b32 s24, 0
	v_cmpx_gt_u32_e64 s30, v0
	s_cbranch_execz .LBB104_109
; %bb.100:                              ;   in Loop: Header=BB104_15 Depth=1
	v_mov_b32_e32 v1, v20
	v_mov_b32_e32 v4, v0
                                        ; implicit-def: $sgpr31
	s_inst_prefetch 0x1
	s_branch .LBB104_104
	.p2align	6
.LBB104_101:                            ;   in Loop: Header=BB104_104 Depth=2
	s_or_b32 exec_lo, exec_lo, s33
	s_waitcnt lgkmcnt(0)
	s_barrier
	buffer_gl0_inv
	ds_read_b32 v8, v9 offset:3072
	s_waitcnt lgkmcnt(0)
	s_barrier
	buffer_gl0_inv
	v_cmp_neq_f16_e32 vcc_lo, 0, v8
	s_cbranch_vccnz .LBB104_107
; %bb.102:                              ;   in Loop: Header=BB104_104 Depth=2
	v_add_nc_u32_e32 v4, s50, v4
	v_add_nc_u32_e32 v1, s72, v1
	s_mov_b32 s33, 0
	v_cmp_le_u32_e32 vcc_lo, s30, v4
	s_orn2_b32 s34, vcc_lo, exec_lo
.LBB104_103:                            ;   in Loop: Header=BB104_104 Depth=2
	s_and_b32 s34, exec_lo, s34
	s_or_b32 s24, s34, s24
	s_andn2_b32 s31, s31, exec_lo
	s_and_b32 s33, s33, exec_lo
	s_or_b32 s31, s31, s33
	s_andn2_b32 exec_lo, exec_lo, s24
	s_cbranch_execz .LBB104_108
.LBB104_104:                            ;   Parent Loop BB104_15 Depth=1
                                        ; =>  This Inner Loop Header: Depth=2
	s_mov_b32 s33, exec_lo
	v_cmpx_gt_u32_e64 s27, v4
	s_cbranch_execz .LBB104_101
; %bb.105:                              ;   in Loop: Header=BB104_104 Depth=2
	ds_read_u16 v8, v1
	s_waitcnt lgkmcnt(0)
	v_cmp_lt_i16_e32 vcc_lo, -1, v8
	v_cndmask_b32_e32 v13, 0xffff, v35, vcc_lo
	v_cmp_o_f16_e32 vcc_lo, v8, v8
	v_xor_b32_sdwa v13, v13, v8 dst_sel:DWORD dst_unused:UNUSED_PAD src0_sel:DWORD src1_sel:WORD_0
	v_cndmask_b32_e32 v13, 0xffff, v13, vcc_lo
	v_and_b32_e32 v13, v13, v3
	v_cmp_eq_u32_e32 vcc_lo, v13, v2
	s_and_b32 exec_lo, exec_lo, vcc_lo
	s_cbranch_execz .LBB104_101
; %bb.106:                              ;   in Loop: Header=BB104_104 Depth=2
	v_perm_b32 v8, v8, s74, 0x5040100
	ds_write_b32 v9, v8 offset:3072
	s_branch .LBB104_101
.LBB104_107:                            ;   in Loop: Header=BB104_104 Depth=2
	s_mov_b32 s34, -1
	s_mov_b32 s33, -1
                                        ; implicit-def: $vgpr4
                                        ; implicit-def: $vgpr1
	s_branch .LBB104_103
.LBB104_108:                            ;   in Loop: Header=BB104_15 Depth=1
	s_inst_prefetch 0x2
	s_or_b32 exec_lo, exec_lo, s24
	v_lshrrev_b32_e32 v8, 16, v8
	s_and_b32 s24, s31, exec_lo
.LBB104_109:                            ;   in Loop: Header=BB104_15 Depth=1
	s_or_b32 exec_lo, exec_lo, s29
.LBB104_110:                            ;   in Loop: Header=BB104_15 Depth=1
	s_and_b32 vcc_lo, exec_lo, s28
	s_cbranch_vccz .LBB104_122
; %bb.111:                              ;   in Loop: Header=BB104_15 Depth=1
                                        ; implicit-def: $vgpr8
	s_and_saveexec_b32 s25, s13
	s_cbranch_execz .LBB104_121
; %bb.112:                              ;   in Loop: Header=BB104_15 Depth=1
	v_mov_b32_e32 v8, v7
	v_mov_b32_e32 v1, v0
	s_mov_b32 s26, 0
                                        ; implicit-def: $sgpr27
	s_branch .LBB104_116
.LBB104_113:                            ;   in Loop: Header=BB104_116 Depth=2
	s_or_b32 exec_lo, exec_lo, s28
	s_waitcnt lgkmcnt(0)
	s_barrier
	buffer_gl0_inv
	ds_read_b32 v4, v9 offset:3072
	s_waitcnt lgkmcnt(0)
	s_barrier
	buffer_gl0_inv
	v_cmp_neq_f16_e32 vcc_lo, 0, v4
	s_cbranch_vccnz .LBB104_119
; %bb.114:                              ;   in Loop: Header=BB104_116 Depth=2
	v_add_nc_u32_e32 v1, s50, v1
	v_add_nc_u32_e32 v8, s52, v8
	s_mov_b32 s28, 0
	v_cmp_le_u32_e32 vcc_lo, s69, v1
	s_orn2_b32 s29, vcc_lo, exec_lo
.LBB104_115:                            ;   in Loop: Header=BB104_116 Depth=2
	s_and_b32 s29, exec_lo, s29
	s_or_b32 s26, s29, s26
	s_andn2_b32 s27, s27, exec_lo
	s_and_b32 s28, s28, exec_lo
	s_or_b32 s27, s27, s28
	s_andn2_b32 exec_lo, exec_lo, s26
	s_cbranch_execz .LBB104_120
.LBB104_116:                            ;   Parent Loop BB104_15 Depth=1
                                        ; =>  This Inner Loop Header: Depth=2
	s_mov_b32 s28, exec_lo
	v_cmpx_gt_u32_e64 s36, v1
	s_cbranch_execz .LBB104_113
; %bb.117:                              ;   in Loop: Header=BB104_116 Depth=2
	v_lshlrev_b64 v[13:14], 1, v[8:9]
	v_add_co_u32 v13, vcc_lo, s42, v13
	v_add_co_ci_u32_e64 v14, null, s48, v14, vcc_lo
	global_load_ushort v4, v[13:14], off
	s_waitcnt vmcnt(0)
	v_cmp_lt_i16_e32 vcc_lo, -1, v4
	v_cndmask_b32_e32 v13, 0xffff, v35, vcc_lo
	v_cmp_o_f16_e32 vcc_lo, v4, v4
	v_xor_b32_sdwa v13, v13, v4 dst_sel:DWORD dst_unused:UNUSED_PAD src0_sel:DWORD src1_sel:WORD_0
	v_cndmask_b32_e32 v13, 0xffff, v13, vcc_lo
	v_and_b32_e32 v13, v13, v3
	v_cmp_eq_u32_e32 vcc_lo, v13, v2
	s_and_b32 exec_lo, exec_lo, vcc_lo
	s_cbranch_execz .LBB104_113
; %bb.118:                              ;   in Loop: Header=BB104_116 Depth=2
	v_perm_b32 v4, v4, s74, 0x5040100
	ds_write_b32 v9, v4 offset:3072
	s_branch .LBB104_113
.LBB104_119:                            ;   in Loop: Header=BB104_116 Depth=2
	s_mov_b32 s29, -1
	s_mov_b32 s28, -1
                                        ; implicit-def: $vgpr1
	s_branch .LBB104_115
.LBB104_120:                            ;   in Loop: Header=BB104_15 Depth=1
	s_or_b32 exec_lo, exec_lo, s26
	v_lshrrev_b32_e32 v8, 16, v4
	s_andn2_b32 s24, s24, exec_lo
	s_and_b32 s26, s27, exec_lo
	s_or_b32 s24, s24, s26
.LBB104_121:                            ;   in Loop: Header=BB104_15 Depth=1
	s_or_b32 exec_lo, exec_lo, s25
	s_mov_b32 s25, 0
	s_mov_b32 s26, -1
.LBB104_122:                            ;   in Loop: Header=BB104_15 Depth=1
	s_orn2_b32 s29, s24, exec_lo
.LBB104_123:                            ;   in Loop: Header=BB104_15 Depth=1
	s_or_b32 exec_lo, exec_lo, s23
	s_mov_b32 s27, 0
	s_mov_b32 s24, 0
	;; [unrolled: 1-line block ×3, first 2 shown]
                                        ; implicit-def: $vgpr4
                                        ; implicit-def: $vgpr1
	s_and_saveexec_b32 s28, s29
	s_cbranch_execz .LBB104_259
; %bb.124:                              ;   in Loop: Header=BB104_15 Depth=1
	v_mov_b32_e32 v4, 1
	v_mov_b32_e32 v1, 1
	s_xor_b32 s23, s6, -1
	s_mov_b32 s30, 0
	s_and_saveexec_b32 s6, s23
	s_cbranch_execz .LBB104_133
; %bb.125:                              ;   in Loop: Header=BB104_15 Depth=1
	s_mov_b32 s23, exec_lo
	v_cmpx_ge_u32_e64 s17, v39
	s_xor_b32 s23, exec_lo, s23
	s_cbranch_execz .LBB104_130
; %bb.126:                              ;   in Loop: Header=BB104_15 Depth=1
	ds_read_b32 v1, v9 offset:4096
	v_and_b32_e32 v2, s19, v2
	v_or_b32_e32 v3, s18, v3
	s_waitcnt lgkmcnt(0)
	v_cmp_ne_u32_e32 vcc_lo, 0, v1
	s_cbranch_vccnz .LBB104_130
; %bb.127:                              ;   in Loop: Header=BB104_15 Depth=1
	s_and_saveexec_b32 s24, s3
; %bb.128:                              ;   in Loop: Header=BB104_15 Depth=1
	v_mov_b32_e32 v1, s17
	ds_write_b32 v9, v1 offset:4100
; %bb.129:                              ;   in Loop: Header=BB104_15 Depth=1
	s_or_b32 exec_lo, exec_lo, s24
	s_waitcnt lgkmcnt(0)
	s_barrier
	buffer_gl0_inv
.LBB104_130:                            ;   in Loop: Header=BB104_15 Depth=1
	s_or_saveexec_b32 s23, s23
	v_mov_b32_e32 v1, 8
	v_mov_b32_e32 v4, v39
	s_mov_b32 s24, 0
	s_xor_b32 exec_lo, exec_lo, s23
; %bb.131:                              ;   in Loop: Header=BB104_15 Depth=1
	v_subrev_nc_u32_e32 v4, s17, v39
	v_mov_b32_e32 v1, 0
	s_mov_b32 s24, exec_lo
; %bb.132:                              ;   in Loop: Header=BB104_15 Depth=1
	s_or_b32 exec_lo, exec_lo, s23
	s_and_b32 s30, s24, exec_lo
.LBB104_133:                            ;   in Loop: Header=BB104_15 Depth=1
	s_or_b32 exec_lo, exec_lo, s6
	s_mov_b32 s29, -1
                                        ; implicit-def: $sgpr23
                                        ; implicit-def: $sgpr24
	s_and_saveexec_b32 s6, s30
	s_xor_b32 s6, exec_lo, s6
	s_cbranch_execz .LBB104_256
; %bb.134:                              ;   in Loop: Header=BB104_15 Depth=1
	v_cmp_eq_u32_e32 vcc_lo, 1, v4
	s_cmp_eq_u32 s20, 1
	s_mov_b32 s31, -1
	s_cselect_b32 s23, -1, 0
                                        ; implicit-def: $sgpr24
	s_and_b32 s30, s23, vcc_lo
                                        ; implicit-def: $sgpr23
	s_and_saveexec_b32 s29, s30
	s_cbranch_execz .LBB104_162
; %bb.135:                              ;   in Loop: Header=BB104_15 Depth=1
	ds_read_b32 v8, v9 offset:4096
	s_waitcnt lgkmcnt(0)
	s_barrier
	buffer_gl0_inv
	v_readfirstlane_b32 s33, v8
	s_and_saveexec_b32 s23, s15
; %bb.136:                              ;   in Loop: Header=BB104_15 Depth=1
	ds_write_b16 v21, v9
; %bb.137:                              ;   in Loop: Header=BB104_15 Depth=1
	s_or_b32 exec_lo, exec_lo, s23
	s_lshl_b32 s23, 1, s79
	v_or_b32_e32 v3, s18, v3
	v_and_or_b32 v2, v2, s19, s23
	s_mov_b32 s23, -1
	s_mov_b32 s24, 0
	s_cmp_eq_u32 s33, 0
	s_mov_b32 s31, 0
	s_mov_b32 s34, -1
	s_waitcnt lgkmcnt(0)
	s_barrier
	buffer_gl0_inv
                                        ; implicit-def: $vgpr8
	s_cbranch_scc1 .LBB104_149
; %bb.138:                              ;   in Loop: Header=BB104_15 Depth=1
	s_add_i32 s31, s33, s62
                                        ; implicit-def: $vgpr8
	s_mul_hi_u32 s34, s31, s68
	s_mul_i32 s34, s34, s50
	s_sub_i32 s34, s31, s34
	s_sub_i32 s86, s34, s50
	s_cmp_ge_u32 s34, s50
	s_cselect_b32 s34, s86, s34
	s_sub_i32 s86, s34, s50
	s_cmp_ge_u32 s34, s50
	s_cselect_b32 s34, s86, s34
	s_mov_b32 s86, exec_lo
	s_sub_i32 s87, s31, s34
	s_mov_b32 s34, 0
	s_mov_b32 s31, 0
	v_cmpx_gt_u32_e64 s87, v0
	s_cbranch_execz .LBB104_148
; %bb.139:                              ;   in Loop: Header=BB104_15 Depth=1
	v_mov_b32_e32 v8, v20
	v_mov_b32_e32 v13, v0
                                        ; implicit-def: $sgpr88
	s_inst_prefetch 0x1
	s_branch .LBB104_143
	.p2align	6
.LBB104_140:                            ;   in Loop: Header=BB104_143 Depth=2
	s_or_b32 exec_lo, exec_lo, s89
	s_waitcnt lgkmcnt(0)
	s_barrier
	buffer_gl0_inv
	ds_read_b32 v14, v9 offset:3072
	s_waitcnt lgkmcnt(0)
	s_barrier
	buffer_gl0_inv
	v_cmp_neq_f16_e32 vcc_lo, 0, v14
	s_cbranch_vccnz .LBB104_146
; %bb.141:                              ;   in Loop: Header=BB104_143 Depth=2
	v_add_nc_u32_e32 v13, s50, v13
	v_add_nc_u32_e32 v8, s72, v8
	s_mov_b32 s89, 0
	v_cmp_le_u32_e32 vcc_lo, s87, v13
	s_orn2_b32 s90, vcc_lo, exec_lo
.LBB104_142:                            ;   in Loop: Header=BB104_143 Depth=2
	s_and_b32 s90, exec_lo, s90
	s_or_b32 s31, s90, s31
	s_andn2_b32 s88, s88, exec_lo
	s_and_b32 s89, s89, exec_lo
	s_or_b32 s88, s88, s89
	s_andn2_b32 exec_lo, exec_lo, s31
	s_cbranch_execz .LBB104_147
.LBB104_143:                            ;   Parent Loop BB104_15 Depth=1
                                        ; =>  This Inner Loop Header: Depth=2
	s_mov_b32 s89, exec_lo
	v_cmpx_gt_u32_e64 s33, v13
	s_cbranch_execz .LBB104_140
; %bb.144:                              ;   in Loop: Header=BB104_143 Depth=2
	ds_read_u16 v14, v8
	s_waitcnt lgkmcnt(0)
	v_cmp_lt_i16_e32 vcc_lo, -1, v14
	v_cndmask_b32_e32 v15, 0xffff, v35, vcc_lo
	v_cmp_o_f16_e32 vcc_lo, v14, v14
	v_xor_b32_sdwa v15, v15, v14 dst_sel:DWORD dst_unused:UNUSED_PAD src0_sel:DWORD src1_sel:WORD_0
	v_cndmask_b32_e32 v15, 0xffff, v15, vcc_lo
	v_and_b32_e32 v15, v15, v3
	v_cmp_eq_u32_e32 vcc_lo, v15, v2
	s_and_b32 exec_lo, exec_lo, vcc_lo
	s_cbranch_execz .LBB104_140
; %bb.145:                              ;   in Loop: Header=BB104_143 Depth=2
	v_perm_b32 v14, v14, s74, 0x5040100
	ds_write_b32 v9, v14 offset:3072
	s_branch .LBB104_140
.LBB104_146:                            ;   in Loop: Header=BB104_143 Depth=2
	s_mov_b32 s90, -1
	s_mov_b32 s89, -1
                                        ; implicit-def: $vgpr13
                                        ; implicit-def: $vgpr8
	s_branch .LBB104_142
.LBB104_147:                            ;   in Loop: Header=BB104_15 Depth=1
	s_inst_prefetch 0x2
	s_or_b32 exec_lo, exec_lo, s31
	v_lshrrev_b32_e32 v8, 16, v14
	s_and_b32 s31, s88, exec_lo
.LBB104_148:                            ;   in Loop: Header=BB104_15 Depth=1
	s_or_b32 exec_lo, exec_lo, s86
.LBB104_149:                            ;   in Loop: Header=BB104_15 Depth=1
	s_and_b32 vcc_lo, exec_lo, s34
	s_cbranch_vccz .LBB104_161
; %bb.150:                              ;   in Loop: Header=BB104_15 Depth=1
                                        ; implicit-def: $vgpr8
	s_and_saveexec_b32 s23, s13
	s_cbranch_execz .LBB104_160
; %bb.151:                              ;   in Loop: Header=BB104_15 Depth=1
	v_mov_b32_e32 v8, v7
	v_mov_b32_e32 v13, v0
	s_mov_b32 s24, 0
                                        ; implicit-def: $sgpr33
	s_branch .LBB104_155
.LBB104_152:                            ;   in Loop: Header=BB104_155 Depth=2
	s_or_b32 exec_lo, exec_lo, s34
	s_waitcnt lgkmcnt(0)
	s_barrier
	buffer_gl0_inv
	ds_read_b32 v14, v9 offset:3072
	s_waitcnt lgkmcnt(0)
	s_barrier
	buffer_gl0_inv
	v_cmp_eq_f16_e32 vcc_lo, 0, v14
	s_cbranch_vccz .LBB104_158
; %bb.153:                              ;   in Loop: Header=BB104_155 Depth=2
	v_add_nc_u32_e32 v13, s50, v13
	v_add_nc_u32_e32 v8, s52, v8
	s_mov_b32 s34, 0
	v_cmp_le_u32_e32 vcc_lo, s69, v13
	s_orn2_b32 s86, vcc_lo, exec_lo
.LBB104_154:                            ;   in Loop: Header=BB104_155 Depth=2
	s_and_b32 s86, exec_lo, s86
	s_or_b32 s24, s86, s24
	s_andn2_b32 s33, s33, exec_lo
	s_and_b32 s34, s34, exec_lo
	s_or_b32 s33, s33, s34
	s_andn2_b32 exec_lo, exec_lo, s24
	s_cbranch_execz .LBB104_159
.LBB104_155:                            ;   Parent Loop BB104_15 Depth=1
                                        ; =>  This Inner Loop Header: Depth=2
	s_mov_b32 s34, exec_lo
	v_cmpx_gt_u32_e64 s36, v13
	s_cbranch_execz .LBB104_152
; %bb.156:                              ;   in Loop: Header=BB104_155 Depth=2
	v_lshlrev_b64 v[14:15], 1, v[8:9]
	v_add_co_u32 v14, vcc_lo, s42, v14
	v_add_co_ci_u32_e64 v15, null, s48, v15, vcc_lo
	global_load_ushort v14, v[14:15], off
	s_waitcnt vmcnt(0)
	v_cmp_lt_i16_e32 vcc_lo, -1, v14
	v_cndmask_b32_e32 v15, 0xffff, v35, vcc_lo
	v_cmp_o_f16_e32 vcc_lo, v14, v14
	v_xor_b32_sdwa v15, v15, v14 dst_sel:DWORD dst_unused:UNUSED_PAD src0_sel:DWORD src1_sel:WORD_0
	v_cndmask_b32_e32 v15, 0xffff, v15, vcc_lo
	v_and_b32_e32 v15, v15, v3
	v_cmp_eq_u32_e32 vcc_lo, v15, v2
	s_and_b32 exec_lo, exec_lo, vcc_lo
	s_cbranch_execz .LBB104_152
; %bb.157:                              ;   in Loop: Header=BB104_155 Depth=2
	v_perm_b32 v14, v14, s74, 0x5040100
	ds_write_b32 v9, v14 offset:3072
	s_branch .LBB104_152
.LBB104_158:                            ;   in Loop: Header=BB104_155 Depth=2
	s_mov_b32 s86, -1
	s_mov_b32 s34, -1
                                        ; implicit-def: $vgpr13
	s_branch .LBB104_154
.LBB104_159:                            ;   in Loop: Header=BB104_15 Depth=1
	s_or_b32 exec_lo, exec_lo, s24
	v_lshrrev_b32_e32 v8, 16, v14
	s_andn2_b32 s24, s31, exec_lo
	s_and_b32 s31, s33, exec_lo
	s_or_b32 s31, s24, s31
.LBB104_160:                            ;   in Loop: Header=BB104_15 Depth=1
	s_or_b32 exec_lo, exec_lo, s23
	s_mov_b32 s23, 0
	s_mov_b32 s24, -1
.LBB104_161:                            ;   in Loop: Header=BB104_15 Depth=1
	s_orn2_b32 s31, s31, exec_lo
.LBB104_162:                            ;   in Loop: Header=BB104_15 Depth=1
	s_or_b32 exec_lo, exec_lo, s29
	s_mov_b32 s33, 0
	s_and_saveexec_b32 s29, s31
	s_cbranch_execz .LBB104_255
; %bb.163:                              ;   in Loop: Header=BB104_15 Depth=1
	v_mov_b32_e32 v13, 1
	v_mov_b32_e32 v1, 1
	s_xor_b32 s31, s30, -1
	s_mov_b32 s86, 0
	s_and_saveexec_b32 s30, s31
	s_cbranch_execz .LBB104_172
; %bb.164:                              ;   in Loop: Header=BB104_15 Depth=1
	s_mov_b32 s31, exec_lo
	v_cmpx_ge_u32_e64 s20, v4
	s_xor_b32 s31, exec_lo, s31
	s_cbranch_execz .LBB104_169
; %bb.165:                              ;   in Loop: Header=BB104_15 Depth=1
	ds_read_b32 v1, v9 offset:4096
	s_lshl_b32 s33, 1, s79
	v_or_b32_e32 v3, s18, v3
	v_and_or_b32 v2, v2, s19, s33
	s_waitcnt lgkmcnt(0)
	v_cmp_ne_u32_e32 vcc_lo, 0, v1
	s_cbranch_vccnz .LBB104_169
; %bb.166:                              ;   in Loop: Header=BB104_15 Depth=1
	s_and_saveexec_b32 s33, s3
; %bb.167:                              ;   in Loop: Header=BB104_15 Depth=1
	v_mov_b32_e32 v1, s20
	ds_write_b32 v9, v1 offset:4100
; %bb.168:                              ;   in Loop: Header=BB104_15 Depth=1
	s_or_b32 exec_lo, exec_lo, s33
	s_waitcnt lgkmcnt(0)
	s_barrier
	buffer_gl0_inv
.LBB104_169:                            ;   in Loop: Header=BB104_15 Depth=1
	s_or_saveexec_b32 s31, s31
	v_mov_b32_e32 v1, 8
	s_mov_b32 s33, 0
	s_xor_b32 exec_lo, exec_lo, s31
; %bb.170:                              ;   in Loop: Header=BB104_15 Depth=1
	v_subrev_nc_u32_e32 v4, s20, v4
	v_mov_b32_e32 v1, 0
	s_mov_b32 s33, exec_lo
; %bb.171:                              ;   in Loop: Header=BB104_15 Depth=1
	s_or_b32 exec_lo, exec_lo, s31
	v_mov_b32_e32 v13, v4
	s_and_b32 s86, s33, exec_lo
.LBB104_172:                            ;   in Loop: Header=BB104_15 Depth=1
	s_or_b32 exec_lo, exec_lo, s30
	s_mov_b32 s34, -1
                                        ; implicit-def: $sgpr31
                                        ; implicit-def: $sgpr33
	s_and_saveexec_b32 s30, s86
	s_cbranch_execz .LBB104_254
; %bb.173:                              ;   in Loop: Header=BB104_15 Depth=1
	v_cmp_eq_u32_e32 vcc_lo, 1, v13
	s_cmp_eq_u32 s21, 1
	s_mov_b32 s87, -1
	s_cselect_b32 s31, -1, 0
                                        ; implicit-def: $sgpr33
	s_and_b32 s86, s31, vcc_lo
                                        ; implicit-def: $sgpr31
	s_and_saveexec_b32 s34, s86
	s_cbranch_execz .LBB104_201
; %bb.174:                              ;   in Loop: Header=BB104_15 Depth=1
	ds_read_b32 v4, v9 offset:4096
	s_waitcnt lgkmcnt(0)
	s_barrier
	buffer_gl0_inv
	v_readfirstlane_b32 s88, v4
	s_and_saveexec_b32 s31, s15
; %bb.175:                              ;   in Loop: Header=BB104_15 Depth=1
	ds_write_b16 v21, v9
; %bb.176:                              ;   in Loop: Header=BB104_15 Depth=1
	s_or_b32 exec_lo, exec_lo, s31
	s_lshl_b32 s31, 2, s79
	v_or_b32_e32 v3, s18, v3
	v_and_or_b32 v2, v2, s19, s31
	s_mov_b32 s31, -1
	s_mov_b32 s33, 0
	s_cmp_eq_u32 s88, 0
	s_mov_b32 s87, 0
	s_mov_b32 s89, -1
	s_waitcnt lgkmcnt(0)
	s_barrier
	buffer_gl0_inv
                                        ; implicit-def: $vgpr8
	s_cbranch_scc1 .LBB104_188
; %bb.177:                              ;   in Loop: Header=BB104_15 Depth=1
	s_add_i32 s87, s88, s62
                                        ; implicit-def: $vgpr8
	s_mul_hi_u32 s89, s87, s68
	s_mul_i32 s89, s89, s50
	s_sub_i32 s89, s87, s89
	s_sub_i32 s90, s89, s50
	s_cmp_ge_u32 s89, s50
	s_cselect_b32 s89, s90, s89
	s_sub_i32 s90, s89, s50
	s_cmp_ge_u32 s89, s50
	s_cselect_b32 s89, s90, s89
	s_mov_b32 s90, exec_lo
	s_sub_i32 s91, s87, s89
	s_mov_b32 s89, 0
	s_mov_b32 s87, 0
	v_cmpx_gt_u32_e64 s91, v0
	s_cbranch_execz .LBB104_187
; %bb.178:                              ;   in Loop: Header=BB104_15 Depth=1
	v_mov_b32_e32 v4, v20
	v_mov_b32_e32 v8, v0
                                        ; implicit-def: $sgpr92
	s_inst_prefetch 0x1
	s_branch .LBB104_182
	.p2align	6
.LBB104_179:                            ;   in Loop: Header=BB104_182 Depth=2
	s_or_b32 exec_lo, exec_lo, s93
	s_waitcnt lgkmcnt(0)
	s_barrier
	buffer_gl0_inv
	ds_read_b32 v14, v9 offset:3072
	s_waitcnt lgkmcnt(0)
	s_barrier
	buffer_gl0_inv
	v_cmp_neq_f16_e32 vcc_lo, 0, v14
	s_cbranch_vccnz .LBB104_185
; %bb.180:                              ;   in Loop: Header=BB104_182 Depth=2
	v_add_nc_u32_e32 v8, s50, v8
	v_add_nc_u32_e32 v4, s72, v4
	s_mov_b32 s93, 0
	v_cmp_le_u32_e32 vcc_lo, s91, v8
	s_orn2_b32 s94, vcc_lo, exec_lo
.LBB104_181:                            ;   in Loop: Header=BB104_182 Depth=2
	s_and_b32 s94, exec_lo, s94
	s_or_b32 s87, s94, s87
	s_andn2_b32 s92, s92, exec_lo
	s_and_b32 s93, s93, exec_lo
	s_or_b32 s92, s92, s93
	s_andn2_b32 exec_lo, exec_lo, s87
	s_cbranch_execz .LBB104_186
.LBB104_182:                            ;   Parent Loop BB104_15 Depth=1
                                        ; =>  This Inner Loop Header: Depth=2
	s_mov_b32 s93, exec_lo
	v_cmpx_gt_u32_e64 s88, v8
	s_cbranch_execz .LBB104_179
; %bb.183:                              ;   in Loop: Header=BB104_182 Depth=2
	ds_read_u16 v14, v4
	s_waitcnt lgkmcnt(0)
	v_cmp_lt_i16_e32 vcc_lo, -1, v14
	v_cndmask_b32_e32 v15, 0xffff, v35, vcc_lo
	v_cmp_o_f16_e32 vcc_lo, v14, v14
	v_xor_b32_sdwa v15, v15, v14 dst_sel:DWORD dst_unused:UNUSED_PAD src0_sel:DWORD src1_sel:WORD_0
	v_cndmask_b32_e32 v15, 0xffff, v15, vcc_lo
	v_and_b32_e32 v15, v15, v3
	v_cmp_eq_u32_e32 vcc_lo, v15, v2
	s_and_b32 exec_lo, exec_lo, vcc_lo
	s_cbranch_execz .LBB104_179
; %bb.184:                              ;   in Loop: Header=BB104_182 Depth=2
	v_perm_b32 v14, v14, s74, 0x5040100
	ds_write_b32 v9, v14 offset:3072
	s_branch .LBB104_179
.LBB104_185:                            ;   in Loop: Header=BB104_182 Depth=2
	s_mov_b32 s94, -1
	s_mov_b32 s93, -1
                                        ; implicit-def: $vgpr8
                                        ; implicit-def: $vgpr4
	s_branch .LBB104_181
.LBB104_186:                            ;   in Loop: Header=BB104_15 Depth=1
	s_inst_prefetch 0x2
	s_or_b32 exec_lo, exec_lo, s87
	v_lshrrev_b32_e32 v8, 16, v14
	s_and_b32 s87, s92, exec_lo
.LBB104_187:                            ;   in Loop: Header=BB104_15 Depth=1
	s_or_b32 exec_lo, exec_lo, s90
.LBB104_188:                            ;   in Loop: Header=BB104_15 Depth=1
	s_and_b32 vcc_lo, exec_lo, s89
	s_cbranch_vccz .LBB104_200
; %bb.189:                              ;   in Loop: Header=BB104_15 Depth=1
                                        ; implicit-def: $vgpr8
	s_and_saveexec_b32 s31, s13
	s_cbranch_execz .LBB104_199
; %bb.190:                              ;   in Loop: Header=BB104_15 Depth=1
	v_mov_b32_e32 v8, v7
	v_mov_b32_e32 v4, v0
	s_mov_b32 s33, 0
                                        ; implicit-def: $sgpr88
	s_branch .LBB104_194
.LBB104_191:                            ;   in Loop: Header=BB104_194 Depth=2
	s_or_b32 exec_lo, exec_lo, s89
	s_waitcnt lgkmcnt(0)
	s_barrier
	buffer_gl0_inv
	ds_read_b32 v14, v9 offset:3072
	s_waitcnt lgkmcnt(0)
	s_barrier
	buffer_gl0_inv
	v_cmp_eq_f16_e32 vcc_lo, 0, v14
	s_cbranch_vccz .LBB104_197
; %bb.192:                              ;   in Loop: Header=BB104_194 Depth=2
	v_add_nc_u32_e32 v4, s50, v4
	v_add_nc_u32_e32 v8, s52, v8
	s_mov_b32 s89, 0
	v_cmp_le_u32_e32 vcc_lo, s69, v4
	s_orn2_b32 s90, vcc_lo, exec_lo
.LBB104_193:                            ;   in Loop: Header=BB104_194 Depth=2
	s_and_b32 s90, exec_lo, s90
	s_or_b32 s33, s90, s33
	s_andn2_b32 s88, s88, exec_lo
	s_and_b32 s89, s89, exec_lo
	s_or_b32 s88, s88, s89
	s_andn2_b32 exec_lo, exec_lo, s33
	s_cbranch_execz .LBB104_198
.LBB104_194:                            ;   Parent Loop BB104_15 Depth=1
                                        ; =>  This Inner Loop Header: Depth=2
	s_mov_b32 s89, exec_lo
	v_cmpx_gt_u32_e64 s36, v4
	s_cbranch_execz .LBB104_191
; %bb.195:                              ;   in Loop: Header=BB104_194 Depth=2
	v_lshlrev_b64 v[14:15], 1, v[8:9]
	v_add_co_u32 v14, vcc_lo, s42, v14
	v_add_co_ci_u32_e64 v15, null, s48, v15, vcc_lo
	global_load_ushort v14, v[14:15], off
	s_waitcnt vmcnt(0)
	v_cmp_lt_i16_e32 vcc_lo, -1, v14
	v_cndmask_b32_e32 v15, 0xffff, v35, vcc_lo
	v_cmp_o_f16_e32 vcc_lo, v14, v14
	v_xor_b32_sdwa v15, v15, v14 dst_sel:DWORD dst_unused:UNUSED_PAD src0_sel:DWORD src1_sel:WORD_0
	v_cndmask_b32_e32 v15, 0xffff, v15, vcc_lo
	v_and_b32_e32 v15, v15, v3
	v_cmp_eq_u32_e32 vcc_lo, v15, v2
	s_and_b32 exec_lo, exec_lo, vcc_lo
	s_cbranch_execz .LBB104_191
; %bb.196:                              ;   in Loop: Header=BB104_194 Depth=2
	v_perm_b32 v14, v14, s74, 0x5040100
	ds_write_b32 v9, v14 offset:3072
	s_branch .LBB104_191
.LBB104_197:                            ;   in Loop: Header=BB104_194 Depth=2
	s_mov_b32 s90, -1
	s_mov_b32 s89, -1
                                        ; implicit-def: $vgpr4
	s_branch .LBB104_193
.LBB104_198:                            ;   in Loop: Header=BB104_15 Depth=1
	s_or_b32 exec_lo, exec_lo, s33
	v_lshrrev_b32_e32 v8, 16, v14
	s_andn2_b32 s33, s87, exec_lo
	s_and_b32 s87, s88, exec_lo
	s_or_b32 s87, s33, s87
.LBB104_199:                            ;   in Loop: Header=BB104_15 Depth=1
	s_or_b32 exec_lo, exec_lo, s31
	s_mov_b32 s31, 0
	s_mov_b32 s33, -1
.LBB104_200:                            ;   in Loop: Header=BB104_15 Depth=1
	s_orn2_b32 s87, s87, exec_lo
.LBB104_201:                            ;   in Loop: Header=BB104_15 Depth=1
	s_or_b32 exec_lo, exec_lo, s34
	s_mov_b32 s88, 0
	s_and_saveexec_b32 s34, s87
	s_cbranch_execz .LBB104_253
; %bb.202:                              ;   in Loop: Header=BB104_15 Depth=1
	v_mov_b32_e32 v4, 1
	v_mov_b32_e32 v1, 1
	s_xor_b32 s87, s86, -1
	s_mov_b32 s90, 0
	s_and_saveexec_b32 s86, s87
	s_cbranch_execz .LBB104_211
; %bb.203:                              ;   in Loop: Header=BB104_15 Depth=1
	s_mov_b32 s87, exec_lo
	v_cmpx_ge_u32_e64 s21, v13
	s_xor_b32 s87, exec_lo, s87
	s_cbranch_execz .LBB104_208
; %bb.204:                              ;   in Loop: Header=BB104_15 Depth=1
	ds_read_b32 v1, v9 offset:4096
	s_lshl_b32 s88, 2, s79
	v_or_b32_e32 v3, s18, v3
	v_and_or_b32 v2, v2, s19, s88
	s_waitcnt lgkmcnt(0)
	v_cmp_ne_u32_e32 vcc_lo, 0, v1
	s_cbranch_vccnz .LBB104_208
; %bb.205:                              ;   in Loop: Header=BB104_15 Depth=1
	s_and_saveexec_b32 s88, s3
; %bb.206:                              ;   in Loop: Header=BB104_15 Depth=1
	v_mov_b32_e32 v1, s21
	ds_write_b32 v9, v1 offset:4100
; %bb.207:                              ;   in Loop: Header=BB104_15 Depth=1
	s_or_b32 exec_lo, exec_lo, s88
	s_waitcnt lgkmcnt(0)
	s_barrier
	buffer_gl0_inv
.LBB104_208:                            ;   in Loop: Header=BB104_15 Depth=1
	s_or_saveexec_b32 s87, s87
	v_mov_b32_e32 v1, 8
	s_mov_b32 s88, 0
	s_xor_b32 exec_lo, exec_lo, s87
; %bb.209:                              ;   in Loop: Header=BB104_15 Depth=1
	v_subrev_nc_u32_e32 v13, s21, v13
	v_mov_b32_e32 v1, 0
	s_mov_b32 s88, exec_lo
; %bb.210:                              ;   in Loop: Header=BB104_15 Depth=1
	s_or_b32 exec_lo, exec_lo, s87
	v_mov_b32_e32 v4, v13
	s_and_b32 s90, s88, exec_lo
.LBB104_211:                            ;   in Loop: Header=BB104_15 Depth=1
	s_or_b32 exec_lo, exec_lo, s86
	s_mov_b32 s87, -1
                                        ; implicit-def: $sgpr89
                                        ; implicit-def: $sgpr88
	s_and_saveexec_b32 s86, s90
	s_cbranch_execz .LBB104_252
; %bb.212:                              ;   in Loop: Header=BB104_15 Depth=1
	v_cmp_eq_u32_e32 vcc_lo, 1, v4
	s_cmp_eq_u32 s22, 1
	s_mov_b32 s91, -1
	s_cselect_b32 s87, -1, 0
                                        ; implicit-def: $sgpr89
                                        ; implicit-def: $sgpr88
	s_and_b32 s87, s87, vcc_lo
	s_and_saveexec_b32 s90, s87
	s_cbranch_execz .LBB104_240
; %bb.213:                              ;   in Loop: Header=BB104_15 Depth=1
	ds_read_b32 v8, v9 offset:4096
	s_waitcnt lgkmcnt(0)
	s_barrier
	buffer_gl0_inv
	v_readfirstlane_b32 s92, v8
	s_and_saveexec_b32 s88, s15
; %bb.214:                              ;   in Loop: Header=BB104_15 Depth=1
	ds_write_b16 v21, v9
; %bb.215:                              ;   in Loop: Header=BB104_15 Depth=1
	s_or_b32 exec_lo, exec_lo, s88
	v_or_b32_e32 v2, s18, v2
	v_or_b32_e32 v3, s18, v3
	s_mov_b32 s88, -1
	s_mov_b32 s89, 0
	s_cmp_eq_u32 s92, 0
	s_mov_b32 s91, 0
	s_mov_b32 s93, -1
	s_waitcnt lgkmcnt(0)
	s_barrier
	buffer_gl0_inv
                                        ; implicit-def: $vgpr8
	s_cbranch_scc1 .LBB104_227
; %bb.216:                              ;   in Loop: Header=BB104_15 Depth=1
	s_add_i32 s91, s92, s62
                                        ; implicit-def: $vgpr8
	s_mul_hi_u32 s93, s91, s68
	s_mul_i32 s93, s93, s50
	s_sub_i32 s93, s91, s93
	s_sub_i32 s94, s93, s50
	s_cmp_ge_u32 s93, s50
	s_cselect_b32 s93, s94, s93
	s_sub_i32 s94, s93, s50
	s_cmp_ge_u32 s93, s50
	s_cselect_b32 s93, s94, s93
	s_mov_b32 s94, exec_lo
	s_sub_i32 s95, s91, s93
	s_mov_b32 s93, 0
	s_mov_b32 s91, 0
	v_cmpx_gt_u32_e64 s95, v0
	s_cbranch_execz .LBB104_226
; %bb.217:                              ;   in Loop: Header=BB104_15 Depth=1
	v_mov_b32_e32 v8, v20
	v_mov_b32_e32 v13, v0
                                        ; implicit-def: $sgpr96
	s_inst_prefetch 0x1
	s_branch .LBB104_221
	.p2align	6
.LBB104_218:                            ;   in Loop: Header=BB104_221 Depth=2
	s_or_b32 exec_lo, exec_lo, s97
	s_waitcnt lgkmcnt(0)
	s_barrier
	buffer_gl0_inv
	ds_read_b32 v14, v9 offset:3072
	s_waitcnt lgkmcnt(0)
	s_barrier
	buffer_gl0_inv
	v_cmp_neq_f16_e32 vcc_lo, 0, v14
	s_cbranch_vccnz .LBB104_224
; %bb.219:                              ;   in Loop: Header=BB104_221 Depth=2
	v_add_nc_u32_e32 v13, s50, v13
	v_add_nc_u32_e32 v8, s72, v8
	s_mov_b32 s97, 0
	v_cmp_le_u32_e32 vcc_lo, s95, v13
	s_orn2_b32 s98, vcc_lo, exec_lo
.LBB104_220:                            ;   in Loop: Header=BB104_221 Depth=2
	s_and_b32 s98, exec_lo, s98
	s_or_b32 s91, s98, s91
	s_andn2_b32 s96, s96, exec_lo
	s_and_b32 s97, s97, exec_lo
	s_or_b32 s96, s96, s97
	s_andn2_b32 exec_lo, exec_lo, s91
	s_cbranch_execz .LBB104_225
.LBB104_221:                            ;   Parent Loop BB104_15 Depth=1
                                        ; =>  This Inner Loop Header: Depth=2
	s_mov_b32 s97, exec_lo
	v_cmpx_gt_u32_e64 s92, v13
	s_cbranch_execz .LBB104_218
; %bb.222:                              ;   in Loop: Header=BB104_221 Depth=2
	ds_read_u16 v14, v8
	s_waitcnt lgkmcnt(0)
	v_cmp_lt_i16_e32 vcc_lo, -1, v14
	v_cndmask_b32_e32 v15, 0xffff, v35, vcc_lo
	v_cmp_o_f16_e32 vcc_lo, v14, v14
	v_xor_b32_sdwa v15, v15, v14 dst_sel:DWORD dst_unused:UNUSED_PAD src0_sel:DWORD src1_sel:WORD_0
	v_cndmask_b32_e32 v15, 0xffff, v15, vcc_lo
	v_and_b32_e32 v15, v15, v3
	v_cmp_eq_u32_e32 vcc_lo, v15, v2
	s_and_b32 exec_lo, exec_lo, vcc_lo
	s_cbranch_execz .LBB104_218
; %bb.223:                              ;   in Loop: Header=BB104_221 Depth=2
	v_perm_b32 v14, v14, s74, 0x5040100
	ds_write_b32 v9, v14 offset:3072
	s_branch .LBB104_218
.LBB104_224:                            ;   in Loop: Header=BB104_221 Depth=2
	s_mov_b32 s98, -1
	s_mov_b32 s97, -1
                                        ; implicit-def: $vgpr13
                                        ; implicit-def: $vgpr8
	s_branch .LBB104_220
.LBB104_225:                            ;   in Loop: Header=BB104_15 Depth=1
	s_inst_prefetch 0x2
	s_or_b32 exec_lo, exec_lo, s91
	v_lshrrev_b32_e32 v8, 16, v14
	s_and_b32 s91, s96, exec_lo
.LBB104_226:                            ;   in Loop: Header=BB104_15 Depth=1
	s_or_b32 exec_lo, exec_lo, s94
.LBB104_227:                            ;   in Loop: Header=BB104_15 Depth=1
	s_and_b32 vcc_lo, exec_lo, s93
	s_cbranch_vccz .LBB104_239
; %bb.228:                              ;   in Loop: Header=BB104_15 Depth=1
                                        ; implicit-def: $vgpr8
	s_and_saveexec_b32 s88, s13
	s_cbranch_execz .LBB104_238
; %bb.229:                              ;   in Loop: Header=BB104_15 Depth=1
	v_mov_b32_e32 v8, v7
	v_mov_b32_e32 v13, v0
	s_mov_b32 s89, 0
                                        ; implicit-def: $sgpr92
	s_branch .LBB104_233
.LBB104_230:                            ;   in Loop: Header=BB104_233 Depth=2
	s_or_b32 exec_lo, exec_lo, s93
	s_waitcnt lgkmcnt(0)
	s_barrier
	buffer_gl0_inv
	ds_read_b32 v14, v9 offset:3072
	s_waitcnt lgkmcnt(0)
	s_barrier
	buffer_gl0_inv
	v_cmp_eq_f16_e32 vcc_lo, 0, v14
	s_cbranch_vccz .LBB104_236
; %bb.231:                              ;   in Loop: Header=BB104_233 Depth=2
	v_add_nc_u32_e32 v13, s50, v13
	v_add_nc_u32_e32 v8, s52, v8
	s_mov_b32 s93, 0
	v_cmp_le_u32_e32 vcc_lo, s69, v13
	s_orn2_b32 s94, vcc_lo, exec_lo
.LBB104_232:                            ;   in Loop: Header=BB104_233 Depth=2
	s_and_b32 s94, exec_lo, s94
	s_or_b32 s89, s94, s89
	s_andn2_b32 s92, s92, exec_lo
	s_and_b32 s93, s93, exec_lo
	s_or_b32 s92, s92, s93
	s_andn2_b32 exec_lo, exec_lo, s89
	s_cbranch_execz .LBB104_237
.LBB104_233:                            ;   Parent Loop BB104_15 Depth=1
                                        ; =>  This Inner Loop Header: Depth=2
	s_mov_b32 s93, exec_lo
	v_cmpx_gt_u32_e64 s36, v13
	s_cbranch_execz .LBB104_230
; %bb.234:                              ;   in Loop: Header=BB104_233 Depth=2
	v_lshlrev_b64 v[14:15], 1, v[8:9]
	v_add_co_u32 v14, vcc_lo, s42, v14
	v_add_co_ci_u32_e64 v15, null, s48, v15, vcc_lo
	global_load_ushort v14, v[14:15], off
	s_waitcnt vmcnt(0)
	v_cmp_lt_i16_e32 vcc_lo, -1, v14
	v_cndmask_b32_e32 v15, 0xffff, v35, vcc_lo
	v_cmp_o_f16_e32 vcc_lo, v14, v14
	v_xor_b32_sdwa v15, v15, v14 dst_sel:DWORD dst_unused:UNUSED_PAD src0_sel:DWORD src1_sel:WORD_0
	v_cndmask_b32_e32 v15, 0xffff, v15, vcc_lo
	v_and_b32_e32 v15, v15, v3
	v_cmp_eq_u32_e32 vcc_lo, v15, v2
	s_and_b32 exec_lo, exec_lo, vcc_lo
	s_cbranch_execz .LBB104_230
; %bb.235:                              ;   in Loop: Header=BB104_233 Depth=2
	v_perm_b32 v14, v14, s74, 0x5040100
	ds_write_b32 v9, v14 offset:3072
	s_branch .LBB104_230
.LBB104_236:                            ;   in Loop: Header=BB104_233 Depth=2
	s_mov_b32 s94, -1
	s_mov_b32 s93, -1
                                        ; implicit-def: $vgpr13
	s_branch .LBB104_232
.LBB104_237:                            ;   in Loop: Header=BB104_15 Depth=1
	s_or_b32 exec_lo, exec_lo, s89
	v_lshrrev_b32_e32 v8, 16, v14
	s_andn2_b32 s89, s91, exec_lo
	s_and_b32 s91, s92, exec_lo
	s_or_b32 s91, s89, s91
.LBB104_238:                            ;   in Loop: Header=BB104_15 Depth=1
	s_or_b32 exec_lo, exec_lo, s88
	s_mov_b32 s88, 0
	s_mov_b32 s89, -1
.LBB104_239:                            ;   in Loop: Header=BB104_15 Depth=1
	s_orn2_b32 s91, s91, exec_lo
.LBB104_240:                            ;   in Loop: Header=BB104_15 Depth=1
	s_or_b32 exec_lo, exec_lo, s90
	s_mov_b32 s92, 0
	s_and_saveexec_b32 s90, s91
	s_cbranch_execz .LBB104_251
; %bb.241:                              ;   in Loop: Header=BB104_15 Depth=1
	v_mov_b32_e32 v1, 1
	v_mov_b32_e32 v13, 1
	s_xor_b32 s91, s87, -1
	s_and_saveexec_b32 s87, s91
	s_cbranch_execz .LBB104_250
; %bb.242:                              ;   in Loop: Header=BB104_15 Depth=1
	s_mov_b32 s91, exec_lo
	v_cmpx_ge_u32_e64 s22, v4
	s_xor_b32 s91, exec_lo, s91
	s_cbranch_execz .LBB104_247
; %bb.243:                              ;   in Loop: Header=BB104_15 Depth=1
	ds_read_b32 v1, v9 offset:4096
	v_or_b32_e32 v2, s18, v2
	v_or_b32_e32 v3, s18, v3
	s_waitcnt lgkmcnt(0)
	v_cmp_ne_u32_e32 vcc_lo, 0, v1
	s_cbranch_vccnz .LBB104_247
; %bb.244:                              ;   in Loop: Header=BB104_15 Depth=1
	s_and_saveexec_b32 s92, s3
; %bb.245:                              ;   in Loop: Header=BB104_15 Depth=1
	v_mov_b32_e32 v1, s22
	ds_write_b32 v9, v1 offset:4100
; %bb.246:                              ;   in Loop: Header=BB104_15 Depth=1
	s_or_b32 exec_lo, exec_lo, s92
	s_waitcnt lgkmcnt(0)
	s_barrier
	buffer_gl0_inv
.LBB104_247:                            ;   in Loop: Header=BB104_15 Depth=1
	s_andn2_saveexec_b32 s91, s91
; %bb.248:                              ;   in Loop: Header=BB104_15 Depth=1
	v_subrev_nc_u32_e32 v4, s22, v4
; %bb.249:                              ;   in Loop: Header=BB104_15 Depth=1
	s_or_b32 exec_lo, exec_lo, s91
	v_mov_b32_e32 v1, 8
	v_mov_b32_e32 v13, v4
.LBB104_250:                            ;   in Loop: Header=BB104_15 Depth=1
	s_or_b32 exec_lo, exec_lo, s87
	v_mov_b32_e32 v4, v13
	s_mov_b32 s92, exec_lo
.LBB104_251:                            ;   in Loop: Header=BB104_15 Depth=1
	s_or_b32 exec_lo, exec_lo, s90
	s_orn2_b32 s87, s92, exec_lo
.LBB104_252:                            ;   in Loop: Header=BB104_15 Depth=1
	s_or_b32 exec_lo, exec_lo, s86
	v_mov_b32_e32 v13, v4
	s_andn2_b32 s33, s33, exec_lo
	s_and_b32 s86, s89, exec_lo
	s_andn2_b32 s31, s31, exec_lo
	s_and_b32 s88, s88, exec_lo
	s_or_b32 s33, s33, s86
	s_or_b32 s31, s31, s88
	s_and_b32 s88, s87, exec_lo
.LBB104_253:                            ;   in Loop: Header=BB104_15 Depth=1
	s_or_b32 exec_lo, exec_lo, s34
	s_orn2_b32 s34, s88, exec_lo
.LBB104_254:                            ;   in Loop: Header=BB104_15 Depth=1
	s_or_b32 exec_lo, exec_lo, s30
	v_mov_b32_e32 v4, v13
	s_andn2_b32 s24, s24, exec_lo
	s_and_b32 s30, s33, exec_lo
	s_andn2_b32 s23, s23, exec_lo
	s_and_b32 s31, s31, exec_lo
	s_or_b32 s24, s24, s30
	s_or_b32 s23, s23, s31
	s_and_b32 s33, s34, exec_lo
.LBB104_255:                            ;   in Loop: Header=BB104_15 Depth=1
	s_or_b32 exec_lo, exec_lo, s29
	s_orn2_b32 s29, s33, exec_lo
.LBB104_256:                            ;   in Loop: Header=BB104_15 Depth=1
	s_or_b32 exec_lo, exec_lo, s6
	s_mov_b32 s6, 0
	s_mov_b32 s30, 0
	s_and_saveexec_b32 s31, s29
	s_xor_b32 s29, exec_lo, s31
; %bb.257:                              ;   in Loop: Header=BB104_15 Depth=1
	v_cmp_ne_u32_e32 vcc_lo, 8, v1
	v_cmp_eq_u32_e64 s6, 8, v1
	s_and_b32 s30, vcc_lo, exec_lo
	s_and_b32 s6, s6, exec_lo
; %bb.258:                              ;   in Loop: Header=BB104_15 Depth=1
	s_or_b32 exec_lo, exec_lo, s29
	s_andn2_b32 s26, s26, exec_lo
	s_and_b32 s24, s24, exec_lo
	s_andn2_b32 s25, s25, exec_lo
	s_and_b32 s23, s23, exec_lo
	s_or_b32 s26, s26, s24
	s_or_b32 s25, s25, s23
	s_and_b32 s23, s30, exec_lo
	s_and_b32 s24, s6, exec_lo
.LBB104_259:                            ;   in Loop: Header=BB104_15 Depth=1
	s_or_b32 exec_lo, exec_lo, s28
.LBB104_260:                            ;   in Loop: Header=BB104_15 Depth=1
	s_and_b32 vcc_lo, exec_lo, s27
	s_cbranch_vccz .LBB104_274
; %bb.261:                              ;   in Loop: Header=BB104_15 Depth=1
	s_cmp_eq_u32 s22, 1
	s_mov_b32 s26, -1
	s_cselect_b32 s6, -1, 0
                                        ; implicit-def: $sgpr16
	s_and_b32 s6, s6, s14
                                        ; implicit-def: $sgpr14
	s_and_saveexec_b32 s25, s6
	s_cbranch_execz .LBB104_290
; %bb.262:                              ;   in Loop: Header=BB104_15 Depth=1
	ds_read_b32 v1, v9 offset:4096
	s_waitcnt lgkmcnt(0)
	s_barrier
	buffer_gl0_inv
	v_readfirstlane_b32 s27, v1
	s_and_saveexec_b32 s14, s15
; %bb.263:                              ;   in Loop: Header=BB104_15 Depth=1
	ds_write_b16 v21, v9
; %bb.264:                              ;   in Loop: Header=BB104_15 Depth=1
	s_or_b32 exec_lo, exec_lo, s14
	v_or_b32_e32 v27, s18, v27
	v_or_b32_e32 v37, s18, v37
	s_mov_b32 s16, -1
	s_mov_b32 s14, 0
	s_cmp_eq_u32 s27, 0
	s_mov_b32 s26, 0
	s_mov_b32 s28, -1
	s_waitcnt lgkmcnt(0)
	s_barrier
	buffer_gl0_inv
                                        ; implicit-def: $vgpr38
	s_cbranch_scc1 .LBB104_277
; %bb.265:                              ;   in Loop: Header=BB104_15 Depth=1
	s_add_i32 s26, s27, s62
                                        ; implicit-def: $vgpr38
	s_mul_hi_u32 s28, s26, s68
	s_mul_i32 s28, s28, s50
	s_sub_i32 s28, s26, s28
	s_sub_i32 s29, s28, s50
	s_cmp_ge_u32 s28, s50
	s_cselect_b32 s28, s29, s28
	s_sub_i32 s29, s28, s50
	s_cmp_ge_u32 s28, s50
	s_cselect_b32 s28, s29, s28
	s_mov_b32 s29, exec_lo
	s_sub_i32 s30, s26, s28
	s_mov_b32 s28, 0
	s_mov_b32 s26, 0
	v_cmpx_gt_u32_e64 s30, v0
	s_cbranch_execz .LBB104_276
; %bb.266:                              ;   in Loop: Header=BB104_15 Depth=1
	v_mov_b32_e32 v1, v20
	v_mov_b32_e32 v2, v0
                                        ; implicit-def: $sgpr31
	s_inst_prefetch 0x1
	s_branch .LBB104_270
	.p2align	6
.LBB104_267:                            ;   in Loop: Header=BB104_270 Depth=2
	s_or_b32 exec_lo, exec_lo, s33
	s_waitcnt lgkmcnt(0)
	s_barrier
	buffer_gl0_inv
	ds_read_b32 v3, v9 offset:3072
	s_waitcnt lgkmcnt(0)
	s_barrier
	buffer_gl0_inv
	v_cmp_neq_f16_e32 vcc_lo, 0, v3
	s_cbranch_vccnz .LBB104_273
; %bb.268:                              ;   in Loop: Header=BB104_270 Depth=2
	v_add_nc_u32_e32 v2, s50, v2
	v_add_nc_u32_e32 v1, s72, v1
	s_mov_b32 s33, 0
	v_cmp_le_u32_e32 vcc_lo, s30, v2
	s_orn2_b32 s34, vcc_lo, exec_lo
.LBB104_269:                            ;   in Loop: Header=BB104_270 Depth=2
	s_and_b32 s34, exec_lo, s34
	s_or_b32 s26, s34, s26
	s_andn2_b32 s31, s31, exec_lo
	s_and_b32 s33, s33, exec_lo
	s_or_b32 s31, s31, s33
	s_andn2_b32 exec_lo, exec_lo, s26
	s_cbranch_execz .LBB104_275
.LBB104_270:                            ;   Parent Loop BB104_15 Depth=1
                                        ; =>  This Inner Loop Header: Depth=2
	s_mov_b32 s33, exec_lo
	v_cmpx_gt_u32_e64 s27, v2
	s_cbranch_execz .LBB104_267
; %bb.271:                              ;   in Loop: Header=BB104_270 Depth=2
	ds_read_u16 v3, v1
	s_waitcnt lgkmcnt(0)
	v_cmp_lt_i16_e32 vcc_lo, -1, v3
	v_cndmask_b32_e32 v4, 0xffff, v35, vcc_lo
	v_cmp_o_f16_e32 vcc_lo, v3, v3
	v_xor_b32_sdwa v4, v4, v3 dst_sel:DWORD dst_unused:UNUSED_PAD src0_sel:DWORD src1_sel:WORD_0
	v_cndmask_b32_e32 v4, 0xffff, v4, vcc_lo
	v_and_b32_e32 v4, v4, v37
	v_cmp_eq_u32_e32 vcc_lo, v4, v27
	s_and_b32 exec_lo, exec_lo, vcc_lo
	s_cbranch_execz .LBB104_267
; %bb.272:                              ;   in Loop: Header=BB104_270 Depth=2
	v_perm_b32 v3, v3, s74, 0x5040100
	ds_write_b32 v9, v3 offset:3072
	s_branch .LBB104_267
.LBB104_273:                            ;   in Loop: Header=BB104_270 Depth=2
	s_mov_b32 s34, -1
	s_mov_b32 s33, -1
                                        ; implicit-def: $vgpr2
                                        ; implicit-def: $vgpr1
	s_branch .LBB104_269
.LBB104_274:                            ;   in Loop: Header=BB104_15 Depth=1
	v_mov_b32_e32 v27, v2
	v_mov_b32_e32 v37, v3
	;; [unrolled: 1-line block ×3, first 2 shown]
	s_mov_b32 s14, 0
	s_and_saveexec_b32 s6, s24
	s_cbranch_execnz .LBB104_427
	s_branch .LBB104_428
.LBB104_275:                            ;   in Loop: Header=BB104_15 Depth=1
	s_inst_prefetch 0x2
	s_or_b32 exec_lo, exec_lo, s26
	v_lshrrev_b32_e32 v38, 16, v3
	s_and_b32 s26, s31, exec_lo
.LBB104_276:                            ;   in Loop: Header=BB104_15 Depth=1
	s_or_b32 exec_lo, exec_lo, s29
.LBB104_277:                            ;   in Loop: Header=BB104_15 Depth=1
	s_and_b32 vcc_lo, exec_lo, s28
	s_cbranch_vccz .LBB104_289
; %bb.278:                              ;   in Loop: Header=BB104_15 Depth=1
                                        ; implicit-def: $vgpr38
	s_and_saveexec_b32 s14, s13
	s_cbranch_execz .LBB104_288
; %bb.279:                              ;   in Loop: Header=BB104_15 Depth=1
	v_mov_b32_e32 v8, v7
	v_mov_b32_e32 v1, v0
	s_mov_b32 s16, 0
                                        ; implicit-def: $sgpr27
	s_branch .LBB104_283
.LBB104_280:                            ;   in Loop: Header=BB104_283 Depth=2
	s_or_b32 exec_lo, exec_lo, s28
	s_waitcnt lgkmcnt(0)
	s_barrier
	buffer_gl0_inv
	ds_read_b32 v2, v9 offset:3072
	s_waitcnt lgkmcnt(0)
	s_barrier
	buffer_gl0_inv
	v_cmp_neq_f16_e32 vcc_lo, 0, v2
	s_cbranch_vccnz .LBB104_286
; %bb.281:                              ;   in Loop: Header=BB104_283 Depth=2
	v_add_nc_u32_e32 v1, s50, v1
	v_add_nc_u32_e32 v8, s52, v8
	s_mov_b32 s28, 0
	v_cmp_le_u32_e32 vcc_lo, s69, v1
	s_orn2_b32 s29, vcc_lo, exec_lo
.LBB104_282:                            ;   in Loop: Header=BB104_283 Depth=2
	s_and_b32 s29, exec_lo, s29
	s_or_b32 s16, s29, s16
	s_andn2_b32 s27, s27, exec_lo
	s_and_b32 s28, s28, exec_lo
	s_or_b32 s27, s27, s28
	s_andn2_b32 exec_lo, exec_lo, s16
	s_cbranch_execz .LBB104_287
.LBB104_283:                            ;   Parent Loop BB104_15 Depth=1
                                        ; =>  This Inner Loop Header: Depth=2
	s_mov_b32 s28, exec_lo
	v_cmpx_gt_u32_e64 s36, v1
	s_cbranch_execz .LBB104_280
; %bb.284:                              ;   in Loop: Header=BB104_283 Depth=2
	v_lshlrev_b64 v[2:3], 1, v[8:9]
	v_add_co_u32 v2, vcc_lo, s42, v2
	v_add_co_ci_u32_e64 v3, null, s48, v3, vcc_lo
	global_load_ushort v2, v[2:3], off
	s_waitcnt vmcnt(0)
	v_cmp_lt_i16_e32 vcc_lo, -1, v2
	v_cndmask_b32_e32 v3, 0xffff, v35, vcc_lo
	v_cmp_o_f16_e32 vcc_lo, v2, v2
	v_xor_b32_sdwa v3, v3, v2 dst_sel:DWORD dst_unused:UNUSED_PAD src0_sel:DWORD src1_sel:WORD_0
	v_cndmask_b32_e32 v3, 0xffff, v3, vcc_lo
	v_and_b32_e32 v3, v3, v37
	v_cmp_eq_u32_e32 vcc_lo, v3, v27
	s_and_b32 exec_lo, exec_lo, vcc_lo
	s_cbranch_execz .LBB104_280
; %bb.285:                              ;   in Loop: Header=BB104_283 Depth=2
	v_perm_b32 v2, v2, s74, 0x5040100
	ds_write_b32 v9, v2 offset:3072
	s_branch .LBB104_280
.LBB104_286:                            ;   in Loop: Header=BB104_283 Depth=2
	s_mov_b32 s29, -1
	s_mov_b32 s28, -1
                                        ; implicit-def: $vgpr1
	s_branch .LBB104_282
.LBB104_287:                            ;   in Loop: Header=BB104_15 Depth=1
	s_or_b32 exec_lo, exec_lo, s16
	s_andn2_b32 s16, s26, exec_lo
	s_and_b32 s26, s27, exec_lo
	v_lshrrev_b32_e32 v38, 16, v2
	s_or_b32 s26, s16, s26
.LBB104_288:                            ;   in Loop: Header=BB104_15 Depth=1
	s_or_b32 exec_lo, exec_lo, s14
	s_mov_b32 s16, 0
	s_mov_b32 s14, -1
.LBB104_289:                            ;   in Loop: Header=BB104_15 Depth=1
	s_orn2_b32 s26, s26, exec_lo
.LBB104_290:                            ;   in Loop: Header=BB104_15 Depth=1
	s_or_b32 exec_lo, exec_lo, s25
                                        ; implicit-def: $vgpr4
                                        ; implicit-def: $vgpr1
	s_and_saveexec_b32 s25, s26
	s_cbranch_execz .LBB104_426
; %bb.291:                              ;   in Loop: Header=BB104_15 Depth=1
	v_mov_b32_e32 v4, 1
	v_mov_b32_e32 v1, 1
	s_xor_b32 s26, s6, -1
	s_mov_b32 s28, 0
	s_and_saveexec_b32 s6, s26
	s_cbranch_execz .LBB104_300
; %bb.292:                              ;   in Loop: Header=BB104_15 Depth=1
	s_mov_b32 s26, exec_lo
	v_cmpx_ge_u32_e64 s22, v39
	s_xor_b32 s26, exec_lo, s26
	s_cbranch_execz .LBB104_297
; %bb.293:                              ;   in Loop: Header=BB104_15 Depth=1
	ds_read_b32 v1, v9 offset:4096
	v_or_b32_e32 v27, s18, v27
	v_or_b32_e32 v37, s18, v37
	s_waitcnt lgkmcnt(0)
	v_cmp_ne_u32_e32 vcc_lo, 0, v1
	s_cbranch_vccnz .LBB104_297
; %bb.294:                              ;   in Loop: Header=BB104_15 Depth=1
	s_and_saveexec_b32 s27, s3
; %bb.295:                              ;   in Loop: Header=BB104_15 Depth=1
	v_mov_b32_e32 v1, s22
	ds_write_b32 v9, v1 offset:4100
; %bb.296:                              ;   in Loop: Header=BB104_15 Depth=1
	s_or_b32 exec_lo, exec_lo, s27
	s_waitcnt lgkmcnt(0)
	s_barrier
	buffer_gl0_inv
.LBB104_297:                            ;   in Loop: Header=BB104_15 Depth=1
	s_or_saveexec_b32 s26, s26
	v_mov_b32_e32 v1, 5
	s_mov_b32 s27, 0
	s_xor_b32 exec_lo, exec_lo, s26
; %bb.298:                              ;   in Loop: Header=BB104_15 Depth=1
	v_subrev_nc_u32_e32 v39, s22, v39
	v_mov_b32_e32 v1, 0
	s_mov_b32 s27, exec_lo
; %bb.299:                              ;   in Loop: Header=BB104_15 Depth=1
	s_or_b32 exec_lo, exec_lo, s26
	v_mov_b32_e32 v4, v39
	s_and_b32 s28, s27, exec_lo
.LBB104_300:                            ;   in Loop: Header=BB104_15 Depth=1
	s_or_b32 exec_lo, exec_lo, s6
	s_mov_b32 s27, -1
                                        ; implicit-def: $sgpr22
                                        ; implicit-def: $sgpr26
	s_and_saveexec_b32 s6, s28
	s_xor_b32 s6, exec_lo, s6
	s_cbranch_execz .LBB104_423
; %bb.301:                              ;   in Loop: Header=BB104_15 Depth=1
	v_cmp_eq_u32_e32 vcc_lo, 1, v4
	s_cmp_eq_u32 s21, 1
	s_mov_b32 s29, -1
	s_cselect_b32 s22, -1, 0
                                        ; implicit-def: $sgpr26
	s_and_b32 s28, s22, vcc_lo
                                        ; implicit-def: $sgpr22
	s_and_saveexec_b32 s27, s28
	s_cbranch_execz .LBB104_329
; %bb.302:                              ;   in Loop: Header=BB104_15 Depth=1
	ds_read_b32 v2, v9 offset:4096
	s_waitcnt lgkmcnt(0)
	s_barrier
	buffer_gl0_inv
	v_readfirstlane_b32 s30, v2
	s_and_saveexec_b32 s22, s15
; %bb.303:                              ;   in Loop: Header=BB104_15 Depth=1
	ds_write_b16 v21, v9
; %bb.304:                              ;   in Loop: Header=BB104_15 Depth=1
	s_or_b32 exec_lo, exec_lo, s22
	s_lshl_b32 s22, 2, s79
	v_or_b32_e32 v37, s18, v37
	v_and_or_b32 v27, v27, s19, s22
	s_mov_b32 s22, -1
	s_mov_b32 s26, 0
	s_cmp_eq_u32 s30, 0
	s_mov_b32 s29, 0
	s_mov_b32 s31, -1
	s_waitcnt lgkmcnt(0)
	s_barrier
	buffer_gl0_inv
                                        ; implicit-def: $vgpr38
	s_cbranch_scc1 .LBB104_316
; %bb.305:                              ;   in Loop: Header=BB104_15 Depth=1
	s_add_i32 s29, s30, s62
                                        ; implicit-def: $vgpr38
	s_mul_hi_u32 s31, s29, s68
	s_mul_i32 s31, s31, s50
	s_sub_i32 s31, s29, s31
	s_sub_i32 s33, s31, s50
	s_cmp_ge_u32 s31, s50
	s_cselect_b32 s31, s33, s31
	s_sub_i32 s33, s31, s50
	s_cmp_ge_u32 s31, s50
	s_cselect_b32 s31, s33, s31
	s_mov_b32 s33, exec_lo
	s_sub_i32 s34, s29, s31
	s_mov_b32 s31, 0
	s_mov_b32 s29, 0
	v_cmpx_gt_u32_e64 s34, v0
	s_cbranch_execz .LBB104_315
; %bb.306:                              ;   in Loop: Header=BB104_15 Depth=1
	v_mov_b32_e32 v2, v20
	v_mov_b32_e32 v3, v0
                                        ; implicit-def: $sgpr86
	s_inst_prefetch 0x1
	s_branch .LBB104_310
	.p2align	6
.LBB104_307:                            ;   in Loop: Header=BB104_310 Depth=2
	s_or_b32 exec_lo, exec_lo, s87
	s_waitcnt lgkmcnt(0)
	s_barrier
	buffer_gl0_inv
	ds_read_b32 v8, v9 offset:3072
	s_waitcnt lgkmcnt(0)
	s_barrier
	buffer_gl0_inv
	v_cmp_neq_f16_e32 vcc_lo, 0, v8
	s_cbranch_vccnz .LBB104_313
; %bb.308:                              ;   in Loop: Header=BB104_310 Depth=2
	v_add_nc_u32_e32 v3, s50, v3
	v_add_nc_u32_e32 v2, s72, v2
	s_mov_b32 s87, 0
	v_cmp_le_u32_e32 vcc_lo, s34, v3
	s_orn2_b32 s88, vcc_lo, exec_lo
.LBB104_309:                            ;   in Loop: Header=BB104_310 Depth=2
	s_and_b32 s88, exec_lo, s88
	s_or_b32 s29, s88, s29
	s_andn2_b32 s86, s86, exec_lo
	s_and_b32 s87, s87, exec_lo
	s_or_b32 s86, s86, s87
	s_andn2_b32 exec_lo, exec_lo, s29
	s_cbranch_execz .LBB104_314
.LBB104_310:                            ;   Parent Loop BB104_15 Depth=1
                                        ; =>  This Inner Loop Header: Depth=2
	s_mov_b32 s87, exec_lo
	v_cmpx_gt_u32_e64 s30, v3
	s_cbranch_execz .LBB104_307
; %bb.311:                              ;   in Loop: Header=BB104_310 Depth=2
	ds_read_u16 v8, v2
	s_waitcnt lgkmcnt(0)
	v_cmp_lt_i16_e32 vcc_lo, -1, v8
	v_cndmask_b32_e32 v13, 0xffff, v35, vcc_lo
	v_cmp_o_f16_e32 vcc_lo, v8, v8
	v_xor_b32_sdwa v13, v13, v8 dst_sel:DWORD dst_unused:UNUSED_PAD src0_sel:DWORD src1_sel:WORD_0
	v_cndmask_b32_e32 v13, 0xffff, v13, vcc_lo
	v_and_b32_e32 v13, v13, v37
	v_cmp_eq_u32_e32 vcc_lo, v13, v27
	s_and_b32 exec_lo, exec_lo, vcc_lo
	s_cbranch_execz .LBB104_307
; %bb.312:                              ;   in Loop: Header=BB104_310 Depth=2
	v_perm_b32 v8, v8, s74, 0x5040100
	ds_write_b32 v9, v8 offset:3072
	s_branch .LBB104_307
.LBB104_313:                            ;   in Loop: Header=BB104_310 Depth=2
	s_mov_b32 s88, -1
	s_mov_b32 s87, -1
                                        ; implicit-def: $vgpr3
                                        ; implicit-def: $vgpr2
	s_branch .LBB104_309
.LBB104_314:                            ;   in Loop: Header=BB104_15 Depth=1
	s_inst_prefetch 0x2
	s_or_b32 exec_lo, exec_lo, s29
	v_lshrrev_b32_e32 v38, 16, v8
	s_and_b32 s29, s86, exec_lo
.LBB104_315:                            ;   in Loop: Header=BB104_15 Depth=1
	s_or_b32 exec_lo, exec_lo, s33
.LBB104_316:                            ;   in Loop: Header=BB104_15 Depth=1
	s_and_b32 vcc_lo, exec_lo, s31
	s_cbranch_vccz .LBB104_328
; %bb.317:                              ;   in Loop: Header=BB104_15 Depth=1
                                        ; implicit-def: $vgpr38
	s_and_saveexec_b32 s22, s13
	s_cbranch_execz .LBB104_327
; %bb.318:                              ;   in Loop: Header=BB104_15 Depth=1
	v_mov_b32_e32 v8, v7
	v_mov_b32_e32 v2, v0
	s_mov_b32 s26, 0
                                        ; implicit-def: $sgpr30
	s_branch .LBB104_322
.LBB104_319:                            ;   in Loop: Header=BB104_322 Depth=2
	s_or_b32 exec_lo, exec_lo, s31
	s_waitcnt lgkmcnt(0)
	s_barrier
	buffer_gl0_inv
	ds_read_b32 v3, v9 offset:3072
	s_waitcnt lgkmcnt(0)
	s_barrier
	buffer_gl0_inv
	v_cmp_eq_f16_e32 vcc_lo, 0, v3
	s_cbranch_vccz .LBB104_325
; %bb.320:                              ;   in Loop: Header=BB104_322 Depth=2
	v_add_nc_u32_e32 v2, s50, v2
	v_add_nc_u32_e32 v8, s52, v8
	s_mov_b32 s31, 0
	v_cmp_le_u32_e32 vcc_lo, s69, v2
	s_orn2_b32 s33, vcc_lo, exec_lo
.LBB104_321:                            ;   in Loop: Header=BB104_322 Depth=2
	s_and_b32 s33, exec_lo, s33
	s_or_b32 s26, s33, s26
	s_andn2_b32 s30, s30, exec_lo
	s_and_b32 s31, s31, exec_lo
	s_or_b32 s30, s30, s31
	s_andn2_b32 exec_lo, exec_lo, s26
	s_cbranch_execz .LBB104_326
.LBB104_322:                            ;   Parent Loop BB104_15 Depth=1
                                        ; =>  This Inner Loop Header: Depth=2
	s_mov_b32 s31, exec_lo
	v_cmpx_gt_u32_e64 s36, v2
	s_cbranch_execz .LBB104_319
; %bb.323:                              ;   in Loop: Header=BB104_322 Depth=2
	v_lshlrev_b64 v[13:14], 1, v[8:9]
	v_add_co_u32 v13, vcc_lo, s42, v13
	v_add_co_ci_u32_e64 v14, null, s48, v14, vcc_lo
	global_load_ushort v3, v[13:14], off
	s_waitcnt vmcnt(0)
	v_cmp_lt_i16_e32 vcc_lo, -1, v3
	v_cndmask_b32_e32 v13, 0xffff, v35, vcc_lo
	v_cmp_o_f16_e32 vcc_lo, v3, v3
	v_xor_b32_sdwa v13, v13, v3 dst_sel:DWORD dst_unused:UNUSED_PAD src0_sel:DWORD src1_sel:WORD_0
	v_cndmask_b32_e32 v13, 0xffff, v13, vcc_lo
	v_and_b32_e32 v13, v13, v37
	v_cmp_eq_u32_e32 vcc_lo, v13, v27
	s_and_b32 exec_lo, exec_lo, vcc_lo
	s_cbranch_execz .LBB104_319
; %bb.324:                              ;   in Loop: Header=BB104_322 Depth=2
	v_perm_b32 v3, v3, s74, 0x5040100
	ds_write_b32 v9, v3 offset:3072
	s_branch .LBB104_319
.LBB104_325:                            ;   in Loop: Header=BB104_322 Depth=2
	s_mov_b32 s33, -1
	s_mov_b32 s31, -1
                                        ; implicit-def: $vgpr2
	s_branch .LBB104_321
.LBB104_326:                            ;   in Loop: Header=BB104_15 Depth=1
	s_or_b32 exec_lo, exec_lo, s26
	v_lshrrev_b32_e32 v38, 16, v3
	s_andn2_b32 s26, s29, exec_lo
	s_and_b32 s29, s30, exec_lo
	s_or_b32 s29, s26, s29
.LBB104_327:                            ;   in Loop: Header=BB104_15 Depth=1
	s_or_b32 exec_lo, exec_lo, s22
	s_mov_b32 s22, 0
	s_mov_b32 s26, -1
.LBB104_328:                            ;   in Loop: Header=BB104_15 Depth=1
	s_orn2_b32 s29, s29, exec_lo
.LBB104_329:                            ;   in Loop: Header=BB104_15 Depth=1
	s_or_b32 exec_lo, exec_lo, s27
	s_mov_b32 s30, 0
	s_and_saveexec_b32 s27, s29
	s_cbranch_execz .LBB104_422
; %bb.330:                              ;   in Loop: Header=BB104_15 Depth=1
	v_mov_b32_e32 v2, 1
	v_mov_b32_e32 v1, 1
	s_xor_b32 s29, s28, -1
	s_mov_b32 s31, 0
	s_and_saveexec_b32 s28, s29
	s_cbranch_execz .LBB104_339
; %bb.331:                              ;   in Loop: Header=BB104_15 Depth=1
	s_mov_b32 s29, exec_lo
	v_cmpx_ge_u32_e64 s21, v4
	s_xor_b32 s29, exec_lo, s29
	s_cbranch_execz .LBB104_336
; %bb.332:                              ;   in Loop: Header=BB104_15 Depth=1
	ds_read_b32 v1, v9 offset:4096
	s_lshl_b32 s30, 2, s79
	v_or_b32_e32 v37, s18, v37
	v_and_or_b32 v27, v27, s19, s30
	s_waitcnt lgkmcnt(0)
	v_cmp_ne_u32_e32 vcc_lo, 0, v1
	s_cbranch_vccnz .LBB104_336
; %bb.333:                              ;   in Loop: Header=BB104_15 Depth=1
	s_and_saveexec_b32 s30, s3
; %bb.334:                              ;   in Loop: Header=BB104_15 Depth=1
	v_mov_b32_e32 v1, s21
	ds_write_b32 v9, v1 offset:4100
; %bb.335:                              ;   in Loop: Header=BB104_15 Depth=1
	s_or_b32 exec_lo, exec_lo, s30
	s_waitcnt lgkmcnt(0)
	s_barrier
	buffer_gl0_inv
.LBB104_336:                            ;   in Loop: Header=BB104_15 Depth=1
	s_or_saveexec_b32 s29, s29
	v_mov_b32_e32 v1, 5
	s_mov_b32 s30, 0
	s_xor_b32 exec_lo, exec_lo, s29
; %bb.337:                              ;   in Loop: Header=BB104_15 Depth=1
	v_subrev_nc_u32_e32 v4, s21, v4
	v_mov_b32_e32 v1, 0
	s_mov_b32 s30, exec_lo
; %bb.338:                              ;   in Loop: Header=BB104_15 Depth=1
	s_or_b32 exec_lo, exec_lo, s29
	v_mov_b32_e32 v2, v4
	s_and_b32 s31, s30, exec_lo
.LBB104_339:                            ;   in Loop: Header=BB104_15 Depth=1
	s_or_b32 exec_lo, exec_lo, s28
	s_mov_b32 s30, -1
                                        ; implicit-def: $sgpr28
                                        ; implicit-def: $sgpr29
	s_and_saveexec_b32 s21, s31
	s_cbranch_execz .LBB104_421
; %bb.340:                              ;   in Loop: Header=BB104_15 Depth=1
	v_cmp_eq_u32_e32 vcc_lo, 1, v2
	s_cmp_eq_u32 s20, 1
	s_mov_b32 s33, -1
	s_cselect_b32 s28, -1, 0
                                        ; implicit-def: $sgpr29
	s_and_b32 s31, s28, vcc_lo
                                        ; implicit-def: $sgpr28
	s_and_saveexec_b32 s30, s31
	s_cbranch_execz .LBB104_368
; %bb.341:                              ;   in Loop: Header=BB104_15 Depth=1
	ds_read_b32 v3, v9 offset:4096
	s_waitcnt lgkmcnt(0)
	s_barrier
	buffer_gl0_inv
	v_readfirstlane_b32 s34, v3
	s_and_saveexec_b32 s28, s15
; %bb.342:                              ;   in Loop: Header=BB104_15 Depth=1
	ds_write_b16 v21, v9
; %bb.343:                              ;   in Loop: Header=BB104_15 Depth=1
	s_or_b32 exec_lo, exec_lo, s28
	s_lshl_b32 s28, 1, s79
	v_or_b32_e32 v37, s18, v37
	v_and_or_b32 v27, v27, s19, s28
	s_mov_b32 s28, -1
	s_mov_b32 s29, 0
	s_cmp_eq_u32 s34, 0
	s_mov_b32 s33, 0
	s_mov_b32 s86, -1
	s_waitcnt lgkmcnt(0)
	s_barrier
	buffer_gl0_inv
                                        ; implicit-def: $vgpr38
	s_cbranch_scc1 .LBB104_355
; %bb.344:                              ;   in Loop: Header=BB104_15 Depth=1
	s_add_i32 s33, s34, s62
                                        ; implicit-def: $vgpr38
	s_mul_hi_u32 s86, s33, s68
	s_mul_i32 s86, s86, s50
	s_sub_i32 s86, s33, s86
	s_sub_i32 s87, s86, s50
	s_cmp_ge_u32 s86, s50
	s_cselect_b32 s86, s87, s86
	s_sub_i32 s87, s86, s50
	s_cmp_ge_u32 s86, s50
	s_cselect_b32 s86, s87, s86
	s_mov_b32 s87, exec_lo
	s_sub_i32 s88, s33, s86
	s_mov_b32 s86, 0
	s_mov_b32 s33, 0
	v_cmpx_gt_u32_e64 s88, v0
	s_cbranch_execz .LBB104_354
; %bb.345:                              ;   in Loop: Header=BB104_15 Depth=1
	v_mov_b32_e32 v3, v20
	v_mov_b32_e32 v4, v0
                                        ; implicit-def: $sgpr89
	s_inst_prefetch 0x1
	s_branch .LBB104_349
	.p2align	6
.LBB104_346:                            ;   in Loop: Header=BB104_349 Depth=2
	s_or_b32 exec_lo, exec_lo, s90
	s_waitcnt lgkmcnt(0)
	s_barrier
	buffer_gl0_inv
	ds_read_b32 v8, v9 offset:3072
	s_waitcnt lgkmcnt(0)
	s_barrier
	buffer_gl0_inv
	v_cmp_neq_f16_e32 vcc_lo, 0, v8
	s_cbranch_vccnz .LBB104_352
; %bb.347:                              ;   in Loop: Header=BB104_349 Depth=2
	v_add_nc_u32_e32 v4, s50, v4
	v_add_nc_u32_e32 v3, s72, v3
	s_mov_b32 s90, 0
	v_cmp_le_u32_e32 vcc_lo, s88, v4
	s_orn2_b32 s91, vcc_lo, exec_lo
.LBB104_348:                            ;   in Loop: Header=BB104_349 Depth=2
	s_and_b32 s91, exec_lo, s91
	s_or_b32 s33, s91, s33
	s_andn2_b32 s89, s89, exec_lo
	s_and_b32 s90, s90, exec_lo
	s_or_b32 s89, s89, s90
	s_andn2_b32 exec_lo, exec_lo, s33
	s_cbranch_execz .LBB104_353
.LBB104_349:                            ;   Parent Loop BB104_15 Depth=1
                                        ; =>  This Inner Loop Header: Depth=2
	s_mov_b32 s90, exec_lo
	v_cmpx_gt_u32_e64 s34, v4
	s_cbranch_execz .LBB104_346
; %bb.350:                              ;   in Loop: Header=BB104_349 Depth=2
	ds_read_u16 v8, v3
	s_waitcnt lgkmcnt(0)
	v_cmp_lt_i16_e32 vcc_lo, -1, v8
	v_cndmask_b32_e32 v13, 0xffff, v35, vcc_lo
	v_cmp_o_f16_e32 vcc_lo, v8, v8
	v_xor_b32_sdwa v13, v13, v8 dst_sel:DWORD dst_unused:UNUSED_PAD src0_sel:DWORD src1_sel:WORD_0
	v_cndmask_b32_e32 v13, 0xffff, v13, vcc_lo
	v_and_b32_e32 v13, v13, v37
	v_cmp_eq_u32_e32 vcc_lo, v13, v27
	s_and_b32 exec_lo, exec_lo, vcc_lo
	s_cbranch_execz .LBB104_346
; %bb.351:                              ;   in Loop: Header=BB104_349 Depth=2
	v_perm_b32 v8, v8, s74, 0x5040100
	ds_write_b32 v9, v8 offset:3072
	s_branch .LBB104_346
.LBB104_352:                            ;   in Loop: Header=BB104_349 Depth=2
	s_mov_b32 s91, -1
	s_mov_b32 s90, -1
                                        ; implicit-def: $vgpr4
                                        ; implicit-def: $vgpr3
	s_branch .LBB104_348
.LBB104_353:                            ;   in Loop: Header=BB104_15 Depth=1
	s_inst_prefetch 0x2
	s_or_b32 exec_lo, exec_lo, s33
	v_lshrrev_b32_e32 v38, 16, v8
	s_and_b32 s33, s89, exec_lo
.LBB104_354:                            ;   in Loop: Header=BB104_15 Depth=1
	s_or_b32 exec_lo, exec_lo, s87
.LBB104_355:                            ;   in Loop: Header=BB104_15 Depth=1
	s_and_b32 vcc_lo, exec_lo, s86
	s_cbranch_vccz .LBB104_367
; %bb.356:                              ;   in Loop: Header=BB104_15 Depth=1
                                        ; implicit-def: $vgpr38
	s_and_saveexec_b32 s28, s13
	s_cbranch_execz .LBB104_366
; %bb.357:                              ;   in Loop: Header=BB104_15 Depth=1
	v_mov_b32_e32 v8, v7
	v_mov_b32_e32 v3, v0
	s_mov_b32 s29, 0
                                        ; implicit-def: $sgpr34
	s_branch .LBB104_361
.LBB104_358:                            ;   in Loop: Header=BB104_361 Depth=2
	s_or_b32 exec_lo, exec_lo, s86
	s_waitcnt lgkmcnt(0)
	s_barrier
	buffer_gl0_inv
	ds_read_b32 v4, v9 offset:3072
	s_waitcnt lgkmcnt(0)
	s_barrier
	buffer_gl0_inv
	v_cmp_eq_f16_e32 vcc_lo, 0, v4
	s_cbranch_vccz .LBB104_364
; %bb.359:                              ;   in Loop: Header=BB104_361 Depth=2
	v_add_nc_u32_e32 v3, s50, v3
	v_add_nc_u32_e32 v8, s52, v8
	s_mov_b32 s86, 0
	v_cmp_le_u32_e32 vcc_lo, s69, v3
	s_orn2_b32 s87, vcc_lo, exec_lo
.LBB104_360:                            ;   in Loop: Header=BB104_361 Depth=2
	s_and_b32 s87, exec_lo, s87
	s_or_b32 s29, s87, s29
	s_andn2_b32 s34, s34, exec_lo
	s_and_b32 s86, s86, exec_lo
	s_or_b32 s34, s34, s86
	s_andn2_b32 exec_lo, exec_lo, s29
	s_cbranch_execz .LBB104_365
.LBB104_361:                            ;   Parent Loop BB104_15 Depth=1
                                        ; =>  This Inner Loop Header: Depth=2
	s_mov_b32 s86, exec_lo
	v_cmpx_gt_u32_e64 s36, v3
	s_cbranch_execz .LBB104_358
; %bb.362:                              ;   in Loop: Header=BB104_361 Depth=2
	v_lshlrev_b64 v[13:14], 1, v[8:9]
	v_add_co_u32 v13, vcc_lo, s42, v13
	v_add_co_ci_u32_e64 v14, null, s48, v14, vcc_lo
	global_load_ushort v4, v[13:14], off
	s_waitcnt vmcnt(0)
	v_cmp_lt_i16_e32 vcc_lo, -1, v4
	v_cndmask_b32_e32 v13, 0xffff, v35, vcc_lo
	v_cmp_o_f16_e32 vcc_lo, v4, v4
	v_xor_b32_sdwa v13, v13, v4 dst_sel:DWORD dst_unused:UNUSED_PAD src0_sel:DWORD src1_sel:WORD_0
	v_cndmask_b32_e32 v13, 0xffff, v13, vcc_lo
	v_and_b32_e32 v13, v13, v37
	v_cmp_eq_u32_e32 vcc_lo, v13, v27
	s_and_b32 exec_lo, exec_lo, vcc_lo
	s_cbranch_execz .LBB104_358
; %bb.363:                              ;   in Loop: Header=BB104_361 Depth=2
	v_perm_b32 v4, v4, s74, 0x5040100
	ds_write_b32 v9, v4 offset:3072
	s_branch .LBB104_358
.LBB104_364:                            ;   in Loop: Header=BB104_361 Depth=2
	s_mov_b32 s87, -1
	s_mov_b32 s86, -1
                                        ; implicit-def: $vgpr3
	s_branch .LBB104_360
.LBB104_365:                            ;   in Loop: Header=BB104_15 Depth=1
	s_or_b32 exec_lo, exec_lo, s29
	v_lshrrev_b32_e32 v38, 16, v4
	s_andn2_b32 s29, s33, exec_lo
	s_and_b32 s33, s34, exec_lo
	s_or_b32 s33, s29, s33
.LBB104_366:                            ;   in Loop: Header=BB104_15 Depth=1
	s_or_b32 exec_lo, exec_lo, s28
	s_mov_b32 s28, 0
	s_mov_b32 s29, -1
.LBB104_367:                            ;   in Loop: Header=BB104_15 Depth=1
	s_orn2_b32 s33, s33, exec_lo
.LBB104_368:                            ;   in Loop: Header=BB104_15 Depth=1
	s_or_b32 exec_lo, exec_lo, s30
	s_mov_b32 s34, 0
	s_and_saveexec_b32 s30, s33
	s_cbranch_execz .LBB104_420
; %bb.369:                              ;   in Loop: Header=BB104_15 Depth=1
	v_mov_b32_e32 v3, 1
	v_mov_b32_e32 v1, 1
	s_xor_b32 s33, s31, -1
	s_mov_b32 s86, 0
	s_and_saveexec_b32 s31, s33
	s_cbranch_execz .LBB104_378
; %bb.370:                              ;   in Loop: Header=BB104_15 Depth=1
	s_mov_b32 s33, exec_lo
	v_cmpx_ge_u32_e64 s20, v2
	s_xor_b32 s33, exec_lo, s33
	s_cbranch_execz .LBB104_375
; %bb.371:                              ;   in Loop: Header=BB104_15 Depth=1
	ds_read_b32 v1, v9 offset:4096
	s_lshl_b32 s34, 1, s79
	v_or_b32_e32 v37, s18, v37
	v_and_or_b32 v27, v27, s19, s34
	s_waitcnt lgkmcnt(0)
	v_cmp_ne_u32_e32 vcc_lo, 0, v1
	s_cbranch_vccnz .LBB104_375
; %bb.372:                              ;   in Loop: Header=BB104_15 Depth=1
	s_and_saveexec_b32 s34, s3
; %bb.373:                              ;   in Loop: Header=BB104_15 Depth=1
	v_mov_b32_e32 v1, s20
	ds_write_b32 v9, v1 offset:4100
; %bb.374:                              ;   in Loop: Header=BB104_15 Depth=1
	s_or_b32 exec_lo, exec_lo, s34
	s_waitcnt lgkmcnt(0)
	s_barrier
	buffer_gl0_inv
.LBB104_375:                            ;   in Loop: Header=BB104_15 Depth=1
	s_or_saveexec_b32 s33, s33
	v_mov_b32_e32 v1, 5
	s_mov_b32 s34, 0
	s_xor_b32 exec_lo, exec_lo, s33
; %bb.376:                              ;   in Loop: Header=BB104_15 Depth=1
	v_subrev_nc_u32_e32 v2, s20, v2
	v_mov_b32_e32 v1, 0
	s_mov_b32 s34, exec_lo
; %bb.377:                              ;   in Loop: Header=BB104_15 Depth=1
	s_or_b32 exec_lo, exec_lo, s33
	v_mov_b32_e32 v3, v2
	s_and_b32 s86, s34, exec_lo
.LBB104_378:                            ;   in Loop: Header=BB104_15 Depth=1
	s_or_b32 exec_lo, exec_lo, s31
	s_mov_b32 s31, -1
                                        ; implicit-def: $sgpr34
                                        ; implicit-def: $sgpr33
	s_and_saveexec_b32 s20, s86
	s_cbranch_execz .LBB104_419
; %bb.379:                              ;   in Loop: Header=BB104_15 Depth=1
	v_cmp_eq_u32_e32 vcc_lo, 1, v3
	s_cmp_eq_u32 s17, 1
	s_mov_b32 s87, -1
	s_cselect_b32 s31, -1, 0
                                        ; implicit-def: $sgpr34
                                        ; implicit-def: $sgpr33
	s_and_b32 s31, s31, vcc_lo
	s_and_saveexec_b32 s86, s31
	s_cbranch_execz .LBB104_407
; %bb.380:                              ;   in Loop: Header=BB104_15 Depth=1
	ds_read_b32 v2, v9 offset:4096
	s_waitcnt lgkmcnt(0)
	s_barrier
	buffer_gl0_inv
	v_readfirstlane_b32 s88, v2
	s_and_saveexec_b32 s33, s15
; %bb.381:                              ;   in Loop: Header=BB104_15 Depth=1
	ds_write_b16 v21, v9
; %bb.382:                              ;   in Loop: Header=BB104_15 Depth=1
	s_or_b32 exec_lo, exec_lo, s33
	v_and_b32_e32 v27, s19, v27
	v_or_b32_e32 v37, s18, v37
	s_mov_b32 s33, -1
	s_mov_b32 s34, 0
	s_cmp_eq_u32 s88, 0
	s_mov_b32 s87, 0
	s_mov_b32 s89, -1
	s_waitcnt lgkmcnt(0)
	s_barrier
	buffer_gl0_inv
                                        ; implicit-def: $vgpr38
	s_cbranch_scc1 .LBB104_394
; %bb.383:                              ;   in Loop: Header=BB104_15 Depth=1
	s_add_i32 s87, s88, s62
                                        ; implicit-def: $vgpr38
	s_mul_hi_u32 s89, s87, s68
	s_mul_i32 s89, s89, s50
	s_sub_i32 s89, s87, s89
	s_sub_i32 s90, s89, s50
	s_cmp_ge_u32 s89, s50
	s_cselect_b32 s89, s90, s89
	s_sub_i32 s90, s89, s50
	s_cmp_ge_u32 s89, s50
	s_cselect_b32 s89, s90, s89
	s_mov_b32 s90, exec_lo
	s_sub_i32 s91, s87, s89
	s_mov_b32 s89, 0
	s_mov_b32 s87, 0
	v_cmpx_gt_u32_e64 s91, v0
	s_cbranch_execz .LBB104_393
; %bb.384:                              ;   in Loop: Header=BB104_15 Depth=1
	v_mov_b32_e32 v2, v20
	v_mov_b32_e32 v4, v0
                                        ; implicit-def: $sgpr92
	s_inst_prefetch 0x1
	s_branch .LBB104_388
	.p2align	6
.LBB104_385:                            ;   in Loop: Header=BB104_388 Depth=2
	s_or_b32 exec_lo, exec_lo, s93
	s_waitcnt lgkmcnt(0)
	s_barrier
	buffer_gl0_inv
	ds_read_b32 v8, v9 offset:3072
	s_waitcnt lgkmcnt(0)
	s_barrier
	buffer_gl0_inv
	v_cmp_neq_f16_e32 vcc_lo, 0, v8
	s_cbranch_vccnz .LBB104_391
; %bb.386:                              ;   in Loop: Header=BB104_388 Depth=2
	v_add_nc_u32_e32 v4, s50, v4
	v_add_nc_u32_e32 v2, s72, v2
	s_mov_b32 s93, 0
	v_cmp_le_u32_e32 vcc_lo, s91, v4
	s_orn2_b32 s94, vcc_lo, exec_lo
.LBB104_387:                            ;   in Loop: Header=BB104_388 Depth=2
	s_and_b32 s94, exec_lo, s94
	s_or_b32 s87, s94, s87
	s_andn2_b32 s92, s92, exec_lo
	s_and_b32 s93, s93, exec_lo
	s_or_b32 s92, s92, s93
	s_andn2_b32 exec_lo, exec_lo, s87
	s_cbranch_execz .LBB104_392
.LBB104_388:                            ;   Parent Loop BB104_15 Depth=1
                                        ; =>  This Inner Loop Header: Depth=2
	s_mov_b32 s93, exec_lo
	v_cmpx_gt_u32_e64 s88, v4
	s_cbranch_execz .LBB104_385
; %bb.389:                              ;   in Loop: Header=BB104_388 Depth=2
	ds_read_u16 v8, v2
	s_waitcnt lgkmcnt(0)
	v_cmp_lt_i16_e32 vcc_lo, -1, v8
	v_cndmask_b32_e32 v13, 0xffff, v35, vcc_lo
	v_cmp_o_f16_e32 vcc_lo, v8, v8
	v_xor_b32_sdwa v13, v13, v8 dst_sel:DWORD dst_unused:UNUSED_PAD src0_sel:DWORD src1_sel:WORD_0
	v_cndmask_b32_e32 v13, 0xffff, v13, vcc_lo
	v_and_b32_e32 v13, v13, v37
	v_cmp_eq_u32_e32 vcc_lo, v13, v27
	s_and_b32 exec_lo, exec_lo, vcc_lo
	s_cbranch_execz .LBB104_385
; %bb.390:                              ;   in Loop: Header=BB104_388 Depth=2
	v_perm_b32 v8, v8, s74, 0x5040100
	ds_write_b32 v9, v8 offset:3072
	s_branch .LBB104_385
.LBB104_391:                            ;   in Loop: Header=BB104_388 Depth=2
	s_mov_b32 s94, -1
	s_mov_b32 s93, -1
                                        ; implicit-def: $vgpr4
                                        ; implicit-def: $vgpr2
	s_branch .LBB104_387
.LBB104_392:                            ;   in Loop: Header=BB104_15 Depth=1
	s_inst_prefetch 0x2
	s_or_b32 exec_lo, exec_lo, s87
	v_lshrrev_b32_e32 v38, 16, v8
	s_and_b32 s87, s92, exec_lo
.LBB104_393:                            ;   in Loop: Header=BB104_15 Depth=1
	s_or_b32 exec_lo, exec_lo, s90
.LBB104_394:                            ;   in Loop: Header=BB104_15 Depth=1
	s_and_b32 vcc_lo, exec_lo, s89
	s_cbranch_vccz .LBB104_406
; %bb.395:                              ;   in Loop: Header=BB104_15 Depth=1
                                        ; implicit-def: $vgpr38
	s_and_saveexec_b32 s33, s13
	s_cbranch_execz .LBB104_405
; %bb.396:                              ;   in Loop: Header=BB104_15 Depth=1
	v_mov_b32_e32 v8, v7
	v_mov_b32_e32 v2, v0
	s_mov_b32 s34, 0
                                        ; implicit-def: $sgpr88
	s_branch .LBB104_400
.LBB104_397:                            ;   in Loop: Header=BB104_400 Depth=2
	s_or_b32 exec_lo, exec_lo, s89
	s_waitcnt lgkmcnt(0)
	s_barrier
	buffer_gl0_inv
	ds_read_b32 v4, v9 offset:3072
	s_waitcnt lgkmcnt(0)
	s_barrier
	buffer_gl0_inv
	v_cmp_eq_f16_e32 vcc_lo, 0, v4
	s_cbranch_vccz .LBB104_403
; %bb.398:                              ;   in Loop: Header=BB104_400 Depth=2
	v_add_nc_u32_e32 v2, s50, v2
	v_add_nc_u32_e32 v8, s52, v8
	s_mov_b32 s89, 0
	v_cmp_le_u32_e32 vcc_lo, s69, v2
	s_orn2_b32 s90, vcc_lo, exec_lo
.LBB104_399:                            ;   in Loop: Header=BB104_400 Depth=2
	s_and_b32 s90, exec_lo, s90
	s_or_b32 s34, s90, s34
	s_andn2_b32 s88, s88, exec_lo
	s_and_b32 s89, s89, exec_lo
	s_or_b32 s88, s88, s89
	s_andn2_b32 exec_lo, exec_lo, s34
	s_cbranch_execz .LBB104_404
.LBB104_400:                            ;   Parent Loop BB104_15 Depth=1
                                        ; =>  This Inner Loop Header: Depth=2
	s_mov_b32 s89, exec_lo
	v_cmpx_gt_u32_e64 s36, v2
	s_cbranch_execz .LBB104_397
; %bb.401:                              ;   in Loop: Header=BB104_400 Depth=2
	v_lshlrev_b64 v[13:14], 1, v[8:9]
	v_add_co_u32 v13, vcc_lo, s42, v13
	v_add_co_ci_u32_e64 v14, null, s48, v14, vcc_lo
	global_load_ushort v4, v[13:14], off
	s_waitcnt vmcnt(0)
	v_cmp_lt_i16_e32 vcc_lo, -1, v4
	v_cndmask_b32_e32 v13, 0xffff, v35, vcc_lo
	v_cmp_o_f16_e32 vcc_lo, v4, v4
	v_xor_b32_sdwa v13, v13, v4 dst_sel:DWORD dst_unused:UNUSED_PAD src0_sel:DWORD src1_sel:WORD_0
	v_cndmask_b32_e32 v13, 0xffff, v13, vcc_lo
	v_and_b32_e32 v13, v13, v37
	v_cmp_eq_u32_e32 vcc_lo, v13, v27
	s_and_b32 exec_lo, exec_lo, vcc_lo
	s_cbranch_execz .LBB104_397
; %bb.402:                              ;   in Loop: Header=BB104_400 Depth=2
	v_perm_b32 v4, v4, s74, 0x5040100
	ds_write_b32 v9, v4 offset:3072
	s_branch .LBB104_397
.LBB104_403:                            ;   in Loop: Header=BB104_400 Depth=2
	s_mov_b32 s90, -1
	s_mov_b32 s89, -1
                                        ; implicit-def: $vgpr2
	s_branch .LBB104_399
.LBB104_404:                            ;   in Loop: Header=BB104_15 Depth=1
	s_or_b32 exec_lo, exec_lo, s34
	v_lshrrev_b32_e32 v38, 16, v4
	s_andn2_b32 s34, s87, exec_lo
	s_and_b32 s87, s88, exec_lo
	s_or_b32 s87, s34, s87
.LBB104_405:                            ;   in Loop: Header=BB104_15 Depth=1
	s_or_b32 exec_lo, exec_lo, s33
	s_mov_b32 s33, 0
	s_mov_b32 s34, -1
.LBB104_406:                            ;   in Loop: Header=BB104_15 Depth=1
	s_orn2_b32 s87, s87, exec_lo
.LBB104_407:                            ;   in Loop: Header=BB104_15 Depth=1
	s_or_b32 exec_lo, exec_lo, s86
	s_mov_b32 s88, 0
	s_and_saveexec_b32 s86, s87
	s_cbranch_execz .LBB104_418
; %bb.408:                              ;   in Loop: Header=BB104_15 Depth=1
	v_mov_b32_e32 v1, 1
	v_mov_b32_e32 v2, 1
	s_xor_b32 s87, s31, -1
	s_and_saveexec_b32 s31, s87
	s_cbranch_execz .LBB104_417
; %bb.409:                              ;   in Loop: Header=BB104_15 Depth=1
	s_mov_b32 s87, exec_lo
	v_cmpx_ge_u32_e64 s17, v3
	s_xor_b32 s87, exec_lo, s87
	s_cbranch_execz .LBB104_414
; %bb.410:                              ;   in Loop: Header=BB104_15 Depth=1
	ds_read_b32 v1, v9 offset:4096
	v_and_b32_e32 v27, s19, v27
	v_or_b32_e32 v37, s18, v37
	s_waitcnt lgkmcnt(0)
	v_cmp_ne_u32_e32 vcc_lo, 0, v1
	s_cbranch_vccnz .LBB104_414
; %bb.411:                              ;   in Loop: Header=BB104_15 Depth=1
	s_and_saveexec_b32 s18, s3
; %bb.412:                              ;   in Loop: Header=BB104_15 Depth=1
	v_mov_b32_e32 v1, s17
	ds_write_b32 v9, v1 offset:4100
; %bb.413:                              ;   in Loop: Header=BB104_15 Depth=1
	s_or_b32 exec_lo, exec_lo, s18
	s_waitcnt lgkmcnt(0)
	s_barrier
	buffer_gl0_inv
.LBB104_414:                            ;   in Loop: Header=BB104_15 Depth=1
	s_andn2_saveexec_b32 s18, s87
; %bb.415:                              ;   in Loop: Header=BB104_15 Depth=1
	v_subrev_nc_u32_e32 v3, s17, v3
; %bb.416:                              ;   in Loop: Header=BB104_15 Depth=1
	s_or_b32 exec_lo, exec_lo, s18
	v_mov_b32_e32 v1, 5
	v_mov_b32_e32 v2, v3
.LBB104_417:                            ;   in Loop: Header=BB104_15 Depth=1
	s_or_b32 exec_lo, exec_lo, s31
	v_mov_b32_e32 v3, v2
	s_mov_b32 s88, exec_lo
.LBB104_418:                            ;   in Loop: Header=BB104_15 Depth=1
	s_or_b32 exec_lo, exec_lo, s86
	s_orn2_b32 s31, s88, exec_lo
.LBB104_419:                            ;   in Loop: Header=BB104_15 Depth=1
	s_or_b32 exec_lo, exec_lo, s20
	s_andn2_b32 s17, s29, exec_lo
	s_and_b32 s18, s34, exec_lo
	s_andn2_b32 s19, s28, exec_lo
	s_and_b32 s20, s33, exec_lo
	v_mov_b32_e32 v2, v3
	s_or_b32 s29, s17, s18
	s_or_b32 s28, s19, s20
	s_and_b32 s34, s31, exec_lo
.LBB104_420:                            ;   in Loop: Header=BB104_15 Depth=1
	s_or_b32 exec_lo, exec_lo, s30
	s_orn2_b32 s30, s34, exec_lo
.LBB104_421:                            ;   in Loop: Header=BB104_15 Depth=1
	s_or_b32 exec_lo, exec_lo, s21
	s_andn2_b32 s17, s26, exec_lo
	s_and_b32 s18, s29, exec_lo
	s_andn2_b32 s19, s22, exec_lo
	s_and_b32 s20, s28, exec_lo
	v_mov_b32_e32 v4, v2
	s_or_b32 s26, s17, s18
	s_or_b32 s22, s19, s20
	s_and_b32 s30, s30, exec_lo
.LBB104_422:                            ;   in Loop: Header=BB104_15 Depth=1
	s_or_b32 exec_lo, exec_lo, s27
	s_orn2_b32 s27, s30, exec_lo
.LBB104_423:                            ;   in Loop: Header=BB104_15 Depth=1
	s_or_b32 exec_lo, exec_lo, s6
	s_mov_b32 s6, s24
	s_mov_b32 s17, s23
	s_and_saveexec_b32 s18, s27
; %bb.424:                              ;   in Loop: Header=BB104_15 Depth=1
	v_cmp_ne_u32_e32 vcc_lo, 5, v1
	v_cmp_eq_u32_e64 s6, 5, v1
	s_andn2_b32 s17, s23, exec_lo
	s_andn2_b32 s19, s24, exec_lo
	s_and_b32 s20, vcc_lo, exec_lo
	s_and_b32 s6, s6, exec_lo
	s_or_b32 s17, s17, s20
	s_or_b32 s6, s19, s6
; %bb.425:                              ;   in Loop: Header=BB104_15 Depth=1
	s_or_b32 exec_lo, exec_lo, s18
	s_andn2_b32 s14, s14, exec_lo
	s_and_b32 s18, s26, exec_lo
	s_andn2_b32 s16, s16, exec_lo
	s_and_b32 s19, s22, exec_lo
	s_or_b32 s14, s14, s18
	s_or_b32 s16, s16, s19
	s_andn2_b32 s18, s23, exec_lo
	s_and_b32 s17, s17, exec_lo
	s_andn2_b32 s19, s24, exec_lo
	s_and_b32 s6, s6, exec_lo
	s_or_b32 s23, s18, s17
	s_or_b32 s24, s19, s6
.LBB104_426:                            ;   in Loop: Header=BB104_15 Depth=1
	s_or_b32 exec_lo, exec_lo, s25
	s_mov_b32 s25, 0
	s_mov_b32 s26, 0
	s_and_saveexec_b32 s6, s24
.LBB104_427:                            ;   in Loop: Header=BB104_15 Depth=1
	v_mov_b32_e32 v1, 0
	s_or_b32 s23, s23, exec_lo
.LBB104_428:                            ;   in Loop: Header=BB104_15 Depth=1
	s_or_b32 exec_lo, exec_lo, s6
	s_andn2_b32 s6, s83, exec_lo
	s_and_b32 s14, s14, exec_lo
	s_andn2_b32 s18, s81, exec_lo
	s_and_b32 s16, s16, exec_lo
	v_mov_b32_e32 v39, v4
	s_or_b32 s83, s6, s14
	s_or_b32 s81, s18, s16
	s_andn2_b32 s6, s85, exec_lo
	s_and_b32 s14, s26, exec_lo
	s_andn2_b32 s16, s84, exec_lo
	s_and_b32 s18, s25, exec_lo
	s_mov_b32 s17, -1
	s_andn2_b32 s82, s82, exec_lo
	s_or_b32 s85, s6, s14
	s_or_b32 s84, s16, s18
	s_and_saveexec_b32 s6, s23
	s_xor_b32 s6, exec_lo, s6
	s_cbranch_execz .LBB104_14
; %bb.429:                              ;   in Loop: Header=BB104_15 Depth=1
	s_mov_b32 s14, -1
	s_mov_b32 s16, -1
	s_mov_b32 s17, exec_lo
	v_cmpx_eq_u32_e32 0, v1
	s_cbranch_execz .LBB104_13
; %bb.430:                              ;   in Loop: Header=BB104_15 Depth=1
	s_xor_b32 s75, s75, 1
	s_add_i32 s18, s79, -2
	s_cmp_eq_u32 s79, 0
	s_mov_b32 s79, s18
	s_cselect_b32 s14, -1, 0
	s_xor_b32 s16, exec_lo, -1
	s_orn2_b32 s14, s14, exec_lo
	s_branch .LBB104_13
.LBB104_431:
	s_or_b32 exec_lo, exec_lo, s49
	s_xor_b32 s9, s80, -1
	s_xor_b32 s12, s77, -1
	;; [unrolled: 1-line block ×5, first 2 shown]
	s_mov_b32 s7, 0
	s_and_saveexec_b32 s8, s6
	s_xor_b32 s6, exec_lo, s8
	s_cbranch_execnz .LBB104_436
; %bb.432:
	s_andn2_saveexec_b32 s0, s6
	s_cbranch_execnz .LBB104_455
.LBB104_433:
	s_or_b32 exec_lo, exec_lo, s0
	s_and_saveexec_b32 s0, s7
.LBB104_434:
	; divergent unreachable
.LBB104_435:
	s_endpgm
.LBB104_436:
	s_mov_b32 s8, 0
	s_and_saveexec_b32 s7, s11
	s_xor_b32 s7, exec_lo, s7
	s_cbranch_execz .LBB104_453
; %bb.437:
	s_mov_b32 s11, 0
	s_and_saveexec_b32 s8, s12
	s_xor_b32 s8, exec_lo, s8
	s_cbranch_execz .LBB104_451
; %bb.438:
	s_and_saveexec_b32 s12, s9
	s_xor_b32 s9, exec_lo, s12
	s_cbranch_execz .LBB104_449
; %bb.439:
	s_and_saveexec_b32 s11, s10
	s_xor_b32 s10, exec_lo, s11
; %bb.440:
	v_and_b32_e32 v1, 0x8000, v27
	v_mov_b32_e32 v2, 0xffff
	v_cmp_eq_u32_e32 vcc_lo, 0, v1
	v_cndmask_b32_e32 v1, 0x8000, v2, vcc_lo
	v_xor_b32_e32 v38, v1, v27
; %bb.441:
	s_or_b32 exec_lo, exec_lo, s10
	s_and_saveexec_b32 s10, s3
; %bb.442:
	v_mov_b32_e32 v1, 0
	ds_write_b32 v1, v1 offset:4108
; %bb.443:
	s_or_b32 exec_lo, exec_lo, s10
	v_mov_b32_e32 v9, 0
	s_waitcnt lgkmcnt(0)
	s_barrier
	buffer_gl0_inv
	s_and_saveexec_b32 s3, s1
	s_cbranch_execz .LBB104_445
; %bb.444:
	global_load_ushort v9, v[5:6], off
.LBB104_445:
	s_or_b32 exec_lo, exec_lo, s3
	v_mov_b32_e32 v8, 0x8000
	v_cmp_lt_i16_e32 vcc_lo, -1, v38
	s_clause 0x1
	s_load_dword s10, s[4:5], 0x1c8
	s_load_dword s11, s[4:5], 0x2a8
	s_mul_i32 s3, s54, s53
	s_mov_b32 s5, 0
	s_add_i32 s4, s3, s35
	v_cndmask_b32_e32 v1, 0xffff, v8, vcc_lo
	v_cmp_o_f16_e32 vcc_lo, v38, v38
	s_add_i32 s12, s36, 31
	s_mul_i32 s13, s55, s51
	s_lshl_b64 s[14:15], s[4:5], 1
	v_xor_b32_sdwa v1, v1, v38 dst_sel:DWORD dst_unused:UNUSED_PAD src0_sel:DWORD src1_sel:WORD_0
	s_andn2_b32 s12, s12, 31
	s_add_i32 s16, s13, s43
	s_mov_b32 s17, s5
	s_add_u32 s13, s46, s14
	v_cndmask_b32_e32 v7, 0xffff, v1, vcc_lo
	s_addc_u32 s14, s47, s15
	s_lshl_b64 s[16:17], s[16:17], 3
	v_cmp_gt_u32_e32 vcc_lo, s12, v0
	s_add_u32 s15, s44, s16
	s_mov_b32 s18, -1
	s_addc_u32 s16, s45, s17
	s_mov_b32 s3, 0
	s_and_saveexec_b32 s17, vcc_lo
	s_cbranch_execnz .LBB104_456
; %bb.446:
	s_or_b32 exec_lo, exec_lo, s17
	s_and_saveexec_b32 s2, s18
	s_cbranch_execnz .LBB104_473
.LBB104_447:
	s_or_b32 exec_lo, exec_lo, s2
	s_and_saveexec_b32 s0, s3
	s_xor_b32 s0, exec_lo, s0
	s_cbranch_execnz .LBB104_496
.LBB104_448:
	s_or_b32 exec_lo, exec_lo, s0
	s_waitcnt lgkmcnt(0)
	s_and_b32 s11, s5, exec_lo
.LBB104_449:
	s_andn2_saveexec_b32 s0, s9
	s_cbranch_execnz .LBB104_498
.LBB104_450:
	s_or_b32 exec_lo, exec_lo, s0
	s_and_b32 s11, s11, exec_lo
.LBB104_451:
	s_andn2_saveexec_b32 s0, s8
	s_cbranch_execnz .LBB104_497
.LBB104_452:
	s_or_b32 exec_lo, exec_lo, s0
	s_and_b32 s8, s11, exec_lo
.LBB104_453:
	s_andn2_saveexec_b32 s0, s7
	s_cbranch_execnz .LBB104_492
.LBB104_454:
	s_or_b32 exec_lo, exec_lo, s0
	s_and_b32 s7, s8, exec_lo
	s_andn2_saveexec_b32 s0, s6
	s_cbranch_execz .LBB104_433
.LBB104_455:
	s_or_b32 s7, s7, exec_lo
	s_trap 2
	s_or_b32 exec_lo, exec_lo, s0
	s_and_saveexec_b32 s0, s7
	s_cbranch_execnz .LBB104_434
	s_branch .LBB104_435
.LBB104_456:
	v_add_nc_u32_e32 v1, s50, v0
	v_mov_b32_e32 v2, 0
	v_mov_b32_e32 v3, v0
	s_mov_b32 s18, 0
                                        ; implicit-def: $sgpr19
                                        ; implicit-def: $vgpr11
	v_mul_lo_u32 v1, s40, v1
	s_branch .LBB104_458
.LBB104_457:                            ;   in Loop: Header=BB104_458 Depth=1
	s_or_b32 exec_lo, exec_lo, s21
	s_xor_b32 s3, s20, -1
	s_and_b32 s4, exec_lo, s4
	v_mov_b32_e32 v3, v10
	s_or_b32 s18, s4, s18
	s_waitcnt vmcnt(0)
	v_mov_b32_e32 v9, v12
	s_andn2_b32 s4, s19, exec_lo
	s_and_b32 s3, s3, exec_lo
	s_or_b32 s19, s4, s3
	s_andn2_b32 exec_lo, exec_lo, s18
	s_cbranch_execz .LBB104_472
.LBB104_458:                            ; =>This Inner Loop Header: Depth=1
	v_add_nc_u32_e32 v10, s50, v3
	v_mov_b32_e32 v12, 0
	s_mov_b32 s4, exec_lo
	v_cmpx_gt_u32_e64 s36, v10
	s_cbranch_execz .LBB104_460
; %bb.459:                              ;   in Loop: Header=BB104_458 Depth=1
	v_lshlrev_b64 v[12:13], 1, v[1:2]
	v_add_co_u32 v12, s3, s42, v12
	v_add_co_ci_u32_e64 v13, null, s48, v13, s3
	global_load_ushort v12, v[12:13], off
.LBB104_460:                            ;   in Loop: Header=BB104_458 Depth=1
	s_or_b32 exec_lo, exec_lo, s4
	s_mov_b32 s20, 0
	s_mov_b32 s4, exec_lo
	v_cmpx_gt_u32_e64 s36, v3
	s_cbranch_execz .LBB104_462
; %bb.461:                              ;   in Loop: Header=BB104_458 Depth=1
	s_waitcnt vmcnt(0)
	v_cmp_lt_i16_e64 s3, -1, v9
	v_cndmask_b32_e64 v4, 0xffff, v8, s3
	v_cmp_o_f16_e64 s3, v9, v9
	v_xor_b32_sdwa v4, v4, v9 dst_sel:DWORD dst_unused:UNUSED_PAD src0_sel:DWORD src1_sel:WORD_0
	v_cndmask_b32_e64 v4, 0xffff, v4, s3
	v_cmp_gt_u32_e64 s3, v4, v7
	v_cndmask_b32_e64 v13, 0, 1, s3
	v_cmp_lt_u32_e64 s3, v4, v7
	v_cndmask_b32_e64 v4, 0, 1, s3
	v_cndmask_b32_e64 v4, v4, v13, s2
	v_and_b32_e32 v4, 1, v4
	v_cmp_eq_u32_e64 s3, 1, v4
	s_and_b32 s20, s3, exec_lo
.LBB104_462:                            ;   in Loop: Header=BB104_458 Depth=1
	s_or_b32 exec_lo, exec_lo, s4
	v_cndmask_b32_e64 v4, 0, 1, s20
	v_cmp_ne_u32_e64 s3, 0, v4
	s_cmp_lg_u32 s3, 0
	s_cselect_b32 s4, -1, 0
	s_and_b32 s4, s0, s4
	s_and_saveexec_b32 s21, s4
	s_cbranch_execz .LBB104_466
; %bb.463:                              ;   in Loop: Header=BB104_458 Depth=1
	s_mov_b32 s24, exec_lo
	s_bcnt1_i32_b32 s22, s3
	v_mbcnt_lo_u32_b32 v4, s24, 0
	s_mov_b32 s23, exec_lo
                                        ; implicit-def: $vgpr11
	v_cmpx_eq_u32_e32 0, v4
	s_cbranch_execz .LBB104_465
; %bb.464:                              ;   in Loop: Header=BB104_458 Depth=1
	s_bcnt1_i32_b32 s4, s24
	s_mul_i32 s4, s22, s4
	s_waitcnt lgkmcnt(0)
	v_mov_b32_e32 v11, s4
	ds_add_rtn_u32 v11, v2, v11 offset:4108
.LBB104_465:                            ;   in Loop: Header=BB104_458 Depth=1
	s_or_b32 exec_lo, exec_lo, s23
	s_waitcnt lgkmcnt(0)
	v_readfirstlane_b32 s4, v11
	v_mad_u32_u24 v11, s22, v4, s4
.LBB104_466:                            ;   in Loop: Header=BB104_458 Depth=1
	s_or_b32 exec_lo, exec_lo, s21
	s_waitcnt lgkmcnt(0)
	ds_bpermute_b32 v11, v2, v11
	s_mov_b32 s4, -1
	s_mov_b32 s22, -1
	s_and_saveexec_b32 s21, s20
	s_cbranch_execz .LBB104_470
; %bb.467:                              ;   in Loop: Header=BB104_458 Depth=1
	v_and_b32_e32 v4, s3, v17
	s_mov_b32 s20, 0
	s_mov_b32 s22, exec_lo
	s_waitcnt lgkmcnt(0)
	v_bcnt_u32_b32 v4, v4, v11
	v_cmpx_gt_u32_e64 s37, v4
	s_cbranch_execz .LBB104_469
; %bb.468:                              ;   in Loop: Header=BB104_458 Depth=1
	v_mul_lo_u32 v13, v4, s10
	v_mul_lo_u32 v15, v4, s11
	v_mov_b32_e32 v14, v2
	v_mov_b32_e32 v16, v2
	;; [unrolled: 1-line block ×3, first 2 shown]
	s_mov_b32 s20, exec_lo
	v_lshlrev_b64 v[13:14], 1, v[13:14]
	v_lshlrev_b64 v[15:16], 3, v[15:16]
	v_add_co_u32 v13, s3, s13, v13
	v_add_co_ci_u32_e64 v14, null, s14, v14, s3
	v_add_co_u32 v15, s3, s15, v15
	v_add_co_ci_u32_e64 v16, null, s16, v16, s3
	s_waitcnt vmcnt(0)
	global_store_short v[13:14], v9, off
	global_store_dwordx2 v[15:16], v[3:4], off
.LBB104_469:                            ;   in Loop: Header=BB104_458 Depth=1
	s_or_b32 exec_lo, exec_lo, s22
	s_orn2_b32 s22, s20, exec_lo
.LBB104_470:                            ;   in Loop: Header=BB104_458 Depth=1
	s_or_b32 exec_lo, exec_lo, s21
	s_mov_b32 s20, -1
	s_and_saveexec_b32 s21, s22
	s_cbranch_execz .LBB104_457
; %bb.471:                              ;   in Loop: Header=BB104_458 Depth=1
	v_cmp_le_u32_e64 s3, s12, v10
	v_add_nc_u32_e32 v1, s52, v1
	s_xor_b32 s20, exec_lo, -1
	s_orn2_b32 s4, s3, exec_lo
	s_branch .LBB104_457
.LBB104_472:
	s_or_b32 exec_lo, exec_lo, s18
	s_mov_b32 s3, exec_lo
	s_orn2_b32 s18, s19, exec_lo
	s_or_b32 exec_lo, exec_lo, s17
	s_and_saveexec_b32 s2, s18
	s_cbranch_execz .LBB104_447
.LBB104_473:
	s_waitcnt vmcnt(0)
	v_mov_b32_e32 v9, 0
	s_waitcnt lgkmcnt(0)
	s_waitcnt_vscnt null, 0x0
	s_barrier
	buffer_gl0_inv
	s_and_saveexec_b32 s4, s1
	s_cbranch_execz .LBB104_475
; %bb.474:
	global_load_ushort v9, v[5:6], off
.LBB104_475:
	s_or_b32 exec_lo, exec_lo, s4
	s_mov_b32 s1, 0
	s_and_saveexec_b32 s4, vcc_lo
	s_cbranch_execz .LBB104_495
; %bb.476:
	v_add_nc_u32_e32 v1, s50, v0
	v_mov_b32_e32 v3, 0
	v_mov_b32_e32 v4, 0x8000
	s_mov_b32 s5, 0
                                        ; implicit-def: $sgpr17
                                        ; implicit-def: $vgpr6
	v_mul_lo_u32 v2, s40, v1
	s_branch .LBB104_479
.LBB104_477:                            ;   in Loop: Header=BB104_479 Depth=1
	s_or_b32 exec_lo, exec_lo, s19
	s_orn2_b32 s20, s21, exec_lo
	s_orn2_b32 s18, s18, exec_lo
.LBB104_478:                            ;   in Loop: Header=BB104_479 Depth=1
	s_or_b32 exec_lo, exec_lo, s1
	s_xor_b32 s1, s20, -1
	s_and_b32 s18, exec_lo, s18
	v_mov_b32_e32 v0, v5
	s_or_b32 s5, s18, s5
	v_mov_b32_e32 v9, v8
	s_andn2_b32 s17, s17, exec_lo
	s_and_b32 s1, s1, exec_lo
	s_or_b32 s17, s17, s1
	s_andn2_b32 exec_lo, exec_lo, s5
	s_cbranch_execz .LBB104_493
.LBB104_479:                            ; =>This Inner Loop Header: Depth=1
	v_add_nc_u32_e32 v5, s50, v0
	v_mov_b32_e32 v8, 0
	s_mov_b32 s1, exec_lo
	v_cmpx_gt_u32_e64 s36, v5
	s_cbranch_execz .LBB104_481
; %bb.480:                              ;   in Loop: Header=BB104_479 Depth=1
	v_lshlrev_b64 v[10:11], 1, v[2:3]
	v_add_co_u32 v10, vcc_lo, s42, v10
	v_add_co_ci_u32_e64 v11, null, s48, v11, vcc_lo
	global_load_ushort v8, v[10:11], off
.LBB104_481:                            ;   in Loop: Header=BB104_479 Depth=1
	s_or_b32 exec_lo, exec_lo, s1
	s_waitcnt vmcnt(0)
	v_cmp_lt_i16_e32 vcc_lo, -1, v9
	v_cndmask_b32_e32 v1, 0xffff, v4, vcc_lo
	v_cmp_o_f16_e32 vcc_lo, v9, v9
	v_xor_b32_sdwa v1, v1, v9 dst_sel:DWORD dst_unused:UNUSED_PAD src0_sel:DWORD src1_sel:WORD_0
	v_cndmask_b32_e32 v1, 0xffff, v1, vcc_lo
	v_cmp_gt_u32_e32 vcc_lo, s36, v0
	v_cmp_eq_u32_e64 s1, v1, v7
	s_and_b32 s19, vcc_lo, s1
	v_cndmask_b32_e64 v1, 0, 1, s19
	v_cmp_ne_u32_e32 vcc_lo, 0, v1
	s_cmp_lg_u32 vcc_lo, 0
	s_cselect_b32 s1, -1, 0
	s_and_b32 s1, s0, s1
	s_and_saveexec_b32 s18, s1
	s_cbranch_execz .LBB104_485
; %bb.482:                              ;   in Loop: Header=BB104_479 Depth=1
	s_mov_b32 s22, exec_lo
	s_bcnt1_i32_b32 s20, vcc_lo
	v_mbcnt_lo_u32_b32 v1, s22, 0
	s_mov_b32 s21, exec_lo
                                        ; implicit-def: $vgpr6
	v_cmpx_eq_u32_e32 0, v1
; %bb.483:                              ;   in Loop: Header=BB104_479 Depth=1
	s_bcnt1_i32_b32 s1, s22
	s_mul_i32 s1, s20, s1
	v_mov_b32_e32 v6, s1
	ds_add_rtn_u32 v6, v3, v6 offset:4108
; %bb.484:                              ;   in Loop: Header=BB104_479 Depth=1
	s_or_b32 exec_lo, exec_lo, s21
	s_waitcnt lgkmcnt(0)
	v_readfirstlane_b32 s1, v6
	v_mad_u32_u24 v6, s20, v1, s1
.LBB104_485:                            ;   in Loop: Header=BB104_479 Depth=1
	s_or_b32 exec_lo, exec_lo, s18
	ds_bpermute_b32 v6, v3, v6
	s_cmp_eq_u32 vcc_lo, 0
	s_mov_b32 s18, -1
	s_cselect_b32 s20, -1, 0
	s_waitcnt lgkmcnt(0)
	v_cmp_gt_u32_e64 s1, s37, v6
	s_or_b32 s21, s20, s1
	s_mov_b32 s20, -1
	s_and_saveexec_b32 s1, s21
	s_cbranch_execz .LBB104_478
; %bb.486:                              ;   in Loop: Header=BB104_479 Depth=1
	v_and_b32_e32 v1, vcc_lo, v17
	v_sub_nc_u32_e32 v10, s37, v6
	s_mov_b32 s21, -1
	v_bcnt_u32_b32 v1, v1, 0
	v_bcnt_u32_b32 v1, 0, v1
	v_cmp_gt_u32_e32 vcc_lo, v10, v1
	s_and_b32 s22, s19, vcc_lo
	s_and_saveexec_b32 s19, s22
	s_cbranch_execz .LBB104_490
; %bb.487:                              ;   in Loop: Header=BB104_479 Depth=1
	v_add_nc_u32_e32 v1, v6, v1
	s_mov_b32 s20, 0
	s_mov_b32 s21, exec_lo
	v_cmpx_gt_u32_e64 s37, v1
; %bb.488:                              ;   in Loop: Header=BB104_479 Depth=1
	v_mul_lo_u32 v10, v1, s10
	v_mul_lo_u32 v12, v1, s11
	v_mov_b32_e32 v11, v3
	v_mov_b32_e32 v13, v3
	;; [unrolled: 1-line block ×3, first 2 shown]
	s_mov_b32 s20, exec_lo
	v_lshlrev_b64 v[10:11], 1, v[10:11]
	v_lshlrev_b64 v[12:13], 3, v[12:13]
	v_add_co_u32 v10, vcc_lo, s13, v10
	v_add_co_ci_u32_e64 v11, null, s14, v11, vcc_lo
	v_add_co_u32 v12, vcc_lo, s15, v12
	v_add_co_ci_u32_e64 v13, null, s16, v13, vcc_lo
	global_store_short v[10:11], v9, off
	global_store_dwordx2 v[12:13], v[0:1], off
; %bb.489:                              ;   in Loop: Header=BB104_479 Depth=1
	s_or_b32 exec_lo, exec_lo, s21
	s_xor_b32 s21, exec_lo, -1
	s_orn2_b32 s20, s20, exec_lo
.LBB104_490:                            ;   in Loop: Header=BB104_479 Depth=1
	s_or_b32 exec_lo, exec_lo, s19
	s_and_saveexec_b32 s19, s20
	s_cbranch_execz .LBB104_477
; %bb.491:                              ;   in Loop: Header=BB104_479 Depth=1
	v_cmp_le_u32_e32 vcc_lo, s12, v5
	v_add_nc_u32_e32 v2, s52, v2
	s_or_b32 s21, s21, exec_lo
	s_orn2_b32 s18, vcc_lo, exec_lo
	s_branch .LBB104_477
.LBB104_492:
	s_or_b32 s8, s8, exec_lo
	s_trap 2
	s_branch .LBB104_454
.LBB104_493:
	s_or_b32 exec_lo, exec_lo, s5
	s_mov_b32 s0, 0
	s_and_saveexec_b32 s1, s17
	s_xor_b32 s1, exec_lo, s1
	s_cbranch_execnz .LBB104_499
.LBB104_494:
	s_or_b32 exec_lo, exec_lo, s1
	s_and_b32 s1, s0, exec_lo
.LBB104_495:
	s_or_b32 exec_lo, exec_lo, s4
	s_and_b32 s5, s1, exec_lo
	s_andn2_b32 s3, s3, exec_lo
	s_or_b32 exec_lo, exec_lo, s2
	s_and_saveexec_b32 s0, s3
	s_xor_b32 s0, exec_lo, s0
	s_cbranch_execz .LBB104_448
.LBB104_496:
	s_or_b32 s5, s5, exec_lo
	s_trap 2
	s_branch .LBB104_448
.LBB104_497:
	s_or_b32 s11, s11, exec_lo
	s_trap 2
	s_branch .LBB104_452
.LBB104_498:
	s_or_b32 s11, s11, exec_lo
	s_trap 2
	s_branch .LBB104_450
.LBB104_499:
	s_mov_b32 s0, exec_lo
	s_trap 2
	s_branch .LBB104_494
	.section	.rodata,"a",@progbits
	.p2align	6, 0x0
	.amdhsa_kernel _ZN2at6native6sbtopk10gatherTopKIN3c104HalfEjLin1ELb0EEEvNS_4cuda6detail10TensorInfoIKT_T0_EESA_SA_bSA_SA_NS7_IS8_SA_EESA_NS7_IlSA_EESA_PS8_
		.amdhsa_group_segment_fixed_size 4112
		.amdhsa_private_segment_fixed_size 0
		.amdhsa_kernarg_size 952
		.amdhsa_user_sgpr_count 6
		.amdhsa_user_sgpr_private_segment_buffer 1
		.amdhsa_user_sgpr_dispatch_ptr 0
		.amdhsa_user_sgpr_queue_ptr 0
		.amdhsa_user_sgpr_kernarg_segment_ptr 1
		.amdhsa_user_sgpr_dispatch_id 0
		.amdhsa_user_sgpr_flat_scratch_init 0
		.amdhsa_user_sgpr_private_segment_size 0
		.amdhsa_wavefront_size32 1
		.amdhsa_uses_dynamic_stack 0
		.amdhsa_system_sgpr_private_segment_wavefront_offset 0
		.amdhsa_system_sgpr_workgroup_id_x 1
		.amdhsa_system_sgpr_workgroup_id_y 1
		.amdhsa_system_sgpr_workgroup_id_z 1
		.amdhsa_system_sgpr_workgroup_info 0
		.amdhsa_system_vgpr_workitem_id 0
		.amdhsa_next_free_vgpr 62
		.amdhsa_next_free_sgpr 99
		.amdhsa_reserve_vcc 1
		.amdhsa_reserve_flat_scratch 0
		.amdhsa_float_round_mode_32 0
		.amdhsa_float_round_mode_16_64 0
		.amdhsa_float_denorm_mode_32 3
		.amdhsa_float_denorm_mode_16_64 3
		.amdhsa_dx10_clamp 1
		.amdhsa_ieee_mode 1
		.amdhsa_fp16_overflow 0
		.amdhsa_workgroup_processor_mode 1
		.amdhsa_memory_ordered 1
		.amdhsa_forward_progress 1
		.amdhsa_shared_vgpr_count 0
		.amdhsa_exception_fp_ieee_invalid_op 0
		.amdhsa_exception_fp_denorm_src 0
		.amdhsa_exception_fp_ieee_div_zero 0
		.amdhsa_exception_fp_ieee_overflow 0
		.amdhsa_exception_fp_ieee_underflow 0
		.amdhsa_exception_fp_ieee_inexact 0
		.amdhsa_exception_int_div_zero 0
	.end_amdhsa_kernel
	.section	.text._ZN2at6native6sbtopk10gatherTopKIN3c104HalfEjLin1ELb0EEEvNS_4cuda6detail10TensorInfoIKT_T0_EESA_SA_bSA_SA_NS7_IS8_SA_EESA_NS7_IlSA_EESA_PS8_,"axG",@progbits,_ZN2at6native6sbtopk10gatherTopKIN3c104HalfEjLin1ELb0EEEvNS_4cuda6detail10TensorInfoIKT_T0_EESA_SA_bSA_SA_NS7_IS8_SA_EESA_NS7_IlSA_EESA_PS8_,comdat
.Lfunc_end104:
	.size	_ZN2at6native6sbtopk10gatherTopKIN3c104HalfEjLin1ELb0EEEvNS_4cuda6detail10TensorInfoIKT_T0_EESA_SA_bSA_SA_NS7_IS8_SA_EESA_NS7_IlSA_EESA_PS8_, .Lfunc_end104-_ZN2at6native6sbtopk10gatherTopKIN3c104HalfEjLin1ELb0EEEvNS_4cuda6detail10TensorInfoIKT_T0_EESA_SA_bSA_SA_NS7_IS8_SA_EESA_NS7_IlSA_EESA_PS8_
                                        ; -- End function
	.set _ZN2at6native6sbtopk10gatherTopKIN3c104HalfEjLin1ELb0EEEvNS_4cuda6detail10TensorInfoIKT_T0_EESA_SA_bSA_SA_NS7_IS8_SA_EESA_NS7_IlSA_EESA_PS8_.num_vgpr, 62
	.set _ZN2at6native6sbtopk10gatherTopKIN3c104HalfEjLin1ELb0EEEvNS_4cuda6detail10TensorInfoIKT_T0_EESA_SA_bSA_SA_NS7_IS8_SA_EESA_NS7_IlSA_EESA_PS8_.num_agpr, 0
	.set _ZN2at6native6sbtopk10gatherTopKIN3c104HalfEjLin1ELb0EEEvNS_4cuda6detail10TensorInfoIKT_T0_EESA_SA_bSA_SA_NS7_IS8_SA_EESA_NS7_IlSA_EESA_PS8_.numbered_sgpr, 99
	.set _ZN2at6native6sbtopk10gatherTopKIN3c104HalfEjLin1ELb0EEEvNS_4cuda6detail10TensorInfoIKT_T0_EESA_SA_bSA_SA_NS7_IS8_SA_EESA_NS7_IlSA_EESA_PS8_.num_named_barrier, 0
	.set _ZN2at6native6sbtopk10gatherTopKIN3c104HalfEjLin1ELb0EEEvNS_4cuda6detail10TensorInfoIKT_T0_EESA_SA_bSA_SA_NS7_IS8_SA_EESA_NS7_IlSA_EESA_PS8_.private_seg_size, 0
	.set _ZN2at6native6sbtopk10gatherTopKIN3c104HalfEjLin1ELb0EEEvNS_4cuda6detail10TensorInfoIKT_T0_EESA_SA_bSA_SA_NS7_IS8_SA_EESA_NS7_IlSA_EESA_PS8_.uses_vcc, 1
	.set _ZN2at6native6sbtopk10gatherTopKIN3c104HalfEjLin1ELb0EEEvNS_4cuda6detail10TensorInfoIKT_T0_EESA_SA_bSA_SA_NS7_IS8_SA_EESA_NS7_IlSA_EESA_PS8_.uses_flat_scratch, 0
	.set _ZN2at6native6sbtopk10gatherTopKIN3c104HalfEjLin1ELb0EEEvNS_4cuda6detail10TensorInfoIKT_T0_EESA_SA_bSA_SA_NS7_IS8_SA_EESA_NS7_IlSA_EESA_PS8_.has_dyn_sized_stack, 0
	.set _ZN2at6native6sbtopk10gatherTopKIN3c104HalfEjLin1ELb0EEEvNS_4cuda6detail10TensorInfoIKT_T0_EESA_SA_bSA_SA_NS7_IS8_SA_EESA_NS7_IlSA_EESA_PS8_.has_recursion, 0
	.set _ZN2at6native6sbtopk10gatherTopKIN3c104HalfEjLin1ELb0EEEvNS_4cuda6detail10TensorInfoIKT_T0_EESA_SA_bSA_SA_NS7_IS8_SA_EESA_NS7_IlSA_EESA_PS8_.has_indirect_call, 0
	.section	.AMDGPU.csdata,"",@progbits
; Kernel info:
; codeLenInByte = 17184
; TotalNumSgprs: 101
; NumVgprs: 62
; ScratchSize: 0
; MemoryBound: 0
; FloatMode: 240
; IeeeMode: 1
; LDSByteSize: 4112 bytes/workgroup (compile time only)
; SGPRBlocks: 0
; VGPRBlocks: 7
; NumSGPRsForWavesPerEU: 101
; NumVGPRsForWavesPerEU: 62
; Occupancy: 16
; WaveLimiterHint : 1
; COMPUTE_PGM_RSRC2:SCRATCH_EN: 0
; COMPUTE_PGM_RSRC2:USER_SGPR: 6
; COMPUTE_PGM_RSRC2:TRAP_HANDLER: 0
; COMPUTE_PGM_RSRC2:TGID_X_EN: 1
; COMPUTE_PGM_RSRC2:TGID_Y_EN: 1
; COMPUTE_PGM_RSRC2:TGID_Z_EN: 1
; COMPUTE_PGM_RSRC2:TIDIG_COMP_CNT: 0
	.section	.text._ZN2at6native6mbtopk23computeBlockDigitCountsIN3c108BFloat16EjjLi1EEEvNS_4cuda6detail10TensorInfoIKT_T0_EEjPjjSA_iijT1_PSD_Ps,"axG",@progbits,_ZN2at6native6mbtopk23computeBlockDigitCountsIN3c108BFloat16EjjLi1EEEvNS_4cuda6detail10TensorInfoIKT_T0_EEjPjjSA_iijT1_PSD_Ps,comdat
	.protected	_ZN2at6native6mbtopk23computeBlockDigitCountsIN3c108BFloat16EjjLi1EEEvNS_4cuda6detail10TensorInfoIKT_T0_EEjPjjSA_iijT1_PSD_Ps ; -- Begin function _ZN2at6native6mbtopk23computeBlockDigitCountsIN3c108BFloat16EjjLi1EEEvNS_4cuda6detail10TensorInfoIKT_T0_EEjPjjSA_iijT1_PSD_Ps
	.globl	_ZN2at6native6mbtopk23computeBlockDigitCountsIN3c108BFloat16EjjLi1EEEvNS_4cuda6detail10TensorInfoIKT_T0_EEjPjjSA_iijT1_PSD_Ps
	.p2align	8
	.type	_ZN2at6native6mbtopk23computeBlockDigitCountsIN3c108BFloat16EjjLi1EEEvNS_4cuda6detail10TensorInfoIKT_T0_EEjPjjSA_iijT1_PSD_Ps,@function
_ZN2at6native6mbtopk23computeBlockDigitCountsIN3c108BFloat16EjjLi1EEEvNS_4cuda6detail10TensorInfoIKT_T0_EEjPjjSA_iijT1_PSD_Ps: ; @_ZN2at6native6mbtopk23computeBlockDigitCountsIN3c108BFloat16EjjLi1EEEvNS_4cuda6detail10TensorInfoIKT_T0_EEjPjjSA_iijT1_PSD_Ps
; %bb.0:
	s_clause 0x2
	s_load_dwordx2 s[10:11], s[4:5], 0xf8
	s_load_dwordx4 s[12:15], s[4:5], 0xe8
	s_load_dwordx2 s[0:1], s[4:5], 0x110
	s_waitcnt lgkmcnt(0)
	v_cvt_f32_u32_e32 v1, s10
	s_sub_i32 s3, 0, s10
	s_mul_i32 s1, s1, s8
	s_add_i32 s1, s1, s7
	v_rcp_iflag_f32_e32 v1, v1
	s_mul_i32 s16, s1, s0
	s_mov_b32 s7, 0
	s_add_i32 s16, s16, s6
	v_mul_f32_e32 v1, 0x4f7ffffe, v1
	v_cvt_u32_f32_e32 v1, v1
	v_readfirstlane_b32 s2, v1
	s_mul_i32 s3, s3, s2
	s_mul_hi_u32 s0, s2, s3
	s_add_i32 s2, s2, s0
	s_mul_hi_u32 s0, s16, s2
	s_mul_i32 s1, s0, s10
	s_add_i32 s2, s0, 1
	s_sub_i32 s1, s16, s1
	s_sub_i32 s3, s1, s10
	s_cmp_ge_u32 s1, s10
	s_cselect_b32 s0, s2, s0
	s_cselect_b32 s1, s3, s1
	s_add_i32 s2, s0, 1
	s_cmp_ge_u32 s1, s10
	s_cselect_b32 s6, s2, s0
	s_cmp_ge_u32 s6, s12
	s_cbranch_scc1 .LBB105_27
; %bb.1:
	s_load_dwordx4 s[0:3], s[4:5], 0x100
	s_lshl_b64 s[8:9], s[6:7], 2
	v_cmp_gt_u32_e32 vcc_lo, 0x100, v0
	v_lshlrev_b32_e32 v3, 2, v0
	s_waitcnt lgkmcnt(0)
	s_add_u32 s8, s0, s8
	s_addc_u32 s9, s1, s9
	s_and_saveexec_b32 s0, vcc_lo
; %bb.2:
	v_mov_b32_e32 v1, 0
	ds_write_b32 v3, v1
; %bb.3:
	s_or_b32 exec_lo, exec_lo, s0
	s_load_dword s7, s[4:5], 0xd8
	s_mul_i32 s0, s6, s10
	s_waitcnt lgkmcnt(0)
	s_sub_i32 s0, s16, s0
	s_barrier
	s_mul_i32 s1, s15, s0
	s_add_i32 s17, s0, 1
	s_lshl_b32 s12, s1, 8
	buffer_gl0_inv
	s_sub_i32 s1, s7, s12
	s_add_u32 s0, s1, 0xff
	s_addc_u32 s1, 0, 0
	s_lshr_b64 s[0:1], s[0:1], 8
	s_cmp_lt_u32 s17, s10
	s_mov_b32 s1, 0
	s_cselect_b32 s10, s15, s0
	s_cmp_lt_i32 s10, 1
	s_cbranch_scc1 .LBB105_25
; %bb.4:
	s_clause 0x1
	s_load_dword s0, s[4:5], 0x6c
	s_load_dwordx2 s[18:19], s[4:5], 0x0
	s_load_dword s4, s[8:9], 0x0
	s_waitcnt lgkmcnt(0)
	s_mul_i32 s0, s0, s6
	s_lshl_b64 s[8:9], s[0:1], 1
	s_add_u32 s5, s18, s8
	s_addc_u32 s6, s19, s9
	s_and_b32 s8, s14, 0xff
	s_cmp_lt_u32 s10, 4
	s_cbranch_scc1 .LBB105_19
; %bb.5:
	v_add_nc_u32_e32 v1, s12, v0
	v_mov_b32_e32 v9, 1
	v_mov_b32_e32 v10, 0x8000
	s_and_b32 s1, s10, 0x7ffffffc
	s_lshl_b32 s9, s13, 10
	v_add_nc_u32_e32 v4, 0x300, v1
	v_add_nc_u32_e32 v2, 0x200, v1
	;; [unrolled: 1-line block ×3, first 2 shown]
	v_mul_lo_u32 v8, s13, v1
	s_mov_b32 s14, 0
	v_mul_lo_u32 v5, s13, v4
	v_mul_lo_u32 v6, s13, v2
	;; [unrolled: 1-line block ×3, first 2 shown]
	v_mov_b32_e32 v2, 0
	s_mov_b32 s15, 0
	s_branch .LBB105_7
.LBB105_6:                              ;   in Loop: Header=BB105_7 Depth=1
	s_or_b32 exec_lo, exec_lo, s17
	v_add_nc_u32_e32 v4, 0x400, v4
	s_add_i32 s15, s15, 4
	s_add_i32 s14, s14, s9
	s_cmp_eq_u32 s1, s15
	s_cbranch_scc1 .LBB105_19
.LBB105_7:                              ; =>This Inner Loop Header: Depth=1
	v_add_nc_u32_e32 v1, 0xfffffd00, v4
	s_mov_b32 s17, exec_lo
	v_cmpx_gt_u32_e64 s7, v1
	s_cbranch_execz .LBB105_10
; %bb.8:                                ;   in Loop: Header=BB105_7 Depth=1
	v_add_nc_u32_e32 v1, s14, v8
	v_lshlrev_b64 v[11:12], 1, v[1:2]
	v_add_co_u32 v11, s0, s5, v11
	v_add_co_ci_u32_e64 v12, null, s6, v12, s0
	global_load_ushort v1, v[11:12], off
	s_waitcnt vmcnt(0)
	v_cmp_lt_i16_e64 s0, -1, v1
	v_lshlrev_b32_e32 v12, 16, v1
	v_cndmask_b32_e64 v11, 0xffff, v10, s0
	v_cmp_o_f32_e64 s0, v12, v12
	v_xor_b32_sdwa v1, v11, v1 dst_sel:DWORD dst_unused:UNUSED_PAD src0_sel:DWORD src1_sel:WORD_0
	v_cndmask_b32_e64 v1, 0xffff, v1, s0
	v_xor_b32_e32 v11, s4, v1
	v_and_b32_e32 v11, s11, v11
	v_cmp_eq_u32_e64 s0, 0, v11
	s_and_b32 exec_lo, exec_lo, s0
; %bb.9:                                ;   in Loop: Header=BB105_7 Depth=1
	v_bfe_u32 v1, v1, s8, 8
	v_lshlrev_b32_e32 v1, 2, v1
	ds_add_u32 v1, v9
.LBB105_10:                             ;   in Loop: Header=BB105_7 Depth=1
	s_or_b32 exec_lo, exec_lo, s17
	v_add_nc_u32_e32 v1, 0xfffffe00, v4
	s_mov_b32 s17, exec_lo
	v_cmpx_gt_u32_e64 s7, v1
	s_cbranch_execz .LBB105_13
; %bb.11:                               ;   in Loop: Header=BB105_7 Depth=1
	v_add_nc_u32_e32 v1, s14, v7
	v_lshlrev_b64 v[11:12], 1, v[1:2]
	v_add_co_u32 v11, s0, s5, v11
	v_add_co_ci_u32_e64 v12, null, s6, v12, s0
	global_load_ushort v1, v[11:12], off
	s_waitcnt vmcnt(0)
	v_cmp_lt_i16_e64 s0, -1, v1
	v_lshlrev_b32_e32 v12, 16, v1
	v_cndmask_b32_e64 v11, 0xffff, v10, s0
	v_cmp_o_f32_e64 s0, v12, v12
	v_xor_b32_sdwa v1, v11, v1 dst_sel:DWORD dst_unused:UNUSED_PAD src0_sel:DWORD src1_sel:WORD_0
	v_cndmask_b32_e64 v1, 0xffff, v1, s0
	v_xor_b32_e32 v11, s4, v1
	v_and_b32_e32 v11, s11, v11
	v_cmp_eq_u32_e64 s0, 0, v11
	s_and_b32 exec_lo, exec_lo, s0
; %bb.12:                               ;   in Loop: Header=BB105_7 Depth=1
	v_bfe_u32 v1, v1, s8, 8
	v_lshlrev_b32_e32 v1, 2, v1
	ds_add_u32 v1, v9
.LBB105_13:                             ;   in Loop: Header=BB105_7 Depth=1
	s_or_b32 exec_lo, exec_lo, s17
	v_add_nc_u32_e32 v1, 0xffffff00, v4
	s_mov_b32 s17, exec_lo
	v_cmpx_gt_u32_e64 s7, v1
	s_cbranch_execz .LBB105_16
; %bb.14:                               ;   in Loop: Header=BB105_7 Depth=1
	v_add_nc_u32_e32 v1, s14, v6
	v_lshlrev_b64 v[11:12], 1, v[1:2]
	v_add_co_u32 v11, s0, s5, v11
	v_add_co_ci_u32_e64 v12, null, s6, v12, s0
	global_load_ushort v1, v[11:12], off
	s_waitcnt vmcnt(0)
	v_cmp_lt_i16_e64 s0, -1, v1
	v_lshlrev_b32_e32 v12, 16, v1
	v_cndmask_b32_e64 v11, 0xffff, v10, s0
	v_cmp_o_f32_e64 s0, v12, v12
	v_xor_b32_sdwa v1, v11, v1 dst_sel:DWORD dst_unused:UNUSED_PAD src0_sel:DWORD src1_sel:WORD_0
	v_cndmask_b32_e64 v1, 0xffff, v1, s0
	v_xor_b32_e32 v11, s4, v1
	v_and_b32_e32 v11, s11, v11
	v_cmp_eq_u32_e64 s0, 0, v11
	s_and_b32 exec_lo, exec_lo, s0
; %bb.15:                               ;   in Loop: Header=BB105_7 Depth=1
	v_bfe_u32 v1, v1, s8, 8
	v_lshlrev_b32_e32 v1, 2, v1
	ds_add_u32 v1, v9
.LBB105_16:                             ;   in Loop: Header=BB105_7 Depth=1
	s_or_b32 exec_lo, exec_lo, s17
	s_mov_b32 s17, exec_lo
	v_cmpx_gt_u32_e64 s7, v4
	s_cbranch_execz .LBB105_6
; %bb.17:                               ;   in Loop: Header=BB105_7 Depth=1
	v_add_nc_u32_e32 v1, s14, v5
	v_lshlrev_b64 v[11:12], 1, v[1:2]
	v_add_co_u32 v11, s0, s5, v11
	v_add_co_ci_u32_e64 v12, null, s6, v12, s0
	global_load_ushort v1, v[11:12], off
	s_waitcnt vmcnt(0)
	v_cmp_lt_i16_e64 s0, -1, v1
	v_lshlrev_b32_e32 v12, 16, v1
	v_cndmask_b32_e64 v11, 0xffff, v10, s0
	v_cmp_o_f32_e64 s0, v12, v12
	v_xor_b32_sdwa v1, v11, v1 dst_sel:DWORD dst_unused:UNUSED_PAD src0_sel:DWORD src1_sel:WORD_0
	v_cndmask_b32_e64 v1, 0xffff, v1, s0
	v_xor_b32_e32 v11, s4, v1
	v_and_b32_e32 v11, s11, v11
	v_cmp_eq_u32_e64 s0, 0, v11
	s_and_b32 exec_lo, exec_lo, s0
	s_cbranch_execz .LBB105_6
; %bb.18:                               ;   in Loop: Header=BB105_7 Depth=1
	v_bfe_u32 v1, v1, s8, 8
	v_lshlrev_b32_e32 v1, 2, v1
	ds_add_u32 v1, v9
	s_branch .LBB105_6
.LBB105_19:
	s_and_b32 s9, s10, 3
	s_cmp_eq_u32 s9, 0
	s_cbranch_scc1 .LBB105_25
; %bb.20:
	s_lshl_b32 s0, s1, 8
	v_mov_b32_e32 v2, 0
	v_add3_u32 v4, s0, s12, v0
	v_mov_b32_e32 v5, 1
	v_mov_b32_e32 v6, 0x8000
	s_lshl_b32 s1, s13, 8
	v_mul_lo_u32 v1, s13, v4
	s_inst_prefetch 0x1
	s_branch .LBB105_22
	.p2align	6
.LBB105_21:                             ;   in Loop: Header=BB105_22 Depth=1
	s_or_b32 exec_lo, exec_lo, s10
	v_add_nc_u32_e32 v1, s1, v1
	v_add_nc_u32_e32 v4, 0x100, v4
	s_add_i32 s9, s9, -1
	s_cmp_lg_u32 s9, 0
	s_cbranch_scc0 .LBB105_25
.LBB105_22:                             ; =>This Inner Loop Header: Depth=1
	s_mov_b32 s10, exec_lo
	v_cmpx_gt_u32_e64 s7, v4
	s_cbranch_execz .LBB105_21
; %bb.23:                               ;   in Loop: Header=BB105_22 Depth=1
	v_lshlrev_b64 v[7:8], 1, v[1:2]
	v_add_co_u32 v7, s0, s5, v7
	v_add_co_ci_u32_e64 v8, null, s6, v8, s0
	global_load_ushort v7, v[7:8], off
	s_waitcnt vmcnt(0)
	v_cmp_lt_i16_e64 s0, -1, v7
	v_lshlrev_b32_e32 v9, 16, v7
	v_cndmask_b32_e64 v8, 0xffff, v6, s0
	v_cmp_o_f32_e64 s0, v9, v9
	v_xor_b32_sdwa v7, v8, v7 dst_sel:DWORD dst_unused:UNUSED_PAD src0_sel:DWORD src1_sel:WORD_0
	v_cndmask_b32_e64 v7, 0xffff, v7, s0
	v_xor_b32_e32 v8, s4, v7
	v_and_b32_e32 v8, s11, v8
	v_cmp_eq_u32_e64 s0, 0, v8
	s_and_b32 exec_lo, exec_lo, s0
	s_cbranch_execz .LBB105_21
; %bb.24:                               ;   in Loop: Header=BB105_22 Depth=1
	v_bfe_u32 v7, v7, s8, 8
	v_lshlrev_b32_e32 v7, 2, v7
	ds_add_u32 v7, v5
	s_branch .LBB105_21
.LBB105_25:
	s_inst_prefetch 0x2
	s_waitcnt lgkmcnt(0)
	s_barrier
	buffer_gl0_inv
	s_and_saveexec_b32 s0, vcc_lo
	s_cbranch_execz .LBB105_27
; %bb.26:
	ds_read_b32 v2, v3
	v_lshl_or_b32 v0, s16, 8, v0
	v_mov_b32_e32 v1, 0
	v_lshlrev_b64 v[0:1], 1, v[0:1]
	v_add_co_u32 v0, vcc_lo, s2, v0
	v_add_co_ci_u32_e64 v1, null, s3, v1, vcc_lo
	s_waitcnt lgkmcnt(0)
	global_store_short v[0:1], v2, off
.LBB105_27:
	s_endpgm
	.section	.rodata,"a",@progbits
	.p2align	6, 0x0
	.amdhsa_kernel _ZN2at6native6mbtopk23computeBlockDigitCountsIN3c108BFloat16EjjLi1EEEvNS_4cuda6detail10TensorInfoIKT_T0_EEjPjjSA_iijT1_PSD_Ps
		.amdhsa_group_segment_fixed_size 1024
		.amdhsa_private_segment_fixed_size 0
		.amdhsa_kernarg_size 528
		.amdhsa_user_sgpr_count 6
		.amdhsa_user_sgpr_private_segment_buffer 1
		.amdhsa_user_sgpr_dispatch_ptr 0
		.amdhsa_user_sgpr_queue_ptr 0
		.amdhsa_user_sgpr_kernarg_segment_ptr 1
		.amdhsa_user_sgpr_dispatch_id 0
		.amdhsa_user_sgpr_flat_scratch_init 0
		.amdhsa_user_sgpr_private_segment_size 0
		.amdhsa_wavefront_size32 1
		.amdhsa_uses_dynamic_stack 0
		.amdhsa_system_sgpr_private_segment_wavefront_offset 0
		.amdhsa_system_sgpr_workgroup_id_x 1
		.amdhsa_system_sgpr_workgroup_id_y 1
		.amdhsa_system_sgpr_workgroup_id_z 1
		.amdhsa_system_sgpr_workgroup_info 0
		.amdhsa_system_vgpr_workitem_id 0
		.amdhsa_next_free_vgpr 13
		.amdhsa_next_free_sgpr 20
		.amdhsa_reserve_vcc 1
		.amdhsa_reserve_flat_scratch 0
		.amdhsa_float_round_mode_32 0
		.amdhsa_float_round_mode_16_64 0
		.amdhsa_float_denorm_mode_32 3
		.amdhsa_float_denorm_mode_16_64 3
		.amdhsa_dx10_clamp 1
		.amdhsa_ieee_mode 1
		.amdhsa_fp16_overflow 0
		.amdhsa_workgroup_processor_mode 1
		.amdhsa_memory_ordered 1
		.amdhsa_forward_progress 1
		.amdhsa_shared_vgpr_count 0
		.amdhsa_exception_fp_ieee_invalid_op 0
		.amdhsa_exception_fp_denorm_src 0
		.amdhsa_exception_fp_ieee_div_zero 0
		.amdhsa_exception_fp_ieee_overflow 0
		.amdhsa_exception_fp_ieee_underflow 0
		.amdhsa_exception_fp_ieee_inexact 0
		.amdhsa_exception_int_div_zero 0
	.end_amdhsa_kernel
	.section	.text._ZN2at6native6mbtopk23computeBlockDigitCountsIN3c108BFloat16EjjLi1EEEvNS_4cuda6detail10TensorInfoIKT_T0_EEjPjjSA_iijT1_PSD_Ps,"axG",@progbits,_ZN2at6native6mbtopk23computeBlockDigitCountsIN3c108BFloat16EjjLi1EEEvNS_4cuda6detail10TensorInfoIKT_T0_EEjPjjSA_iijT1_PSD_Ps,comdat
.Lfunc_end105:
	.size	_ZN2at6native6mbtopk23computeBlockDigitCountsIN3c108BFloat16EjjLi1EEEvNS_4cuda6detail10TensorInfoIKT_T0_EEjPjjSA_iijT1_PSD_Ps, .Lfunc_end105-_ZN2at6native6mbtopk23computeBlockDigitCountsIN3c108BFloat16EjjLi1EEEvNS_4cuda6detail10TensorInfoIKT_T0_EEjPjjSA_iijT1_PSD_Ps
                                        ; -- End function
	.set _ZN2at6native6mbtopk23computeBlockDigitCountsIN3c108BFloat16EjjLi1EEEvNS_4cuda6detail10TensorInfoIKT_T0_EEjPjjSA_iijT1_PSD_Ps.num_vgpr, 13
	.set _ZN2at6native6mbtopk23computeBlockDigitCountsIN3c108BFloat16EjjLi1EEEvNS_4cuda6detail10TensorInfoIKT_T0_EEjPjjSA_iijT1_PSD_Ps.num_agpr, 0
	.set _ZN2at6native6mbtopk23computeBlockDigitCountsIN3c108BFloat16EjjLi1EEEvNS_4cuda6detail10TensorInfoIKT_T0_EEjPjjSA_iijT1_PSD_Ps.numbered_sgpr, 20
	.set _ZN2at6native6mbtopk23computeBlockDigitCountsIN3c108BFloat16EjjLi1EEEvNS_4cuda6detail10TensorInfoIKT_T0_EEjPjjSA_iijT1_PSD_Ps.num_named_barrier, 0
	.set _ZN2at6native6mbtopk23computeBlockDigitCountsIN3c108BFloat16EjjLi1EEEvNS_4cuda6detail10TensorInfoIKT_T0_EEjPjjSA_iijT1_PSD_Ps.private_seg_size, 0
	.set _ZN2at6native6mbtopk23computeBlockDigitCountsIN3c108BFloat16EjjLi1EEEvNS_4cuda6detail10TensorInfoIKT_T0_EEjPjjSA_iijT1_PSD_Ps.uses_vcc, 1
	.set _ZN2at6native6mbtopk23computeBlockDigitCountsIN3c108BFloat16EjjLi1EEEvNS_4cuda6detail10TensorInfoIKT_T0_EEjPjjSA_iijT1_PSD_Ps.uses_flat_scratch, 0
	.set _ZN2at6native6mbtopk23computeBlockDigitCountsIN3c108BFloat16EjjLi1EEEvNS_4cuda6detail10TensorInfoIKT_T0_EEjPjjSA_iijT1_PSD_Ps.has_dyn_sized_stack, 0
	.set _ZN2at6native6mbtopk23computeBlockDigitCountsIN3c108BFloat16EjjLi1EEEvNS_4cuda6detail10TensorInfoIKT_T0_EEjPjjSA_iijT1_PSD_Ps.has_recursion, 0
	.set _ZN2at6native6mbtopk23computeBlockDigitCountsIN3c108BFloat16EjjLi1EEEvNS_4cuda6detail10TensorInfoIKT_T0_EEjPjjSA_iijT1_PSD_Ps.has_indirect_call, 0
	.section	.AMDGPU.csdata,"",@progbits
; Kernel info:
; codeLenInByte = 1484
; TotalNumSgprs: 22
; NumVgprs: 13
; ScratchSize: 0
; MemoryBound: 0
; FloatMode: 240
; IeeeMode: 1
; LDSByteSize: 1024 bytes/workgroup (compile time only)
; SGPRBlocks: 0
; VGPRBlocks: 1
; NumSGPRsForWavesPerEU: 22
; NumVGPRsForWavesPerEU: 13
; Occupancy: 16
; WaveLimiterHint : 1
; COMPUTE_PGM_RSRC2:SCRATCH_EN: 0
; COMPUTE_PGM_RSRC2:USER_SGPR: 6
; COMPUTE_PGM_RSRC2:TRAP_HANDLER: 0
; COMPUTE_PGM_RSRC2:TGID_X_EN: 1
; COMPUTE_PGM_RSRC2:TGID_Y_EN: 1
; COMPUTE_PGM_RSRC2:TGID_Z_EN: 1
; COMPUTE_PGM_RSRC2:TIDIG_COMP_CNT: 0
	.section	.text._ZN2at6native6mbtopk29computeBlockwiseWithinKCountsIjN3c108BFloat16EEEvPT_PsPjjibS8_PT0_S8_S6_S8_j,"axG",@progbits,_ZN2at6native6mbtopk29computeBlockwiseWithinKCountsIjN3c108BFloat16EEEvPT_PsPjjibS8_PT0_S8_S6_S8_j,comdat
	.protected	_ZN2at6native6mbtopk29computeBlockwiseWithinKCountsIjN3c108BFloat16EEEvPT_PsPjjibS8_PT0_S8_S6_S8_j ; -- Begin function _ZN2at6native6mbtopk29computeBlockwiseWithinKCountsIjN3c108BFloat16EEEvPT_PsPjjibS8_PT0_S8_S6_S8_j
	.globl	_ZN2at6native6mbtopk29computeBlockwiseWithinKCountsIjN3c108BFloat16EEEvPT_PsPjjibS8_PT0_S8_S6_S8_j
	.p2align	8
	.type	_ZN2at6native6mbtopk29computeBlockwiseWithinKCountsIjN3c108BFloat16EEEvPT_PsPjjibS8_PT0_S8_S6_S8_j,@function
_ZN2at6native6mbtopk29computeBlockwiseWithinKCountsIjN3c108BFloat16EEEvPT_PsPjjibS8_PT0_S8_S6_S8_j: ; @_ZN2at6native6mbtopk29computeBlockwiseWithinKCountsIjN3c108BFloat16EEEvPT_PsPjjibS8_PT0_S8_S6_S8_j
; %bb.0:
	s_clause 0x2
	s_load_dwordx4 s[16:19], s[4:5], 0x18
	s_load_dwordx2 s[0:1], s[4:5], 0x58
	s_load_dword s3, s[4:5], 0x50
	s_waitcnt lgkmcnt(0)
	v_cvt_f32_u32_e32 v1, s16
	s_mul_i32 s1, s1, s8
	s_add_i32 s1, s1, s7
	v_rcp_iflag_f32_e32 v1, v1
	s_mul_i32 s0, s1, s0
	s_add_i32 s2, s0, s6
	s_cmp_ge_u32 s2, s3
	v_mul_f32_e32 v1, 0x4f7ffffe, v1
	v_cvt_u32_f32_e32 v1, v1
	v_readfirstlane_b32 s0, v1
	s_cbranch_scc1 .LBB106_40
; %bb.1:
	s_sub_i32 s1, 0, s16
	v_cmp_gt_u32_e32 vcc_lo, 0x100, v0
	s_mul_i32 s1, s1, s0
	s_load_dwordx4 s[20:23], s[4:5], 0x0
	s_mul_hi_u32 s1, s0, s1
	s_add_i32 s3, s0, s1
	s_load_dwordx2 s[0:1], s[4:5], 0x10
	s_mul_hi_u32 s6, s2, s3
	s_mul_i32 s3, s6, s16
	s_add_i32 s8, s6, 1
	s_sub_i32 s7, s2, s3
	s_mov_b32 s3, 0
	s_sub_i32 s9, s7, s16
	s_cmp_ge_u32 s7, s16
	s_mov_b32 s25, s3
	s_cselect_b32 s6, s8, s6
	s_cselect_b32 s7, s9, s7
	s_add_i32 s8, s6, 1
	s_cmp_ge_u32 s7, s16
	s_cselect_b32 s24, s8, s6
	s_lshl_b64 s[6:7], s[24:25], 2
	s_waitcnt lgkmcnt(0)
	s_add_u32 s8, s0, s6
	s_addc_u32 s9, s1, s7
	s_and_saveexec_b32 s1, vcc_lo
	s_cbranch_execz .LBB106_8
; %bb.2:
	s_mul_i32 s0, s24, s16
	s_mov_b32 s11, s3
	s_lshl_b32 s10, s0, 8
	v_lshlrev_b32_e32 v1, 1, v0
	s_lshl_b64 s[10:11], s[10:11], 1
	v_mov_b32_e32 v3, 0
	s_add_u32 s0, s22, s10
	s_addc_u32 s10, s23, s11
	v_add_co_u32 v1, s0, s0, v1
	v_add_co_ci_u32_e64 v2, null, s10, 0, s0
	s_cmp_lt_u32 s16, 4
	s_cbranch_scc1 .LBB106_41
; %bb.3:
	v_mov_b32_e32 v3, 0
	s_mov_b32 s10, 0
	.p2align	6
.LBB106_4:                              ; =>This Inner Loop Header: Depth=1
	s_clause 0x3
	global_load_sshort v4, v[1:2], off
	global_load_sshort v5, v[1:2], off offset:512
	global_load_sshort v6, v[1:2], off offset:1024
	;; [unrolled: 1-line block ×3, first 2 shown]
	v_add_co_u32 v1, s0, 0x800, v1
	v_add_co_ci_u32_e64 v2, null, 0, v2, s0
	s_add_i32 s0, s10, 7
	s_add_i32 s10, s10, 4
	s_cmp_ge_u32 s0, s16
	s_waitcnt vmcnt(2)
	v_add3_u32 v3, v3, v4, v5
	s_waitcnt vmcnt(0)
	v_add3_u32 v3, v3, v6, v7
	s_cbranch_scc0 .LBB106_4
; %bb.5:
	s_cmp_ge_u32 s10, s16
	s_cbranch_scc1 .LBB106_7
.LBB106_6:                              ; =>This Inner Loop Header: Depth=1
	global_load_sshort v4, v[1:2], off
	v_add_co_u32 v1, s0, 0x200, v1
	v_add_co_ci_u32_e64 v2, null, 0, v2, s0
	s_add_i32 s10, s10, 1
	s_cmp_lt_u32 s10, s16
	s_waitcnt vmcnt(0)
	v_add_nc_u32_e32 v3, v3, v4
	s_cbranch_scc1 .LBB106_6
.LBB106_7:
	v_lshlrev_b32_e32 v1, 2, v0
	ds_write_b32 v1, v3 offset:1056
.LBB106_8:
	s_or_b32 exec_lo, exec_lo, s1
	s_load_dword s19, s[8:9], 0x0
	v_mov_b32_e32 v5, 0
	v_lshlrev_b32_e32 v1, 2, v0
	s_waitcnt lgkmcnt(0)
	s_barrier
	buffer_gl0_inv
	s_and_saveexec_b32 s0, vcc_lo
; %bb.9:
	ds_read_b32 v5, v1 offset:1056
; %bb.10:
	s_or_b32 exec_lo, exec_lo, s0
	v_lshrrev_b32_e32 v3, 5, v0
	v_cmp_gt_u32_e64 s0, 32, v0
	v_mbcnt_lo_u32_b32 v2, -1, 0
	v_lshl_add_u32 v4, v3, 2, v1
	s_waitcnt lgkmcnt(0)
	ds_write_b32 v4, v5
	s_waitcnt lgkmcnt(0)
	s_barrier
	buffer_gl0_inv
	s_and_saveexec_b32 s8, s0
	s_cbranch_execz .LBB106_12
; %bb.11:
	v_and_b32_e32 v6, 0xfc, v0
	v_lshl_add_u32 v14, v0, 5, v6
	ds_read2_b32 v[6:7], v14 offset1:1
	ds_read2_b32 v[8:9], v14 offset0:2 offset1:3
	ds_read2_b32 v[10:11], v14 offset0:4 offset1:5
	;; [unrolled: 1-line block ×3, first 2 shown]
	; wave barrier
	s_waitcnt lgkmcnt(3)
	v_add_nc_u32_e32 v7, v7, v6
	s_waitcnt lgkmcnt(2)
	v_add3_u32 v7, v7, v8, v9
	v_and_b32_e32 v8, 15, v2
	s_waitcnt lgkmcnt(1)
	v_add3_u32 v7, v7, v10, v11
	v_cmp_ne_u32_e64 s1, 0, v8
	v_bfe_i32 v10, v2, 4, 1
	s_waitcnt lgkmcnt(0)
	v_add3_u32 v7, v7, v12, v13
	v_mov_b32_dpp v9, v7 row_shr:1 row_mask:0xf bank_mask:0xf
	v_cndmask_b32_e64 v9, 0, v9, s1
	v_cmp_lt_u32_e64 s1, 1, v8
	v_add_nc_u32_e32 v7, v9, v7
	v_mov_b32_dpp v9, v7 row_shr:2 row_mask:0xf bank_mask:0xf
	v_cndmask_b32_e64 v9, 0, v9, s1
	v_cmp_lt_u32_e64 s1, 3, v8
	v_add_nc_u32_e32 v7, v7, v9
	;; [unrolled: 4-line block ×3, first 2 shown]
	v_mov_b32_dpp v9, v7 row_shr:8 row_mask:0xf bank_mask:0xf
	v_cndmask_b32_e64 v8, 0, v9, s1
	v_add_nc_u32_e32 v9, -1, v2
	v_add_nc_u32_e32 v7, v7, v8
	v_cmp_gt_i32_e64 s1, 0, v9
	ds_swizzle_b32 v8, v7 offset:swizzle(BROADCAST,32,15)
	v_cndmask_b32_e64 v9, v9, v2, s1
	v_cmp_eq_u32_e64 s1, 0, v0
	v_lshlrev_b32_e32 v9, 2, v9
	s_waitcnt lgkmcnt(0)
	v_and_b32_e32 v8, v10, v8
	v_add_nc_u32_e32 v7, v7, v8
	ds_bpermute_b32 v7, v9, v7
	s_waitcnt lgkmcnt(0)
	v_add_nc_u32_e32 v6, v7, v6
	v_cndmask_b32_e64 v11, v6, v5, s1
	ds_write_b32 v14, v11
	; wave barrier
	ds_read2_b32 v[5:6], v14 offset0:1 offset1:2
	ds_read2_b32 v[7:8], v14 offset0:3 offset1:4
	;; [unrolled: 1-line block ×3, first 2 shown]
	ds_read_b32 v12, v14 offset:28
	s_waitcnt lgkmcnt(3)
	v_add_nc_u32_e32 v5, v5, v11
	v_add_nc_u32_e32 v6, v6, v5
	s_waitcnt lgkmcnt(2)
	v_add_nc_u32_e32 v7, v7, v6
	v_add_nc_u32_e32 v8, v8, v7
	;; [unrolled: 3-line block ×3, first 2 shown]
	s_waitcnt lgkmcnt(0)
	v_add_nc_u32_e32 v11, v12, v10
	ds_write2_b32 v14, v5, v6 offset0:1 offset1:2
	ds_write2_b32 v14, v7, v8 offset0:3 offset1:4
	;; [unrolled: 1-line block ×3, first 2 shown]
	ds_write_b32 v14, v11 offset:28
.LBB106_12:
	s_or_b32 exec_lo, exec_lo, s8
	s_waitcnt lgkmcnt(0)
	s_barrier
	buffer_gl0_inv
	ds_read_b32 v5, v4
	s_waitcnt lgkmcnt(0)
	s_barrier
	buffer_gl0_inv
	s_and_saveexec_b32 s1, vcc_lo
; %bb.13:
	ds_write_b32 v1, v5 offset:1056
; %bb.14:
	s_or_b32 exec_lo, exec_lo, s1
	s_clause 0x1
	s_load_dwordx8 s[8:15], s[4:5], 0x28
	s_load_dwordx2 s[4:5], s[4:5], 0x48
	s_waitcnt lgkmcnt(0)
	s_barrier
	buffer_gl0_inv
	s_and_saveexec_b32 s26, vcc_lo
	s_cbranch_execz .LBB106_23
; %bb.15:
	v_mov_b32_e32 v4, 0
	s_mov_b32 s1, exec_lo
	v_cmpx_ne_u32_e32 0, v0
; %bb.16:
	ds_read_b32 v4, v1 offset:1052
; %bb.17:
	s_or_b32 exec_lo, exec_lo, s1
	s_waitcnt lgkmcnt(0)
	v_cmp_gt_u32_e32 vcc_lo, s19, v4
	v_cmp_le_u32_e64 s1, s19, v5
	s_and_b32 s1, vcc_lo, s1
	s_and_b32 exec_lo, exec_lo, s1
	s_cbranch_execz .LBB106_23
; %bb.18:
	v_mov_b32_e32 v6, 0
	s_add_u32 s20, s20, s6
	s_addc_u32 s21, s21, s7
	s_lshl_b32 s1, 0xff, s17
	v_not_b32_e32 v7, s1
	global_load_dword v5, v6, s[20:21]
	s_mul_i32 s1, s24, s16
	s_cmp_lg_u32 s2, s1
	s_waitcnt vmcnt(0)
	v_and_b32_e32 v5, v5, v7
	v_lshl_or_b32 v5, v0, s17, v5
	ds_write_b32 v6, v5 offset:2112
	s_cbranch_scc1 .LBB106_23
; %bb.19:
	s_add_u32 s14, s14, s6
	s_addc_u32 s15, s15, s7
	s_cmp_lt_i32 s17, 1
	s_mov_b32 s1, -1
	global_store_dword v6, v5, s[14:15]
	s_cbranch_scc0 .LBB106_21
; %bb.20:
	v_and_b32_e32 v6, 0x8000, v5
	v_mov_b32_e32 v7, 0xffff
	s_lshl_b64 s[14:15], s[24:25], 1
	s_mov_b32 s1, 0
	s_add_u32 s10, s10, s14
	v_cmp_eq_u32_e32 vcc_lo, 0, v6
	s_addc_u32 s11, s11, s15
	v_cndmask_b32_e32 v6, 0x8000, v7, vcc_lo
	v_xor_b32_e32 v5, v6, v5
	v_mov_b32_e32 v6, 0
	global_store_short v6, v5, s[10:11]
.LBB106_21:
	s_andn2_b32 vcc_lo, exec_lo, s1
	s_cbranch_vccnz .LBB106_23
; %bb.22:
	v_sub_nc_u32_e32 v4, s19, v4
	v_mov_b32_e32 v5, 0
	s_add_u32 s6, s12, s6
	s_addc_u32 s7, s13, s7
	global_store_dword v5, v4, s[6:7]
.LBB106_23:
	s_or_b32 exec_lo, exec_lo, s26
	v_mov_b32_e32 v4, 0
	s_waitcnt lgkmcnt(0)
	s_waitcnt_vscnt null, 0x0
	s_barrier
	buffer_gl0_inv
	s_bitcmp0_b32 s18, 0
	ds_read_b32 v4, v4 offset:2112
	s_mov_b32 s1, 0
	s_waitcnt lgkmcnt(0)
	v_lshrrev_b32_e32 v4, s17, v4
	s_cbranch_scc0 .LBB106_25
; %bb.24:
	v_and_b32_e32 v5, 0xe0, v0
	v_cmp_lt_u32_sdwa s6, v0, v4 src0_sel:DWORD src1_sel:BYTE_0
	v_cmp_lt_u32_sdwa s7, v5, v4 src0_sel:DWORD src1_sel:BYTE_0
	s_andn2_b32 vcc_lo, exec_lo, s1
	s_cbranch_vccz .LBB106_26
	s_branch .LBB106_27
.LBB106_25:
                                        ; implicit-def: $sgpr6
                                        ; implicit-def: $sgpr7
.LBB106_26:
	v_or_b32_e32 v5, 31, v0
	v_cmp_gt_u32_sdwa s1, v0, v4 src0_sel:DWORD src1_sel:BYTE_0
	s_andn2_b32 s6, s6, exec_lo
	s_andn2_b32 s7, s7, exec_lo
	v_cmp_gt_u32_sdwa s10, v5, v4 src0_sel:DWORD src1_sel:BYTE_0
	s_and_b32 s1, s1, exec_lo
	s_or_b32 s6, s6, s1
	s_and_b32 s10, s10, exec_lo
	s_or_b32 s7, s7, s10
.LBB106_27:
	v_mov_b32_e32 v4, 0
	s_and_saveexec_b32 s1, s7
	s_cbranch_execz .LBB106_31
; %bb.28:
	v_mov_b32_e32 v4, 0
	s_and_saveexec_b32 s7, s6
	s_cbranch_execz .LBB106_30
; %bb.29:
	s_lshl_b32 s10, s2, 8
	s_mov_b32 s11, 0
	v_lshlrev_b32_e32 v4, 1, v0
	s_lshl_b64 s[10:11], s[10:11], 1
	s_add_u32 s10, s22, s10
	s_addc_u32 s11, s23, s11
	global_load_sshort v4, v4, s[10:11]
.LBB106_30:
	s_or_b32 exec_lo, exec_lo, s7
	v_lshl_or_b32 v5, v2, 2, 64
	v_cmp_gt_u32_e32 vcc_lo, 24, v2
	s_waitcnt vmcnt(0)
	ds_bpermute_b32 v5, v5, v4
	v_cndmask_b32_e64 v6, 0, 8, vcc_lo
	v_cmp_gt_u32_e32 vcc_lo, 28, v2
	v_add_lshl_u32 v6, v6, v2, 2
	s_waitcnt lgkmcnt(0)
	v_add_nc_u32_e32 v4, v5, v4
	ds_bpermute_b32 v5, v6, v4
	v_cndmask_b32_e64 v6, 0, 4, vcc_lo
	v_cmp_gt_u32_e32 vcc_lo, 30, v2
	v_add_lshl_u32 v6, v6, v2, 2
	s_waitcnt lgkmcnt(0)
	v_add_nc_u32_e32 v4, v5, v4
	ds_bpermute_b32 v5, v6, v4
	v_cndmask_b32_e64 v6, 0, 2, vcc_lo
	v_cmp_ne_u32_e32 vcc_lo, 31, v2
	v_add_lshl_u32 v6, v6, v2, 2
	s_waitcnt lgkmcnt(0)
	v_add_nc_u32_e32 v4, v5, v4
	ds_bpermute_b32 v5, v6, v4
	v_add_co_ci_u32_e64 v6, null, 0, v2, vcc_lo
	s_waitcnt lgkmcnt(0)
	v_add_nc_u32_e32 v4, v5, v4
	v_lshlrev_b32_e32 v5, 2, v6
	ds_bpermute_b32 v5, v5, v4
	s_waitcnt lgkmcnt(0)
	v_add_nc_u32_e32 v4, v5, v4
.LBB106_31:
	s_or_b32 exec_lo, exec_lo, s1
	v_and_b32_e32 v5, 31, v0
	s_mov_b32 s1, exec_lo
	v_cmpx_eq_u32_e32 0, v5
; %bb.32:
	v_lshlrev_b32_e32 v3, 2, v3
	ds_write_b32 v3, v4 offset:2080
; %bb.33:
	s_or_b32 exec_lo, exec_lo, s1
	s_waitcnt lgkmcnt(0)
	s_barrier
	buffer_gl0_inv
	s_and_saveexec_b32 s1, s0
	s_cbranch_execz .LBB106_40
; %bb.34:
	v_mov_b32_e32 v3, 0
	s_mov_b32 s0, exec_lo
	v_cmpx_gt_u32_e32 8, v0
; %bb.35:
	ds_read_b32 v3, v1 offset:2080
; %bb.36:
	s_or_b32 exec_lo, exec_lo, s0
	v_cmp_gt_u32_e32 vcc_lo, 28, v2
	s_mov_b32 s0, exec_lo
	v_cndmask_b32_e64 v1, 0, 4, vcc_lo
	v_cmp_gt_u32_e32 vcc_lo, 30, v2
	v_add_lshl_u32 v1, v1, v2, 2
	v_cndmask_b32_e64 v4, 0, 2, vcc_lo
	v_cmp_ne_u32_e32 vcc_lo, 31, v2
	s_waitcnt lgkmcnt(0)
	ds_bpermute_b32 v1, v1, v3
	v_add_lshl_u32 v4, v4, v2, 2
	v_add_co_ci_u32_e64 v2, null, 0, v2, vcc_lo
	v_lshlrev_b32_e32 v2, 2, v2
	s_waitcnt lgkmcnt(0)
	v_add_nc_u32_e32 v1, v1, v3
	ds_bpermute_b32 v3, v4, v1
	s_waitcnt lgkmcnt(0)
	v_add_nc_u32_e32 v1, v3, v1
	ds_bpermute_b32 v2, v2, v1
	v_cmpx_eq_u32_e32 0, v0
	s_cbranch_execz .LBB106_38
; %bb.37:
	s_lshl_b64 s[6:7], s[2:3], 2
	v_mov_b32_e32 v3, 0
	s_add_u32 s6, s8, s6
	s_addc_u32 s7, s9, s7
	global_load_dword v4, v3, s[6:7]
	s_waitcnt vmcnt(0) lgkmcnt(0)
	v_add3_u32 v1, v2, v1, v4
	global_store_dword v3, v1, s[6:7]
.LBB106_38:
	s_or_b32 exec_lo, exec_lo, s0
	v_or_b32_e32 v0, s17, v0
	v_cmp_eq_u32_e32 vcc_lo, 0, v0
	s_and_b32 exec_lo, exec_lo, vcc_lo
	s_cbranch_execz .LBB106_40
; %bb.39:
	v_mov_b32_e32 v0, 0
	s_waitcnt lgkmcnt(0)
	v_mov_b32_e32 v2, 1
	s_lshl_b32 s0, s2, 8
	s_mov_b32 s1, 0
	s_lshl_b64 s[0:1], s[0:1], 1
	ds_read_b32 v1, v0 offset:2112
	s_add_u32 s0, s22, s0
	s_addc_u32 s1, s23, s1
	s_waitcnt lgkmcnt(0)
	v_lshlrev_b32_sdwa v1, v2, v1 dst_sel:DWORD dst_unused:UNUSED_PAD src0_sel:DWORD src1_sel:BYTE_0
	global_load_sshort v1, v1, s[0:1]
	s_lshl_b64 s[0:1], s[2:3], 2
	s_add_u32 s0, s4, s0
	s_addc_u32 s1, s5, s1
	s_waitcnt vmcnt(0)
	global_store_dword v0, v1, s[0:1]
.LBB106_40:
	s_endpgm
.LBB106_41:
	s_mov_b32 s10, s3
	s_cmp_ge_u32 s10, s16
	s_cbranch_scc0 .LBB106_6
	s_branch .LBB106_7
	.section	.rodata,"a",@progbits
	.p2align	6, 0x0
	.amdhsa_kernel _ZN2at6native6mbtopk29computeBlockwiseWithinKCountsIjN3c108BFloat16EEEvPT_PsPjjibS8_PT0_S8_S6_S8_j
		.amdhsa_group_segment_fixed_size 2116
		.amdhsa_private_segment_fixed_size 0
		.amdhsa_kernarg_size 344
		.amdhsa_user_sgpr_count 6
		.amdhsa_user_sgpr_private_segment_buffer 1
		.amdhsa_user_sgpr_dispatch_ptr 0
		.amdhsa_user_sgpr_queue_ptr 0
		.amdhsa_user_sgpr_kernarg_segment_ptr 1
		.amdhsa_user_sgpr_dispatch_id 0
		.amdhsa_user_sgpr_flat_scratch_init 0
		.amdhsa_user_sgpr_private_segment_size 0
		.amdhsa_wavefront_size32 1
		.amdhsa_uses_dynamic_stack 0
		.amdhsa_system_sgpr_private_segment_wavefront_offset 0
		.amdhsa_system_sgpr_workgroup_id_x 1
		.amdhsa_system_sgpr_workgroup_id_y 1
		.amdhsa_system_sgpr_workgroup_id_z 1
		.amdhsa_system_sgpr_workgroup_info 0
		.amdhsa_system_vgpr_workitem_id 0
		.amdhsa_next_free_vgpr 15
		.amdhsa_next_free_sgpr 27
		.amdhsa_reserve_vcc 1
		.amdhsa_reserve_flat_scratch 0
		.amdhsa_float_round_mode_32 0
		.amdhsa_float_round_mode_16_64 0
		.amdhsa_float_denorm_mode_32 3
		.amdhsa_float_denorm_mode_16_64 3
		.amdhsa_dx10_clamp 1
		.amdhsa_ieee_mode 1
		.amdhsa_fp16_overflow 0
		.amdhsa_workgroup_processor_mode 1
		.amdhsa_memory_ordered 1
		.amdhsa_forward_progress 1
		.amdhsa_shared_vgpr_count 0
		.amdhsa_exception_fp_ieee_invalid_op 0
		.amdhsa_exception_fp_denorm_src 0
		.amdhsa_exception_fp_ieee_div_zero 0
		.amdhsa_exception_fp_ieee_overflow 0
		.amdhsa_exception_fp_ieee_underflow 0
		.amdhsa_exception_fp_ieee_inexact 0
		.amdhsa_exception_int_div_zero 0
	.end_amdhsa_kernel
	.section	.text._ZN2at6native6mbtopk29computeBlockwiseWithinKCountsIjN3c108BFloat16EEEvPT_PsPjjibS8_PT0_S8_S6_S8_j,"axG",@progbits,_ZN2at6native6mbtopk29computeBlockwiseWithinKCountsIjN3c108BFloat16EEEvPT_PsPjjibS8_PT0_S8_S6_S8_j,comdat
.Lfunc_end106:
	.size	_ZN2at6native6mbtopk29computeBlockwiseWithinKCountsIjN3c108BFloat16EEEvPT_PsPjjibS8_PT0_S8_S6_S8_j, .Lfunc_end106-_ZN2at6native6mbtopk29computeBlockwiseWithinKCountsIjN3c108BFloat16EEEvPT_PsPjjibS8_PT0_S8_S6_S8_j
                                        ; -- End function
	.set _ZN2at6native6mbtopk29computeBlockwiseWithinKCountsIjN3c108BFloat16EEEvPT_PsPjjibS8_PT0_S8_S6_S8_j.num_vgpr, 15
	.set _ZN2at6native6mbtopk29computeBlockwiseWithinKCountsIjN3c108BFloat16EEEvPT_PsPjjibS8_PT0_S8_S6_S8_j.num_agpr, 0
	.set _ZN2at6native6mbtopk29computeBlockwiseWithinKCountsIjN3c108BFloat16EEEvPT_PsPjjibS8_PT0_S8_S6_S8_j.numbered_sgpr, 27
	.set _ZN2at6native6mbtopk29computeBlockwiseWithinKCountsIjN3c108BFloat16EEEvPT_PsPjjibS8_PT0_S8_S6_S8_j.num_named_barrier, 0
	.set _ZN2at6native6mbtopk29computeBlockwiseWithinKCountsIjN3c108BFloat16EEEvPT_PsPjjibS8_PT0_S8_S6_S8_j.private_seg_size, 0
	.set _ZN2at6native6mbtopk29computeBlockwiseWithinKCountsIjN3c108BFloat16EEEvPT_PsPjjibS8_PT0_S8_S6_S8_j.uses_vcc, 1
	.set _ZN2at6native6mbtopk29computeBlockwiseWithinKCountsIjN3c108BFloat16EEEvPT_PsPjjibS8_PT0_S8_S6_S8_j.uses_flat_scratch, 0
	.set _ZN2at6native6mbtopk29computeBlockwiseWithinKCountsIjN3c108BFloat16EEEvPT_PsPjjibS8_PT0_S8_S6_S8_j.has_dyn_sized_stack, 0
	.set _ZN2at6native6mbtopk29computeBlockwiseWithinKCountsIjN3c108BFloat16EEEvPT_PsPjjibS8_PT0_S8_S6_S8_j.has_recursion, 0
	.set _ZN2at6native6mbtopk29computeBlockwiseWithinKCountsIjN3c108BFloat16EEEvPT_PsPjjibS8_PT0_S8_S6_S8_j.has_indirect_call, 0
	.section	.AMDGPU.csdata,"",@progbits
; Kernel info:
; codeLenInByte = 2076
; TotalNumSgprs: 29
; NumVgprs: 15
; ScratchSize: 0
; MemoryBound: 0
; FloatMode: 240
; IeeeMode: 1
; LDSByteSize: 2116 bytes/workgroup (compile time only)
; SGPRBlocks: 0
; VGPRBlocks: 1
; NumSGPRsForWavesPerEU: 29
; NumVGPRsForWavesPerEU: 15
; Occupancy: 16
; WaveLimiterHint : 1
; COMPUTE_PGM_RSRC2:SCRATCH_EN: 0
; COMPUTE_PGM_RSRC2:USER_SGPR: 6
; COMPUTE_PGM_RSRC2:TRAP_HANDLER: 0
; COMPUTE_PGM_RSRC2:TGID_X_EN: 1
; COMPUTE_PGM_RSRC2:TGID_Y_EN: 1
; COMPUTE_PGM_RSRC2:TGID_Z_EN: 1
; COMPUTE_PGM_RSRC2:TIDIG_COMP_CNT: 0
	.section	.text._ZN2at6native6mbtopk10gatherTopKIN3c108BFloat16EjLi1EEEvNS_4cuda6detail10TensorInfoIKT_T0_EESA_SA_bjSA_NS7_IS8_SA_EESA_NS7_IlSA_EESA_jjPS8_PjSF_j,"axG",@progbits,_ZN2at6native6mbtopk10gatherTopKIN3c108BFloat16EjLi1EEEvNS_4cuda6detail10TensorInfoIKT_T0_EESA_SA_bjSA_NS7_IS8_SA_EESA_NS7_IlSA_EESA_jjPS8_PjSF_j,comdat
	.protected	_ZN2at6native6mbtopk10gatherTopKIN3c108BFloat16EjLi1EEEvNS_4cuda6detail10TensorInfoIKT_T0_EESA_SA_bjSA_NS7_IS8_SA_EESA_NS7_IlSA_EESA_jjPS8_PjSF_j ; -- Begin function _ZN2at6native6mbtopk10gatherTopKIN3c108BFloat16EjLi1EEEvNS_4cuda6detail10TensorInfoIKT_T0_EESA_SA_bjSA_NS7_IS8_SA_EESA_NS7_IlSA_EESA_jjPS8_PjSF_j
	.globl	_ZN2at6native6mbtopk10gatherTopKIN3c108BFloat16EjLi1EEEvNS_4cuda6detail10TensorInfoIKT_T0_EESA_SA_bjSA_NS7_IS8_SA_EESA_NS7_IlSA_EESA_jjPS8_PjSF_j
	.p2align	8
	.type	_ZN2at6native6mbtopk10gatherTopKIN3c108BFloat16EjLi1EEEvNS_4cuda6detail10TensorInfoIKT_T0_EESA_SA_bjSA_NS7_IS8_SA_EESA_NS7_IlSA_EESA_jjPS8_PjSF_j,@function
_ZN2at6native6mbtopk10gatherTopKIN3c108BFloat16EjLi1EEEvNS_4cuda6detail10TensorInfoIKT_T0_EESA_SA_bjSA_NS7_IS8_SA_EESA_NS7_IlSA_EESA_jjPS8_PjSF_j: ; @_ZN2at6native6mbtopk10gatherTopKIN3c108BFloat16EjLi1EEEvNS_4cuda6detail10TensorInfoIKT_T0_EESA_SA_bjSA_NS7_IS8_SA_EESA_NS7_IlSA_EESA_jjPS8_PjSF_j
; %bb.0:
	s_clause 0x1
	s_load_dwordx2 s[0:1], s[4:5], 0x2d8
	s_load_dword s2, s[4:5], 0x2d0
	s_waitcnt lgkmcnt(0)
	s_mul_i32 s1, s1, s8
	s_add_i32 s1, s1, s7
	s_mul_i32 s0, s1, s0
	s_add_i32 s0, s0, s6
	s_cmp_ge_u32 s0, s2
	s_cbranch_scc1 .LBB107_40
; %bb.1:
	s_load_dwordx8 s[8:15], s[4:5], 0x2a8
	s_mov_b32 s7, 0
	s_waitcnt lgkmcnt(0)
	v_cvt_f32_u32_e32 v1, s10
	s_sub_i32 s2, 0, s10
	v_rcp_iflag_f32_e32 v1, v1
	v_mul_f32_e32 v1, 0x4f7ffffe, v1
	v_cvt_u32_f32_e32 v1, v1
	v_readfirstlane_b32 s1, v1
	v_mov_b32_e32 v1, 0
	s_mul_i32 s2, s2, s1
	s_mul_hi_u32 s2, s1, s2
	s_add_i32 s1, s1, s2
	s_mul_hi_u32 s1, s0, s1
	s_mul_i32 s2, s1, s10
	s_add_i32 s3, s1, 1
	s_sub_i32 s2, s0, s2
	s_sub_i32 s6, s2, s10
	s_cmp_ge_u32 s2, s10
	s_cselect_b32 s1, s3, s1
	s_cselect_b32 s2, s6, s2
	s_add_i32 s3, s1, 1
	s_cmp_ge_u32 s2, s10
	s_cselect_b32 s6, s3, s1
	s_mul_i32 s16, s6, s10
	s_lshl_b64 s[2:3], s[6:7], 1
	s_sub_i32 s11, s0, s16
	s_add_u32 s0, s12, s2
	s_addc_u32 s1, s13, s3
	global_load_ushort v1, v1, s[0:1]
	s_clause 0x2
	s_load_dwordx2 s[2:3], s[4:5], 0x1d0
	s_load_dwordx2 s[20:21], s[4:5], 0xf0
	;; [unrolled: 1-line block ×3, first 2 shown]
	v_cmp_ne_u32_e64 s0, 0, v0
	v_cmp_eq_u32_e64 s1, 0, v0
	s_waitcnt vmcnt(0)
	v_readfirstlane_b32 s28, v1
	s_and_saveexec_b32 s29, s1
	s_cbranch_execz .LBB107_17
; %bb.2:
	s_load_dwordx2 s[12:13], s[4:5], 0x2c8
	s_mov_b32 s17, s7
	s_lshl_b64 s[24:25], s[16:17], 2
	s_add_u32 s16, s14, s24
	s_addc_u32 s17, s15, s25
	s_waitcnt lgkmcnt(0)
	s_add_u32 s18, s12, s24
	s_addc_u32 s19, s13, s25
	s_cmp_lt_u32 s10, 4
	s_cbranch_scc1 .LBB107_14
; %bb.3:
	s_mov_b32 s30, s7
	s_mov_b32 s31, s7
	;; [unrolled: 1-line block ×3, first 2 shown]
.LBB107_4:                              ; =>This Inner Loop Header: Depth=1
	s_add_u32 s16, s14, s24
	s_addc_u32 s17, s15, s25
	s_add_u32 s26, s12, s24
	s_load_dwordx4 s[16:19], s[16:17], 0x0
	s_addc_u32 s27, s13, s25
	s_cmp_ge_u32 s33, s11
	s_cbranch_scc0 .LBB107_11
; %bb.5:                                ;   in Loop: Header=BB107_4 Depth=1
	s_add_i32 s34, s33, 1
	s_cmp_ge_u32 s34, s11
	s_cbranch_scc0 .LBB107_12
.LBB107_6:                              ;   in Loop: Header=BB107_4 Depth=1
	s_add_i32 s34, s34, 1
	s_cmp_ge_u32 s34, s11
	s_cbranch_scc0 .LBB107_13
.LBB107_7:                              ;   in Loop: Header=BB107_4 Depth=1
	s_add_i32 s34, s34, 1
	s_cmp_ge_u32 s34, s11
	s_cbranch_scc1 .LBB107_9
.LBB107_8:                              ;   in Loop: Header=BB107_4 Depth=1
	s_load_dword s26, s[26:27], 0xc
	s_waitcnt lgkmcnt(0)
	s_add_i32 s7, s7, s19
	s_add_i32 s30, s26, s30
.LBB107_9:                              ;   in Loop: Header=BB107_4 Depth=1
	s_waitcnt lgkmcnt(0)
	s_add_i32 s16, s16, s31
	s_add_i32 s16, s16, s17
	;; [unrolled: 1-line block ×4, first 2 shown]
	s_add_u32 s14, s14, 16
	s_addc_u32 s15, s15, 0
	s_add_u32 s12, s12, 16
	s_addc_u32 s13, s13, 0
	s_add_i32 s27, s34, 4
	s_add_u32 s18, s12, s24
	s_addc_u32 s19, s13, s25
	s_add_u32 s16, s14, s24
	s_addc_u32 s17, s15, s25
	s_add_i32 s26, s34, 1
	s_cmp_ge_u32 s27, s10
	s_cbranch_scc1 .LBB107_15
; %bb.10:                               ;   in Loop: Header=BB107_4 Depth=1
	s_mov_b32 s33, s26
	s_branch .LBB107_4
.LBB107_11:                             ;   in Loop: Header=BB107_4 Depth=1
	s_load_dword s34, s[26:27], 0x0
	s_waitcnt lgkmcnt(0)
	s_add_i32 s7, s16, s7
	s_add_i32 s30, s34, s30
	;; [unrolled: 1-line block ×3, first 2 shown]
	s_cmp_ge_u32 s34, s11
	s_cbranch_scc1 .LBB107_6
.LBB107_12:                             ;   in Loop: Header=BB107_4 Depth=1
	s_load_dword s35, s[26:27], 0x4
	s_waitcnt lgkmcnt(0)
	s_add_i32 s7, s7, s17
	s_add_i32 s30, s35, s30
	s_add_i32 s34, s34, 1
	s_cmp_ge_u32 s34, s11
	s_cbranch_scc1 .LBB107_7
.LBB107_13:                             ;   in Loop: Header=BB107_4 Depth=1
	s_load_dword s35, s[26:27], 0x8
	s_waitcnt lgkmcnt(0)
	s_add_i32 s7, s7, s18
	s_add_i32 s30, s35, s30
	s_add_i32 s34, s34, 1
	s_cmp_ge_u32 s34, s11
	s_cbranch_scc0 .LBB107_8
	s_branch .LBB107_9
.LBB107_14:
	s_mov_b32 s30, 0
	s_mov_b32 s31, 0
	;; [unrolled: 1-line block ×3, first 2 shown]
	s_cmp_ge_u32 s12, s10
	s_cbranch_scc0 .LBB107_38
	s_branch .LBB107_16
.LBB107_15:
	s_add_i32 s12, s33, 4
	s_cmp_ge_u32 s12, s10
	s_cbranch_scc0 .LBB107_38
.LBB107_16:
	v_mov_b32_e32 v1, s30
	v_mov_b32_e32 v2, s31
	;; [unrolled: 1-line block ×4, first 2 shown]
	ds_write_b96 v4, v[1:3] offset:1056
.LBB107_17:
	s_or_b32 exec_lo, exec_lo, s29
	s_clause 0x3
	s_load_dword s16, s[4:5], 0x23c
	s_load_dword s17, s[4:5], 0x15c
	;; [unrolled: 1-line block ×3, first 2 shown]
	s_load_dwordx4 s[12:15], s[4:5], 0xd8
	s_mul_i32 s7, s9, s11
	s_add_i32 s11, s11, 1
	s_lshl_b32 s18, s7, 8
	s_waitcnt lgkmcnt(0)
	s_barrier
	buffer_gl0_inv
	s_sub_i32 s7, s12, s18
	s_add_u32 s24, s7, 0xff
	s_addc_u32 s25, 0, 0
	s_lshr_b64 s[24:25], s[24:25], 8
	s_cmp_lt_u32 s11, s10
	s_mov_b32 s11, 0
	s_cselect_b32 s7, s9, s24
	s_cmp_eq_u32 s7, 0
	s_cbranch_scc1 .LBB107_40
; %bb.18:
	v_mov_b32_e32 v5, 0
	s_mul_i32 s10, s6, s19
	s_load_dword s19, s[4:5], 0xe8
	s_lshl_b64 s[26:27], s[10:11], 1
	s_mul_i32 s24, s6, s17
	ds_read_b96 v[1:3], v5 offset:1056
	s_mov_b32 s25, s11
	s_add_u32 s9, s22, s26
	s_addc_u32 s10, s23, s27
	s_lshl_b64 s[22:23], s[24:25], 1
	s_mul_i32 s16, s6, s16
	s_mov_b32 s17, s11
	s_add_u32 s6, s20, s22
	v_lshrrev_b32_e32 v4, 3, v0
	v_add_nc_u32_e32 v9, -1, v0
	s_addc_u32 s11, s21, s23
	s_lshl_b64 s[16:17], s[16:17], 3
	s_load_dword s4, s[4:5], 0x1c8
	s_add_u32 s15, s2, s16
	s_sext_i32_i16 s2, s28
	s_addc_u32 s16, s3, s17
	s_and_b32 s3, 0xffff, s28
	s_cmp_gt_i32 s2, -1
	s_mov_b32 s2, 0x8000
	v_and_b32_e32 v4, 28, v4
	v_lshrrev_b32_e32 v8, 3, v9
	s_cselect_b32 s2, s2, 0xffff
	s_lshl_b32 s17, s28, 16
	s_waitcnt lgkmcnt(0)
	v_add_nc_u32_e32 v6, v1, v2
	v_cmp_o_f32_e64 s17, s17, s17
	v_lshl_add_u32 v7, v0, 2, v4
	v_and_b32_e32 v4, 0x1ffffffc, v8
	v_add_nc_u32_e32 v1, s18, v0
	s_xor_b32 s2, s2, s3
	v_and_b32_e32 v2, 0xfc, v0
	v_lshlrev_b32_e32 v10, 5, v0
	v_mbcnt_lo_u32_b32 v8, -1, 0
	s_and_b32 s3, s17, exec_lo
	s_cselect_b32 s17, s2, 0xffff
	v_cmp_gt_u32_e64 s2, 32, v0
	v_lshl_add_u32 v0, v9, 2, v4
	v_mul_lo_u32 v4, s19, v1
	v_add_nc_u32_e32 v9, v2, v10
	v_and_b32_e32 v10, 15, v8
	v_bfe_i32 v11, v8, 4, 1
	v_add_nc_u32_e32 v12, -1, v8
	v_mov_b32_e32 v13, 0x8000
	s_bitcmp1_b32 s14, 0
                                        ; implicit-def: $vgpr14
	s_cselect_b32 s3, -1, 0
	s_lshl_b32 s5, s19, 8
	s_branch .LBB107_21
.LBB107_19:                             ;   in Loop: Header=BB107_21 Depth=1
	s_or_b32 exec_lo, exec_lo, s14
	v_add_nc_u32_e32 v6, v17, v6
.LBB107_20:                             ;   in Loop: Header=BB107_21 Depth=1
	v_add_nc_u32_e32 v3, v16, v3
	v_add_nc_u32_e32 v4, s5, v4
	;; [unrolled: 1-line block ×3, first 2 shown]
	s_add_i32 s7, s7, -1
	s_cmp_lg_u32 s7, 0
	s_cbranch_scc0 .LBB107_40
.LBB107_21:                             ; =>This Inner Loop Header: Depth=1
	v_mov_b32_e32 v2, 0
	v_mov_b32_e32 v15, 0
	s_mov_b32 s14, exec_lo
	v_cmpx_gt_u32_e64 s12, v1
	s_cbranch_execz .LBB107_23
; %bb.22:                               ;   in Loop: Header=BB107_21 Depth=1
	v_lshlrev_b64 v[14:15], 1, v[4:5]
	v_add_co_u32 v14, vcc_lo, s9, v14
	v_add_co_ci_u32_e64 v15, null, s10, v15, vcc_lo
	global_load_ushort v14, v[14:15], off
	s_waitcnt vmcnt(0)
	v_cmp_lt_i16_e32 vcc_lo, -1, v14
	v_lshlrev_b32_e32 v15, 16, v14
	v_cndmask_b32_e32 v2, 0xffff, v13, vcc_lo
	v_cmp_o_f32_e32 vcc_lo, v15, v15
	v_xor_b32_sdwa v2, v2, v14 dst_sel:DWORD dst_unused:UNUSED_PAD src0_sel:DWORD src1_sel:WORD_0
	v_cndmask_b32_e32 v15, 0xffff, v2, vcc_lo
	v_cmp_lt_u32_e32 vcc_lo, s17, v15
	v_cndmask_b32_e64 v2, 0, 1, vcc_lo
	v_cmp_gt_u32_e32 vcc_lo, s17, v15
	v_cndmask_b32_e64 v16, 0, 1, vcc_lo
	v_cmp_eq_u32_e32 vcc_lo, s17, v15
	v_cndmask_b32_e64 v2, v16, v2, s3
	v_cndmask_b32_e64 v15, 0, 1, vcc_lo
	v_and_b32_e32 v2, 1, v2
.LBB107_23:                             ;   in Loop: Header=BB107_21 Depth=1
	s_or_b32 exec_lo, exec_lo, s14
	ds_write_b32 v7, v2
	s_waitcnt lgkmcnt(0)
	s_barrier
	buffer_gl0_inv
	s_and_saveexec_b32 s14, s2
	s_cbranch_execz .LBB107_25
; %bb.24:                               ;   in Loop: Header=BB107_21 Depth=1
	ds_read2_b32 v[16:17], v9 offset1:1
	ds_read2_b32 v[18:19], v9 offset0:2 offset1:3
	ds_read2_b32 v[20:21], v9 offset0:4 offset1:5
	;; [unrolled: 1-line block ×3, first 2 shown]
	v_cmp_ne_u32_e32 vcc_lo, 0, v10
	; wave barrier
	s_waitcnt lgkmcnt(3)
	v_add_nc_u32_e32 v17, v17, v16
	s_waitcnt lgkmcnt(2)
	v_add3_u32 v17, v17, v18, v19
	s_waitcnt lgkmcnt(1)
	v_add3_u32 v17, v17, v20, v21
	;; [unrolled: 2-line block ×3, first 2 shown]
	v_mov_b32_dpp v18, v17 row_shr:1 row_mask:0xf bank_mask:0xf
	v_cndmask_b32_e32 v18, 0, v18, vcc_lo
	v_cmp_lt_u32_e32 vcc_lo, 1, v10
	v_add_nc_u32_e32 v17, v18, v17
	v_mov_b32_dpp v18, v17 row_shr:2 row_mask:0xf bank_mask:0xf
	v_cndmask_b32_e32 v18, 0, v18, vcc_lo
	v_cmp_lt_u32_e32 vcc_lo, 3, v10
	v_add_nc_u32_e32 v17, v17, v18
	v_mov_b32_dpp v18, v17 row_shr:4 row_mask:0xf bank_mask:0xf
	v_cndmask_b32_e32 v18, 0, v18, vcc_lo
	v_cmp_lt_u32_e32 vcc_lo, 7, v10
	v_add_nc_u32_e32 v17, v17, v18
	v_mov_b32_dpp v18, v17 row_shr:8 row_mask:0xf bank_mask:0xf
	v_cndmask_b32_e32 v18, 0, v18, vcc_lo
	v_cmp_gt_i32_e32 vcc_lo, 0, v12
	v_add_nc_u32_e32 v17, v17, v18
	v_cndmask_b32_e32 v19, v12, v8, vcc_lo
	ds_swizzle_b32 v18, v17 offset:swizzle(BROADCAST,32,15)
	v_lshlrev_b32_e32 v19, 2, v19
	s_waitcnt lgkmcnt(0)
	v_and_b32_e32 v18, v11, v18
	v_add_nc_u32_e32 v17, v17, v18
	ds_bpermute_b32 v17, v19, v17
	s_waitcnt lgkmcnt(0)
	v_add_nc_u32_e32 v16, v17, v16
	v_cndmask_b32_e64 v22, v16, v2, s1
	ds_write_b32 v9, v22
	; wave barrier
	ds_read2_b32 v[16:17], v9 offset0:1 offset1:2
	ds_read2_b32 v[18:19], v9 offset0:3 offset1:4
	;; [unrolled: 1-line block ×3, first 2 shown]
	ds_read_b32 v23, v9 offset:28
	s_waitcnt lgkmcnt(3)
	v_add_nc_u32_e32 v16, v16, v22
	v_add_nc_u32_e32 v17, v17, v16
	s_waitcnt lgkmcnt(2)
	v_add_nc_u32_e32 v18, v18, v17
	v_add_nc_u32_e32 v19, v19, v18
	;; [unrolled: 3-line block ×3, first 2 shown]
	s_waitcnt lgkmcnt(0)
	v_add_nc_u32_e32 v22, v23, v21
	ds_write2_b32 v9, v16, v17 offset0:1 offset1:2
	ds_write2_b32 v9, v18, v19 offset0:3 offset1:4
	;; [unrolled: 1-line block ×3, first 2 shown]
	ds_write_b32 v9, v22 offset:28
.LBB107_25:                             ;   in Loop: Header=BB107_21 Depth=1
	s_or_b32 exec_lo, exec_lo, s14
	v_mov_b32_e32 v17, 0
	s_waitcnt lgkmcnt(0)
	s_barrier
	buffer_gl0_inv
	s_and_saveexec_b32 s14, s0
; %bb.26:                               ;   in Loop: Header=BB107_21 Depth=1
	ds_read_b32 v17, v0
; %bb.27:                               ;   in Loop: Header=BB107_21 Depth=1
	s_or_b32 exec_lo, exec_lo, s14
	ds_read_b32 v16, v5 offset:1048
	s_mov_b32 s14, exec_lo
	s_waitcnt lgkmcnt(0)
	s_barrier
	buffer_gl0_inv
	v_cmpx_ne_u32_e32 0, v2
	s_cbranch_execz .LBB107_29
; %bb.28:                               ;   in Loop: Header=BB107_21 Depth=1
	v_add_nc_u32_e32 v2, v17, v3
	v_mov_b32_e32 v18, v5
	v_mov_b32_e32 v20, v5
	v_mul_lo_u32 v17, v2, s4
	v_mul_lo_u32 v19, v2, s8
	v_mov_b32_e32 v2, v5
	v_lshlrev_b64 v[17:18], 1, v[17:18]
	v_lshlrev_b64 v[19:20], 3, v[19:20]
	v_add_co_u32 v17, vcc_lo, s6, v17
	v_add_co_ci_u32_e64 v18, null, s11, v18, vcc_lo
	v_add_co_u32 v19, vcc_lo, s15, v19
	v_add_co_ci_u32_e64 v20, null, s16, v20, vcc_lo
	global_store_short v[17:18], v14, off
	global_store_dwordx2 v[19:20], v[1:2], off
.LBB107_29:                             ;   in Loop: Header=BB107_21 Depth=1
	s_or_b32 exec_lo, exec_lo, s14
	v_cmp_le_u32_e32 vcc_lo, s13, v6
	s_cbranch_vccnz .LBB107_20
; %bb.30:                               ;   in Loop: Header=BB107_21 Depth=1
	ds_write_b32 v7, v15
	s_waitcnt lgkmcnt(0)
	s_waitcnt_vscnt null, 0x0
	s_barrier
	buffer_gl0_inv
	s_and_saveexec_b32 s14, s2
	s_cbranch_execz .LBB107_32
; %bb.31:                               ;   in Loop: Header=BB107_21 Depth=1
	ds_read2_b32 v[17:18], v9 offset1:1
	ds_read2_b32 v[19:20], v9 offset0:2 offset1:3
	ds_read2_b32 v[21:22], v9 offset0:4 offset1:5
	;; [unrolled: 1-line block ×3, first 2 shown]
	v_cmp_ne_u32_e32 vcc_lo, 0, v10
	; wave barrier
	s_waitcnt lgkmcnt(3)
	v_add_nc_u32_e32 v2, v18, v17
	s_waitcnt lgkmcnt(2)
	v_add3_u32 v2, v2, v19, v20
	s_waitcnt lgkmcnt(1)
	v_add3_u32 v2, v2, v21, v22
	;; [unrolled: 2-line block ×3, first 2 shown]
	v_mov_b32_dpp v18, v2 row_shr:1 row_mask:0xf bank_mask:0xf
	v_cndmask_b32_e32 v18, 0, v18, vcc_lo
	v_cmp_lt_u32_e32 vcc_lo, 1, v10
	v_add_nc_u32_e32 v2, v18, v2
	v_mov_b32_dpp v18, v2 row_shr:2 row_mask:0xf bank_mask:0xf
	v_cndmask_b32_e32 v18, 0, v18, vcc_lo
	v_cmp_lt_u32_e32 vcc_lo, 3, v10
	v_add_nc_u32_e32 v2, v2, v18
	;; [unrolled: 4-line block ×3, first 2 shown]
	v_mov_b32_dpp v18, v2 row_shr:8 row_mask:0xf bank_mask:0xf
	v_cndmask_b32_e32 v18, 0, v18, vcc_lo
	v_cmp_gt_i32_e32 vcc_lo, 0, v12
	v_add_nc_u32_e32 v2, v2, v18
	v_cndmask_b32_e32 v19, v12, v8, vcc_lo
	ds_swizzle_b32 v18, v2 offset:swizzle(BROADCAST,32,15)
	v_lshlrev_b32_e32 v19, 2, v19
	s_waitcnt lgkmcnt(0)
	v_and_b32_e32 v18, v11, v18
	v_add_nc_u32_e32 v2, v2, v18
	ds_bpermute_b32 v2, v19, v2
	s_waitcnt lgkmcnt(0)
	v_add_nc_u32_e32 v2, v2, v17
	v_cndmask_b32_e64 v2, v2, v15, s1
	ds_write_b32 v9, v2
	; wave barrier
	ds_read2_b32 v[17:18], v9 offset0:1 offset1:2
	ds_read2_b32 v[19:20], v9 offset0:3 offset1:4
	;; [unrolled: 1-line block ×3, first 2 shown]
	ds_read_b32 v23, v9 offset:28
	s_waitcnt lgkmcnt(3)
	v_add_nc_u32_e32 v2, v17, v2
	v_add_nc_u32_e32 v17, v18, v2
	s_waitcnt lgkmcnt(2)
	v_add_nc_u32_e32 v18, v19, v17
	v_add_nc_u32_e32 v19, v20, v18
	;; [unrolled: 3-line block ×3, first 2 shown]
	s_waitcnt lgkmcnt(0)
	v_add_nc_u32_e32 v22, v23, v21
	ds_write2_b32 v9, v2, v17 offset0:1 offset1:2
	ds_write2_b32 v9, v18, v19 offset0:3 offset1:4
	;; [unrolled: 1-line block ×3, first 2 shown]
	ds_write_b32 v9, v22 offset:28
.LBB107_32:                             ;   in Loop: Header=BB107_21 Depth=1
	s_or_b32 exec_lo, exec_lo, s14
	v_mov_b32_e32 v2, 0
	s_waitcnt lgkmcnt(0)
	s_barrier
	buffer_gl0_inv
	s_and_saveexec_b32 s14, s0
; %bb.33:                               ;   in Loop: Header=BB107_21 Depth=1
	ds_read_b32 v2, v0
; %bb.34:                               ;   in Loop: Header=BB107_21 Depth=1
	s_or_b32 exec_lo, exec_lo, s14
	ds_read_b32 v17, v5 offset:1048
	s_mov_b32 s14, exec_lo
	s_waitcnt lgkmcnt(0)
	s_barrier
	buffer_gl0_inv
	v_cmpx_ne_u32_e32 0, v15
	s_cbranch_execz .LBB107_19
; %bb.35:                               ;   in Loop: Header=BB107_21 Depth=1
	v_add_nc_u32_e32 v2, v2, v6
	v_cmp_gt_u32_e32 vcc_lo, s13, v2
	s_and_b32 exec_lo, exec_lo, vcc_lo
	s_cbranch_execz .LBB107_19
; %bb.36:                               ;   in Loop: Header=BB107_21 Depth=1
	v_mul_lo_u32 v18, v2, s4
	v_mul_lo_u32 v20, v2, s8
	v_mov_b32_e32 v19, v5
	v_mov_b32_e32 v21, v5
	;; [unrolled: 1-line block ×3, first 2 shown]
	v_lshlrev_b64 v[18:19], 1, v[18:19]
	v_lshlrev_b64 v[20:21], 3, v[20:21]
	v_add_co_u32 v18, vcc_lo, s6, v18
	v_add_co_ci_u32_e64 v19, null, s11, v19, vcc_lo
	v_add_co_u32 v20, vcc_lo, s15, v20
	v_add_co_ci_u32_e64 v21, null, s16, v21, vcc_lo
	global_store_short v[18:19], v14, off
	global_store_dwordx2 v[20:21], v[1:2], off
	s_branch .LBB107_19
	.p2align	6
.LBB107_37:                             ;   in Loop: Header=BB107_38 Depth=1
	s_add_u32 s16, s16, 4
	s_addc_u32 s17, s17, 0
	s_waitcnt lgkmcnt(0)
	s_add_i32 s31, s13, s31
	s_add_u32 s18, s18, 4
	s_addc_u32 s19, s19, 0
	s_add_i32 s12, s12, 1
	s_cmp_lt_u32 s12, s10
	s_cbranch_scc0 .LBB107_16
.LBB107_38:                             ; =>This Inner Loop Header: Depth=1
	s_load_dword s13, s[16:17], 0x0
	s_cmp_ge_u32 s12, s11
	s_cbranch_scc1 .LBB107_37
; %bb.39:                               ;   in Loop: Header=BB107_38 Depth=1
	s_load_dword s14, s[18:19], 0x0
	s_waitcnt lgkmcnt(0)
	s_add_i32 s7, s13, s7
	s_add_i32 s30, s14, s30
	s_branch .LBB107_37
.LBB107_40:
	s_endpgm
	.section	.rodata,"a",@progbits
	.p2align	6, 0x0
	.amdhsa_kernel _ZN2at6native6mbtopk10gatherTopKIN3c108BFloat16EjLi1EEEvNS_4cuda6detail10TensorInfoIKT_T0_EESA_SA_bjSA_NS7_IS8_SA_EESA_NS7_IlSA_EESA_jjPS8_PjSF_j
		.amdhsa_group_segment_fixed_size 1068
		.amdhsa_private_segment_fixed_size 0
		.amdhsa_kernarg_size 984
		.amdhsa_user_sgpr_count 6
		.amdhsa_user_sgpr_private_segment_buffer 1
		.amdhsa_user_sgpr_dispatch_ptr 0
		.amdhsa_user_sgpr_queue_ptr 0
		.amdhsa_user_sgpr_kernarg_segment_ptr 1
		.amdhsa_user_sgpr_dispatch_id 0
		.amdhsa_user_sgpr_flat_scratch_init 0
		.amdhsa_user_sgpr_private_segment_size 0
		.amdhsa_wavefront_size32 1
		.amdhsa_uses_dynamic_stack 0
		.amdhsa_system_sgpr_private_segment_wavefront_offset 0
		.amdhsa_system_sgpr_workgroup_id_x 1
		.amdhsa_system_sgpr_workgroup_id_y 1
		.amdhsa_system_sgpr_workgroup_id_z 1
		.amdhsa_system_sgpr_workgroup_info 0
		.amdhsa_system_vgpr_workitem_id 0
		.amdhsa_next_free_vgpr 25
		.amdhsa_next_free_sgpr 36
		.amdhsa_reserve_vcc 1
		.amdhsa_reserve_flat_scratch 0
		.amdhsa_float_round_mode_32 0
		.amdhsa_float_round_mode_16_64 0
		.amdhsa_float_denorm_mode_32 3
		.amdhsa_float_denorm_mode_16_64 3
		.amdhsa_dx10_clamp 1
		.amdhsa_ieee_mode 1
		.amdhsa_fp16_overflow 0
		.amdhsa_workgroup_processor_mode 1
		.amdhsa_memory_ordered 1
		.amdhsa_forward_progress 1
		.amdhsa_shared_vgpr_count 0
		.amdhsa_exception_fp_ieee_invalid_op 0
		.amdhsa_exception_fp_denorm_src 0
		.amdhsa_exception_fp_ieee_div_zero 0
		.amdhsa_exception_fp_ieee_overflow 0
		.amdhsa_exception_fp_ieee_underflow 0
		.amdhsa_exception_fp_ieee_inexact 0
		.amdhsa_exception_int_div_zero 0
	.end_amdhsa_kernel
	.section	.text._ZN2at6native6mbtopk10gatherTopKIN3c108BFloat16EjLi1EEEvNS_4cuda6detail10TensorInfoIKT_T0_EESA_SA_bjSA_NS7_IS8_SA_EESA_NS7_IlSA_EESA_jjPS8_PjSF_j,"axG",@progbits,_ZN2at6native6mbtopk10gatherTopKIN3c108BFloat16EjLi1EEEvNS_4cuda6detail10TensorInfoIKT_T0_EESA_SA_bjSA_NS7_IS8_SA_EESA_NS7_IlSA_EESA_jjPS8_PjSF_j,comdat
.Lfunc_end107:
	.size	_ZN2at6native6mbtopk10gatherTopKIN3c108BFloat16EjLi1EEEvNS_4cuda6detail10TensorInfoIKT_T0_EESA_SA_bjSA_NS7_IS8_SA_EESA_NS7_IlSA_EESA_jjPS8_PjSF_j, .Lfunc_end107-_ZN2at6native6mbtopk10gatherTopKIN3c108BFloat16EjLi1EEEvNS_4cuda6detail10TensorInfoIKT_T0_EESA_SA_bjSA_NS7_IS8_SA_EESA_NS7_IlSA_EESA_jjPS8_PjSF_j
                                        ; -- End function
	.set _ZN2at6native6mbtopk10gatherTopKIN3c108BFloat16EjLi1EEEvNS_4cuda6detail10TensorInfoIKT_T0_EESA_SA_bjSA_NS7_IS8_SA_EESA_NS7_IlSA_EESA_jjPS8_PjSF_j.num_vgpr, 25
	.set _ZN2at6native6mbtopk10gatherTopKIN3c108BFloat16EjLi1EEEvNS_4cuda6detail10TensorInfoIKT_T0_EESA_SA_bjSA_NS7_IS8_SA_EESA_NS7_IlSA_EESA_jjPS8_PjSF_j.num_agpr, 0
	.set _ZN2at6native6mbtopk10gatherTopKIN3c108BFloat16EjLi1EEEvNS_4cuda6detail10TensorInfoIKT_T0_EESA_SA_bjSA_NS7_IS8_SA_EESA_NS7_IlSA_EESA_jjPS8_PjSF_j.numbered_sgpr, 36
	.set _ZN2at6native6mbtopk10gatherTopKIN3c108BFloat16EjLi1EEEvNS_4cuda6detail10TensorInfoIKT_T0_EESA_SA_bjSA_NS7_IS8_SA_EESA_NS7_IlSA_EESA_jjPS8_PjSF_j.num_named_barrier, 0
	.set _ZN2at6native6mbtopk10gatherTopKIN3c108BFloat16EjLi1EEEvNS_4cuda6detail10TensorInfoIKT_T0_EESA_SA_bjSA_NS7_IS8_SA_EESA_NS7_IlSA_EESA_jjPS8_PjSF_j.private_seg_size, 0
	.set _ZN2at6native6mbtopk10gatherTopKIN3c108BFloat16EjLi1EEEvNS_4cuda6detail10TensorInfoIKT_T0_EESA_SA_bjSA_NS7_IS8_SA_EESA_NS7_IlSA_EESA_jjPS8_PjSF_j.uses_vcc, 1
	.set _ZN2at6native6mbtopk10gatherTopKIN3c108BFloat16EjLi1EEEvNS_4cuda6detail10TensorInfoIKT_T0_EESA_SA_bjSA_NS7_IS8_SA_EESA_NS7_IlSA_EESA_jjPS8_PjSF_j.uses_flat_scratch, 0
	.set _ZN2at6native6mbtopk10gatherTopKIN3c108BFloat16EjLi1EEEvNS_4cuda6detail10TensorInfoIKT_T0_EESA_SA_bjSA_NS7_IS8_SA_EESA_NS7_IlSA_EESA_jjPS8_PjSF_j.has_dyn_sized_stack, 0
	.set _ZN2at6native6mbtopk10gatherTopKIN3c108BFloat16EjLi1EEEvNS_4cuda6detail10TensorInfoIKT_T0_EESA_SA_bjSA_NS7_IS8_SA_EESA_NS7_IlSA_EESA_jjPS8_PjSF_j.has_recursion, 0
	.set _ZN2at6native6mbtopk10gatherTopKIN3c108BFloat16EjLi1EEEvNS_4cuda6detail10TensorInfoIKT_T0_EESA_SA_bjSA_NS7_IS8_SA_EESA_NS7_IlSA_EESA_jjPS8_PjSF_j.has_indirect_call, 0
	.section	.AMDGPU.csdata,"",@progbits
; Kernel info:
; codeLenInByte = 2384
; TotalNumSgprs: 38
; NumVgprs: 25
; ScratchSize: 0
; MemoryBound: 0
; FloatMode: 240
; IeeeMode: 1
; LDSByteSize: 1068 bytes/workgroup (compile time only)
; SGPRBlocks: 0
; VGPRBlocks: 3
; NumSGPRsForWavesPerEU: 38
; NumVGPRsForWavesPerEU: 25
; Occupancy: 16
; WaveLimiterHint : 1
; COMPUTE_PGM_RSRC2:SCRATCH_EN: 0
; COMPUTE_PGM_RSRC2:USER_SGPR: 6
; COMPUTE_PGM_RSRC2:TRAP_HANDLER: 0
; COMPUTE_PGM_RSRC2:TGID_X_EN: 1
; COMPUTE_PGM_RSRC2:TGID_Y_EN: 1
; COMPUTE_PGM_RSRC2:TGID_Z_EN: 1
; COMPUTE_PGM_RSRC2:TIDIG_COMP_CNT: 0
	.section	.text._ZN2at6native6sbtopk10gatherTopKIN3c108BFloat16EjLi1ELb0EEEvNS_4cuda6detail10TensorInfoIKT_T0_EESA_SA_bSA_SA_NS7_IS8_SA_EESA_NS7_IlSA_EESA_PS8_,"axG",@progbits,_ZN2at6native6sbtopk10gatherTopKIN3c108BFloat16EjLi1ELb0EEEvNS_4cuda6detail10TensorInfoIKT_T0_EESA_SA_bSA_SA_NS7_IS8_SA_EESA_NS7_IlSA_EESA_PS8_,comdat
	.protected	_ZN2at6native6sbtopk10gatherTopKIN3c108BFloat16EjLi1ELb0EEEvNS_4cuda6detail10TensorInfoIKT_T0_EESA_SA_bSA_SA_NS7_IS8_SA_EESA_NS7_IlSA_EESA_PS8_ ; -- Begin function _ZN2at6native6sbtopk10gatherTopKIN3c108BFloat16EjLi1ELb0EEEvNS_4cuda6detail10TensorInfoIKT_T0_EESA_SA_bSA_SA_NS7_IS8_SA_EESA_NS7_IlSA_EESA_PS8_
	.globl	_ZN2at6native6sbtopk10gatherTopKIN3c108BFloat16EjLi1ELb0EEEvNS_4cuda6detail10TensorInfoIKT_T0_EESA_SA_bSA_SA_NS7_IS8_SA_EESA_NS7_IlSA_EESA_PS8_
	.p2align	8
	.type	_ZN2at6native6sbtopk10gatherTopKIN3c108BFloat16EjLi1ELb0EEEvNS_4cuda6detail10TensorInfoIKT_T0_EESA_SA_bSA_SA_NS7_IS8_SA_EESA_NS7_IlSA_EESA_PS8_,@function
_ZN2at6native6sbtopk10gatherTopKIN3c108BFloat16EjLi1ELb0EEEvNS_4cuda6detail10TensorInfoIKT_T0_EESA_SA_bSA_SA_NS7_IS8_SA_EESA_NS7_IlSA_EESA_PS8_: ; @_ZN2at6native6sbtopk10gatherTopKIN3c108BFloat16EjLi1ELb0EEEvNS_4cuda6detail10TensorInfoIKT_T0_EESA_SA_bSA_SA_NS7_IS8_SA_EESA_NS7_IlSA_EESA_PS8_
; %bb.0:
	s_clause 0x1
	s_load_dwordx2 s[12:13], s[4:5], 0x2b8
	s_load_dwordx4 s[36:39], s[4:5], 0xd8
	s_add_u32 s10, s4, 0x2b8
	s_addc_u32 s11, s5, 0
	s_waitcnt lgkmcnt(0)
	s_mul_i32 s0, s13, s8
	s_add_i32 s0, s0, s7
	s_mul_i32 s50, s0, s12
	s_add_i32 s50, s50, s6
	s_cmp_ge_u32 s50, s39
	s_cbranch_scc1 .LBB108_410
; %bb.1:
	s_clause 0x4
	s_load_dwordx2 s[42:43], s[4:5], 0x1d0
	s_load_dword s40, s[4:5], 0xe8
	s_load_dwordx2 s[44:45], s[4:5], 0xf0
	s_load_dword s2, s[4:5], 0x6c
	s_load_dwordx2 s[0:1], s[4:5], 0x0
	v_cmp_eq_u32_e64 s3, 0, v0
	s_mov_b32 s35, 0
	s_and_saveexec_b32 s7, s3
	s_cbranch_execz .LBB108_3
; %bb.2:
	v_mov_b32_e32 v1, 0
	v_mov_b32_e32 v2, s36
	;; [unrolled: 1-line block ×3, first 2 shown]
	ds_write_b96 v1, v[1:3] offset:4096
.LBB108_3:
	s_or_b32 exec_lo, exec_lo, s7
	s_waitcnt lgkmcnt(0)
	s_barrier
	buffer_gl0_inv
	s_load_dword s7, s[10:11], 0xc
	s_clause 0x1
	s_load_dword s51, s[4:5], 0x23c
	s_load_dword s52, s[4:5], 0x15c
	v_mov_b32_e32 v9, 0
	s_mul_i32 s34, s2, s50
	v_mul_lo_u32 v7, s40, v0
	s_lshl_b64 s[8:9], s[34:35], 1
	v_mbcnt_lo_u32_b32 v19, -1, 0
	v_mov_b32_e32 v8, v9
	s_add_u32 s46, s0, s8
	s_addc_u32 s47, s1, s9
	s_bitcmp1_b32 s38, 0
	v_cmp_gt_u32_e32 vcc_lo, 32, v0
	s_cselect_b32 s2, -1, 0
	v_lshlrev_b64 v[1:2], 1, v[7:8]
	v_cmp_gt_i32_e64 s0, 4, v19
	s_xor_b32 s53, s2, -1
	s_movk_i32 s8, 0x1f0
	v_lshlrev_b32_e32 v18, 2, v0
	v_lshlrev_b32_e32 v20, 1, v0
	s_waitcnt lgkmcnt(0)
	s_and_b32 s48, s7, 0xffff
	s_and_b32 s56, vcc_lo, s0
	s_lshl_b32 s54, s48, 2
	v_add_co_u32 v5, vcc_lo, s46, v1
	v_cvt_f32_u32_e32 v3, s54
	v_add_co_ci_u32_e64 v6, null, s47, v2, vcc_lo
	v_lshlrev_b64 v[1:2], v19, -1
	s_bfe_u32 s1, s48, 0x80008
	v_rcp_iflag_f32_e32 v2, v3
	s_bfe_u32 s7, s7, 0xb0005
	s_lshl_b32 s55, s1, 3
	s_cmpk_gt_u32 s36, 0x600
	v_add_nc_u32_e32 v3, 2, v0
	s_cselect_b32 s57, -1, 0
	s_cmp_gt_u32 s48, 31
	v_cvt_f32_u32_e32 v8, s48
	s_cselect_b32 s58, -1, 0
	s_add_i32 s59, s48, -1
	v_mul_f32_e32 v2, 0x4f7ffffe, v2
	s_add_i32 s13, s59, s36
	s_cmp_lt_u32 s6, s12
	v_max_u32_e32 v3, s36, v3
	s_cselect_b32 s6, 12, 18
	v_cvt_u32_f32_e32 v2, v2
	s_add_u32 s38, s10, s6
	s_addc_u32 s39, s11, 0
	s_add_i32 s7, s7, -1
	s_bfe_u32 s60, s48, 0x30005
	s_and_b32 s6, s7, 0xffff
	v_xad_u32 v3, v0, -1, v3
	s_cmp_gt_u32 s6, 6
	v_readfirstlane_b32 s6, v2
	s_cselect_b32 s61, -1, 0
	s_cmp_lg_u32 s60, 0
	v_not_b32_e32 v17, v1
	s_cselect_b32 s62, -1, 0
	s_sub_i32 s7, 0, s54
	v_lshrrev_b32_e32 v1, 1, v0
	s_mul_i32 s7, s7, s6
	v_add_nc_u32_e32 v4, -2, v3
	s_mul_hi_u32 s7, s6, s7
	v_rcp_iflag_f32_e32 v8, v8
	s_add_i32 s63, s6, s7
	v_and_or_b32 v22, v1, s8, 0xc00
	s_mul_hi_u32 s6, s36, s63
	v_lshrrev_b32_e32 v2, 1, v4
	s_mul_i32 s6, s6, s54
	v_and_b32_e32 v23, -2, v3
	s_sub_i32 s6, s36, s6
	v_cmp_lt_u32_e64 s7, 31, v3
	s_sub_i32 s8, s6, s54
	s_cmp_ge_u32 s6, s54
	v_add_nc_u32_e32 v1, 1, v2
	s_cselect_b32 s6, s8, s6
	v_mul_f32_e32 v2, 0x4f7ffffe, v8
	s_sub_i32 s8, s6, s54
	s_cmp_ge_u32 s6, s54
	v_and_b32_e32 v12, 7, v1
	s_cselect_b32 s6, s8, s6
	v_cvt_u32_f32_e32 v2, v2
	s_sub_i32 s64, s36, s6
	s_sub_i32 s8, 0, s48
	v_add_nc_u32_e32 v25, s64, v0
	v_and_b32_e32 v26, -8, v1
	v_readfirstlane_b32 s9, v2
	v_cmp_ne_u32_e64 s10, v3, v23
	v_or_b32_e32 v3, 3, v18
	v_mul_lo_u32 v8, v25, s40
	s_mov_b32 s41, s40
	s_mul_i32 s8, s8, s9
	v_lshlrev_b32_e32 v28, 2, v12
	s_mul_hi_u32 s8, s9, s8
	v_mul_lo_u32 v30, s40, v3
	s_add_i32 s65, s9, s8
	v_cmp_eq_u32_e64 s0, 0, v19
	v_lshlrev_b64 v[1:2], 1, v[8:9]
	s_mul_hi_u32 s9, s13, s65
	v_cmp_gt_u32_e64 s1, s36, v0
	s_mul_i32 s9, s9, s48
	v_cmp_gt_u32_e64 s15, 2, v0
	s_sub_i32 s11, s13, s9
	v_add_co_u32 v10, vcc_lo, s46, v1
	v_add3_u32 v1, s48, s36, v0
	s_sub_i32 s12, s11, s48
	s_cmp_ge_u32 s11, s48
	v_add_co_ci_u32_e64 v11, null, s47, v2, vcc_lo
	s_cselect_b32 s12, s12, s11
	v_or_b32_e32 v2, 2, v18
	v_subrev_nc_u32_e32 v1, s6, v1
	s_sub_i32 s14, s12, s48
	s_cmp_ge_u32 s12, s48
	v_cmp_ne_u32_e64 s9, 0, v12
	s_cselect_b32 s14, s14, s12
	v_mad_u64_u32 v[12:13], null, s40, v18, s[40:41]
	v_mul_lo_u32 v29, s40, v2
	v_mul_lo_u32 v32, s40, v1
	s_sub_i32 s66, s13, s14
	v_add_nc_u32_e32 v21, 0xc00, v20
	v_add_nc_u32_e32 v24, v0, v23
	v_cmp_lt_u32_e64 s8, 13, v4
	v_cmp_gt_u32_e64 s11, s64, v18
	v_cmp_gt_u32_e64 s12, s36, v25
	;; [unrolled: 1-line block ×3, first 2 shown]
	v_lshlrev_b32_e32 v31, 2, v7
	v_lshlrev_b32_e32 v33, 3, v0
	v_lshl_or_b32 v34, v19, 2, 0xc00
	v_mov_b32_e32 v39, s37
	v_mov_b32_e32 v35, 0x8000
	v_mov_b32_e32 v36, -1
	v_mov_b32_e32 v38, 0
	v_mov_b32_e32 v27, 0
	;; [unrolled: 1-line block ×3, first 2 shown]
	s_mul_i32 s49, s40, s48
	s_lshl_b32 s68, s48, 3
	s_lshl_b32 s67, s49, 2
	;; [unrolled: 1-line block ×3, first 2 shown]
	s_mov_b32 s76, 14
	s_movk_i32 s71, 0x3f80
	s_mov_b32 s72, 0
                                        ; implicit-def: $sgpr70
                                        ; implicit-def: $sgpr75
                                        ; implicit-def: $sgpr74
                                        ; implicit-def: $sgpr77
                                        ; implicit-def: $sgpr73
                                        ; implicit-def: $sgpr81
                                        ; implicit-def: $sgpr82
                                        ; implicit-def: $sgpr78
                                        ; implicit-def: $sgpr80
                                        ; implicit-def: $sgpr79
	s_branch .LBB108_6
.LBB108_4:                              ;   in Loop: Header=BB108_6 Depth=1
	s_or_b32 exec_lo, exec_lo, s17
	v_mov_b32_e32 v39, v4
	s_andn2_b32 s17, s79, exec_lo
	s_and_b32 s16, s16, exec_lo
	s_andn2_b32 s80, s80, exec_lo
	s_or_b32 s79, s17, s16
	s_andn2_b32 s78, s78, exec_lo
	s_andn2_b32 s82, s82, exec_lo
	;; [unrolled: 1-line block ×3, first 2 shown]
	s_orn2_b32 s17, s14, exec_lo
.LBB108_5:                              ;   in Loop: Header=BB108_6 Depth=1
	s_or_b32 exec_lo, exec_lo, s6
	s_and_b32 s6, exec_lo, s17
	s_or_b32 s35, s6, s35
	s_andn2_b32 s6, s73, exec_lo
	s_and_b32 s14, s79, exec_lo
	s_andn2_b32 s16, s77, exec_lo
	s_or_b32 s73, s6, s14
	s_and_b32 s6, s80, exec_lo
	s_andn2_b32 s14, s74, exec_lo
	s_and_b32 s17, s78, exec_lo
	s_or_b32 s77, s16, s6
	s_or_b32 s74, s14, s17
	s_andn2_b32 s6, s75, exec_lo
	s_and_b32 s14, s82, exec_lo
	s_andn2_b32 s16, s70, exec_lo
	s_and_b32 s17, s81, exec_lo
	s_or_b32 s75, s6, s14
	s_or_b32 s70, s16, s17
	s_andn2_b32 exec_lo, exec_lo, s35
	s_cbranch_execz .LBB108_406
.LBB108_6:                              ; =>This Loop Header: Depth=1
                                        ;     Child Loop BB108_11 Depth 2
                                        ;     Child Loop BB108_32 Depth 2
	;; [unrolled: 1-line block ×26, first 2 shown]
	ds_read_b64 v[1:2], v9 offset:4096
	s_waitcnt lgkmcnt(0)
	v_readfirstlane_b32 s83, v1
	s_cmp_lg_u32 s83, 0
	s_cbranch_scc1 .LBB108_51
; %bb.7:                                ;   in Loop: Header=BB108_6 Depth=1
	s_and_b32 vcc_lo, exec_lo, s57
	s_cbranch_vccz .LBB108_19
; %bb.8:                                ;   in Loop: Header=BB108_6 Depth=1
	v_cmp_gt_u32_e32 vcc_lo, 0x601, v2
	s_mov_b32 s16, 0
	s_mov_b32 s6, 0
	s_cbranch_vccz .LBB108_20
; %bb.9:                                ;   in Loop: Header=BB108_6 Depth=1
	global_load_ushort v1, v9, s[38:39]
	global_load_ushort v4, v[5:6], off
	v_mov_b32_e32 v3, v0
	s_mov_b32 s17, 0
	s_waitcnt vmcnt(1)
	v_add_nc_u32_e32 v2, v0, v1
	v_mul_lo_u32 v8, s40, v2
	v_mul_lo_u32 v2, s40, v1
	s_branch .LBB108_11
.LBB108_10:                             ;   in Loop: Header=BB108_11 Depth=2
	s_or_b32 exec_lo, exec_lo, s14
	v_add_nc_u32_e32 v8, v8, v2
	v_mov_b32_e32 v4, v13
	s_andn2_b32 exec_lo, exec_lo, s17
	s_cbranch_execz .LBB108_26
.LBB108_11:                             ;   Parent Loop BB108_6 Depth=1
                                        ; =>  This Inner Loop Header: Depth=2
	v_add_nc_u32_e32 v3, v3, v1
	s_waitcnt lgkmcnt(0)
	v_mov_b32_e32 v14, 0
	v_mov_b32_e32 v13, 0
	s_mov_b32 s14, exec_lo
	v_cmp_le_u32_e32 vcc_lo, s36, v3
	v_cmpx_gt_u32_e64 s36, v3
	s_cbranch_execz .LBB108_13
; %bb.12:                               ;   in Loop: Header=BB108_11 Depth=2
	v_lshlrev_b64 v[15:16], 1, v[8:9]
	v_add_co_u32 v15, s6, s46, v15
	v_add_co_ci_u32_e64 v16, null, s47, v16, s6
	global_load_ushort v13, v[15:16], off
.LBB108_13:                             ;   in Loop: Header=BB108_11 Depth=2
	s_or_b32 exec_lo, exec_lo, s14
	s_waitcnt vmcnt(0)
	v_cmp_lt_i16_e64 s6, -1, v4
	v_lshlrev_b32_e32 v16, 16, v4
	v_cndmask_b32_e64 v15, 0xffff, v35, s6
	v_cmp_o_f32_e64 s6, v16, v16
	v_xor_b32_sdwa v15, v15, v4 dst_sel:DWORD dst_unused:UNUSED_PAD src0_sel:DWORD src1_sel:WORD_0
	v_cndmask_b32_e64 v15, 0xffff, v15, s6
	v_and_b32_e32 v15, v15, v37
	v_cmp_eq_u32_e64 s6, v15, v27
	s_cmp_lg_u32 s6, 0
	s_cselect_b32 s14, -1, 0
	s_and_b32 s14, s0, s14
	s_and_saveexec_b32 s18, s14
	s_cbranch_execz .LBB108_17
; %bb.14:                               ;   in Loop: Header=BB108_11 Depth=2
	s_mov_b32 s21, exec_lo
	s_bcnt1_i32_b32 s19, s6
	v_mbcnt_lo_u32_b32 v14, s21, 0
	s_mov_b32 s20, exec_lo
                                        ; implicit-def: $vgpr15
	v_cmpx_eq_u32_e32 0, v14
; %bb.15:                               ;   in Loop: Header=BB108_11 Depth=2
	s_bcnt1_i32_b32 s14, s21
	s_mul_i32 s14, s19, s14
	v_mov_b32_e32 v15, s14
	ds_add_rtn_u32 v15, v9, v15 offset:4104
; %bb.16:                               ;   in Loop: Header=BB108_11 Depth=2
	s_or_b32 exec_lo, exec_lo, s20
	s_waitcnt lgkmcnt(0)
	v_readfirstlane_b32 s14, v15
	v_mad_u32_u24 v14, s19, v14, s14
.LBB108_17:                             ;   in Loop: Header=BB108_11 Depth=2
	s_or_b32 exec_lo, exec_lo, s18
	ds_bpermute_b32 v14, v9, v14
	s_and_b32 s14, exec_lo, vcc_lo
	s_or_b32 s17, s14, s17
	s_and_saveexec_b32 s14, s6
	s_cbranch_execz .LBB108_10
; %bb.18:                               ;   in Loop: Header=BB108_11 Depth=2
	v_and_b32_e32 v15, s6, v17
	v_bcnt_u32_b32 v15, v15, 0
	v_lshlrev_b32_e32 v15, 1, v15
	s_waitcnt lgkmcnt(0)
	v_lshl_add_u32 v14, v14, 1, v15
	ds_write_b16 v14, v4
	s_branch .LBB108_10
.LBB108_19:                             ;   in Loop: Header=BB108_6 Depth=1
	s_mov_b32 s16, -1
	s_mov_b32 s6, 0
.LBB108_20:                             ;   in Loop: Header=BB108_6 Depth=1
	s_and_b32 vcc_lo, exec_lo, s16
	s_cbranch_vccz .LBB108_49
.LBB108_21:                             ;   in Loop: Header=BB108_6 Depth=1
	s_and_saveexec_b32 s14, s1
	s_cbranch_execz .LBB108_46
; %bb.22:                               ;   in Loop: Header=BB108_6 Depth=1
	global_load_ushort v1, v9, s[38:39]
	global_load_ushort v40, v[5:6], off
	v_mov_b32_e32 v2, v0
	s_mov_b32 s16, exec_lo
	s_waitcnt vmcnt(1)
	v_add_nc_u32_e32 v13, v0, v1
	v_readfirstlane_b32 s17, v1
	v_cmpx_gt_u32_e64 s36, v13
	s_cbranch_execz .LBB108_45
; %bb.23:                               ;   in Loop: Header=BB108_6 Depth=1
	s_mov_b32 s6, 0
	s_mul_i32 s18, s40, s17
                                        ; implicit-def: $vgpr2
                                        ; implicit-def: $vgpr1
                                        ; implicit-def: $vgpr3
	s_and_saveexec_b32 s19, s7
	s_xor_b32 s19, exec_lo, s19
	s_cbranch_execnz .LBB108_29
; %bb.24:                               ;   in Loop: Header=BB108_6 Depth=1
	s_andn2_saveexec_b32 s19, s19
	s_cbranch_execnz .LBB108_40
.LBB108_25:                             ;   in Loop: Header=BB108_6 Depth=1
	s_or_b32 exec_lo, exec_lo, s19
	s_and_saveexec_b32 s18, s6
	s_cbranch_execnz .LBB108_41
	s_branch .LBB108_44
.LBB108_26:                             ;   in Loop: Header=BB108_6 Depth=1
	s_or_b32 exec_lo, exec_lo, s17
	s_waitcnt lgkmcnt(0)
	s_barrier
	buffer_gl0_inv
	s_and_saveexec_b32 s6, s3
	s_cbranch_execz .LBB108_28
; %bb.27:                               ;   in Loop: Header=BB108_6 Depth=1
	ds_read_b32 v1, v9 offset:4104
	s_waitcnt lgkmcnt(0)
	ds_write_b32 v9, v1 offset:4096
.LBB108_28:                             ;   in Loop: Header=BB108_6 Depth=1
	s_or_b32 exec_lo, exec_lo, s6
	s_waitcnt lgkmcnt(0)
	s_mov_b32 s6, -1
	s_barrier
	s_and_b32 vcc_lo, exec_lo, s16
	s_cbranch_vccnz .LBB108_21
	s_branch .LBB108_49
.LBB108_29:                             ;   in Loop: Header=BB108_6 Depth=1
	v_cvt_f32_u32_e32 v1, s17
	v_add_nc_u32_e32 v2, s17, v13
	s_sub_i32 s6, 0, s17
	s_not_b32 s20, s18
	v_rcp_iflag_f32_e32 v1, v1
	v_max_u32_e32 v2, s36, v2
	v_sub_nc_u32_e32 v2, v2, v0
	v_mul_f32_e32 v1, 0x4f7ffffe, v1
	v_cvt_u32_f32_e32 v1, v1
	v_mul_lo_u32 v3, s6, v1
	s_lshl_b32 s6, s17, 1
	v_cmp_ne_u32_e32 vcc_lo, s6, v2
	v_cndmask_b32_e64 v4, 0, 1, vcc_lo
	v_mul_hi_u32 v3, v1, v3
	v_or_b32_e32 v4, s6, v4
	v_add_nc_u32_e32 v1, v1, v3
	v_sub_nc_u32_e32 v2, v2, v4
	v_mul_hi_u32 v1, v2, v1
	v_mul_lo_u32 v3, v1, s17
	v_sub_nc_u32_e32 v2, v2, v3
	v_add_nc_u32_e32 v3, 1, v1
	v_subrev_nc_u32_e32 v4, s17, v2
	v_cmp_le_u32_e64 s6, s17, v2
	v_cndmask_b32_e64 v1, v1, v3, s6
	v_cndmask_b32_e64 v2, v2, v4, s6
	v_add_nc_u32_e32 v3, 1, v1
	v_cmp_le_u32_e64 s6, s17, v2
	v_mul_lo_u32 v2, s40, v13
	v_cndmask_b32_e64 v1, v1, v3, s6
	s_abs_i32 s6, s18
	v_add_co_ci_u32_e64 v1, null, 0, v1, vcc_lo
	v_mul_hi_u32 v3, s6, v1
	v_mul_lo_u32 v1, s6, v1
	s_ashr_i32 s6, s20, 31
	s_cmp_eq_u32 s17, 1
	v_xor_b32_e32 v2, s6, v2
	s_cselect_b32 s20, -1, 0
	v_cmp_eq_u32_e32 vcc_lo, 0, v3
	v_cmp_le_u32_e64 s6, v1, v2
	v_mov_b32_e32 v1, v0
                                        ; implicit-def: $vgpr2
	s_and_b32 s20, vcc_lo, s20
	s_and_b32 s21, s20, s6
	s_mov_b32 s20, -1
	s_and_saveexec_b32 s6, s21
	s_cbranch_execz .LBB108_39
; %bb.30:                               ;   in Loop: Header=BB108_6 Depth=1
	v_add_nc_u32_e32 v14, 1, v13
	s_waitcnt vmcnt(0)
	v_lshlrev_b32_e32 v1, 16, v40
	v_mov_b32_e32 v8, 0
                                        ; implicit-def: $vgpr40
	v_mov_b32_e32 v16, v14
	v_mov_b32_e32 v15, v13
	s_and_saveexec_b32 s20, s8
	s_cbranch_execz .LBB108_34
; %bb.31:                               ;   in Loop: Header=BB108_6 Depth=1
	v_mov_b32_e32 v16, v14
	v_mov_b32_e32 v41, v26
	;; [unrolled: 1-line block ×4, first 2 shown]
	s_mov_b32 s21, 0
	s_mov_b32 s22, 0
.LBB108_32:                             ;   Parent Loop BB108_6 Depth=1
                                        ; =>  This Inner Loop Header: Depth=2
	v_add_nc_u32_e32 v4, 2, v16
	v_mul_lo_u32 v8, v15, s40
	v_add_nc_u32_e32 v14, 4, v16
	v_mul_lo_u32 v2, v16, s41
	;; [unrolled: 2-line block ×3, first 2 shown]
	v_mov_b32_e32 v3, v9
	v_add_nc_u32_e32 v49, 8, v16
	v_mul_lo_u32 v45, v14, s41
	v_mov_b32_e32 v44, v9
	v_add_nc_u32_e32 v51, 10, v16
	v_mul_lo_u32 v47, v40, s41
	v_lshlrev_b64 v[53:54], 1, v[8:9]
	v_mov_b32_e32 v46, v9
	v_mul_lo_u32 v49, v49, s41
	v_lshlrev_b64 v[2:3], 1, v[2:3]
	v_mov_b32_e32 v48, v9
	;; [unrolled: 3-line block ×3, first 2 shown]
	v_lshlrev_b64 v[45:46], 1, v[45:46]
	v_add_co_u32 v53, vcc_lo, s46, v53
	v_mov_b32_e32 v52, v9
	v_lshlrev_b64 v[47:48], 1, v[47:48]
	v_add_co_ci_u32_e64 v54, null, s47, v54, vcc_lo
	v_add_co_u32 v2, vcc_lo, s46, v2
	v_lshlrev_b64 v[49:50], 1, v[49:50]
	v_add_co_ci_u32_e64 v3, null, s47, v3, vcc_lo
	v_add_co_u32 v43, vcc_lo, s46, v43
	;; [unrolled: 3-line block ×3, first 2 shown]
	v_add_co_ci_u32_e64 v46, null, s47, v46, vcc_lo
	v_add_co_u32 v47, vcc_lo, s46, v47
	v_lshrrev_b32_e32 v1, 16, v1
	v_add_co_ci_u32_e64 v48, null, s47, v48, vcc_lo
	v_add_co_u32 v49, vcc_lo, s46, v49
	v_add_co_ci_u32_e64 v50, null, s47, v50, vcc_lo
	v_add_co_u32 v51, vcc_lo, s46, v51
	v_add_co_ci_u32_e64 v52, null, s47, v52, vcc_lo
	s_clause 0x6
	global_load_short_d16_hi v1, v[53:54], off
	global_load_ushort v2, v[2:3], off
	global_load_ushort v3, v[43:44], off
	;; [unrolled: 1-line block ×6, first 2 shown]
	v_add_nc_u32_e32 v8, 2, v15
	v_add_nc_u32_e32 v46, 12, v16
	;; [unrolled: 1-line block ×4, first 2 shown]
	v_mov_b32_e32 v47, v9
	v_mul_lo_u32 v8, v8, s40
	v_mul_lo_u32 v46, v46, s41
	;; [unrolled: 1-line block ×3, first 2 shown]
	v_mov_b32_e32 v49, v9
	v_add_nc_u32_e32 v40, 6, v15
	v_add_nc_u32_e32 v54, 8, v15
	;; [unrolled: 1-line block ×4, first 2 shown]
	v_lshlrev_b64 v[50:51], 1, v[8:9]
	v_mul_lo_u32 v8, v14, s40
	v_lshlrev_b64 v[46:47], 1, v[46:47]
	v_lshlrev_b64 v[48:49], 1, v[48:49]
	v_add_nc_u32_e32 v60, 14, v15
	v_add_nc_u32_e32 v41, -8, v41
	s_add_i32 s22, s22, 16
	v_add_nc_u32_e32 v16, 16, v16
	v_add_co_u32 v46, vcc_lo, s46, v46
	v_lshlrev_b64 v[52:53], 1, v[8:9]
	v_mul_lo_u32 v8, v40, s40
	v_add_co_ci_u32_e64 v47, null, s47, v47, vcc_lo
	v_add_co_u32 v48, vcc_lo, s46, v48
	v_add_co_ci_u32_e64 v49, null, s47, v49, vcc_lo
	v_add_co_u32 v50, vcc_lo, s46, v50
	v_add_co_ci_u32_e64 v51, null, s47, v51, vcc_lo
	global_load_ushort v14, v[46:47], off
	v_add_co_u32 v46, vcc_lo, s46, v52
	v_add_co_ci_u32_e64 v47, null, s47, v53, vcc_lo
	v_lshlrev_b64 v[52:53], 1, v[8:9]
	v_mul_lo_u32 v8, v54, s40
	v_add_nc_u32_e32 v15, 16, v15
	v_add_co_u32 v52, vcc_lo, s46, v52
	v_add_co_ci_u32_e64 v53, null, s47, v53, vcc_lo
	v_lshlrev_b64 v[54:55], 1, v[8:9]
	v_mul_lo_u32 v8, v56, s40
	v_add_co_u32 v54, vcc_lo, s46, v54
	v_add_co_ci_u32_e64 v55, null, s47, v55, vcc_lo
	v_lshlrev_b64 v[56:57], 1, v[8:9]
	v_mul_lo_u32 v8, v58, s40
	;; [unrolled: 4-line block ×3, first 2 shown]
	v_add_co_u32 v58, vcc_lo, s46, v58
	v_add_co_ci_u32_e64 v59, null, s47, v59, vcc_lo
	v_lshlrev_b64 v[60:61], 1, v[8:9]
	v_mov_b32_e32 v8, s22
	v_add_co_u32 v60, vcc_lo, s46, v60
	v_add_co_ci_u32_e64 v61, null, s47, v61, vcc_lo
	v_cmp_eq_u32_e32 vcc_lo, 0, v41
	s_clause 0x7
	global_load_short_d16_hi v2, v[50:51], off
	global_load_short_d16_hi v3, v[46:47], off
	;; [unrolled: 1-line block ×3, first 2 shown]
	global_load_ushort v47, v[60:61], off
	global_load_short_d16_hi v43, v[54:55], off
	global_load_short_d16_hi v44, v[56:57], off
	;; [unrolled: 1-line block ×3, first 2 shown]
	global_load_ushort v40, v[48:49], off
	s_or_b32 s21, vcc_lo, s21
	s_waitcnt vmcnt(5)
	ds_write_b128 v42, v[1:4]
	s_waitcnt vmcnt(4)
	v_perm_b32 v46, v47, v14, 0x5040100
	s_waitcnt vmcnt(0)
	v_perm_b32 v1, v40, v47, 0x5040100
	ds_write_b128 v42, v[43:46] offset:16
	v_add_nc_u32_e32 v42, 32, v42
	s_andn2_b32 exec_lo, exec_lo, s21
	s_cbranch_execnz .LBB108_32
; %bb.33:                               ;   in Loop: Header=BB108_6 Depth=1
	s_or_b32 exec_lo, exec_lo, s21
.LBB108_34:                             ;   in Loop: Header=BB108_6 Depth=1
	s_or_b32 exec_lo, exec_lo, s20
	s_and_saveexec_b32 s20, s9
	s_cbranch_execz .LBB108_38
; %bb.35:                               ;   in Loop: Header=BB108_6 Depth=1
	v_lshl_add_u32 v2, v8, 1, v20
	v_mov_b32_e32 v3, v28
	s_mov_b32 s21, 0
	s_inst_prefetch 0x1
	.p2align	6
.LBB108_36:                             ;   Parent Loop BB108_6 Depth=1
                                        ; =>  This Inner Loop Header: Depth=2
	v_mul_lo_u32 v8, v15, s40
	v_mul_lo_u32 v40, v16, s41
	v_mov_b32_e32 v41, v9
	v_add_nc_u32_e32 v3, -4, v3
	v_add_nc_u32_e32 v16, 2, v16
	v_add_nc_u32_e32 v15, 2, v15
	v_lshlrev_b64 v[42:43], 1, v[8:9]
	v_lshlrev_b64 v[40:41], 1, v[40:41]
	v_add_co_u32 v42, vcc_lo, s46, v42
	v_add_co_ci_u32_e64 v43, null, s47, v43, vcc_lo
	v_add_co_u32 v40, vcc_lo, s46, v40
	v_add_co_ci_u32_e64 v41, null, s47, v41, vcc_lo
	s_clause 0x1
	global_load_ushort v4, v[42:43], off
	global_load_ushort v40, v[40:41], off
	v_cmp_eq_u32_e32 vcc_lo, 0, v3
	s_or_b32 s21, vcc_lo, s21
	s_waitcnt vmcnt(1)
	v_alignbit_b32 v1, v4, v1, 16
	s_waitcnt vmcnt(0)
	v_perm_b32 v4, v40, v4, 0x5040100
	ds_write_b32 v2, v1
	v_add_nc_u32_e32 v2, 4, v2
	v_mov_b32_e32 v1, v4
	s_andn2_b32 exec_lo, exec_lo, s21
	s_cbranch_execnz .LBB108_36
; %bb.37:                               ;   in Loop: Header=BB108_6 Depth=1
	s_inst_prefetch 0x2
	s_or_b32 exec_lo, exec_lo, s21
.LBB108_38:                             ;   in Loop: Header=BB108_6 Depth=1
	s_or_b32 exec_lo, exec_lo, s20
	v_add_nc_u32_e32 v13, v13, v23
	v_mov_b32_e32 v1, v24
	s_orn2_b32 s20, s10, exec_lo
	v_add_nc_u32_e32 v2, -1, v13
.LBB108_39:                             ;   in Loop: Header=BB108_6 Depth=1
	s_or_b32 exec_lo, exec_lo, s6
	v_mov_b32_e32 v3, s18
	s_and_b32 s6, s20, exec_lo
	s_andn2_saveexec_b32 s19, s19
	s_cbranch_execz .LBB108_25
.LBB108_40:                             ;   in Loop: Header=BB108_6 Depth=1
	v_mov_b32_e32 v3, s18
	v_mov_b32_e32 v1, v0
	s_or_b32 s6, s6, exec_lo
	s_or_b32 exec_lo, exec_lo, s19
	s_and_saveexec_b32 s18, s6
	s_cbranch_execz .LBB108_44
.LBB108_41:                             ;   in Loop: Header=BB108_6 Depth=1
	v_mul_lo_u32 v8, s40, v13
	s_mov_b32 s19, 0
	s_sub_i32 s6, 0, s17
	.p2align	6
.LBB108_42:                             ;   Parent Loop BB108_6 Depth=1
                                        ; =>  This Inner Loop Header: Depth=2
	v_lshlrev_b64 v[14:15], 1, v[8:9]
	s_waitcnt vmcnt(0)
	v_mov_b32_e32 v2, v40
	v_mov_b32_e32 v4, v13
	v_add_nc_u32_e32 v8, v8, v3
	v_add_co_u32 v14, vcc_lo, s46, v14
	v_add_co_ci_u32_e64 v15, null, s47, v15, vcc_lo
	v_add_nc_u32_e32 v13, s17, v4
	global_load_ushort v40, v[14:15], off
	v_lshlrev_b32_e32 v14, 1, v1
	v_cmp_le_u32_e32 vcc_lo, s36, v13
	v_mov_b32_e32 v1, v4
	ds_write_b16 v14, v2
	s_or_b32 s19, vcc_lo, s19
	s_andn2_b32 exec_lo, exec_lo, s19
	s_cbranch_execnz .LBB108_42
; %bb.43:                               ;   in Loop: Header=BB108_6 Depth=1
	s_or_b32 exec_lo, exec_lo, s19
	v_add_nc_u32_e32 v2, s6, v13
.LBB108_44:                             ;   in Loop: Header=BB108_6 Depth=1
	s_or_b32 exec_lo, exec_lo, s18
.LBB108_45:                             ;   in Loop: Header=BB108_6 Depth=1
	s_or_b32 exec_lo, exec_lo, s16
	v_lshlrev_b32_e32 v1, 1, v2
	s_waitcnt vmcnt(0)
	ds_write_b16 v1, v40
.LBB108_46:                             ;   in Loop: Header=BB108_6 Depth=1
	s_or_b32 exec_lo, exec_lo, s14
	s_waitcnt lgkmcnt(0)
	s_barrier
	buffer_gl0_inv
	s_and_saveexec_b32 s6, s3
; %bb.47:                               ;   in Loop: Header=BB108_6 Depth=1
	v_mov_b32_e32 v1, s36
	ds_write_b32 v9, v1 offset:4096
; %bb.48:                               ;   in Loop: Header=BB108_6 Depth=1
	s_or_b32 exec_lo, exec_lo, s6
	s_mov_b32 s6, -1
	s_waitcnt lgkmcnt(0)
	s_barrier
.LBB108_49:                             ;   in Loop: Header=BB108_6 Depth=1
	s_and_b32 vcc_lo, exec_lo, s6
	s_mov_b32 s83, 0
	s_cbranch_vccz .LBB108_51
; %bb.50:                               ;   in Loop: Header=BB108_6 Depth=1
	buffer_gl0_inv
	ds_read_b32 v1, v9 offset:4096
	s_waitcnt lgkmcnt(0)
	v_readfirstlane_b32 s83, v1
.LBB108_51:                             ;   in Loop: Header=BB108_6 Depth=1
	s_cmp_lt_i32 s83, 1
	s_mov_b32 s6, -1
                                        ; implicit-def: $vgpr1
	s_cbranch_scc1 .LBB108_61
; %bb.52:                               ;   in Loop: Header=BB108_6 Depth=1
	s_and_b32 vcc_lo, exec_lo, s6
	s_cbranch_vccnz .LBB108_72
.LBB108_53:                             ;   in Loop: Header=BB108_6 Depth=1
	s_lshl_b32 s6, s72, 7
	s_and_saveexec_b32 s14, s0
.LBB108_54:                             ;   in Loop: Header=BB108_6 Depth=1
	v_lshl_add_u32 v8, s6, 2, v22
	ds_write_b128 v8, v[1:4]
.LBB108_55:                             ;   in Loop: Header=BB108_6 Depth=1
	s_or_b32 exec_lo, exec_lo, s14
	s_waitcnt lgkmcnt(0)
	s_barrier
	buffer_gl0_inv
	s_and_saveexec_b32 s14, s56
	s_cbranch_execz .LBB108_85
; %bb.56:                               ;   in Loop: Header=BB108_6 Depth=1
	v_mov_b32_e32 v1, 0
	s_andn2_b32 vcc_lo, exec_lo, s58
	s_cbranch_vccnz .LBB108_84
; %bb.57:                               ;   in Loop: Header=BB108_6 Depth=1
	s_andn2_b32 vcc_lo, exec_lo, s61
	s_cbranch_vccnz .LBB108_81
; %bb.58:                               ;   in Loop: Header=BB108_6 Depth=1
	v_lshl_add_u32 v2, s72, 9, v34
	v_mov_b32_e32 v1, 0
	s_mov_b32 s16, 0
	.p2align	6
.LBB108_59:                             ;   Parent Loop BB108_6 Depth=1
                                        ; =>  This Inner Loop Header: Depth=2
	ds_read2_b32 v[3:4], v2 offset1:4
	ds_read2_b32 v[13:14], v2 offset0:8 offset1:12
	ds_read2_b32 v[15:16], v2 offset0:16 offset1:20
	;; [unrolled: 1-line block ×3, first 2 shown]
	v_add_nc_u32_e32 v2, 0x80, v2
	s_add_i32 s16, s16, 8
	s_cmp_eq_u32 s55, s16
	s_waitcnt lgkmcnt(3)
	v_add3_u32 v1, v3, v1, v4
	s_waitcnt lgkmcnt(2)
	v_add3_u32 v1, v13, v1, v14
	;; [unrolled: 2-line block ×4, first 2 shown]
	s_cbranch_scc0 .LBB108_59
; %bb.60:                               ;   in Loop: Header=BB108_6 Depth=1
	s_mov_b32 s16, s55
	s_andn2_b32 vcc_lo, exec_lo, s62
	s_cbranch_vccz .LBB108_82
	s_branch .LBB108_84
.LBB108_61:                             ;   in Loop: Header=BB108_6 Depth=1
	v_mov_b32_e32 v1, 0
	v_mov_b32_e32 v2, 0
	;; [unrolled: 1-line block ×4, first 2 shown]
	s_and_saveexec_b32 s25, s11
	s_cbranch_execz .LBB108_65
; %bb.62:                               ;   in Loop: Header=BB108_6 Depth=1
	v_mov_b32_e32 v13, v18
	s_mov_b32 s26, 0
	s_mov_b32 s27, 0
	;; [unrolled: 1-line block ×6, first 2 shown]
.LBB108_63:                             ;   Parent Loop BB108_6 Depth=1
                                        ; =>  This Inner Loop Header: Depth=2
	v_add_nc_u32_e32 v8, s27, v31
	v_add_nc_u32_e32 v13, s54, v13
	v_lshlrev_b64 v[1:2], 1, v[8:9]
	v_add_nc_u32_e32 v8, s27, v12
	v_lshlrev_b64 v[3:4], 1, v[8:9]
	v_add_nc_u32_e32 v8, s27, v29
	v_add_co_u32 v1, vcc_lo, s46, v1
	v_add_co_ci_u32_e64 v2, null, s47, v2, vcc_lo
	v_lshlrev_b64 v[14:15], 1, v[8:9]
	v_add_nc_u32_e32 v8, s27, v30
	s_add_i32 s27, s27, s67
	global_load_ushort v16, v[1:2], off
	v_add_co_u32 v1, vcc_lo, s46, v3
	v_add_co_ci_u32_e64 v2, null, s47, v4, vcc_lo
	v_add_co_u32 v14, vcc_lo, s46, v14
	v_add_co_ci_u32_e64 v15, null, s47, v15, vcc_lo
	v_lshlrev_b64 v[3:4], 1, v[8:9]
	s_clause 0x1
	global_load_ushort v8, v[1:2], off
	global_load_ushort v14, v[14:15], off
	v_add_co_u32 v1, vcc_lo, s46, v3
	v_add_co_ci_u32_e64 v2, null, s47, v4, vcc_lo
	v_cmp_le_u32_e32 vcc_lo, s64, v13
	global_load_ushort v1, v[1:2], off
	s_waitcnt vmcnt(3)
	v_cmp_lt_i16_e64 s6, -1, v16
	v_lshlrev_b32_e32 v3, 16, v16
	v_cndmask_b32_e64 v2, 0xffff, v35, s6
	s_waitcnt vmcnt(2)
	v_cmp_lt_i16_e64 s6, -1, v8
	v_xor_b32_sdwa v2, v2, v16 dst_sel:DWORD dst_unused:UNUSED_PAD src0_sel:DWORD src1_sel:WORD_0
	s_waitcnt vmcnt(1)
	v_cmp_lt_i16_e64 s14, -1, v14
	v_lshlrev_b32_e32 v15, 16, v14
	v_cndmask_b32_e64 v4, 0xffff, v35, s6
	v_cmp_o_f32_e64 s6, v3, v3
	v_lshlrev_b32_e32 v3, 16, v8
	v_xor_b32_sdwa v4, v4, v8 dst_sel:DWORD dst_unused:UNUSED_PAD src0_sel:DWORD src1_sel:WORD_0
	v_cndmask_b32_e64 v2, 0xffff, v2, s6
	v_cmp_o_f32_e64 s6, v3, v3
	v_cndmask_b32_e64 v8, 0xffff, v35, s14
	v_and_b32_e32 v16, v2, v37
	v_cndmask_b32_e64 v3, 0xffff, v4, s6
	s_waitcnt vmcnt(0)
	v_cmp_lt_i16_e64 s6, -1, v1
	v_xor_b32_sdwa v4, v8, v14 dst_sel:DWORD dst_unused:UNUSED_PAD src0_sel:DWORD src1_sel:WORD_0
	v_bfe_u32 v2, v2, s76, 2
	v_lshlrev_b32_e32 v14, 16, v1
	v_cndmask_b32_e64 v8, 0xffff, v35, s6
	v_cmp_o_f32_e64 s6, v15, v15
	v_cmp_eq_u32_e64 s14, 0, v2
	v_cmp_eq_u32_e64 s16, 1, v2
	v_cmp_o_f32_e64 s19, v14, v14
	v_xor_b32_sdwa v1, v8, v1 dst_sel:DWORD dst_unused:UNUSED_PAD src0_sel:DWORD src1_sel:WORD_0
	v_cndmask_b32_e64 v4, 0xffff, v4, s6
	v_cmp_eq_u32_e64 s6, v16, v27
	v_and_b32_e32 v8, v3, v37
	v_bfe_u32 v3, v3, s76, 2
	v_cmp_eq_u32_e64 s17, 2, v2
	v_cmp_eq_u32_e64 s18, 3, v2
	s_and_b32 s14, s6, s14
	v_cndmask_b32_e64 v1, 0xffff, v1, s19
	v_cmp_eq_u32_e64 s19, v8, v27
	v_cmp_eq_u32_e64 s20, 0, v3
	v_cndmask_b32_e64 v8, 0, 1, s14
	v_cmp_eq_u32_e64 s14, 1, v3
	s_and_b32 s16, s6, s16
	v_and_b32_e32 v2, v4, v37
	v_bfe_u32 v4, v4, s76, 2
	v_cndmask_b32_e64 v14, 0, 1, s16
	v_cmp_eq_u32_e64 s16, 2, v3
	s_and_b32 s17, s6, s17
	s_and_b32 s6, s6, s18
	v_cndmask_b32_e64 v15, 0, 1, s17
	s_and_b32 s20, s19, s20
	s_and_b32 s14, s19, s14
	v_cmp_eq_u32_e64 s17, 3, v3
	v_cndmask_b32_e64 v3, 0, 1, s6
	v_cmp_eq_u32_e64 s6, v2, v27
	v_cmp_eq_u32_e64 s18, 0, v4
	v_cmp_ne_u32_e64 s21, 0, v8
	v_cndmask_b32_e64 v8, 0, 1, s20
	v_cmp_eq_u32_e64 s20, 1, v4
	v_cmp_ne_u32_e64 s22, 0, v14
	v_cndmask_b32_e64 v14, 0, 1, s14
	v_cmp_eq_u32_e64 s14, 2, v4
	s_and_b32 s16, s19, s16
	v_and_b32_e32 v2, v1, v37
	v_bfe_u32 v1, v1, s76, 2
	v_cmp_ne_u32_e64 s23, 0, v15
	v_cndmask_b32_e64 v15, 0, 1, s16
	v_cmp_eq_u32_e64 s16, 3, v4
	s_and_b32 s17, s19, s17
	s_and_b32 s18, s6, s18
	;; [unrolled: 1-line block ×4, first 2 shown]
	v_cmp_ne_u32_e64 s24, 0, v3
	v_cndmask_b32_e64 v3, 0, 1, s17
	v_cmp_eq_u32_e64 s17, v2, v27
	v_cmp_eq_u32_e64 s19, 0, v1
	s_bcnt1_i32_b32 s33, s21
	v_cmp_ne_u32_e64 s21, 0, v8
	v_cndmask_b32_e64 v2, 0, 1, s18
	v_cmp_eq_u32_e64 s18, 1, v1
	v_cndmask_b32_e64 v4, 0, 1, s20
	v_cmp_eq_u32_e64 s20, 2, v1
	;; [unrolled: 2-line block ×3, first 2 shown]
	s_and_b32 s6, s6, s16
	s_bcnt1_i32_b32 s85, s24
	v_cndmask_b32_e64 v1, 0, 1, s6
	v_cmp_ne_u32_e64 s24, 0, v3
	s_and_b32 s16, s17, s19
	s_and_b32 s18, s17, s18
	;; [unrolled: 1-line block ×4, first 2 shown]
	v_cmp_ne_u32_e64 s6, 0, v2
	v_cndmask_b32_e64 v2, 0, 1, s16
	v_cmp_ne_u32_e64 s16, 0, v4
	v_cndmask_b32_e64 v3, 0, 1, s18
	v_cndmask_b32_e64 v4, 0, 1, s19
	v_cmp_ne_u32_e64 s19, 0, v1
	v_cndmask_b32_e64 v1, 0, 1, s14
	s_bcnt1_i32_b32 s34, s22
	v_cmp_ne_u32_e64 s22, 0, v14
	s_bcnt1_i32_b32 s84, s23
	v_cmp_ne_u32_e64 s23, 0, v15
	s_add_i32 s28, s85, s28
	v_cmp_ne_u32_e64 s18, 0, v8
	s_bcnt1_i32_b32 s20, s24
	s_bcnt1_i32_b32 s24, s6
	s_add_i32 s20, s28, s20
	v_cmp_ne_u32_e64 s6, 0, v2
	s_bcnt1_i32_b32 s28, s16
	v_cmp_ne_u32_e64 s14, 0, v3
	v_cmp_ne_u32_e64 s16, 0, v4
	;; [unrolled: 1-line block ×3, first 2 shown]
	s_add_i32 s31, s33, s31
	s_add_i32 s30, s34, s30
	;; [unrolled: 1-line block ×3, first 2 shown]
	s_bcnt1_i32_b32 s21, s21
	s_bcnt1_i32_b32 s22, s22
	;; [unrolled: 1-line block ×3, first 2 shown]
	s_add_i32 s21, s31, s21
	s_add_i32 s22, s30, s22
	;; [unrolled: 1-line block ×3, first 2 shown]
	s_bcnt1_i32_b32 s18, s18
	s_bcnt1_i32_b32 s19, s19
	s_add_i32 s21, s21, s24
	s_add_i32 s22, s22, s28
	;; [unrolled: 1-line block ×4, first 2 shown]
	s_bcnt1_i32_b32 s6, s6
	s_bcnt1_i32_b32 s14, s14
	;; [unrolled: 1-line block ×4, first 2 shown]
	s_add_i32 s31, s21, s6
	s_add_i32 s30, s22, s14
	;; [unrolled: 1-line block ×4, first 2 shown]
	v_mov_b32_e32 v1, s31
	v_mov_b32_e32 v2, s30
	;; [unrolled: 1-line block ×4, first 2 shown]
	s_or_b32 s26, vcc_lo, s26
	s_andn2_b32 exec_lo, exec_lo, s26
	s_cbranch_execnz .LBB108_63
; %bb.64:                               ;   in Loop: Header=BB108_6 Depth=1
	s_or_b32 exec_lo, exec_lo, s26
.LBB108_65:                             ;   in Loop: Header=BB108_6 Depth=1
	s_or_b32 exec_lo, exec_lo, s25
	s_and_saveexec_b32 s18, s12
	s_cbranch_execz .LBB108_71
; %bb.66:                               ;   in Loop: Header=BB108_6 Depth=1
	global_load_ushort v15, v[10:11], off
	v_mov_b32_e32 v8, v32
	v_mov_b32_e32 v13, v25
	s_mov_b32 s19, 0
	s_branch .LBB108_68
.LBB108_67:                             ;   in Loop: Header=BB108_68 Depth=2
	s_or_b32 exec_lo, exec_lo, s14
	s_waitcnt vmcnt(0)
	v_cmp_lt_i16_e64 s6, -1, v15
	v_lshlrev_b32_e32 v40, 16, v15
	s_and_b32 s14, exec_lo, vcc_lo
	v_add_nc_u32_e32 v8, s49, v8
	s_or_b32 s19, s14, s19
	v_cndmask_b32_e64 v16, 0xffff, v35, s6
	v_cmp_o_f32_e64 s6, v40, v40
	v_xor_b32_sdwa v15, v16, v15 dst_sel:DWORD dst_unused:UNUSED_PAD src0_sel:DWORD src1_sel:WORD_0
	v_cndmask_b32_e64 v15, 0xffff, v15, s6
	v_and_b32_e32 v16, v15, v37
	v_bfe_u32 v15, v15, s76, 2
	v_cmp_eq_u32_e32 vcc_lo, v16, v27
	v_cmp_eq_u32_e64 s6, 0, v15
	v_cmp_eq_u32_e64 s14, 1, v15
	v_cmp_eq_u32_e64 s16, 2, v15
	v_cmp_eq_u32_e64 s17, 3, v15
	s_and_b32 s6, vcc_lo, s6
	v_cndmask_b32_e64 v15, 0, 1, s6
	s_and_b32 s6, vcc_lo, s14
	v_cndmask_b32_e64 v16, 0, 1, s6
	;; [unrolled: 2-line block ×3, first 2 shown]
	s_and_b32 s6, vcc_lo, s17
	v_cmp_ne_u32_e32 vcc_lo, 0, v15
	v_cndmask_b32_e64 v41, 0, 1, s6
	v_cmp_ne_u32_e64 s6, 0, v16
	v_cmp_ne_u32_e64 s14, 0, v40
	v_mov_b32_e32 v15, v14
	s_bcnt1_i32_b32 s17, vcc_lo
	v_cmp_ne_u32_e64 s16, 0, v41
	s_bcnt1_i32_b32 s6, s6
	s_bcnt1_i32_b32 s14, s14
	v_add_nc_u32_e32 v1, s17, v1
	v_add_nc_u32_e32 v2, s6, v2
	s_bcnt1_i32_b32 s16, s16
	v_add_nc_u32_e32 v3, s14, v3
	v_add_nc_u32_e32 v4, s16, v4
	s_andn2_b32 exec_lo, exec_lo, s19
	s_cbranch_execz .LBB108_70
.LBB108_68:                             ;   Parent Loop BB108_6 Depth=1
                                        ; =>  This Inner Loop Header: Depth=2
	v_add_nc_u32_e32 v13, s48, v13
	v_mov_b32_e32 v14, 0
	s_mov_b32 s14, exec_lo
	v_cmp_le_u32_e32 vcc_lo, s36, v13
	v_cmpx_gt_u32_e64 s36, v13
	s_cbranch_execz .LBB108_67
; %bb.69:                               ;   in Loop: Header=BB108_68 Depth=2
	v_lshlrev_b64 v[40:41], 1, v[8:9]
	v_add_co_u32 v40, s6, s46, v40
	v_add_co_ci_u32_e64 v41, null, s47, v41, s6
	global_load_ushort v14, v[40:41], off
	s_branch .LBB108_67
.LBB108_70:                             ;   in Loop: Header=BB108_6 Depth=1
	s_or_b32 exec_lo, exec_lo, s19
.LBB108_71:                             ;   in Loop: Header=BB108_6 Depth=1
	s_or_b32 exec_lo, exec_lo, s18
	s_branch .LBB108_53
.LBB108_72:                             ;   in Loop: Header=BB108_6 Depth=1
	s_mul_hi_u32 s6, s83, s63
	v_mov_b32_e32 v1, 0
	s_mul_i32 s6, s6, s54
	v_mov_b32_e32 v2, 0
	s_sub_i32 s6, s83, s6
	v_mov_b32_e32 v3, 0
	s_sub_i32 s14, s6, s54
	s_cmp_ge_u32 s6, s54
	v_mov_b32_e32 v4, 0
	s_cselect_b32 s6, s14, s6
	s_mov_b32 s85, exec_lo
	s_sub_i32 s14, s6, s54
	s_cmp_ge_u32 s6, s54
	s_cselect_b32 s6, s14, s6
	s_sub_i32 s84, s83, s6
	v_cmpx_gt_u32_e64 s84, v18
	s_cbranch_execz .LBB108_76
; %bb.73:                               ;   in Loop: Header=BB108_6 Depth=1
	v_mov_b32_e32 v8, v33
	v_mov_b32_e32 v13, v18
	s_mov_b32 s86, 0
	s_mov_b32 s87, 0
	;; [unrolled: 1-line block ×5, first 2 shown]
.LBB108_74:                             ;   Parent Loop BB108_6 Depth=1
                                        ; =>  This Inner Loop Header: Depth=2
	ds_read_b64 v[1:2], v8
	v_add_nc_u32_e32 v13, s54, v13
	v_add_nc_u32_e32 v8, s68, v8
	v_cmp_le_u32_e32 vcc_lo, s84, v13
	s_waitcnt lgkmcnt(0)
	v_cmp_lt_i16_e64 s6, -1, v1
	v_lshlrev_b32_e32 v4, 16, v1
	v_and_b32_e32 v15, 0xffff0000, v1
	v_lshlrev_b32_e32 v40, 16, v2
	v_and_b32_e32 v42, 0xffff0000, v2
	v_cndmask_b32_e64 v3, 0xffff, v35, s6
	v_cmp_gt_i16_sdwa s6, v1, v36 src0_sel:WORD_1 src1_sel:DWORD
	v_cmp_o_f32_e64 s17, v4, v4
	v_cmp_o_f32_e64 s14, v40, v40
	;; [unrolled: 1-line block ×3, first 2 shown]
	v_xor_b32_sdwa v3, v3, v1 dst_sel:DWORD dst_unused:UNUSED_PAD src0_sel:DWORD src1_sel:WORD_0
	v_cndmask_b32_e64 v14, 0xffff, v35, s6
	v_cmp_lt_i16_e64 s6, -1, v2
	v_cndmask_b32_e64 v3, 0xffff, v3, s17
	v_xor_b32_sdwa v1, v14, v1 dst_sel:DWORD dst_unused:UNUSED_PAD src0_sel:DWORD src1_sel:WORD_1
	v_cndmask_b32_e64 v16, 0xffff, v35, s6
	v_cmp_gt_i16_sdwa s6, v2, v36 src0_sel:WORD_1 src1_sel:DWORD
	v_xor_b32_sdwa v14, v16, v2 dst_sel:DWORD dst_unused:UNUSED_PAD src0_sel:DWORD src1_sel:WORD_0
	v_cndmask_b32_e64 v41, 0xffff, v35, s6
	v_cmp_o_f32_e64 s6, v15, v15
	v_cndmask_b32_e64 v4, 0xffff, v14, s14
	v_xor_b32_sdwa v2, v41, v2 dst_sel:DWORD dst_unused:UNUSED_PAD src0_sel:DWORD src1_sel:WORD_1
	v_cndmask_b32_e64 v1, 0xffff, v1, s6
	v_and_b32_e32 v14, v3, v37
	v_bfe_u32 v3, v3, s76, 2
	v_and_b32_e32 v16, v4, v37
	v_cndmask_b32_e64 v2, 0xffff, v2, s16
	v_and_b32_e32 v15, v1, v37
	v_bfe_u32 v1, v1, s76, 2
	v_bfe_u32 v4, v4, s76, 2
	v_cmp_eq_u32_e64 s6, v14, v27
	v_cmp_eq_u32_e64 s18, 0, v3
	v_and_b32_e32 v40, v2, v37
	v_bfe_u32 v2, v2, s76, 2
	v_cmp_eq_u32_e64 s14, v15, v27
	v_cmp_eq_u32_e64 s19, 0, v1
	v_cmp_eq_u32_e64 s16, v16, v27
	v_cmp_eq_u32_e64 s20, 0, v4
	s_and_b32 s18, s6, s18
	v_cmp_eq_u32_e64 s17, v40, v27
	v_cmp_eq_u32_e64 s21, 0, v2
	;; [unrolled: 1-line block ×5, first 2 shown]
	v_cndmask_b32_e64 v1, 0, 1, s18
	s_and_b32 s18, s14, s19
	v_cmp_eq_u32_e64 s22, 1, v3
	v_cmp_eq_u32_e64 s25, 1, v2
	;; [unrolled: 1-line block ×4, first 2 shown]
	v_cndmask_b32_e64 v2, 0, 1, s18
	s_and_b32 s18, s16, s20
	v_cmp_eq_u32_e64 s26, 2, v3
	v_cmp_eq_u32_e64 s30, 3, v3
	v_cndmask_b32_e64 v3, 0, 1, s18
	s_and_b32 s18, s17, s21
	v_cmp_eq_u32_e64 s24, 1, v4
	v_cmp_eq_u32_e64 s28, 2, v4
	;; [unrolled: 1-line block ×3, first 2 shown]
	v_cndmask_b32_e64 v4, 0, 1, s18
	s_and_b32 s18, s6, s22
	v_cndmask_b32_e64 v14, 0, 1, s18
	s_and_b32 s18, s14, s23
	;; [unrolled: 2-line block ×4, first 2 shown]
	v_cmp_ne_u32_e64 s19, 0, v15
	v_cndmask_b32_e64 v40, 0, 1, s18
	s_and_b32 s18, s6, s26
	s_and_b32 s6, s6, s30
	v_cndmask_b32_e64 v41, 0, 1, s18
	s_and_b32 s18, s14, s27
	v_cndmask_b32_e64 v45, 0, 1, s6
	;; [unrolled: 2-line block ×7, first 2 shown]
	v_cndmask_b32_e64 v48, 0, 1, s6
	v_cmp_ne_u32_e64 s6, 0, v1
	v_cmp_ne_u32_e64 s18, 0, v14
	;; [unrolled: 1-line block ×11, first 2 shown]
	s_bcnt1_i32_b32 s6, s6
	s_bcnt1_i32_b32 s18, s18
	;; [unrolled: 1-line block ×4, first 2 shown]
	v_cmp_ne_u32_e64 s17, 0, v4
	v_cmp_ne_u32_e64 s21, 0, v40
	v_cmp_ne_u32_e64 s25, 0, v44
	v_cmp_ne_u32_e64 s29, 0, v48
	s_bcnt1_i32_b32 s14, s14
	s_bcnt1_i32_b32 s19, s19
	s_bcnt1_i32_b32 s23, s23
	s_bcnt1_i32_b32 s27, s27
	s_add_i32 s6, s6, s90
	s_add_i32 s18, s18, s89
	s_add_i32 s22, s22, s88
	s_add_i32 s26, s26, s87
	s_bcnt1_i32_b32 s16, s16
	s_bcnt1_i32_b32 s20, s20
	s_bcnt1_i32_b32 s24, s24
	s_bcnt1_i32_b32 s28, s28
	s_add_i32 s6, s6, s14
	s_add_i32 s14, s18, s19
	s_add_i32 s18, s22, s23
	s_add_i32 s19, s26, s27
	;; [unrolled: 8-line block ×3, first 2 shown]
	s_add_i32 s90, s6, s17
	s_add_i32 s89, s14, s21
	;; [unrolled: 1-line block ×4, first 2 shown]
	v_mov_b32_e32 v1, s90
	v_mov_b32_e32 v2, s89
	;; [unrolled: 1-line block ×4, first 2 shown]
	s_or_b32 s86, vcc_lo, s86
	s_andn2_b32 exec_lo, exec_lo, s86
	s_cbranch_execnz .LBB108_74
; %bb.75:                               ;   in Loop: Header=BB108_6 Depth=1
	s_or_b32 exec_lo, exec_lo, s86
.LBB108_76:                             ;   in Loop: Header=BB108_6 Depth=1
	s_or_b32 exec_lo, exec_lo, s85
	v_add_nc_u32_e32 v8, s84, v0
	s_mov_b32 s19, exec_lo
	v_cmpx_gt_u32_e64 s83, v8
	s_cbranch_execz .LBB108_80
; %bb.77:                               ;   in Loop: Header=BB108_6 Depth=1
	v_lshlrev_b32_e32 v13, 1, v8
	s_mov_b32 s20, 0
.LBB108_78:                             ;   Parent Loop BB108_6 Depth=1
                                        ; =>  This Inner Loop Header: Depth=2
	ds_read_u16 v14, v13
	v_add_nc_u32_e32 v8, s48, v8
	v_add_nc_u32_e32 v13, s69, v13
	v_cmp_le_u32_e32 vcc_lo, s83, v8
	s_waitcnt lgkmcnt(0)
	v_cmp_lt_i16_e64 s6, -1, v14
	v_lshlrev_b32_e32 v16, 16, v14
	v_cndmask_b32_e64 v15, 0xffff, v35, s6
	v_cmp_o_f32_e64 s6, v16, v16
	v_xor_b32_sdwa v14, v15, v14 dst_sel:DWORD dst_unused:UNUSED_PAD src0_sel:DWORD src1_sel:WORD_0
	v_cndmask_b32_e64 v14, 0xffff, v14, s6
	v_and_b32_e32 v15, v14, v37
	v_bfe_u32 v14, v14, s76, 2
	v_cmp_eq_u32_e64 s6, v15, v27
	v_cmp_eq_u32_e64 s14, 0, v14
	;; [unrolled: 1-line block ×5, first 2 shown]
	s_and_b32 s14, s6, s14
	v_cndmask_b32_e64 v14, 0, 1, s14
	s_and_b32 s14, s6, s16
	v_cndmask_b32_e64 v15, 0, 1, s14
	s_and_b32 s14, s6, s17
	s_and_b32 s6, s6, s18
	v_cndmask_b32_e64 v16, 0, 1, s14
	v_cndmask_b32_e64 v40, 0, 1, s6
	v_cmp_ne_u32_e64 s6, 0, v14
	v_cmp_ne_u32_e64 s14, 0, v15
	;; [unrolled: 1-line block ×4, first 2 shown]
	s_bcnt1_i32_b32 s6, s6
	s_bcnt1_i32_b32 s14, s14
	v_add_nc_u32_e32 v1, s6, v1
	s_bcnt1_i32_b32 s16, s16
	s_bcnt1_i32_b32 s17, s17
	v_add_nc_u32_e32 v2, s14, v2
	v_add_nc_u32_e32 v3, s16, v3
	;; [unrolled: 1-line block ×3, first 2 shown]
	s_or_b32 s20, vcc_lo, s20
	s_andn2_b32 exec_lo, exec_lo, s20
	s_cbranch_execnz .LBB108_78
; %bb.79:                               ;   in Loop: Header=BB108_6 Depth=1
	s_or_b32 exec_lo, exec_lo, s20
.LBB108_80:                             ;   in Loop: Header=BB108_6 Depth=1
	s_or_b32 exec_lo, exec_lo, s19
	s_lshl_b32 s6, s72, 7
	s_and_saveexec_b32 s14, s0
	s_cbranch_execnz .LBB108_54
	s_branch .LBB108_55
.LBB108_81:                             ;   in Loop: Header=BB108_6 Depth=1
	v_mov_b32_e32 v1, 0
	s_mov_b32 s16, 0
	s_andn2_b32 vcc_lo, exec_lo, s62
	s_cbranch_vccnz .LBB108_84
.LBB108_82:                             ;   in Loop: Header=BB108_6 Depth=1
	s_lshl_b32 s17, s72, 9
	s_lshl_b32 s16, s16, 4
	v_add3_u32 v2, s17, s16, v34
	s_mov_b32 s16, s60
.LBB108_83:                             ;   Parent Loop BB108_6 Depth=1
                                        ; =>  This Inner Loop Header: Depth=2
	ds_read_b32 v3, v2
	v_add_nc_u32_e32 v2, 16, v2
	s_add_i32 s16, s16, -1
	s_cmp_lg_u32 s16, 0
	s_waitcnt lgkmcnt(0)
	v_add_nc_u32_e32 v1, v3, v1
	s_cbranch_scc1 .LBB108_83
.LBB108_84:                             ;   in Loop: Header=BB108_6 Depth=1
	v_add_lshl_u32 v2, s6, v19, 2
	ds_write_b32 v2, v1 offset:3072
.LBB108_85:                             ;   in Loop: Header=BB108_6 Depth=1
	s_or_b32 exec_lo, exec_lo, s14
	s_lshl_b32 s6, s6, 2
	s_waitcnt lgkmcnt(0)
	v_mov_b32_e32 v1, s6
	s_barrier
	buffer_gl0_inv
	v_cmp_eq_u32_e64 s14, 1, v39
	s_lshl_b32 s18, 3, s76
	ds_read_b128 v[1:4], v1 offset:3072
	s_mov_b32 s27, -1
	s_not_b32 s19, s18
	s_mov_b32 s16, 0
	s_andn2_b32 vcc_lo, exec_lo, s53
	s_mov_b32 s24, 0
	s_mov_b32 s23, 0
                                        ; implicit-def: $sgpr25
                                        ; implicit-def: $sgpr26
                                        ; implicit-def: $vgpr8
	s_waitcnt lgkmcnt(0)
	v_readfirstlane_b32 s17, v1
	v_readfirstlane_b32 s20, v2
	;; [unrolled: 1-line block ×4, first 2 shown]
                                        ; implicit-def: $vgpr4
                                        ; implicit-def: $vgpr1
                                        ; implicit-def: $vgpr2
                                        ; implicit-def: $vgpr3
	s_cbranch_vccnz .LBB108_243
; %bb.86:                               ;   in Loop: Header=BB108_6 Depth=1
	s_cmp_eq_u32 s17, 1
	v_mov_b32_e32 v2, v27
	v_mov_b32_e32 v3, v37
	;; [unrolled: 1-line block ×3, first 2 shown]
	s_cselect_b32 s6, -1, 0
	s_mov_b32 s29, -1
	s_and_b32 s6, s6, s14
                                        ; implicit-def: $sgpr26
                                        ; implicit-def: $sgpr25
	s_and_saveexec_b32 s23, s6
	s_cbranch_execz .LBB108_112
; %bb.87:                               ;   in Loop: Header=BB108_6 Depth=1
	ds_read_b32 v1, v9 offset:4096
	s_waitcnt lgkmcnt(0)
	s_barrier
	buffer_gl0_inv
	v_readfirstlane_b32 s27, v1
	s_and_saveexec_b32 s24, s15
; %bb.88:                               ;   in Loop: Header=BB108_6 Depth=1
	ds_write_b16 v21, v9
; %bb.89:                               ;   in Loop: Header=BB108_6 Depth=1
	s_or_b32 exec_lo, exec_lo, s24
	v_and_b32_e32 v2, s19, v27
	v_or_b32_e32 v3, s18, v37
	s_mov_b32 s25, -1
	s_mov_b32 s26, 0
	s_cmp_eq_u32 s27, 0
	s_mov_b32 s24, 0
	s_mov_b32 s28, -1
	s_waitcnt lgkmcnt(0)
	s_barrier
	buffer_gl0_inv
                                        ; implicit-def: $vgpr8
	s_cbranch_scc1 .LBB108_100
; %bb.90:                               ;   in Loop: Header=BB108_6 Depth=1
	s_add_i32 s24, s27, s59
                                        ; implicit-def: $vgpr8
	s_mul_hi_u32 s28, s24, s65
	s_mul_i32 s28, s28, s48
	s_sub_i32 s28, s24, s28
	s_sub_i32 s29, s28, s48
	s_cmp_ge_u32 s28, s48
	s_cselect_b32 s28, s29, s28
	s_sub_i32 s29, s28, s48
	s_cmp_ge_u32 s28, s48
	s_cselect_b32 s28, s29, s28
	s_mov_b32 s29, exec_lo
	s_sub_i32 s30, s24, s28
	s_mov_b32 s28, 0
	s_mov_b32 s24, 0
	v_cmpx_gt_u32_e64 s30, v0
	s_cbranch_execz .LBB108_99
; %bb.91:                               ;   in Loop: Header=BB108_6 Depth=1
	v_mov_b32_e32 v1, v20
	v_mov_b32_e32 v4, v0
                                        ; implicit-def: $sgpr31
	s_branch .LBB108_94
.LBB108_92:                             ;   in Loop: Header=BB108_94 Depth=2
	s_or_b32 exec_lo, exec_lo, s33
	s_waitcnt lgkmcnt(0)
	s_barrier
	buffer_gl0_inv
	ds_read_b32 v8, v9 offset:3072
	s_mov_b32 s33, -1
	s_mov_b32 s34, -1
	s_waitcnt lgkmcnt(0)
	s_barrier
	buffer_gl0_inv
	v_and_b32_e32 v13, 0x7fff, v8
	v_cmp_ne_u32_e32 vcc_lo, 0, v13
	s_cbranch_vccz .LBB108_97
.LBB108_93:                             ;   in Loop: Header=BB108_94 Depth=2
	s_and_b32 s33, exec_lo, s33
	s_or_b32 s24, s33, s24
	s_andn2_b32 s31, s31, exec_lo
	s_and_b32 s33, s34, exec_lo
	s_or_b32 s31, s31, s33
	s_andn2_b32 exec_lo, exec_lo, s24
	s_cbranch_execz .LBB108_98
.LBB108_94:                             ;   Parent Loop BB108_6 Depth=1
                                        ; =>  This Inner Loop Header: Depth=2
	s_mov_b32 s33, exec_lo
	v_cmpx_gt_u32_e64 s27, v4
	s_cbranch_execz .LBB108_92
; %bb.95:                               ;   in Loop: Header=BB108_94 Depth=2
	ds_read_u16 v8, v1
	s_waitcnt lgkmcnt(0)
	v_cmp_lt_i16_e32 vcc_lo, -1, v8
	v_lshlrev_b32_e32 v14, 16, v8
	v_cndmask_b32_e32 v13, 0xffff, v35, vcc_lo
	v_cmp_o_f32_e32 vcc_lo, v14, v14
	v_xor_b32_sdwa v13, v13, v8 dst_sel:DWORD dst_unused:UNUSED_PAD src0_sel:DWORD src1_sel:WORD_0
	v_cndmask_b32_e32 v13, 0xffff, v13, vcc_lo
	v_and_b32_e32 v13, v13, v3
	v_cmp_eq_u32_e32 vcc_lo, v13, v2
	s_and_b32 exec_lo, exec_lo, vcc_lo
	s_cbranch_execz .LBB108_92
; %bb.96:                               ;   in Loop: Header=BB108_94 Depth=2
	v_perm_b32 v8, v8, s71, 0x5040100
	ds_write_b32 v9, v8 offset:3072
	s_branch .LBB108_92
.LBB108_97:                             ;   in Loop: Header=BB108_94 Depth=2
	v_add_nc_u32_e32 v4, s48, v4
	v_add_nc_u32_e32 v1, s69, v1
	s_mov_b32 s34, 0
	v_cmp_le_u32_e32 vcc_lo, s30, v4
	s_orn2_b32 s33, vcc_lo, exec_lo
	s_branch .LBB108_93
.LBB108_98:                             ;   in Loop: Header=BB108_6 Depth=1
	s_or_b32 exec_lo, exec_lo, s24
	v_lshrrev_b32_e32 v8, 16, v8
	s_and_b32 s24, s31, exec_lo
.LBB108_99:                             ;   in Loop: Header=BB108_6 Depth=1
	s_or_b32 exec_lo, exec_lo, s29
.LBB108_100:                            ;   in Loop: Header=BB108_6 Depth=1
	s_and_b32 vcc_lo, exec_lo, s28
	s_cbranch_vccz .LBB108_111
; %bb.101:                              ;   in Loop: Header=BB108_6 Depth=1
                                        ; implicit-def: $vgpr8
	s_and_saveexec_b32 s25, s13
	s_cbranch_execz .LBB108_110
; %bb.102:                              ;   in Loop: Header=BB108_6 Depth=1
	v_mov_b32_e32 v8, v7
	v_mov_b32_e32 v1, v0
	s_mov_b32 s26, 0
                                        ; implicit-def: $sgpr27
	s_branch .LBB108_105
.LBB108_103:                            ;   in Loop: Header=BB108_105 Depth=2
	s_or_b32 exec_lo, exec_lo, s28
	s_waitcnt lgkmcnt(0)
	s_barrier
	buffer_gl0_inv
	ds_read_b32 v4, v9 offset:3072
	s_mov_b32 s28, -1
	s_mov_b32 s29, -1
	s_waitcnt lgkmcnt(0)
	s_barrier
	buffer_gl0_inv
	v_and_b32_e32 v13, 0x7fff, v4
	v_cmp_ne_u32_e32 vcc_lo, 0, v13
	s_cbranch_vccz .LBB108_108
.LBB108_104:                            ;   in Loop: Header=BB108_105 Depth=2
	s_and_b32 s28, exec_lo, s28
	s_or_b32 s26, s28, s26
	s_andn2_b32 s27, s27, exec_lo
	s_and_b32 s28, s29, exec_lo
	s_or_b32 s27, s27, s28
	s_andn2_b32 exec_lo, exec_lo, s26
	s_cbranch_execz .LBB108_109
.LBB108_105:                            ;   Parent Loop BB108_6 Depth=1
                                        ; =>  This Inner Loop Header: Depth=2
	s_mov_b32 s28, exec_lo
	v_cmpx_gt_u32_e64 s36, v1
	s_cbranch_execz .LBB108_103
; %bb.106:                              ;   in Loop: Header=BB108_105 Depth=2
	v_lshlrev_b64 v[13:14], 1, v[8:9]
	v_add_co_u32 v13, vcc_lo, s46, v13
	v_add_co_ci_u32_e64 v14, null, s47, v14, vcc_lo
	global_load_ushort v4, v[13:14], off
	s_waitcnt vmcnt(0)
	v_cmp_lt_i16_e32 vcc_lo, -1, v4
	v_lshlrev_b32_e32 v14, 16, v4
	v_cndmask_b32_e32 v13, 0xffff, v35, vcc_lo
	v_cmp_o_f32_e32 vcc_lo, v14, v14
	v_xor_b32_sdwa v13, v13, v4 dst_sel:DWORD dst_unused:UNUSED_PAD src0_sel:DWORD src1_sel:WORD_0
	v_cndmask_b32_e32 v13, 0xffff, v13, vcc_lo
	v_and_b32_e32 v13, v13, v3
	v_cmp_eq_u32_e32 vcc_lo, v13, v2
	s_and_b32 exec_lo, exec_lo, vcc_lo
	s_cbranch_execz .LBB108_103
; %bb.107:                              ;   in Loop: Header=BB108_105 Depth=2
	v_perm_b32 v4, v4, s71, 0x5040100
	ds_write_b32 v9, v4 offset:3072
	s_branch .LBB108_103
.LBB108_108:                            ;   in Loop: Header=BB108_105 Depth=2
	v_add_nc_u32_e32 v1, s48, v1
	v_add_nc_u32_e32 v8, s49, v8
	s_mov_b32 s29, 0
	v_cmp_le_u32_e32 vcc_lo, s66, v1
	s_orn2_b32 s28, vcc_lo, exec_lo
	s_branch .LBB108_104
.LBB108_109:                            ;   in Loop: Header=BB108_6 Depth=1
	s_or_b32 exec_lo, exec_lo, s26
	v_lshrrev_b32_e32 v8, 16, v4
	s_andn2_b32 s24, s24, exec_lo
	s_and_b32 s26, s27, exec_lo
	s_or_b32 s24, s24, s26
.LBB108_110:                            ;   in Loop: Header=BB108_6 Depth=1
	s_or_b32 exec_lo, exec_lo, s25
	s_mov_b32 s25, 0
	s_mov_b32 s26, -1
.LBB108_111:                            ;   in Loop: Header=BB108_6 Depth=1
	s_orn2_b32 s29, s24, exec_lo
.LBB108_112:                            ;   in Loop: Header=BB108_6 Depth=1
	s_or_b32 exec_lo, exec_lo, s23
	s_mov_b32 s27, 0
	s_mov_b32 s24, 0
	;; [unrolled: 1-line block ×3, first 2 shown]
                                        ; implicit-def: $vgpr4
                                        ; implicit-def: $vgpr1
	s_and_saveexec_b32 s28, s29
	s_cbranch_execz .LBB108_242
; %bb.113:                              ;   in Loop: Header=BB108_6 Depth=1
	v_mov_b32_e32 v4, 1
	v_mov_b32_e32 v1, 1
	s_xor_b32 s23, s6, -1
	s_mov_b32 s30, 0
	s_and_saveexec_b32 s6, s23
	s_cbranch_execz .LBB108_122
; %bb.114:                              ;   in Loop: Header=BB108_6 Depth=1
	s_mov_b32 s23, exec_lo
	v_cmpx_ge_u32_e64 s17, v39
	s_xor_b32 s23, exec_lo, s23
	s_cbranch_execz .LBB108_119
; %bb.115:                              ;   in Loop: Header=BB108_6 Depth=1
	ds_read_b32 v1, v9 offset:4096
	v_and_b32_e32 v2, s19, v2
	v_or_b32_e32 v3, s18, v3
	s_waitcnt lgkmcnt(0)
	v_cmp_ne_u32_e32 vcc_lo, 0, v1
	s_cbranch_vccnz .LBB108_119
; %bb.116:                              ;   in Loop: Header=BB108_6 Depth=1
	s_and_saveexec_b32 s24, s3
; %bb.117:                              ;   in Loop: Header=BB108_6 Depth=1
	v_mov_b32_e32 v1, s17
	ds_write_b32 v9, v1 offset:4100
; %bb.118:                              ;   in Loop: Header=BB108_6 Depth=1
	s_or_b32 exec_lo, exec_lo, s24
	s_waitcnt lgkmcnt(0)
	s_barrier
	buffer_gl0_inv
.LBB108_119:                            ;   in Loop: Header=BB108_6 Depth=1
	s_or_saveexec_b32 s23, s23
	v_mov_b32_e32 v1, 8
	v_mov_b32_e32 v4, v39
	s_mov_b32 s24, 0
	s_xor_b32 exec_lo, exec_lo, s23
; %bb.120:                              ;   in Loop: Header=BB108_6 Depth=1
	v_subrev_nc_u32_e32 v4, s17, v39
	v_mov_b32_e32 v1, 0
	s_mov_b32 s24, exec_lo
; %bb.121:                              ;   in Loop: Header=BB108_6 Depth=1
	s_or_b32 exec_lo, exec_lo, s23
	s_and_b32 s30, s24, exec_lo
.LBB108_122:                            ;   in Loop: Header=BB108_6 Depth=1
	s_or_b32 exec_lo, exec_lo, s6
	s_mov_b32 s29, -1
                                        ; implicit-def: $sgpr23
                                        ; implicit-def: $sgpr24
	s_and_saveexec_b32 s6, s30
	s_xor_b32 s6, exec_lo, s6
	s_cbranch_execz .LBB108_239
; %bb.123:                              ;   in Loop: Header=BB108_6 Depth=1
	v_cmp_eq_u32_e32 vcc_lo, 1, v4
	s_cmp_eq_u32 s20, 1
	s_mov_b32 s31, -1
	s_cselect_b32 s23, -1, 0
                                        ; implicit-def: $sgpr24
	s_and_b32 s30, s23, vcc_lo
                                        ; implicit-def: $sgpr23
	s_and_saveexec_b32 s29, s30
	s_cbranch_execz .LBB108_149
; %bb.124:                              ;   in Loop: Header=BB108_6 Depth=1
	ds_read_b32 v8, v9 offset:4096
	s_waitcnt lgkmcnt(0)
	s_barrier
	buffer_gl0_inv
	v_readfirstlane_b32 s33, v8
	s_and_saveexec_b32 s23, s15
; %bb.125:                              ;   in Loop: Header=BB108_6 Depth=1
	ds_write_b16 v21, v9
; %bb.126:                              ;   in Loop: Header=BB108_6 Depth=1
	s_or_b32 exec_lo, exec_lo, s23
	s_lshl_b32 s23, 1, s76
	v_or_b32_e32 v3, s18, v3
	v_and_or_b32 v2, v2, s19, s23
	s_mov_b32 s23, -1
	s_mov_b32 s24, 0
	s_cmp_eq_u32 s33, 0
	s_mov_b32 s31, 0
	s_mov_b32 s34, -1
	s_waitcnt lgkmcnt(0)
	s_barrier
	buffer_gl0_inv
                                        ; implicit-def: $vgpr8
	s_cbranch_scc1 .LBB108_137
; %bb.127:                              ;   in Loop: Header=BB108_6 Depth=1
	s_add_i32 s31, s33, s59
                                        ; implicit-def: $vgpr8
	s_mul_hi_u32 s34, s31, s65
	s_mul_i32 s34, s34, s48
	s_sub_i32 s34, s31, s34
	s_sub_i32 s83, s34, s48
	s_cmp_ge_u32 s34, s48
	s_cselect_b32 s34, s83, s34
	s_sub_i32 s83, s34, s48
	s_cmp_ge_u32 s34, s48
	s_cselect_b32 s34, s83, s34
	s_mov_b32 s83, exec_lo
	s_sub_i32 s84, s31, s34
	s_mov_b32 s34, 0
	s_mov_b32 s31, 0
	v_cmpx_gt_u32_e64 s84, v0
	s_cbranch_execz .LBB108_136
; %bb.128:                              ;   in Loop: Header=BB108_6 Depth=1
	v_mov_b32_e32 v8, v20
	v_mov_b32_e32 v13, v0
                                        ; implicit-def: $sgpr85
	s_branch .LBB108_131
.LBB108_129:                            ;   in Loop: Header=BB108_131 Depth=2
	s_or_b32 exec_lo, exec_lo, s86
	s_waitcnt lgkmcnt(0)
	s_barrier
	buffer_gl0_inv
	ds_read_b32 v14, v9 offset:3072
	s_mov_b32 s86, -1
	s_mov_b32 s87, -1
	s_waitcnt lgkmcnt(0)
	s_barrier
	buffer_gl0_inv
	v_and_b32_e32 v15, 0x7fff, v14
	v_cmp_ne_u32_e32 vcc_lo, 0, v15
	s_cbranch_vccz .LBB108_134
.LBB108_130:                            ;   in Loop: Header=BB108_131 Depth=2
	s_and_b32 s86, exec_lo, s86
	s_or_b32 s31, s86, s31
	s_andn2_b32 s85, s85, exec_lo
	s_and_b32 s86, s87, exec_lo
	s_or_b32 s85, s85, s86
	s_andn2_b32 exec_lo, exec_lo, s31
	s_cbranch_execz .LBB108_135
.LBB108_131:                            ;   Parent Loop BB108_6 Depth=1
                                        ; =>  This Inner Loop Header: Depth=2
	s_mov_b32 s86, exec_lo
	v_cmpx_gt_u32_e64 s33, v13
	s_cbranch_execz .LBB108_129
; %bb.132:                              ;   in Loop: Header=BB108_131 Depth=2
	ds_read_u16 v14, v8
	s_waitcnt lgkmcnt(0)
	v_cmp_lt_i16_e32 vcc_lo, -1, v14
	v_lshlrev_b32_e32 v16, 16, v14
	v_cndmask_b32_e32 v15, 0xffff, v35, vcc_lo
	v_cmp_o_f32_e32 vcc_lo, v16, v16
	v_xor_b32_sdwa v15, v15, v14 dst_sel:DWORD dst_unused:UNUSED_PAD src0_sel:DWORD src1_sel:WORD_0
	v_cndmask_b32_e32 v15, 0xffff, v15, vcc_lo
	v_and_b32_e32 v15, v15, v3
	v_cmp_eq_u32_e32 vcc_lo, v15, v2
	s_and_b32 exec_lo, exec_lo, vcc_lo
	s_cbranch_execz .LBB108_129
; %bb.133:                              ;   in Loop: Header=BB108_131 Depth=2
	v_perm_b32 v14, v14, s71, 0x5040100
	ds_write_b32 v9, v14 offset:3072
	s_branch .LBB108_129
.LBB108_134:                            ;   in Loop: Header=BB108_131 Depth=2
	v_add_nc_u32_e32 v13, s48, v13
	v_add_nc_u32_e32 v8, s69, v8
	s_mov_b32 s87, 0
	v_cmp_le_u32_e32 vcc_lo, s84, v13
	s_orn2_b32 s86, vcc_lo, exec_lo
	s_branch .LBB108_130
.LBB108_135:                            ;   in Loop: Header=BB108_6 Depth=1
	s_or_b32 exec_lo, exec_lo, s31
	v_lshrrev_b32_e32 v8, 16, v14
	s_and_b32 s31, s85, exec_lo
.LBB108_136:                            ;   in Loop: Header=BB108_6 Depth=1
	s_or_b32 exec_lo, exec_lo, s83
.LBB108_137:                            ;   in Loop: Header=BB108_6 Depth=1
	s_and_b32 vcc_lo, exec_lo, s34
	s_cbranch_vccz .LBB108_148
; %bb.138:                              ;   in Loop: Header=BB108_6 Depth=1
                                        ; implicit-def: $vgpr8
	s_and_saveexec_b32 s23, s13
	s_cbranch_execz .LBB108_147
; %bb.139:                              ;   in Loop: Header=BB108_6 Depth=1
	v_mov_b32_e32 v8, v7
	v_mov_b32_e32 v13, v0
	s_mov_b32 s24, 0
                                        ; implicit-def: $sgpr33
	s_branch .LBB108_142
.LBB108_140:                            ;   in Loop: Header=BB108_142 Depth=2
	s_or_b32 exec_lo, exec_lo, s34
	s_waitcnt lgkmcnt(0)
	s_barrier
	buffer_gl0_inv
	ds_read_b32 v14, v9 offset:3072
	s_mov_b32 s34, -1
	s_mov_b32 s83, -1
	s_waitcnt lgkmcnt(0)
	s_barrier
	buffer_gl0_inv
	v_and_b32_e32 v15, 0x7fff, v14
	v_cmp_eq_u32_e32 vcc_lo, 0, v15
	s_cbranch_vccnz .LBB108_145
.LBB108_141:                            ;   in Loop: Header=BB108_142 Depth=2
	s_and_b32 s34, exec_lo, s34
	s_or_b32 s24, s34, s24
	s_andn2_b32 s33, s33, exec_lo
	s_and_b32 s34, s83, exec_lo
	s_or_b32 s33, s33, s34
	s_andn2_b32 exec_lo, exec_lo, s24
	s_cbranch_execz .LBB108_146
.LBB108_142:                            ;   Parent Loop BB108_6 Depth=1
                                        ; =>  This Inner Loop Header: Depth=2
	s_mov_b32 s34, exec_lo
	v_cmpx_gt_u32_e64 s36, v13
	s_cbranch_execz .LBB108_140
; %bb.143:                              ;   in Loop: Header=BB108_142 Depth=2
	v_lshlrev_b64 v[14:15], 1, v[8:9]
	v_add_co_u32 v14, vcc_lo, s46, v14
	v_add_co_ci_u32_e64 v15, null, s47, v15, vcc_lo
	global_load_ushort v14, v[14:15], off
	s_waitcnt vmcnt(0)
	v_cmp_lt_i16_e32 vcc_lo, -1, v14
	v_lshlrev_b32_e32 v16, 16, v14
	v_cndmask_b32_e32 v15, 0xffff, v35, vcc_lo
	v_cmp_o_f32_e32 vcc_lo, v16, v16
	v_xor_b32_sdwa v15, v15, v14 dst_sel:DWORD dst_unused:UNUSED_PAD src0_sel:DWORD src1_sel:WORD_0
	v_cndmask_b32_e32 v15, 0xffff, v15, vcc_lo
	v_and_b32_e32 v15, v15, v3
	v_cmp_eq_u32_e32 vcc_lo, v15, v2
	s_and_b32 exec_lo, exec_lo, vcc_lo
	s_cbranch_execz .LBB108_140
; %bb.144:                              ;   in Loop: Header=BB108_142 Depth=2
	v_perm_b32 v14, v14, s71, 0x5040100
	ds_write_b32 v9, v14 offset:3072
	s_branch .LBB108_140
.LBB108_145:                            ;   in Loop: Header=BB108_142 Depth=2
	v_add_nc_u32_e32 v13, s48, v13
	v_add_nc_u32_e32 v8, s49, v8
	s_mov_b32 s83, 0
	v_cmp_le_u32_e32 vcc_lo, s66, v13
	s_orn2_b32 s34, vcc_lo, exec_lo
	s_branch .LBB108_141
.LBB108_146:                            ;   in Loop: Header=BB108_6 Depth=1
	s_or_b32 exec_lo, exec_lo, s24
	v_lshrrev_b32_e32 v8, 16, v14
	s_andn2_b32 s24, s31, exec_lo
	s_and_b32 s31, s33, exec_lo
	s_or_b32 s31, s24, s31
.LBB108_147:                            ;   in Loop: Header=BB108_6 Depth=1
	s_or_b32 exec_lo, exec_lo, s23
	s_mov_b32 s23, 0
	s_mov_b32 s24, -1
.LBB108_148:                            ;   in Loop: Header=BB108_6 Depth=1
	s_orn2_b32 s31, s31, exec_lo
.LBB108_149:                            ;   in Loop: Header=BB108_6 Depth=1
	s_or_b32 exec_lo, exec_lo, s29
	s_mov_b32 s33, 0
	s_and_saveexec_b32 s29, s31
	s_cbranch_execz .LBB108_238
; %bb.150:                              ;   in Loop: Header=BB108_6 Depth=1
	v_mov_b32_e32 v13, 1
	v_mov_b32_e32 v1, 1
	s_xor_b32 s31, s30, -1
	s_mov_b32 s83, 0
	s_and_saveexec_b32 s30, s31
	s_cbranch_execz .LBB108_159
; %bb.151:                              ;   in Loop: Header=BB108_6 Depth=1
	s_mov_b32 s31, exec_lo
	v_cmpx_ge_u32_e64 s20, v4
	s_xor_b32 s31, exec_lo, s31
	s_cbranch_execz .LBB108_156
; %bb.152:                              ;   in Loop: Header=BB108_6 Depth=1
	ds_read_b32 v1, v9 offset:4096
	s_lshl_b32 s33, 1, s76
	v_or_b32_e32 v3, s18, v3
	v_and_or_b32 v2, v2, s19, s33
	s_waitcnt lgkmcnt(0)
	v_cmp_ne_u32_e32 vcc_lo, 0, v1
	s_cbranch_vccnz .LBB108_156
; %bb.153:                              ;   in Loop: Header=BB108_6 Depth=1
	s_and_saveexec_b32 s33, s3
; %bb.154:                              ;   in Loop: Header=BB108_6 Depth=1
	v_mov_b32_e32 v1, s20
	ds_write_b32 v9, v1 offset:4100
; %bb.155:                              ;   in Loop: Header=BB108_6 Depth=1
	s_or_b32 exec_lo, exec_lo, s33
	s_waitcnt lgkmcnt(0)
	s_barrier
	buffer_gl0_inv
.LBB108_156:                            ;   in Loop: Header=BB108_6 Depth=1
	s_or_saveexec_b32 s31, s31
	v_mov_b32_e32 v1, 8
	s_mov_b32 s33, 0
	s_xor_b32 exec_lo, exec_lo, s31
; %bb.157:                              ;   in Loop: Header=BB108_6 Depth=1
	v_subrev_nc_u32_e32 v4, s20, v4
	v_mov_b32_e32 v1, 0
	s_mov_b32 s33, exec_lo
; %bb.158:                              ;   in Loop: Header=BB108_6 Depth=1
	s_or_b32 exec_lo, exec_lo, s31
	v_mov_b32_e32 v13, v4
	s_and_b32 s83, s33, exec_lo
.LBB108_159:                            ;   in Loop: Header=BB108_6 Depth=1
	s_or_b32 exec_lo, exec_lo, s30
	s_mov_b32 s34, -1
                                        ; implicit-def: $sgpr31
                                        ; implicit-def: $sgpr33
	s_and_saveexec_b32 s30, s83
	s_cbranch_execz .LBB108_237
; %bb.160:                              ;   in Loop: Header=BB108_6 Depth=1
	v_cmp_eq_u32_e32 vcc_lo, 1, v13
	s_cmp_eq_u32 s21, 1
	s_mov_b32 s84, -1
	s_cselect_b32 s31, -1, 0
                                        ; implicit-def: $sgpr33
	s_and_b32 s83, s31, vcc_lo
                                        ; implicit-def: $sgpr31
	s_and_saveexec_b32 s34, s83
	s_cbranch_execz .LBB108_186
; %bb.161:                              ;   in Loop: Header=BB108_6 Depth=1
	ds_read_b32 v4, v9 offset:4096
	s_waitcnt lgkmcnt(0)
	s_barrier
	buffer_gl0_inv
	v_readfirstlane_b32 s85, v4
	s_and_saveexec_b32 s31, s15
; %bb.162:                              ;   in Loop: Header=BB108_6 Depth=1
	ds_write_b16 v21, v9
; %bb.163:                              ;   in Loop: Header=BB108_6 Depth=1
	s_or_b32 exec_lo, exec_lo, s31
	s_lshl_b32 s31, 2, s76
	v_or_b32_e32 v3, s18, v3
	v_and_or_b32 v2, v2, s19, s31
	s_mov_b32 s31, -1
	s_mov_b32 s33, 0
	s_cmp_eq_u32 s85, 0
	s_mov_b32 s84, 0
	s_mov_b32 s86, -1
	s_waitcnt lgkmcnt(0)
	s_barrier
	buffer_gl0_inv
                                        ; implicit-def: $vgpr8
	s_cbranch_scc1 .LBB108_174
; %bb.164:                              ;   in Loop: Header=BB108_6 Depth=1
	s_add_i32 s84, s85, s59
                                        ; implicit-def: $vgpr8
	s_mul_hi_u32 s86, s84, s65
	s_mul_i32 s86, s86, s48
	s_sub_i32 s86, s84, s86
	s_sub_i32 s87, s86, s48
	s_cmp_ge_u32 s86, s48
	s_cselect_b32 s86, s87, s86
	s_sub_i32 s87, s86, s48
	s_cmp_ge_u32 s86, s48
	s_cselect_b32 s86, s87, s86
	s_mov_b32 s87, exec_lo
	s_sub_i32 s88, s84, s86
	s_mov_b32 s86, 0
	s_mov_b32 s84, 0
	v_cmpx_gt_u32_e64 s88, v0
	s_cbranch_execz .LBB108_173
; %bb.165:                              ;   in Loop: Header=BB108_6 Depth=1
	v_mov_b32_e32 v4, v20
	v_mov_b32_e32 v8, v0
                                        ; implicit-def: $sgpr89
	s_branch .LBB108_168
.LBB108_166:                            ;   in Loop: Header=BB108_168 Depth=2
	s_or_b32 exec_lo, exec_lo, s90
	s_waitcnt lgkmcnt(0)
	s_barrier
	buffer_gl0_inv
	ds_read_b32 v14, v9 offset:3072
	s_mov_b32 s90, -1
	s_mov_b32 s91, -1
	s_waitcnt lgkmcnt(0)
	s_barrier
	buffer_gl0_inv
	v_and_b32_e32 v15, 0x7fff, v14
	v_cmp_ne_u32_e32 vcc_lo, 0, v15
	s_cbranch_vccz .LBB108_171
.LBB108_167:                            ;   in Loop: Header=BB108_168 Depth=2
	s_and_b32 s90, exec_lo, s90
	s_or_b32 s84, s90, s84
	s_andn2_b32 s89, s89, exec_lo
	s_and_b32 s90, s91, exec_lo
	s_or_b32 s89, s89, s90
	s_andn2_b32 exec_lo, exec_lo, s84
	s_cbranch_execz .LBB108_172
.LBB108_168:                            ;   Parent Loop BB108_6 Depth=1
                                        ; =>  This Inner Loop Header: Depth=2
	s_mov_b32 s90, exec_lo
	v_cmpx_gt_u32_e64 s85, v8
	s_cbranch_execz .LBB108_166
; %bb.169:                              ;   in Loop: Header=BB108_168 Depth=2
	ds_read_u16 v14, v4
	s_waitcnt lgkmcnt(0)
	v_cmp_lt_i16_e32 vcc_lo, -1, v14
	v_lshlrev_b32_e32 v16, 16, v14
	v_cndmask_b32_e32 v15, 0xffff, v35, vcc_lo
	v_cmp_o_f32_e32 vcc_lo, v16, v16
	v_xor_b32_sdwa v15, v15, v14 dst_sel:DWORD dst_unused:UNUSED_PAD src0_sel:DWORD src1_sel:WORD_0
	v_cndmask_b32_e32 v15, 0xffff, v15, vcc_lo
	v_and_b32_e32 v15, v15, v3
	v_cmp_eq_u32_e32 vcc_lo, v15, v2
	s_and_b32 exec_lo, exec_lo, vcc_lo
	s_cbranch_execz .LBB108_166
; %bb.170:                              ;   in Loop: Header=BB108_168 Depth=2
	v_perm_b32 v14, v14, s71, 0x5040100
	ds_write_b32 v9, v14 offset:3072
	s_branch .LBB108_166
.LBB108_171:                            ;   in Loop: Header=BB108_168 Depth=2
	v_add_nc_u32_e32 v8, s48, v8
	v_add_nc_u32_e32 v4, s69, v4
	s_mov_b32 s91, 0
	v_cmp_le_u32_e32 vcc_lo, s88, v8
	s_orn2_b32 s90, vcc_lo, exec_lo
	s_branch .LBB108_167
.LBB108_172:                            ;   in Loop: Header=BB108_6 Depth=1
	s_or_b32 exec_lo, exec_lo, s84
	v_lshrrev_b32_e32 v8, 16, v14
	s_and_b32 s84, s89, exec_lo
.LBB108_173:                            ;   in Loop: Header=BB108_6 Depth=1
	s_or_b32 exec_lo, exec_lo, s87
.LBB108_174:                            ;   in Loop: Header=BB108_6 Depth=1
	s_and_b32 vcc_lo, exec_lo, s86
	s_cbranch_vccz .LBB108_185
; %bb.175:                              ;   in Loop: Header=BB108_6 Depth=1
                                        ; implicit-def: $vgpr8
	s_and_saveexec_b32 s31, s13
	s_cbranch_execz .LBB108_184
; %bb.176:                              ;   in Loop: Header=BB108_6 Depth=1
	v_mov_b32_e32 v8, v7
	v_mov_b32_e32 v4, v0
	s_mov_b32 s33, 0
                                        ; implicit-def: $sgpr85
	s_branch .LBB108_179
.LBB108_177:                            ;   in Loop: Header=BB108_179 Depth=2
	s_or_b32 exec_lo, exec_lo, s86
	s_waitcnt lgkmcnt(0)
	s_barrier
	buffer_gl0_inv
	ds_read_b32 v14, v9 offset:3072
	s_mov_b32 s86, -1
	s_mov_b32 s87, -1
	s_waitcnt lgkmcnt(0)
	s_barrier
	buffer_gl0_inv
	v_and_b32_e32 v15, 0x7fff, v14
	v_cmp_eq_u32_e32 vcc_lo, 0, v15
	s_cbranch_vccnz .LBB108_182
.LBB108_178:                            ;   in Loop: Header=BB108_179 Depth=2
	s_and_b32 s86, exec_lo, s86
	s_or_b32 s33, s86, s33
	s_andn2_b32 s85, s85, exec_lo
	s_and_b32 s86, s87, exec_lo
	s_or_b32 s85, s85, s86
	s_andn2_b32 exec_lo, exec_lo, s33
	s_cbranch_execz .LBB108_183
.LBB108_179:                            ;   Parent Loop BB108_6 Depth=1
                                        ; =>  This Inner Loop Header: Depth=2
	s_mov_b32 s86, exec_lo
	v_cmpx_gt_u32_e64 s36, v4
	s_cbranch_execz .LBB108_177
; %bb.180:                              ;   in Loop: Header=BB108_179 Depth=2
	v_lshlrev_b64 v[14:15], 1, v[8:9]
	v_add_co_u32 v14, vcc_lo, s46, v14
	v_add_co_ci_u32_e64 v15, null, s47, v15, vcc_lo
	global_load_ushort v14, v[14:15], off
	s_waitcnt vmcnt(0)
	v_cmp_lt_i16_e32 vcc_lo, -1, v14
	v_lshlrev_b32_e32 v16, 16, v14
	v_cndmask_b32_e32 v15, 0xffff, v35, vcc_lo
	v_cmp_o_f32_e32 vcc_lo, v16, v16
	v_xor_b32_sdwa v15, v15, v14 dst_sel:DWORD dst_unused:UNUSED_PAD src0_sel:DWORD src1_sel:WORD_0
	v_cndmask_b32_e32 v15, 0xffff, v15, vcc_lo
	v_and_b32_e32 v15, v15, v3
	v_cmp_eq_u32_e32 vcc_lo, v15, v2
	s_and_b32 exec_lo, exec_lo, vcc_lo
	s_cbranch_execz .LBB108_177
; %bb.181:                              ;   in Loop: Header=BB108_179 Depth=2
	v_perm_b32 v14, v14, s71, 0x5040100
	ds_write_b32 v9, v14 offset:3072
	s_branch .LBB108_177
.LBB108_182:                            ;   in Loop: Header=BB108_179 Depth=2
	v_add_nc_u32_e32 v4, s48, v4
	v_add_nc_u32_e32 v8, s49, v8
	s_mov_b32 s87, 0
	v_cmp_le_u32_e32 vcc_lo, s66, v4
	s_orn2_b32 s86, vcc_lo, exec_lo
	s_branch .LBB108_178
.LBB108_183:                            ;   in Loop: Header=BB108_6 Depth=1
	s_or_b32 exec_lo, exec_lo, s33
	v_lshrrev_b32_e32 v8, 16, v14
	s_andn2_b32 s33, s84, exec_lo
	s_and_b32 s84, s85, exec_lo
	s_or_b32 s84, s33, s84
.LBB108_184:                            ;   in Loop: Header=BB108_6 Depth=1
	s_or_b32 exec_lo, exec_lo, s31
	s_mov_b32 s31, 0
	s_mov_b32 s33, -1
.LBB108_185:                            ;   in Loop: Header=BB108_6 Depth=1
	s_orn2_b32 s84, s84, exec_lo
.LBB108_186:                            ;   in Loop: Header=BB108_6 Depth=1
	s_or_b32 exec_lo, exec_lo, s34
	s_mov_b32 s85, 0
	s_and_saveexec_b32 s34, s84
	s_cbranch_execz .LBB108_236
; %bb.187:                              ;   in Loop: Header=BB108_6 Depth=1
	v_mov_b32_e32 v4, 1
	v_mov_b32_e32 v1, 1
	s_xor_b32 s84, s83, -1
	s_mov_b32 s87, 0
	s_and_saveexec_b32 s83, s84
	s_cbranch_execz .LBB108_196
; %bb.188:                              ;   in Loop: Header=BB108_6 Depth=1
	s_mov_b32 s84, exec_lo
	v_cmpx_ge_u32_e64 s21, v13
	s_xor_b32 s84, exec_lo, s84
	s_cbranch_execz .LBB108_193
; %bb.189:                              ;   in Loop: Header=BB108_6 Depth=1
	ds_read_b32 v1, v9 offset:4096
	s_lshl_b32 s85, 2, s76
	v_or_b32_e32 v3, s18, v3
	v_and_or_b32 v2, v2, s19, s85
	s_waitcnt lgkmcnt(0)
	v_cmp_ne_u32_e32 vcc_lo, 0, v1
	s_cbranch_vccnz .LBB108_193
; %bb.190:                              ;   in Loop: Header=BB108_6 Depth=1
	s_and_saveexec_b32 s85, s3
; %bb.191:                              ;   in Loop: Header=BB108_6 Depth=1
	v_mov_b32_e32 v1, s21
	ds_write_b32 v9, v1 offset:4100
; %bb.192:                              ;   in Loop: Header=BB108_6 Depth=1
	s_or_b32 exec_lo, exec_lo, s85
	s_waitcnt lgkmcnt(0)
	s_barrier
	buffer_gl0_inv
.LBB108_193:                            ;   in Loop: Header=BB108_6 Depth=1
	s_or_saveexec_b32 s84, s84
	v_mov_b32_e32 v1, 8
	s_mov_b32 s85, 0
	s_xor_b32 exec_lo, exec_lo, s84
; %bb.194:                              ;   in Loop: Header=BB108_6 Depth=1
	v_subrev_nc_u32_e32 v13, s21, v13
	v_mov_b32_e32 v1, 0
	s_mov_b32 s85, exec_lo
; %bb.195:                              ;   in Loop: Header=BB108_6 Depth=1
	s_or_b32 exec_lo, exec_lo, s84
	v_mov_b32_e32 v4, v13
	s_and_b32 s87, s85, exec_lo
.LBB108_196:                            ;   in Loop: Header=BB108_6 Depth=1
	s_or_b32 exec_lo, exec_lo, s83
	s_mov_b32 s84, -1
                                        ; implicit-def: $sgpr86
                                        ; implicit-def: $sgpr85
	s_and_saveexec_b32 s83, s87
	s_cbranch_execz .LBB108_235
; %bb.197:                              ;   in Loop: Header=BB108_6 Depth=1
	v_cmp_eq_u32_e32 vcc_lo, 1, v4
	s_cmp_eq_u32 s22, 1
	s_mov_b32 s88, -1
	s_cselect_b32 s84, -1, 0
                                        ; implicit-def: $sgpr86
                                        ; implicit-def: $sgpr85
	s_and_b32 s84, s84, vcc_lo
	s_and_saveexec_b32 s87, s84
	s_cbranch_execz .LBB108_223
; %bb.198:                              ;   in Loop: Header=BB108_6 Depth=1
	ds_read_b32 v8, v9 offset:4096
	s_waitcnt lgkmcnt(0)
	s_barrier
	buffer_gl0_inv
	v_readfirstlane_b32 s89, v8
	s_and_saveexec_b32 s85, s15
; %bb.199:                              ;   in Loop: Header=BB108_6 Depth=1
	ds_write_b16 v21, v9
; %bb.200:                              ;   in Loop: Header=BB108_6 Depth=1
	s_or_b32 exec_lo, exec_lo, s85
	v_or_b32_e32 v2, s18, v2
	v_or_b32_e32 v3, s18, v3
	s_mov_b32 s85, -1
	s_mov_b32 s86, 0
	s_cmp_eq_u32 s89, 0
	s_mov_b32 s88, 0
	s_mov_b32 s90, -1
	s_waitcnt lgkmcnt(0)
	s_barrier
	buffer_gl0_inv
                                        ; implicit-def: $vgpr8
	s_cbranch_scc1 .LBB108_211
; %bb.201:                              ;   in Loop: Header=BB108_6 Depth=1
	s_add_i32 s88, s89, s59
                                        ; implicit-def: $vgpr8
	s_mul_hi_u32 s90, s88, s65
	s_mul_i32 s90, s90, s48
	s_sub_i32 s90, s88, s90
	s_sub_i32 s91, s90, s48
	s_cmp_ge_u32 s90, s48
	s_cselect_b32 s90, s91, s90
	s_sub_i32 s91, s90, s48
	s_cmp_ge_u32 s90, s48
	s_cselect_b32 s90, s91, s90
	s_mov_b32 s91, exec_lo
	s_sub_i32 s92, s88, s90
	s_mov_b32 s90, 0
	s_mov_b32 s88, 0
	v_cmpx_gt_u32_e64 s92, v0
	s_cbranch_execz .LBB108_210
; %bb.202:                              ;   in Loop: Header=BB108_6 Depth=1
	v_mov_b32_e32 v8, v20
	v_mov_b32_e32 v13, v0
                                        ; implicit-def: $sgpr93
	s_branch .LBB108_205
.LBB108_203:                            ;   in Loop: Header=BB108_205 Depth=2
	s_or_b32 exec_lo, exec_lo, s94
	s_waitcnt lgkmcnt(0)
	s_barrier
	buffer_gl0_inv
	ds_read_b32 v14, v9 offset:3072
	s_mov_b32 s94, -1
	s_mov_b32 s95, -1
	s_waitcnt lgkmcnt(0)
	s_barrier
	buffer_gl0_inv
	v_and_b32_e32 v15, 0x7fff, v14
	v_cmp_ne_u32_e32 vcc_lo, 0, v15
	s_cbranch_vccz .LBB108_208
.LBB108_204:                            ;   in Loop: Header=BB108_205 Depth=2
	s_and_b32 s94, exec_lo, s94
	s_or_b32 s88, s94, s88
	s_andn2_b32 s93, s93, exec_lo
	s_and_b32 s94, s95, exec_lo
	s_or_b32 s93, s93, s94
	s_andn2_b32 exec_lo, exec_lo, s88
	s_cbranch_execz .LBB108_209
.LBB108_205:                            ;   Parent Loop BB108_6 Depth=1
                                        ; =>  This Inner Loop Header: Depth=2
	s_mov_b32 s94, exec_lo
	v_cmpx_gt_u32_e64 s89, v13
	s_cbranch_execz .LBB108_203
; %bb.206:                              ;   in Loop: Header=BB108_205 Depth=2
	ds_read_u16 v14, v8
	s_waitcnt lgkmcnt(0)
	v_cmp_lt_i16_e32 vcc_lo, -1, v14
	v_lshlrev_b32_e32 v16, 16, v14
	v_cndmask_b32_e32 v15, 0xffff, v35, vcc_lo
	v_cmp_o_f32_e32 vcc_lo, v16, v16
	v_xor_b32_sdwa v15, v15, v14 dst_sel:DWORD dst_unused:UNUSED_PAD src0_sel:DWORD src1_sel:WORD_0
	v_cndmask_b32_e32 v15, 0xffff, v15, vcc_lo
	v_and_b32_e32 v15, v15, v3
	v_cmp_eq_u32_e32 vcc_lo, v15, v2
	s_and_b32 exec_lo, exec_lo, vcc_lo
	s_cbranch_execz .LBB108_203
; %bb.207:                              ;   in Loop: Header=BB108_205 Depth=2
	v_perm_b32 v14, v14, s71, 0x5040100
	ds_write_b32 v9, v14 offset:3072
	s_branch .LBB108_203
.LBB108_208:                            ;   in Loop: Header=BB108_205 Depth=2
	v_add_nc_u32_e32 v13, s48, v13
	v_add_nc_u32_e32 v8, s69, v8
	s_mov_b32 s95, 0
	v_cmp_le_u32_e32 vcc_lo, s92, v13
	s_orn2_b32 s94, vcc_lo, exec_lo
	s_branch .LBB108_204
.LBB108_209:                            ;   in Loop: Header=BB108_6 Depth=1
	s_or_b32 exec_lo, exec_lo, s88
	v_lshrrev_b32_e32 v8, 16, v14
	s_and_b32 s88, s93, exec_lo
.LBB108_210:                            ;   in Loop: Header=BB108_6 Depth=1
	s_or_b32 exec_lo, exec_lo, s91
.LBB108_211:                            ;   in Loop: Header=BB108_6 Depth=1
	s_and_b32 vcc_lo, exec_lo, s90
	s_cbranch_vccz .LBB108_222
; %bb.212:                              ;   in Loop: Header=BB108_6 Depth=1
                                        ; implicit-def: $vgpr8
	s_and_saveexec_b32 s85, s13
	s_cbranch_execz .LBB108_221
; %bb.213:                              ;   in Loop: Header=BB108_6 Depth=1
	v_mov_b32_e32 v8, v7
	v_mov_b32_e32 v13, v0
	s_mov_b32 s86, 0
                                        ; implicit-def: $sgpr89
	s_branch .LBB108_216
.LBB108_214:                            ;   in Loop: Header=BB108_216 Depth=2
	s_or_b32 exec_lo, exec_lo, s90
	s_waitcnt lgkmcnt(0)
	s_barrier
	buffer_gl0_inv
	ds_read_b32 v14, v9 offset:3072
	s_mov_b32 s90, -1
	s_mov_b32 s91, -1
	s_waitcnt lgkmcnt(0)
	s_barrier
	buffer_gl0_inv
	v_and_b32_e32 v15, 0x7fff, v14
	v_cmp_eq_u32_e32 vcc_lo, 0, v15
	s_cbranch_vccnz .LBB108_219
.LBB108_215:                            ;   in Loop: Header=BB108_216 Depth=2
	s_and_b32 s90, exec_lo, s90
	s_or_b32 s86, s90, s86
	s_andn2_b32 s89, s89, exec_lo
	s_and_b32 s90, s91, exec_lo
	s_or_b32 s89, s89, s90
	s_andn2_b32 exec_lo, exec_lo, s86
	s_cbranch_execz .LBB108_220
.LBB108_216:                            ;   Parent Loop BB108_6 Depth=1
                                        ; =>  This Inner Loop Header: Depth=2
	s_mov_b32 s90, exec_lo
	v_cmpx_gt_u32_e64 s36, v13
	s_cbranch_execz .LBB108_214
; %bb.217:                              ;   in Loop: Header=BB108_216 Depth=2
	v_lshlrev_b64 v[14:15], 1, v[8:9]
	v_add_co_u32 v14, vcc_lo, s46, v14
	v_add_co_ci_u32_e64 v15, null, s47, v15, vcc_lo
	global_load_ushort v14, v[14:15], off
	s_waitcnt vmcnt(0)
	v_cmp_lt_i16_e32 vcc_lo, -1, v14
	v_lshlrev_b32_e32 v16, 16, v14
	v_cndmask_b32_e32 v15, 0xffff, v35, vcc_lo
	v_cmp_o_f32_e32 vcc_lo, v16, v16
	v_xor_b32_sdwa v15, v15, v14 dst_sel:DWORD dst_unused:UNUSED_PAD src0_sel:DWORD src1_sel:WORD_0
	v_cndmask_b32_e32 v15, 0xffff, v15, vcc_lo
	v_and_b32_e32 v15, v15, v3
	v_cmp_eq_u32_e32 vcc_lo, v15, v2
	s_and_b32 exec_lo, exec_lo, vcc_lo
	s_cbranch_execz .LBB108_214
; %bb.218:                              ;   in Loop: Header=BB108_216 Depth=2
	v_perm_b32 v14, v14, s71, 0x5040100
	ds_write_b32 v9, v14 offset:3072
	s_branch .LBB108_214
.LBB108_219:                            ;   in Loop: Header=BB108_216 Depth=2
	v_add_nc_u32_e32 v13, s48, v13
	v_add_nc_u32_e32 v8, s49, v8
	s_mov_b32 s91, 0
	v_cmp_le_u32_e32 vcc_lo, s66, v13
	s_orn2_b32 s90, vcc_lo, exec_lo
	s_branch .LBB108_215
.LBB108_220:                            ;   in Loop: Header=BB108_6 Depth=1
	s_or_b32 exec_lo, exec_lo, s86
	v_lshrrev_b32_e32 v8, 16, v14
	s_andn2_b32 s86, s88, exec_lo
	s_and_b32 s88, s89, exec_lo
	s_or_b32 s88, s86, s88
.LBB108_221:                            ;   in Loop: Header=BB108_6 Depth=1
	s_or_b32 exec_lo, exec_lo, s85
	s_mov_b32 s85, 0
	s_mov_b32 s86, -1
.LBB108_222:                            ;   in Loop: Header=BB108_6 Depth=1
	s_orn2_b32 s88, s88, exec_lo
.LBB108_223:                            ;   in Loop: Header=BB108_6 Depth=1
	s_or_b32 exec_lo, exec_lo, s87
	s_mov_b32 s89, 0
	s_and_saveexec_b32 s87, s88
	s_cbranch_execz .LBB108_234
; %bb.224:                              ;   in Loop: Header=BB108_6 Depth=1
	v_mov_b32_e32 v1, 1
	v_mov_b32_e32 v13, 1
	s_xor_b32 s88, s84, -1
	s_and_saveexec_b32 s84, s88
	s_cbranch_execz .LBB108_233
; %bb.225:                              ;   in Loop: Header=BB108_6 Depth=1
	s_mov_b32 s88, exec_lo
	v_cmpx_ge_u32_e64 s22, v4
	s_xor_b32 s88, exec_lo, s88
	s_cbranch_execz .LBB108_230
; %bb.226:                              ;   in Loop: Header=BB108_6 Depth=1
	ds_read_b32 v1, v9 offset:4096
	v_or_b32_e32 v2, s18, v2
	v_or_b32_e32 v3, s18, v3
	s_waitcnt lgkmcnt(0)
	v_cmp_ne_u32_e32 vcc_lo, 0, v1
	s_cbranch_vccnz .LBB108_230
; %bb.227:                              ;   in Loop: Header=BB108_6 Depth=1
	s_and_saveexec_b32 s89, s3
; %bb.228:                              ;   in Loop: Header=BB108_6 Depth=1
	v_mov_b32_e32 v1, s22
	ds_write_b32 v9, v1 offset:4100
; %bb.229:                              ;   in Loop: Header=BB108_6 Depth=1
	s_or_b32 exec_lo, exec_lo, s89
	s_waitcnt lgkmcnt(0)
	s_barrier
	buffer_gl0_inv
.LBB108_230:                            ;   in Loop: Header=BB108_6 Depth=1
	s_andn2_saveexec_b32 s88, s88
; %bb.231:                              ;   in Loop: Header=BB108_6 Depth=1
	v_subrev_nc_u32_e32 v4, s22, v4
; %bb.232:                              ;   in Loop: Header=BB108_6 Depth=1
	s_or_b32 exec_lo, exec_lo, s88
	v_mov_b32_e32 v1, 8
	v_mov_b32_e32 v13, v4
.LBB108_233:                            ;   in Loop: Header=BB108_6 Depth=1
	s_or_b32 exec_lo, exec_lo, s84
	v_mov_b32_e32 v4, v13
	s_mov_b32 s89, exec_lo
.LBB108_234:                            ;   in Loop: Header=BB108_6 Depth=1
	s_or_b32 exec_lo, exec_lo, s87
	s_orn2_b32 s84, s89, exec_lo
.LBB108_235:                            ;   in Loop: Header=BB108_6 Depth=1
	s_or_b32 exec_lo, exec_lo, s83
	v_mov_b32_e32 v13, v4
	s_andn2_b32 s33, s33, exec_lo
	s_and_b32 s83, s86, exec_lo
	s_andn2_b32 s31, s31, exec_lo
	s_and_b32 s85, s85, exec_lo
	s_or_b32 s33, s33, s83
	s_or_b32 s31, s31, s85
	s_and_b32 s85, s84, exec_lo
.LBB108_236:                            ;   in Loop: Header=BB108_6 Depth=1
	s_or_b32 exec_lo, exec_lo, s34
	s_orn2_b32 s34, s85, exec_lo
.LBB108_237:                            ;   in Loop: Header=BB108_6 Depth=1
	s_or_b32 exec_lo, exec_lo, s30
	v_mov_b32_e32 v4, v13
	s_andn2_b32 s24, s24, exec_lo
	s_and_b32 s30, s33, exec_lo
	s_andn2_b32 s23, s23, exec_lo
	s_and_b32 s31, s31, exec_lo
	s_or_b32 s24, s24, s30
	s_or_b32 s23, s23, s31
	s_and_b32 s33, s34, exec_lo
.LBB108_238:                            ;   in Loop: Header=BB108_6 Depth=1
	s_or_b32 exec_lo, exec_lo, s29
	s_orn2_b32 s29, s33, exec_lo
.LBB108_239:                            ;   in Loop: Header=BB108_6 Depth=1
	s_or_b32 exec_lo, exec_lo, s6
	s_mov_b32 s6, 0
	s_mov_b32 s30, 0
	s_and_saveexec_b32 s31, s29
	s_xor_b32 s29, exec_lo, s31
; %bb.240:                              ;   in Loop: Header=BB108_6 Depth=1
	v_cmp_ne_u32_e32 vcc_lo, 8, v1
	v_cmp_eq_u32_e64 s6, 8, v1
	s_and_b32 s30, vcc_lo, exec_lo
	s_and_b32 s6, s6, exec_lo
; %bb.241:                              ;   in Loop: Header=BB108_6 Depth=1
	s_or_b32 exec_lo, exec_lo, s29
	s_andn2_b32 s26, s26, exec_lo
	s_and_b32 s24, s24, exec_lo
	s_andn2_b32 s25, s25, exec_lo
	s_and_b32 s23, s23, exec_lo
	s_or_b32 s26, s26, s24
	s_or_b32 s25, s25, s23
	s_and_b32 s23, s30, exec_lo
	s_and_b32 s24, s6, exec_lo
.LBB108_242:                            ;   in Loop: Header=BB108_6 Depth=1
	s_or_b32 exec_lo, exec_lo, s28
.LBB108_243:                            ;   in Loop: Header=BB108_6 Depth=1
	s_and_b32 vcc_lo, exec_lo, s27
	s_cbranch_vccz .LBB108_256
; %bb.244:                              ;   in Loop: Header=BB108_6 Depth=1
	s_cmp_eq_u32 s22, 1
	s_mov_b32 s26, -1
	s_cselect_b32 s6, -1, 0
                                        ; implicit-def: $sgpr16
	s_and_b32 s6, s6, s14
                                        ; implicit-def: $sgpr14
	s_and_saveexec_b32 s25, s6
	s_cbranch_execz .LBB108_271
; %bb.245:                              ;   in Loop: Header=BB108_6 Depth=1
	ds_read_b32 v1, v9 offset:4096
	s_waitcnt lgkmcnt(0)
	s_barrier
	buffer_gl0_inv
	v_readfirstlane_b32 s27, v1
	s_and_saveexec_b32 s14, s15
; %bb.246:                              ;   in Loop: Header=BB108_6 Depth=1
	ds_write_b16 v21, v9
; %bb.247:                              ;   in Loop: Header=BB108_6 Depth=1
	s_or_b32 exec_lo, exec_lo, s14
	v_or_b32_e32 v27, s18, v27
	v_or_b32_e32 v37, s18, v37
	s_mov_b32 s16, -1
	s_mov_b32 s14, 0
	s_cmp_eq_u32 s27, 0
	s_mov_b32 s26, 0
	s_mov_b32 s28, -1
	s_waitcnt lgkmcnt(0)
	s_barrier
	buffer_gl0_inv
                                        ; implicit-def: $vgpr38
	s_cbranch_scc1 .LBB108_259
; %bb.248:                              ;   in Loop: Header=BB108_6 Depth=1
	s_add_i32 s26, s27, s59
                                        ; implicit-def: $vgpr38
	s_mul_hi_u32 s28, s26, s65
	s_mul_i32 s28, s28, s48
	s_sub_i32 s28, s26, s28
	s_sub_i32 s29, s28, s48
	s_cmp_ge_u32 s28, s48
	s_cselect_b32 s28, s29, s28
	s_sub_i32 s29, s28, s48
	s_cmp_ge_u32 s28, s48
	s_cselect_b32 s28, s29, s28
	s_mov_b32 s29, exec_lo
	s_sub_i32 s30, s26, s28
	s_mov_b32 s28, 0
	s_mov_b32 s26, 0
	v_cmpx_gt_u32_e64 s30, v0
	s_cbranch_execz .LBB108_258
; %bb.249:                              ;   in Loop: Header=BB108_6 Depth=1
	v_mov_b32_e32 v1, v20
	v_mov_b32_e32 v2, v0
                                        ; implicit-def: $sgpr31
	s_branch .LBB108_252
.LBB108_250:                            ;   in Loop: Header=BB108_252 Depth=2
	s_or_b32 exec_lo, exec_lo, s33
	s_waitcnt lgkmcnt(0)
	s_barrier
	buffer_gl0_inv
	ds_read_b32 v3, v9 offset:3072
	s_mov_b32 s33, -1
	s_mov_b32 s34, -1
	s_waitcnt lgkmcnt(0)
	s_barrier
	buffer_gl0_inv
	v_and_b32_e32 v4, 0x7fff, v3
	v_cmp_ne_u32_e32 vcc_lo, 0, v4
	s_cbranch_vccz .LBB108_255
.LBB108_251:                            ;   in Loop: Header=BB108_252 Depth=2
	s_and_b32 s33, exec_lo, s33
	s_or_b32 s26, s33, s26
	s_andn2_b32 s31, s31, exec_lo
	s_and_b32 s33, s34, exec_lo
	s_or_b32 s31, s31, s33
	s_andn2_b32 exec_lo, exec_lo, s26
	s_cbranch_execz .LBB108_257
.LBB108_252:                            ;   Parent Loop BB108_6 Depth=1
                                        ; =>  This Inner Loop Header: Depth=2
	s_mov_b32 s33, exec_lo
	v_cmpx_gt_u32_e64 s27, v2
	s_cbranch_execz .LBB108_250
; %bb.253:                              ;   in Loop: Header=BB108_252 Depth=2
	ds_read_u16 v3, v1
	s_waitcnt lgkmcnt(0)
	v_cmp_lt_i16_e32 vcc_lo, -1, v3
	v_lshlrev_b32_e32 v8, 16, v3
	v_cndmask_b32_e32 v4, 0xffff, v35, vcc_lo
	v_cmp_o_f32_e32 vcc_lo, v8, v8
	v_xor_b32_sdwa v4, v4, v3 dst_sel:DWORD dst_unused:UNUSED_PAD src0_sel:DWORD src1_sel:WORD_0
	v_cndmask_b32_e32 v4, 0xffff, v4, vcc_lo
	v_and_b32_e32 v4, v4, v37
	v_cmp_eq_u32_e32 vcc_lo, v4, v27
	s_and_b32 exec_lo, exec_lo, vcc_lo
	s_cbranch_execz .LBB108_250
; %bb.254:                              ;   in Loop: Header=BB108_252 Depth=2
	v_perm_b32 v3, v3, s71, 0x5040100
	ds_write_b32 v9, v3 offset:3072
	s_branch .LBB108_250
.LBB108_255:                            ;   in Loop: Header=BB108_252 Depth=2
	v_add_nc_u32_e32 v2, s48, v2
	v_add_nc_u32_e32 v1, s69, v1
	s_mov_b32 s34, 0
	v_cmp_le_u32_e32 vcc_lo, s30, v2
	s_orn2_b32 s33, vcc_lo, exec_lo
	s_branch .LBB108_251
.LBB108_256:                            ;   in Loop: Header=BB108_6 Depth=1
	v_mov_b32_e32 v27, v2
	v_mov_b32_e32 v37, v3
	;; [unrolled: 1-line block ×3, first 2 shown]
	s_mov_b32 s14, 0
	s_and_saveexec_b32 s6, s24
	s_cbranch_execnz .LBB108_402
	s_branch .LBB108_403
.LBB108_257:                            ;   in Loop: Header=BB108_6 Depth=1
	s_or_b32 exec_lo, exec_lo, s26
	v_lshrrev_b32_e32 v38, 16, v3
	s_and_b32 s26, s31, exec_lo
.LBB108_258:                            ;   in Loop: Header=BB108_6 Depth=1
	s_or_b32 exec_lo, exec_lo, s29
.LBB108_259:                            ;   in Loop: Header=BB108_6 Depth=1
	s_and_b32 vcc_lo, exec_lo, s28
	s_cbranch_vccz .LBB108_270
; %bb.260:                              ;   in Loop: Header=BB108_6 Depth=1
                                        ; implicit-def: $vgpr38
	s_and_saveexec_b32 s14, s13
	s_cbranch_execz .LBB108_269
; %bb.261:                              ;   in Loop: Header=BB108_6 Depth=1
	v_mov_b32_e32 v8, v7
	v_mov_b32_e32 v1, v0
	s_mov_b32 s16, 0
                                        ; implicit-def: $sgpr27
	s_branch .LBB108_264
.LBB108_262:                            ;   in Loop: Header=BB108_264 Depth=2
	s_or_b32 exec_lo, exec_lo, s28
	s_waitcnt lgkmcnt(0)
	s_barrier
	buffer_gl0_inv
	ds_read_b32 v2, v9 offset:3072
	s_mov_b32 s28, -1
	s_mov_b32 s29, -1
	s_waitcnt lgkmcnt(0)
	s_barrier
	buffer_gl0_inv
	v_and_b32_e32 v3, 0x7fff, v2
	v_cmp_ne_u32_e32 vcc_lo, 0, v3
	s_cbranch_vccz .LBB108_267
.LBB108_263:                            ;   in Loop: Header=BB108_264 Depth=2
	s_and_b32 s28, exec_lo, s28
	s_or_b32 s16, s28, s16
	s_andn2_b32 s27, s27, exec_lo
	s_and_b32 s28, s29, exec_lo
	s_or_b32 s27, s27, s28
	s_andn2_b32 exec_lo, exec_lo, s16
	s_cbranch_execz .LBB108_268
.LBB108_264:                            ;   Parent Loop BB108_6 Depth=1
                                        ; =>  This Inner Loop Header: Depth=2
	s_mov_b32 s28, exec_lo
	v_cmpx_gt_u32_e64 s36, v1
	s_cbranch_execz .LBB108_262
; %bb.265:                              ;   in Loop: Header=BB108_264 Depth=2
	v_lshlrev_b64 v[2:3], 1, v[8:9]
	v_add_co_u32 v2, vcc_lo, s46, v2
	v_add_co_ci_u32_e64 v3, null, s47, v3, vcc_lo
	global_load_ushort v2, v[2:3], off
	s_waitcnt vmcnt(0)
	v_cmp_lt_i16_e32 vcc_lo, -1, v2
	v_lshlrev_b32_e32 v4, 16, v2
	v_cndmask_b32_e32 v3, 0xffff, v35, vcc_lo
	v_cmp_o_f32_e32 vcc_lo, v4, v4
	v_xor_b32_sdwa v3, v3, v2 dst_sel:DWORD dst_unused:UNUSED_PAD src0_sel:DWORD src1_sel:WORD_0
	v_cndmask_b32_e32 v3, 0xffff, v3, vcc_lo
	v_and_b32_e32 v3, v3, v37
	v_cmp_eq_u32_e32 vcc_lo, v3, v27
	s_and_b32 exec_lo, exec_lo, vcc_lo
	s_cbranch_execz .LBB108_262
; %bb.266:                              ;   in Loop: Header=BB108_264 Depth=2
	v_perm_b32 v2, v2, s71, 0x5040100
	ds_write_b32 v9, v2 offset:3072
	s_branch .LBB108_262
.LBB108_267:                            ;   in Loop: Header=BB108_264 Depth=2
	v_add_nc_u32_e32 v1, s48, v1
	v_add_nc_u32_e32 v8, s49, v8
	s_mov_b32 s29, 0
	v_cmp_le_u32_e32 vcc_lo, s66, v1
	s_orn2_b32 s28, vcc_lo, exec_lo
	s_branch .LBB108_263
.LBB108_268:                            ;   in Loop: Header=BB108_6 Depth=1
	s_or_b32 exec_lo, exec_lo, s16
	v_lshrrev_b32_e32 v38, 16, v2
	s_andn2_b32 s16, s26, exec_lo
	s_and_b32 s26, s27, exec_lo
	s_or_b32 s26, s16, s26
.LBB108_269:                            ;   in Loop: Header=BB108_6 Depth=1
	s_or_b32 exec_lo, exec_lo, s14
	s_mov_b32 s16, 0
	s_mov_b32 s14, -1
.LBB108_270:                            ;   in Loop: Header=BB108_6 Depth=1
	s_orn2_b32 s26, s26, exec_lo
.LBB108_271:                            ;   in Loop: Header=BB108_6 Depth=1
	s_or_b32 exec_lo, exec_lo, s25
                                        ; implicit-def: $vgpr4
                                        ; implicit-def: $vgpr1
	s_and_saveexec_b32 s25, s26
	s_cbranch_execz .LBB108_401
; %bb.272:                              ;   in Loop: Header=BB108_6 Depth=1
	v_mov_b32_e32 v4, 1
	v_mov_b32_e32 v1, 1
	s_xor_b32 s26, s6, -1
	s_mov_b32 s28, 0
	s_and_saveexec_b32 s6, s26
	s_cbranch_execz .LBB108_281
; %bb.273:                              ;   in Loop: Header=BB108_6 Depth=1
	s_mov_b32 s26, exec_lo
	v_cmpx_ge_u32_e64 s22, v39
	s_xor_b32 s26, exec_lo, s26
	s_cbranch_execz .LBB108_278
; %bb.274:                              ;   in Loop: Header=BB108_6 Depth=1
	ds_read_b32 v1, v9 offset:4096
	v_or_b32_e32 v27, s18, v27
	v_or_b32_e32 v37, s18, v37
	s_waitcnt lgkmcnt(0)
	v_cmp_ne_u32_e32 vcc_lo, 0, v1
	s_cbranch_vccnz .LBB108_278
; %bb.275:                              ;   in Loop: Header=BB108_6 Depth=1
	s_and_saveexec_b32 s27, s3
; %bb.276:                              ;   in Loop: Header=BB108_6 Depth=1
	v_mov_b32_e32 v1, s22
	ds_write_b32 v9, v1 offset:4100
; %bb.277:                              ;   in Loop: Header=BB108_6 Depth=1
	s_or_b32 exec_lo, exec_lo, s27
	s_waitcnt lgkmcnt(0)
	s_barrier
	buffer_gl0_inv
.LBB108_278:                            ;   in Loop: Header=BB108_6 Depth=1
	s_or_saveexec_b32 s26, s26
	v_mov_b32_e32 v1, 5
	s_mov_b32 s27, 0
	s_xor_b32 exec_lo, exec_lo, s26
; %bb.279:                              ;   in Loop: Header=BB108_6 Depth=1
	v_subrev_nc_u32_e32 v39, s22, v39
	v_mov_b32_e32 v1, 0
	s_mov_b32 s27, exec_lo
; %bb.280:                              ;   in Loop: Header=BB108_6 Depth=1
	s_or_b32 exec_lo, exec_lo, s26
	v_mov_b32_e32 v4, v39
	s_and_b32 s28, s27, exec_lo
.LBB108_281:                            ;   in Loop: Header=BB108_6 Depth=1
	s_or_b32 exec_lo, exec_lo, s6
	s_mov_b32 s27, -1
                                        ; implicit-def: $sgpr22
                                        ; implicit-def: $sgpr26
	s_and_saveexec_b32 s6, s28
	s_xor_b32 s6, exec_lo, s6
	s_cbranch_execz .LBB108_398
; %bb.282:                              ;   in Loop: Header=BB108_6 Depth=1
	v_cmp_eq_u32_e32 vcc_lo, 1, v4
	s_cmp_eq_u32 s21, 1
	s_mov_b32 s29, -1
	s_cselect_b32 s22, -1, 0
                                        ; implicit-def: $sgpr26
	s_and_b32 s28, s22, vcc_lo
                                        ; implicit-def: $sgpr22
	s_and_saveexec_b32 s27, s28
	s_cbranch_execz .LBB108_308
; %bb.283:                              ;   in Loop: Header=BB108_6 Depth=1
	ds_read_b32 v2, v9 offset:4096
	s_waitcnt lgkmcnt(0)
	s_barrier
	buffer_gl0_inv
	v_readfirstlane_b32 s30, v2
	s_and_saveexec_b32 s22, s15
; %bb.284:                              ;   in Loop: Header=BB108_6 Depth=1
	ds_write_b16 v21, v9
; %bb.285:                              ;   in Loop: Header=BB108_6 Depth=1
	s_or_b32 exec_lo, exec_lo, s22
	s_lshl_b32 s22, 2, s76
	v_or_b32_e32 v37, s18, v37
	v_and_or_b32 v27, v27, s19, s22
	s_mov_b32 s22, -1
	s_mov_b32 s26, 0
	s_cmp_eq_u32 s30, 0
	s_mov_b32 s29, 0
	s_mov_b32 s31, -1
	s_waitcnt lgkmcnt(0)
	s_barrier
	buffer_gl0_inv
                                        ; implicit-def: $vgpr38
	s_cbranch_scc1 .LBB108_296
; %bb.286:                              ;   in Loop: Header=BB108_6 Depth=1
	s_add_i32 s29, s30, s59
                                        ; implicit-def: $vgpr38
	s_mul_hi_u32 s31, s29, s65
	s_mul_i32 s31, s31, s48
	s_sub_i32 s31, s29, s31
	s_sub_i32 s33, s31, s48
	s_cmp_ge_u32 s31, s48
	s_cselect_b32 s31, s33, s31
	s_sub_i32 s33, s31, s48
	s_cmp_ge_u32 s31, s48
	s_cselect_b32 s31, s33, s31
	s_mov_b32 s33, exec_lo
	s_sub_i32 s34, s29, s31
	s_mov_b32 s31, 0
	s_mov_b32 s29, 0
	v_cmpx_gt_u32_e64 s34, v0
	s_cbranch_execz .LBB108_295
; %bb.287:                              ;   in Loop: Header=BB108_6 Depth=1
	v_mov_b32_e32 v2, v20
	v_mov_b32_e32 v3, v0
                                        ; implicit-def: $sgpr83
	s_branch .LBB108_290
.LBB108_288:                            ;   in Loop: Header=BB108_290 Depth=2
	s_or_b32 exec_lo, exec_lo, s84
	s_waitcnt lgkmcnt(0)
	s_barrier
	buffer_gl0_inv
	ds_read_b32 v8, v9 offset:3072
	s_mov_b32 s84, -1
	s_mov_b32 s85, -1
	s_waitcnt lgkmcnt(0)
	s_barrier
	buffer_gl0_inv
	v_and_b32_e32 v13, 0x7fff, v8
	v_cmp_ne_u32_e32 vcc_lo, 0, v13
	s_cbranch_vccz .LBB108_293
.LBB108_289:                            ;   in Loop: Header=BB108_290 Depth=2
	s_and_b32 s84, exec_lo, s84
	s_or_b32 s29, s84, s29
	s_andn2_b32 s83, s83, exec_lo
	s_and_b32 s84, s85, exec_lo
	s_or_b32 s83, s83, s84
	s_andn2_b32 exec_lo, exec_lo, s29
	s_cbranch_execz .LBB108_294
.LBB108_290:                            ;   Parent Loop BB108_6 Depth=1
                                        ; =>  This Inner Loop Header: Depth=2
	s_mov_b32 s84, exec_lo
	v_cmpx_gt_u32_e64 s30, v3
	s_cbranch_execz .LBB108_288
; %bb.291:                              ;   in Loop: Header=BB108_290 Depth=2
	ds_read_u16 v8, v2
	s_waitcnt lgkmcnt(0)
	v_cmp_lt_i16_e32 vcc_lo, -1, v8
	v_lshlrev_b32_e32 v14, 16, v8
	v_cndmask_b32_e32 v13, 0xffff, v35, vcc_lo
	v_cmp_o_f32_e32 vcc_lo, v14, v14
	v_xor_b32_sdwa v13, v13, v8 dst_sel:DWORD dst_unused:UNUSED_PAD src0_sel:DWORD src1_sel:WORD_0
	v_cndmask_b32_e32 v13, 0xffff, v13, vcc_lo
	v_and_b32_e32 v13, v13, v37
	v_cmp_eq_u32_e32 vcc_lo, v13, v27
	s_and_b32 exec_lo, exec_lo, vcc_lo
	s_cbranch_execz .LBB108_288
; %bb.292:                              ;   in Loop: Header=BB108_290 Depth=2
	v_perm_b32 v8, v8, s71, 0x5040100
	ds_write_b32 v9, v8 offset:3072
	s_branch .LBB108_288
.LBB108_293:                            ;   in Loop: Header=BB108_290 Depth=2
	v_add_nc_u32_e32 v3, s48, v3
	v_add_nc_u32_e32 v2, s69, v2
	s_mov_b32 s85, 0
	v_cmp_le_u32_e32 vcc_lo, s34, v3
	s_orn2_b32 s84, vcc_lo, exec_lo
	s_branch .LBB108_289
.LBB108_294:                            ;   in Loop: Header=BB108_6 Depth=1
	s_or_b32 exec_lo, exec_lo, s29
	v_lshrrev_b32_e32 v38, 16, v8
	s_and_b32 s29, s83, exec_lo
.LBB108_295:                            ;   in Loop: Header=BB108_6 Depth=1
	s_or_b32 exec_lo, exec_lo, s33
.LBB108_296:                            ;   in Loop: Header=BB108_6 Depth=1
	s_and_b32 vcc_lo, exec_lo, s31
	s_cbranch_vccz .LBB108_307
; %bb.297:                              ;   in Loop: Header=BB108_6 Depth=1
                                        ; implicit-def: $vgpr38
	s_and_saveexec_b32 s22, s13
	s_cbranch_execz .LBB108_306
; %bb.298:                              ;   in Loop: Header=BB108_6 Depth=1
	v_mov_b32_e32 v8, v7
	v_mov_b32_e32 v2, v0
	s_mov_b32 s26, 0
                                        ; implicit-def: $sgpr30
	s_branch .LBB108_301
.LBB108_299:                            ;   in Loop: Header=BB108_301 Depth=2
	s_or_b32 exec_lo, exec_lo, s31
	s_waitcnt lgkmcnt(0)
	s_barrier
	buffer_gl0_inv
	ds_read_b32 v3, v9 offset:3072
	s_mov_b32 s31, -1
	s_mov_b32 s33, -1
	s_waitcnt lgkmcnt(0)
	s_barrier
	buffer_gl0_inv
	v_and_b32_e32 v13, 0x7fff, v3
	v_cmp_eq_u32_e32 vcc_lo, 0, v13
	s_cbranch_vccnz .LBB108_304
.LBB108_300:                            ;   in Loop: Header=BB108_301 Depth=2
	s_and_b32 s31, exec_lo, s31
	s_or_b32 s26, s31, s26
	s_andn2_b32 s30, s30, exec_lo
	s_and_b32 s31, s33, exec_lo
	s_or_b32 s30, s30, s31
	s_andn2_b32 exec_lo, exec_lo, s26
	s_cbranch_execz .LBB108_305
.LBB108_301:                            ;   Parent Loop BB108_6 Depth=1
                                        ; =>  This Inner Loop Header: Depth=2
	s_mov_b32 s31, exec_lo
	v_cmpx_gt_u32_e64 s36, v2
	s_cbranch_execz .LBB108_299
; %bb.302:                              ;   in Loop: Header=BB108_301 Depth=2
	v_lshlrev_b64 v[13:14], 1, v[8:9]
	v_add_co_u32 v13, vcc_lo, s46, v13
	v_add_co_ci_u32_e64 v14, null, s47, v14, vcc_lo
	global_load_ushort v3, v[13:14], off
	s_waitcnt vmcnt(0)
	v_cmp_lt_i16_e32 vcc_lo, -1, v3
	v_lshlrev_b32_e32 v14, 16, v3
	v_cndmask_b32_e32 v13, 0xffff, v35, vcc_lo
	v_cmp_o_f32_e32 vcc_lo, v14, v14
	v_xor_b32_sdwa v13, v13, v3 dst_sel:DWORD dst_unused:UNUSED_PAD src0_sel:DWORD src1_sel:WORD_0
	v_cndmask_b32_e32 v13, 0xffff, v13, vcc_lo
	v_and_b32_e32 v13, v13, v37
	v_cmp_eq_u32_e32 vcc_lo, v13, v27
	s_and_b32 exec_lo, exec_lo, vcc_lo
	s_cbranch_execz .LBB108_299
; %bb.303:                              ;   in Loop: Header=BB108_301 Depth=2
	v_perm_b32 v3, v3, s71, 0x5040100
	ds_write_b32 v9, v3 offset:3072
	s_branch .LBB108_299
.LBB108_304:                            ;   in Loop: Header=BB108_301 Depth=2
	v_add_nc_u32_e32 v2, s48, v2
	v_add_nc_u32_e32 v8, s49, v8
	s_mov_b32 s33, 0
	v_cmp_le_u32_e32 vcc_lo, s66, v2
	s_orn2_b32 s31, vcc_lo, exec_lo
	s_branch .LBB108_300
.LBB108_305:                            ;   in Loop: Header=BB108_6 Depth=1
	s_or_b32 exec_lo, exec_lo, s26
	v_lshrrev_b32_e32 v38, 16, v3
	s_andn2_b32 s26, s29, exec_lo
	s_and_b32 s29, s30, exec_lo
	s_or_b32 s29, s26, s29
.LBB108_306:                            ;   in Loop: Header=BB108_6 Depth=1
	s_or_b32 exec_lo, exec_lo, s22
	s_mov_b32 s22, 0
	s_mov_b32 s26, -1
.LBB108_307:                            ;   in Loop: Header=BB108_6 Depth=1
	s_orn2_b32 s29, s29, exec_lo
.LBB108_308:                            ;   in Loop: Header=BB108_6 Depth=1
	s_or_b32 exec_lo, exec_lo, s27
	s_mov_b32 s30, 0
	s_and_saveexec_b32 s27, s29
	s_cbranch_execz .LBB108_397
; %bb.309:                              ;   in Loop: Header=BB108_6 Depth=1
	v_mov_b32_e32 v2, 1
	v_mov_b32_e32 v1, 1
	s_xor_b32 s29, s28, -1
	s_mov_b32 s31, 0
	s_and_saveexec_b32 s28, s29
	s_cbranch_execz .LBB108_318
; %bb.310:                              ;   in Loop: Header=BB108_6 Depth=1
	s_mov_b32 s29, exec_lo
	v_cmpx_ge_u32_e64 s21, v4
	s_xor_b32 s29, exec_lo, s29
	s_cbranch_execz .LBB108_315
; %bb.311:                              ;   in Loop: Header=BB108_6 Depth=1
	ds_read_b32 v1, v9 offset:4096
	s_lshl_b32 s30, 2, s76
	v_or_b32_e32 v37, s18, v37
	v_and_or_b32 v27, v27, s19, s30
	s_waitcnt lgkmcnt(0)
	v_cmp_ne_u32_e32 vcc_lo, 0, v1
	s_cbranch_vccnz .LBB108_315
; %bb.312:                              ;   in Loop: Header=BB108_6 Depth=1
	s_and_saveexec_b32 s30, s3
; %bb.313:                              ;   in Loop: Header=BB108_6 Depth=1
	v_mov_b32_e32 v1, s21
	ds_write_b32 v9, v1 offset:4100
; %bb.314:                              ;   in Loop: Header=BB108_6 Depth=1
	s_or_b32 exec_lo, exec_lo, s30
	s_waitcnt lgkmcnt(0)
	s_barrier
	buffer_gl0_inv
.LBB108_315:                            ;   in Loop: Header=BB108_6 Depth=1
	s_or_saveexec_b32 s29, s29
	v_mov_b32_e32 v1, 5
	s_mov_b32 s30, 0
	s_xor_b32 exec_lo, exec_lo, s29
; %bb.316:                              ;   in Loop: Header=BB108_6 Depth=1
	v_subrev_nc_u32_e32 v4, s21, v4
	v_mov_b32_e32 v1, 0
	s_mov_b32 s30, exec_lo
; %bb.317:                              ;   in Loop: Header=BB108_6 Depth=1
	s_or_b32 exec_lo, exec_lo, s29
	v_mov_b32_e32 v2, v4
	s_and_b32 s31, s30, exec_lo
.LBB108_318:                            ;   in Loop: Header=BB108_6 Depth=1
	s_or_b32 exec_lo, exec_lo, s28
	s_mov_b32 s30, -1
                                        ; implicit-def: $sgpr28
                                        ; implicit-def: $sgpr29
	s_and_saveexec_b32 s21, s31
	s_cbranch_execz .LBB108_396
; %bb.319:                              ;   in Loop: Header=BB108_6 Depth=1
	v_cmp_eq_u32_e32 vcc_lo, 1, v2
	s_cmp_eq_u32 s20, 1
	s_mov_b32 s33, -1
	s_cselect_b32 s28, -1, 0
                                        ; implicit-def: $sgpr29
	s_and_b32 s31, s28, vcc_lo
                                        ; implicit-def: $sgpr28
	s_and_saveexec_b32 s30, s31
	s_cbranch_execz .LBB108_345
; %bb.320:                              ;   in Loop: Header=BB108_6 Depth=1
	ds_read_b32 v3, v9 offset:4096
	s_waitcnt lgkmcnt(0)
	s_barrier
	buffer_gl0_inv
	v_readfirstlane_b32 s34, v3
	s_and_saveexec_b32 s28, s15
; %bb.321:                              ;   in Loop: Header=BB108_6 Depth=1
	ds_write_b16 v21, v9
; %bb.322:                              ;   in Loop: Header=BB108_6 Depth=1
	s_or_b32 exec_lo, exec_lo, s28
	s_lshl_b32 s28, 1, s76
	v_or_b32_e32 v37, s18, v37
	v_and_or_b32 v27, v27, s19, s28
	s_mov_b32 s28, -1
	s_mov_b32 s29, 0
	s_cmp_eq_u32 s34, 0
	s_mov_b32 s33, 0
	s_mov_b32 s83, -1
	s_waitcnt lgkmcnt(0)
	s_barrier
	buffer_gl0_inv
                                        ; implicit-def: $vgpr38
	s_cbranch_scc1 .LBB108_333
; %bb.323:                              ;   in Loop: Header=BB108_6 Depth=1
	s_add_i32 s33, s34, s59
                                        ; implicit-def: $vgpr38
	s_mul_hi_u32 s83, s33, s65
	s_mul_i32 s83, s83, s48
	s_sub_i32 s83, s33, s83
	s_sub_i32 s84, s83, s48
	s_cmp_ge_u32 s83, s48
	s_cselect_b32 s83, s84, s83
	s_sub_i32 s84, s83, s48
	s_cmp_ge_u32 s83, s48
	s_cselect_b32 s83, s84, s83
	s_mov_b32 s84, exec_lo
	s_sub_i32 s85, s33, s83
	s_mov_b32 s83, 0
	s_mov_b32 s33, 0
	v_cmpx_gt_u32_e64 s85, v0
	s_cbranch_execz .LBB108_332
; %bb.324:                              ;   in Loop: Header=BB108_6 Depth=1
	v_mov_b32_e32 v3, v20
	v_mov_b32_e32 v4, v0
                                        ; implicit-def: $sgpr86
	s_branch .LBB108_327
.LBB108_325:                            ;   in Loop: Header=BB108_327 Depth=2
	s_or_b32 exec_lo, exec_lo, s87
	s_waitcnt lgkmcnt(0)
	s_barrier
	buffer_gl0_inv
	ds_read_b32 v8, v9 offset:3072
	s_mov_b32 s87, -1
	s_mov_b32 s88, -1
	s_waitcnt lgkmcnt(0)
	s_barrier
	buffer_gl0_inv
	v_and_b32_e32 v13, 0x7fff, v8
	v_cmp_ne_u32_e32 vcc_lo, 0, v13
	s_cbranch_vccz .LBB108_330
.LBB108_326:                            ;   in Loop: Header=BB108_327 Depth=2
	s_and_b32 s87, exec_lo, s87
	s_or_b32 s33, s87, s33
	s_andn2_b32 s86, s86, exec_lo
	s_and_b32 s87, s88, exec_lo
	s_or_b32 s86, s86, s87
	s_andn2_b32 exec_lo, exec_lo, s33
	s_cbranch_execz .LBB108_331
.LBB108_327:                            ;   Parent Loop BB108_6 Depth=1
                                        ; =>  This Inner Loop Header: Depth=2
	s_mov_b32 s87, exec_lo
	v_cmpx_gt_u32_e64 s34, v4
	s_cbranch_execz .LBB108_325
; %bb.328:                              ;   in Loop: Header=BB108_327 Depth=2
	ds_read_u16 v8, v3
	s_waitcnt lgkmcnt(0)
	v_cmp_lt_i16_e32 vcc_lo, -1, v8
	v_lshlrev_b32_e32 v14, 16, v8
	v_cndmask_b32_e32 v13, 0xffff, v35, vcc_lo
	v_cmp_o_f32_e32 vcc_lo, v14, v14
	v_xor_b32_sdwa v13, v13, v8 dst_sel:DWORD dst_unused:UNUSED_PAD src0_sel:DWORD src1_sel:WORD_0
	v_cndmask_b32_e32 v13, 0xffff, v13, vcc_lo
	v_and_b32_e32 v13, v13, v37
	v_cmp_eq_u32_e32 vcc_lo, v13, v27
	s_and_b32 exec_lo, exec_lo, vcc_lo
	s_cbranch_execz .LBB108_325
; %bb.329:                              ;   in Loop: Header=BB108_327 Depth=2
	v_perm_b32 v8, v8, s71, 0x5040100
	ds_write_b32 v9, v8 offset:3072
	s_branch .LBB108_325
.LBB108_330:                            ;   in Loop: Header=BB108_327 Depth=2
	v_add_nc_u32_e32 v4, s48, v4
	v_add_nc_u32_e32 v3, s69, v3
	s_mov_b32 s88, 0
	v_cmp_le_u32_e32 vcc_lo, s85, v4
	s_orn2_b32 s87, vcc_lo, exec_lo
	s_branch .LBB108_326
.LBB108_331:                            ;   in Loop: Header=BB108_6 Depth=1
	s_or_b32 exec_lo, exec_lo, s33
	v_lshrrev_b32_e32 v38, 16, v8
	s_and_b32 s33, s86, exec_lo
.LBB108_332:                            ;   in Loop: Header=BB108_6 Depth=1
	s_or_b32 exec_lo, exec_lo, s84
.LBB108_333:                            ;   in Loop: Header=BB108_6 Depth=1
	s_and_b32 vcc_lo, exec_lo, s83
	s_cbranch_vccz .LBB108_344
; %bb.334:                              ;   in Loop: Header=BB108_6 Depth=1
                                        ; implicit-def: $vgpr38
	s_and_saveexec_b32 s28, s13
	s_cbranch_execz .LBB108_343
; %bb.335:                              ;   in Loop: Header=BB108_6 Depth=1
	v_mov_b32_e32 v8, v7
	v_mov_b32_e32 v3, v0
	s_mov_b32 s29, 0
                                        ; implicit-def: $sgpr34
	s_branch .LBB108_338
.LBB108_336:                            ;   in Loop: Header=BB108_338 Depth=2
	s_or_b32 exec_lo, exec_lo, s83
	s_waitcnt lgkmcnt(0)
	s_barrier
	buffer_gl0_inv
	ds_read_b32 v4, v9 offset:3072
	s_mov_b32 s83, -1
	s_mov_b32 s84, -1
	s_waitcnt lgkmcnt(0)
	s_barrier
	buffer_gl0_inv
	v_and_b32_e32 v13, 0x7fff, v4
	v_cmp_eq_u32_e32 vcc_lo, 0, v13
	s_cbranch_vccnz .LBB108_341
.LBB108_337:                            ;   in Loop: Header=BB108_338 Depth=2
	s_and_b32 s83, exec_lo, s83
	s_or_b32 s29, s83, s29
	s_andn2_b32 s34, s34, exec_lo
	s_and_b32 s83, s84, exec_lo
	s_or_b32 s34, s34, s83
	s_andn2_b32 exec_lo, exec_lo, s29
	s_cbranch_execz .LBB108_342
.LBB108_338:                            ;   Parent Loop BB108_6 Depth=1
                                        ; =>  This Inner Loop Header: Depth=2
	s_mov_b32 s83, exec_lo
	v_cmpx_gt_u32_e64 s36, v3
	s_cbranch_execz .LBB108_336
; %bb.339:                              ;   in Loop: Header=BB108_338 Depth=2
	v_lshlrev_b64 v[13:14], 1, v[8:9]
	v_add_co_u32 v13, vcc_lo, s46, v13
	v_add_co_ci_u32_e64 v14, null, s47, v14, vcc_lo
	global_load_ushort v4, v[13:14], off
	s_waitcnt vmcnt(0)
	v_cmp_lt_i16_e32 vcc_lo, -1, v4
	v_lshlrev_b32_e32 v14, 16, v4
	v_cndmask_b32_e32 v13, 0xffff, v35, vcc_lo
	v_cmp_o_f32_e32 vcc_lo, v14, v14
	v_xor_b32_sdwa v13, v13, v4 dst_sel:DWORD dst_unused:UNUSED_PAD src0_sel:DWORD src1_sel:WORD_0
	v_cndmask_b32_e32 v13, 0xffff, v13, vcc_lo
	v_and_b32_e32 v13, v13, v37
	v_cmp_eq_u32_e32 vcc_lo, v13, v27
	s_and_b32 exec_lo, exec_lo, vcc_lo
	s_cbranch_execz .LBB108_336
; %bb.340:                              ;   in Loop: Header=BB108_338 Depth=2
	v_perm_b32 v4, v4, s71, 0x5040100
	ds_write_b32 v9, v4 offset:3072
	s_branch .LBB108_336
.LBB108_341:                            ;   in Loop: Header=BB108_338 Depth=2
	v_add_nc_u32_e32 v3, s48, v3
	v_add_nc_u32_e32 v8, s49, v8
	s_mov_b32 s84, 0
	v_cmp_le_u32_e32 vcc_lo, s66, v3
	s_orn2_b32 s83, vcc_lo, exec_lo
	s_branch .LBB108_337
.LBB108_342:                            ;   in Loop: Header=BB108_6 Depth=1
	s_or_b32 exec_lo, exec_lo, s29
	v_lshrrev_b32_e32 v38, 16, v4
	s_andn2_b32 s29, s33, exec_lo
	s_and_b32 s33, s34, exec_lo
	s_or_b32 s33, s29, s33
.LBB108_343:                            ;   in Loop: Header=BB108_6 Depth=1
	s_or_b32 exec_lo, exec_lo, s28
	s_mov_b32 s28, 0
	s_mov_b32 s29, -1
.LBB108_344:                            ;   in Loop: Header=BB108_6 Depth=1
	s_orn2_b32 s33, s33, exec_lo
.LBB108_345:                            ;   in Loop: Header=BB108_6 Depth=1
	s_or_b32 exec_lo, exec_lo, s30
	s_mov_b32 s34, 0
	s_and_saveexec_b32 s30, s33
	s_cbranch_execz .LBB108_395
; %bb.346:                              ;   in Loop: Header=BB108_6 Depth=1
	v_mov_b32_e32 v3, 1
	v_mov_b32_e32 v1, 1
	s_xor_b32 s33, s31, -1
	s_mov_b32 s83, 0
	s_and_saveexec_b32 s31, s33
	s_cbranch_execz .LBB108_355
; %bb.347:                              ;   in Loop: Header=BB108_6 Depth=1
	s_mov_b32 s33, exec_lo
	v_cmpx_ge_u32_e64 s20, v2
	s_xor_b32 s33, exec_lo, s33
	s_cbranch_execz .LBB108_352
; %bb.348:                              ;   in Loop: Header=BB108_6 Depth=1
	ds_read_b32 v1, v9 offset:4096
	s_lshl_b32 s34, 1, s76
	v_or_b32_e32 v37, s18, v37
	v_and_or_b32 v27, v27, s19, s34
	s_waitcnt lgkmcnt(0)
	v_cmp_ne_u32_e32 vcc_lo, 0, v1
	s_cbranch_vccnz .LBB108_352
; %bb.349:                              ;   in Loop: Header=BB108_6 Depth=1
	s_and_saveexec_b32 s34, s3
; %bb.350:                              ;   in Loop: Header=BB108_6 Depth=1
	v_mov_b32_e32 v1, s20
	ds_write_b32 v9, v1 offset:4100
; %bb.351:                              ;   in Loop: Header=BB108_6 Depth=1
	s_or_b32 exec_lo, exec_lo, s34
	s_waitcnt lgkmcnt(0)
	s_barrier
	buffer_gl0_inv
.LBB108_352:                            ;   in Loop: Header=BB108_6 Depth=1
	s_or_saveexec_b32 s33, s33
	v_mov_b32_e32 v1, 5
	s_mov_b32 s34, 0
	s_xor_b32 exec_lo, exec_lo, s33
; %bb.353:                              ;   in Loop: Header=BB108_6 Depth=1
	v_subrev_nc_u32_e32 v2, s20, v2
	v_mov_b32_e32 v1, 0
	s_mov_b32 s34, exec_lo
; %bb.354:                              ;   in Loop: Header=BB108_6 Depth=1
	s_or_b32 exec_lo, exec_lo, s33
	v_mov_b32_e32 v3, v2
	s_and_b32 s83, s34, exec_lo
.LBB108_355:                            ;   in Loop: Header=BB108_6 Depth=1
	s_or_b32 exec_lo, exec_lo, s31
	s_mov_b32 s31, -1
                                        ; implicit-def: $sgpr34
                                        ; implicit-def: $sgpr33
	s_and_saveexec_b32 s20, s83
	s_cbranch_execz .LBB108_394
; %bb.356:                              ;   in Loop: Header=BB108_6 Depth=1
	v_cmp_eq_u32_e32 vcc_lo, 1, v3
	s_cmp_eq_u32 s17, 1
	s_mov_b32 s84, -1
	s_cselect_b32 s31, -1, 0
                                        ; implicit-def: $sgpr34
                                        ; implicit-def: $sgpr33
	s_and_b32 s31, s31, vcc_lo
	s_and_saveexec_b32 s83, s31
	s_cbranch_execz .LBB108_382
; %bb.357:                              ;   in Loop: Header=BB108_6 Depth=1
	ds_read_b32 v2, v9 offset:4096
	s_waitcnt lgkmcnt(0)
	s_barrier
	buffer_gl0_inv
	v_readfirstlane_b32 s85, v2
	s_and_saveexec_b32 s33, s15
; %bb.358:                              ;   in Loop: Header=BB108_6 Depth=1
	ds_write_b16 v21, v9
; %bb.359:                              ;   in Loop: Header=BB108_6 Depth=1
	s_or_b32 exec_lo, exec_lo, s33
	v_and_b32_e32 v27, s19, v27
	v_or_b32_e32 v37, s18, v37
	s_mov_b32 s33, -1
	s_mov_b32 s34, 0
	s_cmp_eq_u32 s85, 0
	s_mov_b32 s84, 0
	s_mov_b32 s86, -1
	s_waitcnt lgkmcnt(0)
	s_barrier
	buffer_gl0_inv
                                        ; implicit-def: $vgpr38
	s_cbranch_scc1 .LBB108_370
; %bb.360:                              ;   in Loop: Header=BB108_6 Depth=1
	s_add_i32 s84, s85, s59
                                        ; implicit-def: $vgpr38
	s_mul_hi_u32 s86, s84, s65
	s_mul_i32 s86, s86, s48
	s_sub_i32 s86, s84, s86
	s_sub_i32 s87, s86, s48
	s_cmp_ge_u32 s86, s48
	s_cselect_b32 s86, s87, s86
	s_sub_i32 s87, s86, s48
	s_cmp_ge_u32 s86, s48
	s_cselect_b32 s86, s87, s86
	s_mov_b32 s87, exec_lo
	s_sub_i32 s88, s84, s86
	s_mov_b32 s86, 0
	s_mov_b32 s84, 0
	v_cmpx_gt_u32_e64 s88, v0
	s_cbranch_execz .LBB108_369
; %bb.361:                              ;   in Loop: Header=BB108_6 Depth=1
	v_mov_b32_e32 v2, v20
	v_mov_b32_e32 v4, v0
                                        ; implicit-def: $sgpr89
	s_branch .LBB108_364
.LBB108_362:                            ;   in Loop: Header=BB108_364 Depth=2
	s_or_b32 exec_lo, exec_lo, s90
	s_waitcnt lgkmcnt(0)
	s_barrier
	buffer_gl0_inv
	ds_read_b32 v8, v9 offset:3072
	s_mov_b32 s90, -1
	s_mov_b32 s91, -1
	s_waitcnt lgkmcnt(0)
	s_barrier
	buffer_gl0_inv
	v_and_b32_e32 v13, 0x7fff, v8
	v_cmp_ne_u32_e32 vcc_lo, 0, v13
	s_cbranch_vccz .LBB108_367
.LBB108_363:                            ;   in Loop: Header=BB108_364 Depth=2
	s_and_b32 s90, exec_lo, s90
	s_or_b32 s84, s90, s84
	s_andn2_b32 s89, s89, exec_lo
	s_and_b32 s90, s91, exec_lo
	s_or_b32 s89, s89, s90
	s_andn2_b32 exec_lo, exec_lo, s84
	s_cbranch_execz .LBB108_368
.LBB108_364:                            ;   Parent Loop BB108_6 Depth=1
                                        ; =>  This Inner Loop Header: Depth=2
	s_mov_b32 s90, exec_lo
	v_cmpx_gt_u32_e64 s85, v4
	s_cbranch_execz .LBB108_362
; %bb.365:                              ;   in Loop: Header=BB108_364 Depth=2
	ds_read_u16 v8, v2
	s_waitcnt lgkmcnt(0)
	v_cmp_lt_i16_e32 vcc_lo, -1, v8
	v_lshlrev_b32_e32 v14, 16, v8
	v_cndmask_b32_e32 v13, 0xffff, v35, vcc_lo
	v_cmp_o_f32_e32 vcc_lo, v14, v14
	v_xor_b32_sdwa v13, v13, v8 dst_sel:DWORD dst_unused:UNUSED_PAD src0_sel:DWORD src1_sel:WORD_0
	v_cndmask_b32_e32 v13, 0xffff, v13, vcc_lo
	v_and_b32_e32 v13, v13, v37
	v_cmp_eq_u32_e32 vcc_lo, v13, v27
	s_and_b32 exec_lo, exec_lo, vcc_lo
	s_cbranch_execz .LBB108_362
; %bb.366:                              ;   in Loop: Header=BB108_364 Depth=2
	v_perm_b32 v8, v8, s71, 0x5040100
	ds_write_b32 v9, v8 offset:3072
	s_branch .LBB108_362
.LBB108_367:                            ;   in Loop: Header=BB108_364 Depth=2
	v_add_nc_u32_e32 v4, s48, v4
	v_add_nc_u32_e32 v2, s69, v2
	s_mov_b32 s91, 0
	v_cmp_le_u32_e32 vcc_lo, s88, v4
	s_orn2_b32 s90, vcc_lo, exec_lo
	s_branch .LBB108_363
.LBB108_368:                            ;   in Loop: Header=BB108_6 Depth=1
	s_or_b32 exec_lo, exec_lo, s84
	v_lshrrev_b32_e32 v38, 16, v8
	s_and_b32 s84, s89, exec_lo
.LBB108_369:                            ;   in Loop: Header=BB108_6 Depth=1
	s_or_b32 exec_lo, exec_lo, s87
.LBB108_370:                            ;   in Loop: Header=BB108_6 Depth=1
	s_and_b32 vcc_lo, exec_lo, s86
	s_cbranch_vccz .LBB108_381
; %bb.371:                              ;   in Loop: Header=BB108_6 Depth=1
                                        ; implicit-def: $vgpr38
	s_and_saveexec_b32 s33, s13
	s_cbranch_execz .LBB108_380
; %bb.372:                              ;   in Loop: Header=BB108_6 Depth=1
	v_mov_b32_e32 v8, v7
	v_mov_b32_e32 v2, v0
	s_mov_b32 s34, 0
                                        ; implicit-def: $sgpr85
	s_branch .LBB108_375
.LBB108_373:                            ;   in Loop: Header=BB108_375 Depth=2
	s_or_b32 exec_lo, exec_lo, s86
	s_waitcnt lgkmcnt(0)
	s_barrier
	buffer_gl0_inv
	ds_read_b32 v4, v9 offset:3072
	s_mov_b32 s86, -1
	s_mov_b32 s87, -1
	s_waitcnt lgkmcnt(0)
	s_barrier
	buffer_gl0_inv
	v_and_b32_e32 v13, 0x7fff, v4
	v_cmp_eq_u32_e32 vcc_lo, 0, v13
	s_cbranch_vccnz .LBB108_378
.LBB108_374:                            ;   in Loop: Header=BB108_375 Depth=2
	s_and_b32 s86, exec_lo, s86
	s_or_b32 s34, s86, s34
	s_andn2_b32 s85, s85, exec_lo
	s_and_b32 s86, s87, exec_lo
	s_or_b32 s85, s85, s86
	s_andn2_b32 exec_lo, exec_lo, s34
	s_cbranch_execz .LBB108_379
.LBB108_375:                            ;   Parent Loop BB108_6 Depth=1
                                        ; =>  This Inner Loop Header: Depth=2
	s_mov_b32 s86, exec_lo
	v_cmpx_gt_u32_e64 s36, v2
	s_cbranch_execz .LBB108_373
; %bb.376:                              ;   in Loop: Header=BB108_375 Depth=2
	v_lshlrev_b64 v[13:14], 1, v[8:9]
	v_add_co_u32 v13, vcc_lo, s46, v13
	v_add_co_ci_u32_e64 v14, null, s47, v14, vcc_lo
	global_load_ushort v4, v[13:14], off
	s_waitcnt vmcnt(0)
	v_cmp_lt_i16_e32 vcc_lo, -1, v4
	v_lshlrev_b32_e32 v14, 16, v4
	v_cndmask_b32_e32 v13, 0xffff, v35, vcc_lo
	v_cmp_o_f32_e32 vcc_lo, v14, v14
	v_xor_b32_sdwa v13, v13, v4 dst_sel:DWORD dst_unused:UNUSED_PAD src0_sel:DWORD src1_sel:WORD_0
	v_cndmask_b32_e32 v13, 0xffff, v13, vcc_lo
	v_and_b32_e32 v13, v13, v37
	v_cmp_eq_u32_e32 vcc_lo, v13, v27
	s_and_b32 exec_lo, exec_lo, vcc_lo
	s_cbranch_execz .LBB108_373
; %bb.377:                              ;   in Loop: Header=BB108_375 Depth=2
	v_perm_b32 v4, v4, s71, 0x5040100
	ds_write_b32 v9, v4 offset:3072
	s_branch .LBB108_373
.LBB108_378:                            ;   in Loop: Header=BB108_375 Depth=2
	v_add_nc_u32_e32 v2, s48, v2
	v_add_nc_u32_e32 v8, s49, v8
	s_mov_b32 s87, 0
	v_cmp_le_u32_e32 vcc_lo, s66, v2
	s_orn2_b32 s86, vcc_lo, exec_lo
	s_branch .LBB108_374
.LBB108_379:                            ;   in Loop: Header=BB108_6 Depth=1
	s_or_b32 exec_lo, exec_lo, s34
	v_lshrrev_b32_e32 v38, 16, v4
	s_andn2_b32 s34, s84, exec_lo
	s_and_b32 s84, s85, exec_lo
	s_or_b32 s84, s34, s84
.LBB108_380:                            ;   in Loop: Header=BB108_6 Depth=1
	s_or_b32 exec_lo, exec_lo, s33
	s_mov_b32 s33, 0
	s_mov_b32 s34, -1
.LBB108_381:                            ;   in Loop: Header=BB108_6 Depth=1
	s_orn2_b32 s84, s84, exec_lo
.LBB108_382:                            ;   in Loop: Header=BB108_6 Depth=1
	s_or_b32 exec_lo, exec_lo, s83
	s_mov_b32 s85, 0
	s_and_saveexec_b32 s83, s84
	s_cbranch_execz .LBB108_393
; %bb.383:                              ;   in Loop: Header=BB108_6 Depth=1
	v_mov_b32_e32 v1, 1
	v_mov_b32_e32 v2, 1
	s_xor_b32 s84, s31, -1
	s_and_saveexec_b32 s31, s84
	s_cbranch_execz .LBB108_392
; %bb.384:                              ;   in Loop: Header=BB108_6 Depth=1
	s_mov_b32 s84, exec_lo
	v_cmpx_ge_u32_e64 s17, v3
	s_xor_b32 s84, exec_lo, s84
	s_cbranch_execz .LBB108_389
; %bb.385:                              ;   in Loop: Header=BB108_6 Depth=1
	ds_read_b32 v1, v9 offset:4096
	v_and_b32_e32 v27, s19, v27
	v_or_b32_e32 v37, s18, v37
	s_waitcnt lgkmcnt(0)
	v_cmp_ne_u32_e32 vcc_lo, 0, v1
	s_cbranch_vccnz .LBB108_389
; %bb.386:                              ;   in Loop: Header=BB108_6 Depth=1
	s_and_saveexec_b32 s18, s3
; %bb.387:                              ;   in Loop: Header=BB108_6 Depth=1
	v_mov_b32_e32 v1, s17
	ds_write_b32 v9, v1 offset:4100
; %bb.388:                              ;   in Loop: Header=BB108_6 Depth=1
	s_or_b32 exec_lo, exec_lo, s18
	s_waitcnt lgkmcnt(0)
	s_barrier
	buffer_gl0_inv
.LBB108_389:                            ;   in Loop: Header=BB108_6 Depth=1
	s_andn2_saveexec_b32 s18, s84
; %bb.390:                              ;   in Loop: Header=BB108_6 Depth=1
	v_subrev_nc_u32_e32 v3, s17, v3
; %bb.391:                              ;   in Loop: Header=BB108_6 Depth=1
	s_or_b32 exec_lo, exec_lo, s18
	v_mov_b32_e32 v1, 5
	v_mov_b32_e32 v2, v3
.LBB108_392:                            ;   in Loop: Header=BB108_6 Depth=1
	s_or_b32 exec_lo, exec_lo, s31
	v_mov_b32_e32 v3, v2
	s_mov_b32 s85, exec_lo
.LBB108_393:                            ;   in Loop: Header=BB108_6 Depth=1
	s_or_b32 exec_lo, exec_lo, s83
	s_orn2_b32 s31, s85, exec_lo
.LBB108_394:                            ;   in Loop: Header=BB108_6 Depth=1
	s_or_b32 exec_lo, exec_lo, s20
	v_mov_b32_e32 v2, v3
	s_andn2_b32 s17, s29, exec_lo
	s_and_b32 s18, s34, exec_lo
	s_andn2_b32 s19, s28, exec_lo
	s_and_b32 s20, s33, exec_lo
	s_or_b32 s29, s17, s18
	s_or_b32 s28, s19, s20
	s_and_b32 s34, s31, exec_lo
.LBB108_395:                            ;   in Loop: Header=BB108_6 Depth=1
	s_or_b32 exec_lo, exec_lo, s30
	s_orn2_b32 s30, s34, exec_lo
.LBB108_396:                            ;   in Loop: Header=BB108_6 Depth=1
	s_or_b32 exec_lo, exec_lo, s21
	v_mov_b32_e32 v4, v2
	s_andn2_b32 s17, s26, exec_lo
	s_and_b32 s18, s29, exec_lo
	s_andn2_b32 s19, s22, exec_lo
	s_and_b32 s20, s28, exec_lo
	s_or_b32 s26, s17, s18
	s_or_b32 s22, s19, s20
	s_and_b32 s30, s30, exec_lo
.LBB108_397:                            ;   in Loop: Header=BB108_6 Depth=1
	s_or_b32 exec_lo, exec_lo, s27
	s_orn2_b32 s27, s30, exec_lo
.LBB108_398:                            ;   in Loop: Header=BB108_6 Depth=1
	s_or_b32 exec_lo, exec_lo, s6
	s_mov_b32 s6, s24
	s_mov_b32 s17, s23
	s_and_saveexec_b32 s18, s27
; %bb.399:                              ;   in Loop: Header=BB108_6 Depth=1
	v_cmp_ne_u32_e32 vcc_lo, 5, v1
	v_cmp_eq_u32_e64 s6, 5, v1
	s_andn2_b32 s17, s23, exec_lo
	s_andn2_b32 s19, s24, exec_lo
	s_and_b32 s20, vcc_lo, exec_lo
	s_and_b32 s6, s6, exec_lo
	s_or_b32 s17, s17, s20
	s_or_b32 s6, s19, s6
; %bb.400:                              ;   in Loop: Header=BB108_6 Depth=1
	s_or_b32 exec_lo, exec_lo, s18
	s_andn2_b32 s14, s14, exec_lo
	s_and_b32 s18, s26, exec_lo
	s_andn2_b32 s16, s16, exec_lo
	s_and_b32 s19, s22, exec_lo
	s_or_b32 s14, s14, s18
	s_or_b32 s16, s16, s19
	s_andn2_b32 s18, s23, exec_lo
	s_and_b32 s17, s17, exec_lo
	s_andn2_b32 s19, s24, exec_lo
	s_and_b32 s6, s6, exec_lo
	s_or_b32 s23, s18, s17
	s_or_b32 s24, s19, s6
.LBB108_401:                            ;   in Loop: Header=BB108_6 Depth=1
	s_or_b32 exec_lo, exec_lo, s25
	s_mov_b32 s25, 0
	s_mov_b32 s26, 0
	s_and_saveexec_b32 s6, s24
.LBB108_402:                            ;   in Loop: Header=BB108_6 Depth=1
	v_mov_b32_e32 v1, 0
	s_or_b32 s23, s23, exec_lo
.LBB108_403:                            ;   in Loop: Header=BB108_6 Depth=1
	s_or_b32 exec_lo, exec_lo, s6
	s_andn2_b32 s6, s80, exec_lo
	s_and_b32 s14, s14, exec_lo
	s_andn2_b32 s18, s78, exec_lo
	s_and_b32 s16, s16, exec_lo
	v_mov_b32_e32 v39, v4
	s_or_b32 s80, s6, s14
	s_or_b32 s78, s18, s16
	s_andn2_b32 s6, s82, exec_lo
	s_and_b32 s14, s26, exec_lo
	s_andn2_b32 s16, s81, exec_lo
	s_and_b32 s18, s25, exec_lo
	s_mov_b32 s17, -1
	s_andn2_b32 s79, s79, exec_lo
	s_or_b32 s82, s6, s14
	s_or_b32 s81, s16, s18
	s_and_saveexec_b32 s6, s23
	s_xor_b32 s6, exec_lo, s6
	s_cbranch_execz .LBB108_5
; %bb.404:                              ;   in Loop: Header=BB108_6 Depth=1
	s_mov_b32 s14, -1
	s_mov_b32 s16, -1
	s_mov_b32 s17, exec_lo
	v_cmpx_eq_u32_e32 0, v1
	s_cbranch_execz .LBB108_4
; %bb.405:                              ;   in Loop: Header=BB108_6 Depth=1
	s_xor_b32 s72, s72, 1
	s_add_i32 s18, s76, -2
	s_cmp_eq_u32 s76, 0
	s_mov_b32 s76, s18
	s_cselect_b32 s14, -1, 0
	s_xor_b32 s16, exec_lo, -1
	s_orn2_b32 s14, s14, exec_lo
	s_branch .LBB108_4
.LBB108_406:
	s_or_b32 exec_lo, exec_lo, s35
	s_xor_b32 s9, s77, -1
	s_xor_b32 s12, s74, -1
	;; [unrolled: 1-line block ×5, first 2 shown]
	s_mov_b32 s7, 0
	s_and_saveexec_b32 s8, s6
	s_xor_b32 s6, exec_lo, s8
	s_cbranch_execnz .LBB108_411
; %bb.407:
	s_andn2_saveexec_b32 s0, s6
	s_cbranch_execnz .LBB108_430
.LBB108_408:
	s_or_b32 exec_lo, exec_lo, s0
	s_and_saveexec_b32 s0, s7
.LBB108_409:
	; divergent unreachable
.LBB108_410:
	s_endpgm
.LBB108_411:
	s_mov_b32 s8, 0
	s_and_saveexec_b32 s7, s11
	s_xor_b32 s7, exec_lo, s7
	s_cbranch_execz .LBB108_428
; %bb.412:
	s_mov_b32 s11, 0
	s_and_saveexec_b32 s8, s12
	s_xor_b32 s8, exec_lo, s8
	s_cbranch_execz .LBB108_426
; %bb.413:
	s_and_saveexec_b32 s12, s9
	s_xor_b32 s9, exec_lo, s12
	s_cbranch_execz .LBB108_424
; %bb.414:
	s_and_saveexec_b32 s11, s10
	s_xor_b32 s10, exec_lo, s11
; %bb.415:
	v_and_b32_e32 v1, 0x8000, v27
	v_mov_b32_e32 v2, 0xffff
	v_cmp_eq_u32_e32 vcc_lo, 0, v1
	v_cndmask_b32_e32 v1, 0x8000, v2, vcc_lo
	v_xor_b32_e32 v38, v1, v27
; %bb.416:
	s_or_b32 exec_lo, exec_lo, s10
	s_and_saveexec_b32 s10, s3
; %bb.417:
	v_mov_b32_e32 v1, 0
	ds_write_b32 v1, v1 offset:4108
; %bb.418:
	s_or_b32 exec_lo, exec_lo, s10
	v_mov_b32_e32 v9, 0
	s_waitcnt lgkmcnt(0)
	s_barrier
	buffer_gl0_inv
	s_and_saveexec_b32 s3, s1
	s_cbranch_execz .LBB108_420
; %bb.419:
	global_load_ushort v9, v[5:6], off
.LBB108_420:
	s_or_b32 exec_lo, exec_lo, s3
	v_mov_b32_e32 v8, 0x8000
	s_clause 0x1
	s_load_dword s10, s[4:5], 0x1c8
	s_load_dword s11, s[4:5], 0x2a8
	v_cmp_lt_i16_e32 vcc_lo, -1, v38
	v_lshlrev_b32_e32 v2, 16, v38
	s_mul_i32 s4, s52, s50
	s_mov_b32 s5, 0
	s_add_i32 s12, s36, 31
	v_cndmask_b32_e32 v1, 0xffff, v8, vcc_lo
	v_cmp_o_f32_e32 vcc_lo, v2, v2
	s_lshl_b64 s[14:15], s[4:5], 1
	s_mul_i32 s16, s51, s50
	s_andn2_b32 s12, s12, 31
	v_xor_b32_sdwa v1, v1, v38 dst_sel:DWORD dst_unused:UNUSED_PAD src0_sel:DWORD src1_sel:WORD_0
	s_mov_b32 s17, s5
	s_add_u32 s13, s44, s14
	s_addc_u32 s14, s45, s15
	s_lshl_b64 s[16:17], s[16:17], 3
	v_cndmask_b32_e32 v7, 0xffff, v1, vcc_lo
	v_cmp_gt_u32_e32 vcc_lo, s12, v0
	s_add_u32 s15, s42, s16
	s_mov_b32 s18, -1
	s_addc_u32 s16, s43, s17
	s_mov_b32 s3, 0
	s_and_saveexec_b32 s17, vcc_lo
	s_cbranch_execnz .LBB108_431
; %bb.421:
	s_or_b32 exec_lo, exec_lo, s17
	s_and_saveexec_b32 s2, s18
	s_cbranch_execnz .LBB108_448
.LBB108_422:
	s_or_b32 exec_lo, exec_lo, s2
	s_and_saveexec_b32 s0, s3
	s_xor_b32 s0, exec_lo, s0
	s_cbranch_execnz .LBB108_473
.LBB108_423:
	s_or_b32 exec_lo, exec_lo, s0
	s_waitcnt lgkmcnt(0)
	s_and_b32 s11, s5, exec_lo
.LBB108_424:
	s_andn2_saveexec_b32 s0, s9
	s_cbranch_execnz .LBB108_475
.LBB108_425:
	s_or_b32 exec_lo, exec_lo, s0
	s_and_b32 s11, s11, exec_lo
.LBB108_426:
	s_andn2_saveexec_b32 s0, s8
	s_cbranch_execnz .LBB108_474
.LBB108_427:
	s_or_b32 exec_lo, exec_lo, s0
	s_and_b32 s8, s11, exec_lo
.LBB108_428:
	s_andn2_saveexec_b32 s0, s7
	s_cbranch_execnz .LBB108_469
.LBB108_429:
	s_or_b32 exec_lo, exec_lo, s0
	s_and_b32 s7, s8, exec_lo
	s_andn2_saveexec_b32 s0, s6
	s_cbranch_execz .LBB108_408
.LBB108_430:
	s_or_b32 s7, s7, exec_lo
	s_trap 2
	s_or_b32 exec_lo, exec_lo, s0
	s_and_saveexec_b32 s0, s7
	s_cbranch_execnz .LBB108_409
	s_branch .LBB108_410
.LBB108_431:
	v_add_nc_u32_e32 v1, s48, v0
	v_mov_b32_e32 v2, 0
	v_mov_b32_e32 v3, v0
	s_mov_b32 s18, 0
                                        ; implicit-def: $sgpr19
                                        ; implicit-def: $vgpr11
	v_mul_lo_u32 v1, s40, v1
	s_branch .LBB108_433
.LBB108_432:                            ;   in Loop: Header=BB108_433 Depth=1
	s_or_b32 exec_lo, exec_lo, s21
	s_xor_b32 s3, s20, -1
	s_and_b32 s4, exec_lo, s4
	v_mov_b32_e32 v3, v10
	s_or_b32 s18, s4, s18
	s_waitcnt vmcnt(0)
	v_mov_b32_e32 v9, v12
	s_andn2_b32 s4, s19, exec_lo
	s_and_b32 s3, s3, exec_lo
	s_or_b32 s19, s4, s3
	s_andn2_b32 exec_lo, exec_lo, s18
	s_cbranch_execz .LBB108_447
.LBB108_433:                            ; =>This Inner Loop Header: Depth=1
	v_add_nc_u32_e32 v10, s48, v3
	v_mov_b32_e32 v12, 0
	s_mov_b32 s4, exec_lo
	v_cmpx_gt_u32_e64 s36, v10
	s_cbranch_execz .LBB108_435
; %bb.434:                              ;   in Loop: Header=BB108_433 Depth=1
	v_lshlrev_b64 v[12:13], 1, v[1:2]
	v_add_co_u32 v12, s3, s46, v12
	v_add_co_ci_u32_e64 v13, null, s47, v13, s3
	global_load_ushort v12, v[12:13], off
.LBB108_435:                            ;   in Loop: Header=BB108_433 Depth=1
	s_or_b32 exec_lo, exec_lo, s4
	s_mov_b32 s20, 0
	s_mov_b32 s4, exec_lo
	v_cmpx_gt_u32_e64 s36, v3
	s_cbranch_execz .LBB108_437
; %bb.436:                              ;   in Loop: Header=BB108_433 Depth=1
	s_waitcnt vmcnt(0)
	v_cmp_lt_i16_e64 s3, -1, v9
	v_lshlrev_b32_e32 v13, 16, v9
	v_cndmask_b32_e64 v4, 0xffff, v8, s3
	v_cmp_o_f32_e64 s3, v13, v13
	v_xor_b32_sdwa v4, v4, v9 dst_sel:DWORD dst_unused:UNUSED_PAD src0_sel:DWORD src1_sel:WORD_0
	v_cndmask_b32_e64 v4, 0xffff, v4, s3
	v_cmp_gt_u32_e64 s3, v4, v7
	v_cndmask_b32_e64 v13, 0, 1, s3
	v_cmp_lt_u32_e64 s3, v4, v7
	v_cndmask_b32_e64 v4, 0, 1, s3
	v_cndmask_b32_e64 v4, v4, v13, s2
	v_and_b32_e32 v4, 1, v4
	v_cmp_eq_u32_e64 s3, 1, v4
	s_and_b32 s20, s3, exec_lo
.LBB108_437:                            ;   in Loop: Header=BB108_433 Depth=1
	s_or_b32 exec_lo, exec_lo, s4
	v_cndmask_b32_e64 v4, 0, 1, s20
	v_cmp_ne_u32_e64 s3, 0, v4
	s_cmp_lg_u32 s3, 0
	s_cselect_b32 s4, -1, 0
	s_and_b32 s4, s0, s4
	s_and_saveexec_b32 s21, s4
	s_cbranch_execz .LBB108_441
; %bb.438:                              ;   in Loop: Header=BB108_433 Depth=1
	s_mov_b32 s24, exec_lo
	s_bcnt1_i32_b32 s22, s3
	v_mbcnt_lo_u32_b32 v4, s24, 0
	s_mov_b32 s23, exec_lo
                                        ; implicit-def: $vgpr11
	v_cmpx_eq_u32_e32 0, v4
	s_cbranch_execz .LBB108_440
; %bb.439:                              ;   in Loop: Header=BB108_433 Depth=1
	s_bcnt1_i32_b32 s4, s24
	s_mul_i32 s4, s22, s4
	s_waitcnt lgkmcnt(0)
	v_mov_b32_e32 v11, s4
	ds_add_rtn_u32 v11, v2, v11 offset:4108
.LBB108_440:                            ;   in Loop: Header=BB108_433 Depth=1
	s_or_b32 exec_lo, exec_lo, s23
	s_waitcnt lgkmcnt(0)
	v_readfirstlane_b32 s4, v11
	v_mad_u32_u24 v11, s22, v4, s4
.LBB108_441:                            ;   in Loop: Header=BB108_433 Depth=1
	s_or_b32 exec_lo, exec_lo, s21
	s_waitcnt lgkmcnt(0)
	ds_bpermute_b32 v11, v2, v11
	s_mov_b32 s4, -1
	s_mov_b32 s22, -1
	s_and_saveexec_b32 s21, s20
	s_cbranch_execz .LBB108_445
; %bb.442:                              ;   in Loop: Header=BB108_433 Depth=1
	v_and_b32_e32 v4, s3, v17
	s_mov_b32 s20, 0
	s_mov_b32 s22, exec_lo
	s_waitcnt lgkmcnt(0)
	v_bcnt_u32_b32 v4, v4, v11
	v_cmpx_gt_u32_e64 s37, v4
	s_cbranch_execz .LBB108_444
; %bb.443:                              ;   in Loop: Header=BB108_433 Depth=1
	v_mul_lo_u32 v13, v4, s10
	v_mul_lo_u32 v15, v4, s11
	v_mov_b32_e32 v14, v2
	v_mov_b32_e32 v16, v2
	;; [unrolled: 1-line block ×3, first 2 shown]
	s_mov_b32 s20, exec_lo
	v_lshlrev_b64 v[13:14], 1, v[13:14]
	v_lshlrev_b64 v[15:16], 3, v[15:16]
	v_add_co_u32 v13, s3, s13, v13
	v_add_co_ci_u32_e64 v14, null, s14, v14, s3
	v_add_co_u32 v15, s3, s15, v15
	v_add_co_ci_u32_e64 v16, null, s16, v16, s3
	s_waitcnt vmcnt(0)
	global_store_short v[13:14], v9, off
	global_store_dwordx2 v[15:16], v[3:4], off
.LBB108_444:                            ;   in Loop: Header=BB108_433 Depth=1
	s_or_b32 exec_lo, exec_lo, s22
	s_orn2_b32 s22, s20, exec_lo
.LBB108_445:                            ;   in Loop: Header=BB108_433 Depth=1
	s_or_b32 exec_lo, exec_lo, s21
	s_mov_b32 s20, -1
	s_and_saveexec_b32 s21, s22
	s_cbranch_execz .LBB108_432
; %bb.446:                              ;   in Loop: Header=BB108_433 Depth=1
	v_cmp_le_u32_e64 s3, s12, v10
	v_add_nc_u32_e32 v1, s49, v1
	s_xor_b32 s20, exec_lo, -1
	s_orn2_b32 s4, s3, exec_lo
	s_branch .LBB108_432
.LBB108_447:
	s_or_b32 exec_lo, exec_lo, s18
	s_mov_b32 s3, exec_lo
	s_orn2_b32 s18, s19, exec_lo
	s_or_b32 exec_lo, exec_lo, s17
	s_and_saveexec_b32 s2, s18
	s_cbranch_execz .LBB108_422
.LBB108_448:
	s_waitcnt vmcnt(0)
	v_mov_b32_e32 v9, 0
	s_waitcnt lgkmcnt(0)
	s_waitcnt_vscnt null, 0x0
	s_barrier
	buffer_gl0_inv
	s_and_saveexec_b32 s4, s1
	s_cbranch_execz .LBB108_450
; %bb.449:
	global_load_ushort v9, v[5:6], off
.LBB108_450:
	s_or_b32 exec_lo, exec_lo, s4
	s_mov_b32 s1, 0
	s_and_saveexec_b32 s4, vcc_lo
	s_cbranch_execz .LBB108_472
; %bb.451:
	v_add_nc_u32_e32 v1, s48, v0
	v_mov_b32_e32 v3, 0
	v_mov_b32_e32 v4, 0x8000
	s_mov_b32 s5, 0
                                        ; implicit-def: $sgpr17
                                        ; implicit-def: $vgpr6
	v_mul_lo_u32 v2, s40, v1
	s_branch .LBB108_454
.LBB108_452:                            ;   in Loop: Header=BB108_454 Depth=1
	s_or_b32 exec_lo, exec_lo, s18
	s_orn2_b32 s20, s21, exec_lo
	s_orn2_b32 s19, s19, exec_lo
.LBB108_453:                            ;   in Loop: Header=BB108_454 Depth=1
	s_or_b32 exec_lo, exec_lo, s1
	s_xor_b32 s1, s20, -1
	s_and_b32 s18, exec_lo, s19
	v_mov_b32_e32 v0, v5
	s_or_b32 s5, s18, s5
	s_waitcnt vmcnt(0)
	v_mov_b32_e32 v9, v8
	s_andn2_b32 s17, s17, exec_lo
	s_and_b32 s1, s1, exec_lo
	s_or_b32 s17, s17, s1
	s_andn2_b32 exec_lo, exec_lo, s5
	s_cbranch_execz .LBB108_470
.LBB108_454:                            ; =>This Inner Loop Header: Depth=1
	v_add_nc_u32_e32 v5, s48, v0
	v_mov_b32_e32 v8, 0
	s_mov_b32 s1, exec_lo
	v_cmpx_gt_u32_e64 s36, v5
	s_cbranch_execz .LBB108_456
; %bb.455:                              ;   in Loop: Header=BB108_454 Depth=1
	v_lshlrev_b64 v[10:11], 1, v[2:3]
	v_add_co_u32 v10, vcc_lo, s46, v10
	v_add_co_ci_u32_e64 v11, null, s47, v11, vcc_lo
	global_load_ushort v8, v[10:11], off
.LBB108_456:                            ;   in Loop: Header=BB108_454 Depth=1
	s_or_b32 exec_lo, exec_lo, s1
	s_mov_b32 s18, 0
	s_mov_b32 s1, exec_lo
	v_cmpx_gt_u32_e64 s36, v0
	s_cbranch_execz .LBB108_458
; %bb.457:                              ;   in Loop: Header=BB108_454 Depth=1
	s_waitcnt vmcnt(0)
	v_cmp_lt_i16_e32 vcc_lo, -1, v9
	v_lshlrev_b32_e32 v10, 16, v9
	v_cndmask_b32_e32 v1, 0xffff, v4, vcc_lo
	v_cmp_o_f32_e32 vcc_lo, v10, v10
	v_xor_b32_sdwa v1, v1, v9 dst_sel:DWORD dst_unused:UNUSED_PAD src0_sel:DWORD src1_sel:WORD_0
	v_cndmask_b32_e32 v1, 0xffff, v1, vcc_lo
	v_cmp_eq_u32_e32 vcc_lo, v1, v7
	s_and_b32 s18, vcc_lo, exec_lo
.LBB108_458:                            ;   in Loop: Header=BB108_454 Depth=1
	s_or_b32 exec_lo, exec_lo, s1
	v_cndmask_b32_e64 v1, 0, 1, s18
	v_cmp_ne_u32_e32 vcc_lo, 0, v1
	s_cmp_lg_u32 vcc_lo, 0
	s_cselect_b32 s1, -1, 0
	s_and_b32 s1, s0, s1
	s_and_saveexec_b32 s19, s1
	s_cbranch_execz .LBB108_462
; %bb.459:                              ;   in Loop: Header=BB108_454 Depth=1
	s_mov_b32 s22, exec_lo
	s_bcnt1_i32_b32 s20, vcc_lo
	v_mbcnt_lo_u32_b32 v1, s22, 0
	s_mov_b32 s21, exec_lo
                                        ; implicit-def: $vgpr6
	v_cmpx_eq_u32_e32 0, v1
; %bb.460:                              ;   in Loop: Header=BB108_454 Depth=1
	s_bcnt1_i32_b32 s1, s22
	s_mul_i32 s1, s20, s1
	v_mov_b32_e32 v6, s1
	ds_add_rtn_u32 v6, v3, v6 offset:4108
; %bb.461:                              ;   in Loop: Header=BB108_454 Depth=1
	s_or_b32 exec_lo, exec_lo, s21
	s_waitcnt lgkmcnt(0)
	v_readfirstlane_b32 s1, v6
	v_mad_u32_u24 v6, s20, v1, s1
.LBB108_462:                            ;   in Loop: Header=BB108_454 Depth=1
	s_or_b32 exec_lo, exec_lo, s19
	ds_bpermute_b32 v6, v3, v6
	s_cmp_eq_u32 vcc_lo, 0
	s_mov_b32 s19, -1
	s_cselect_b32 s20, -1, 0
	s_waitcnt lgkmcnt(0)
	v_cmp_gt_u32_e64 s1, s37, v6
	s_or_b32 s21, s20, s1
	s_mov_b32 s20, -1
	s_and_saveexec_b32 s1, s21
	s_cbranch_execz .LBB108_453
; %bb.463:                              ;   in Loop: Header=BB108_454 Depth=1
	v_and_b32_e32 v1, vcc_lo, v17
	v_sub_nc_u32_e32 v10, s37, v6
	s_mov_b32 s21, -1
	v_bcnt_u32_b32 v1, v1, 0
	v_bcnt_u32_b32 v1, 0, v1
	v_cmp_gt_u32_e32 vcc_lo, v10, v1
	s_and_b32 s22, s18, vcc_lo
	s_and_saveexec_b32 s18, s22
	s_cbranch_execz .LBB108_467
; %bb.464:                              ;   in Loop: Header=BB108_454 Depth=1
	v_add_nc_u32_e32 v1, v6, v1
	s_mov_b32 s20, 0
	s_mov_b32 s21, exec_lo
	v_cmpx_gt_u32_e64 s37, v1
	s_cbranch_execz .LBB108_466
; %bb.465:                              ;   in Loop: Header=BB108_454 Depth=1
	v_mul_lo_u32 v10, v1, s10
	v_mul_lo_u32 v12, v1, s11
	v_mov_b32_e32 v11, v3
	v_mov_b32_e32 v13, v3
	;; [unrolled: 1-line block ×3, first 2 shown]
	s_mov_b32 s20, exec_lo
	v_lshlrev_b64 v[10:11], 1, v[10:11]
	v_lshlrev_b64 v[12:13], 3, v[12:13]
	v_add_co_u32 v10, vcc_lo, s13, v10
	v_add_co_ci_u32_e64 v11, null, s14, v11, vcc_lo
	v_add_co_u32 v12, vcc_lo, s15, v12
	v_add_co_ci_u32_e64 v13, null, s16, v13, vcc_lo
	s_waitcnt vmcnt(0)
	global_store_short v[10:11], v9, off
	global_store_dwordx2 v[12:13], v[0:1], off
.LBB108_466:                            ;   in Loop: Header=BB108_454 Depth=1
	s_or_b32 exec_lo, exec_lo, s21
	s_xor_b32 s21, exec_lo, -1
	s_orn2_b32 s20, s20, exec_lo
.LBB108_467:                            ;   in Loop: Header=BB108_454 Depth=1
	s_or_b32 exec_lo, exec_lo, s18
	s_and_saveexec_b32 s18, s20
	s_cbranch_execz .LBB108_452
; %bb.468:                              ;   in Loop: Header=BB108_454 Depth=1
	v_cmp_le_u32_e32 vcc_lo, s12, v5
	v_add_nc_u32_e32 v2, s49, v2
	s_or_b32 s21, s21, exec_lo
	s_orn2_b32 s19, vcc_lo, exec_lo
	s_branch .LBB108_452
.LBB108_469:
	s_or_b32 s8, s8, exec_lo
	s_trap 2
	s_branch .LBB108_429
.LBB108_470:
	s_or_b32 exec_lo, exec_lo, s5
	s_mov_b32 s0, 0
	s_and_saveexec_b32 s1, s17
	s_xor_b32 s1, exec_lo, s1
	s_cbranch_execnz .LBB108_476
.LBB108_471:
	s_or_b32 exec_lo, exec_lo, s1
	s_and_b32 s1, s0, exec_lo
.LBB108_472:
	s_or_b32 exec_lo, exec_lo, s4
	s_and_b32 s5, s1, exec_lo
	s_andn2_b32 s3, s3, exec_lo
	s_or_b32 exec_lo, exec_lo, s2
	s_and_saveexec_b32 s0, s3
	s_xor_b32 s0, exec_lo, s0
	s_cbranch_execz .LBB108_423
.LBB108_473:
	s_or_b32 s5, s5, exec_lo
	s_trap 2
	s_branch .LBB108_423
.LBB108_474:
	s_or_b32 s11, s11, exec_lo
	s_trap 2
	s_branch .LBB108_427
.LBB108_475:
	s_or_b32 s11, s11, exec_lo
	s_trap 2
	s_branch .LBB108_425
.LBB108_476:
	s_mov_b32 s0, exec_lo
	s_trap 2
	s_branch .LBB108_471
	.section	.rodata,"a",@progbits
	.p2align	6, 0x0
	.amdhsa_kernel _ZN2at6native6sbtopk10gatherTopKIN3c108BFloat16EjLi1ELb0EEEvNS_4cuda6detail10TensorInfoIKT_T0_EESA_SA_bSA_SA_NS7_IS8_SA_EESA_NS7_IlSA_EESA_PS8_
		.amdhsa_group_segment_fixed_size 4112
		.amdhsa_private_segment_fixed_size 0
		.amdhsa_kernarg_size 952
		.amdhsa_user_sgpr_count 6
		.amdhsa_user_sgpr_private_segment_buffer 1
		.amdhsa_user_sgpr_dispatch_ptr 0
		.amdhsa_user_sgpr_queue_ptr 0
		.amdhsa_user_sgpr_kernarg_segment_ptr 1
		.amdhsa_user_sgpr_dispatch_id 0
		.amdhsa_user_sgpr_flat_scratch_init 0
		.amdhsa_user_sgpr_private_segment_size 0
		.amdhsa_wavefront_size32 1
		.amdhsa_uses_dynamic_stack 0
		.amdhsa_system_sgpr_private_segment_wavefront_offset 0
		.amdhsa_system_sgpr_workgroup_id_x 1
		.amdhsa_system_sgpr_workgroup_id_y 1
		.amdhsa_system_sgpr_workgroup_id_z 1
		.amdhsa_system_sgpr_workgroup_info 0
		.amdhsa_system_vgpr_workitem_id 0
		.amdhsa_next_free_vgpr 62
		.amdhsa_next_free_sgpr 96
		.amdhsa_reserve_vcc 1
		.amdhsa_reserve_flat_scratch 0
		.amdhsa_float_round_mode_32 0
		.amdhsa_float_round_mode_16_64 0
		.amdhsa_float_denorm_mode_32 3
		.amdhsa_float_denorm_mode_16_64 3
		.amdhsa_dx10_clamp 1
		.amdhsa_ieee_mode 1
		.amdhsa_fp16_overflow 0
		.amdhsa_workgroup_processor_mode 1
		.amdhsa_memory_ordered 1
		.amdhsa_forward_progress 1
		.amdhsa_shared_vgpr_count 0
		.amdhsa_exception_fp_ieee_invalid_op 0
		.amdhsa_exception_fp_denorm_src 0
		.amdhsa_exception_fp_ieee_div_zero 0
		.amdhsa_exception_fp_ieee_overflow 0
		.amdhsa_exception_fp_ieee_underflow 0
		.amdhsa_exception_fp_ieee_inexact 0
		.amdhsa_exception_int_div_zero 0
	.end_amdhsa_kernel
	.section	.text._ZN2at6native6sbtopk10gatherTopKIN3c108BFloat16EjLi1ELb0EEEvNS_4cuda6detail10TensorInfoIKT_T0_EESA_SA_bSA_SA_NS7_IS8_SA_EESA_NS7_IlSA_EESA_PS8_,"axG",@progbits,_ZN2at6native6sbtopk10gatherTopKIN3c108BFloat16EjLi1ELb0EEEvNS_4cuda6detail10TensorInfoIKT_T0_EESA_SA_bSA_SA_NS7_IS8_SA_EESA_NS7_IlSA_EESA_PS8_,comdat
.Lfunc_end108:
	.size	_ZN2at6native6sbtopk10gatherTopKIN3c108BFloat16EjLi1ELb0EEEvNS_4cuda6detail10TensorInfoIKT_T0_EESA_SA_bSA_SA_NS7_IS8_SA_EESA_NS7_IlSA_EESA_PS8_, .Lfunc_end108-_ZN2at6native6sbtopk10gatherTopKIN3c108BFloat16EjLi1ELb0EEEvNS_4cuda6detail10TensorInfoIKT_T0_EESA_SA_bSA_SA_NS7_IS8_SA_EESA_NS7_IlSA_EESA_PS8_
                                        ; -- End function
	.set _ZN2at6native6sbtopk10gatherTopKIN3c108BFloat16EjLi1ELb0EEEvNS_4cuda6detail10TensorInfoIKT_T0_EESA_SA_bSA_SA_NS7_IS8_SA_EESA_NS7_IlSA_EESA_PS8_.num_vgpr, 62
	.set _ZN2at6native6sbtopk10gatherTopKIN3c108BFloat16EjLi1ELb0EEEvNS_4cuda6detail10TensorInfoIKT_T0_EESA_SA_bSA_SA_NS7_IS8_SA_EESA_NS7_IlSA_EESA_PS8_.num_agpr, 0
	.set _ZN2at6native6sbtopk10gatherTopKIN3c108BFloat16EjLi1ELb0EEEvNS_4cuda6detail10TensorInfoIKT_T0_EESA_SA_bSA_SA_NS7_IS8_SA_EESA_NS7_IlSA_EESA_PS8_.numbered_sgpr, 96
	.set _ZN2at6native6sbtopk10gatherTopKIN3c108BFloat16EjLi1ELb0EEEvNS_4cuda6detail10TensorInfoIKT_T0_EESA_SA_bSA_SA_NS7_IS8_SA_EESA_NS7_IlSA_EESA_PS8_.num_named_barrier, 0
	.set _ZN2at6native6sbtopk10gatherTopKIN3c108BFloat16EjLi1ELb0EEEvNS_4cuda6detail10TensorInfoIKT_T0_EESA_SA_bSA_SA_NS7_IS8_SA_EESA_NS7_IlSA_EESA_PS8_.private_seg_size, 0
	.set _ZN2at6native6sbtopk10gatherTopKIN3c108BFloat16EjLi1ELb0EEEvNS_4cuda6detail10TensorInfoIKT_T0_EESA_SA_bSA_SA_NS7_IS8_SA_EESA_NS7_IlSA_EESA_PS8_.uses_vcc, 1
	.set _ZN2at6native6sbtopk10gatherTopKIN3c108BFloat16EjLi1ELb0EEEvNS_4cuda6detail10TensorInfoIKT_T0_EESA_SA_bSA_SA_NS7_IS8_SA_EESA_NS7_IlSA_EESA_PS8_.uses_flat_scratch, 0
	.set _ZN2at6native6sbtopk10gatherTopKIN3c108BFloat16EjLi1ELb0EEEvNS_4cuda6detail10TensorInfoIKT_T0_EESA_SA_bSA_SA_NS7_IS8_SA_EESA_NS7_IlSA_EESA_PS8_.has_dyn_sized_stack, 0
	.set _ZN2at6native6sbtopk10gatherTopKIN3c108BFloat16EjLi1ELb0EEEvNS_4cuda6detail10TensorInfoIKT_T0_EESA_SA_bSA_SA_NS7_IS8_SA_EESA_NS7_IlSA_EESA_PS8_.has_recursion, 0
	.set _ZN2at6native6sbtopk10gatherTopKIN3c108BFloat16EjLi1ELb0EEEvNS_4cuda6detail10TensorInfoIKT_T0_EESA_SA_bSA_SA_NS7_IS8_SA_EESA_NS7_IlSA_EESA_PS8_.has_indirect_call, 0
	.section	.AMDGPU.csdata,"",@progbits
; Kernel info:
; codeLenInByte = 16416
; TotalNumSgprs: 98
; NumVgprs: 62
; ScratchSize: 0
; MemoryBound: 0
; FloatMode: 240
; IeeeMode: 1
; LDSByteSize: 4112 bytes/workgroup (compile time only)
; SGPRBlocks: 0
; VGPRBlocks: 7
; NumSGPRsForWavesPerEU: 98
; NumVGPRsForWavesPerEU: 62
; Occupancy: 16
; WaveLimiterHint : 1
; COMPUTE_PGM_RSRC2:SCRATCH_EN: 0
; COMPUTE_PGM_RSRC2:USER_SGPR: 6
; COMPUTE_PGM_RSRC2:TRAP_HANDLER: 0
; COMPUTE_PGM_RSRC2:TGID_X_EN: 1
; COMPUTE_PGM_RSRC2:TGID_Y_EN: 1
; COMPUTE_PGM_RSRC2:TGID_Z_EN: 1
; COMPUTE_PGM_RSRC2:TIDIG_COMP_CNT: 0
	.section	.text._ZN2at6native6mbtopk23computeBlockDigitCountsIN3c108BFloat16EjjLi2EEEvNS_4cuda6detail10TensorInfoIKT_T0_EEjPjjSA_iijT1_PSD_Ps,"axG",@progbits,_ZN2at6native6mbtopk23computeBlockDigitCountsIN3c108BFloat16EjjLi2EEEvNS_4cuda6detail10TensorInfoIKT_T0_EEjPjjSA_iijT1_PSD_Ps,comdat
	.protected	_ZN2at6native6mbtopk23computeBlockDigitCountsIN3c108BFloat16EjjLi2EEEvNS_4cuda6detail10TensorInfoIKT_T0_EEjPjjSA_iijT1_PSD_Ps ; -- Begin function _ZN2at6native6mbtopk23computeBlockDigitCountsIN3c108BFloat16EjjLi2EEEvNS_4cuda6detail10TensorInfoIKT_T0_EEjPjjSA_iijT1_PSD_Ps
	.globl	_ZN2at6native6mbtopk23computeBlockDigitCountsIN3c108BFloat16EjjLi2EEEvNS_4cuda6detail10TensorInfoIKT_T0_EEjPjjSA_iijT1_PSD_Ps
	.p2align	8
	.type	_ZN2at6native6mbtopk23computeBlockDigitCountsIN3c108BFloat16EjjLi2EEEvNS_4cuda6detail10TensorInfoIKT_T0_EEjPjjSA_iijT1_PSD_Ps,@function
_ZN2at6native6mbtopk23computeBlockDigitCountsIN3c108BFloat16EjjLi2EEEvNS_4cuda6detail10TensorInfoIKT_T0_EEjPjjSA_iijT1_PSD_Ps: ; @_ZN2at6native6mbtopk23computeBlockDigitCountsIN3c108BFloat16EjjLi2EEEvNS_4cuda6detail10TensorInfoIKT_T0_EEjPjjSA_iijT1_PSD_Ps
; %bb.0:
	s_clause 0x2
	s_load_dwordx2 s[10:11], s[4:5], 0xf8
	s_load_dwordx4 s[12:15], s[4:5], 0xe8
	s_load_dwordx2 s[0:1], s[4:5], 0x110
	s_waitcnt lgkmcnt(0)
	v_cvt_f32_u32_e32 v1, s10
	s_sub_i32 s3, 0, s10
	s_mul_i32 s1, s1, s8
	s_add_i32 s1, s1, s7
	v_rcp_iflag_f32_e32 v1, v1
	s_mul_i32 s16, s1, s0
	s_mov_b32 s7, 0
	s_add_i32 s16, s16, s6
	v_mul_f32_e32 v1, 0x4f7ffffe, v1
	v_cvt_u32_f32_e32 v1, v1
	v_readfirstlane_b32 s2, v1
	s_mul_i32 s3, s3, s2
	s_mul_hi_u32 s0, s2, s3
	s_add_i32 s2, s2, s0
	s_mul_hi_u32 s0, s16, s2
	s_mul_i32 s1, s0, s10
	s_add_i32 s2, s0, 1
	s_sub_i32 s1, s16, s1
	s_sub_i32 s3, s1, s10
	s_cmp_ge_u32 s1, s10
	s_cselect_b32 s0, s2, s0
	s_cselect_b32 s1, s3, s1
	s_add_i32 s2, s0, 1
	s_cmp_ge_u32 s1, s10
	s_cselect_b32 s6, s2, s0
	s_cmp_ge_u32 s6, s12
	s_cbranch_scc1 .LBB109_27
; %bb.1:
	s_clause 0x1
	s_load_dword s17, s[4:5], 0xc
	s_load_dwordx4 s[0:3], s[4:5], 0x100
	s_lshl_b64 s[8:9], s[6:7], 2
	v_cmp_gt_u32_e32 vcc_lo, 0x100, v0
	v_lshlrev_b32_e32 v3, 2, v0
	s_waitcnt lgkmcnt(0)
	v_cvt_f32_u32_e32 v1, s17
	s_add_u32 s8, s0, s8
	s_addc_u32 s9, s1, s9
	v_rcp_iflag_f32_e32 v1, v1
	v_mul_f32_e32 v1, 0x4f7ffffe, v1
	v_cvt_u32_f32_e32 v1, v1
	v_readfirstlane_b32 s18, v1
	s_and_saveexec_b32 s0, vcc_lo
; %bb.2:
	v_mov_b32_e32 v1, 0
	ds_write_b32 v3, v1
; %bb.3:
	s_or_b32 exec_lo, exec_lo, s0
	s_load_dword s7, s[4:5], 0xd8
	s_mul_i32 s0, s6, s10
	s_waitcnt lgkmcnt(0)
	s_sub_i32 s0, s16, s0
	s_barrier
	s_mul_i32 s1, s15, s0
	s_add_i32 s19, s0, 1
	s_lshl_b32 s12, s1, 8
	buffer_gl0_inv
	s_sub_i32 s1, s7, s12
	s_add_u32 s0, s1, 0xff
	s_addc_u32 s1, 0, 0
	s_lshr_b64 s[0:1], s[0:1], 8
	s_cmp_lt_u32 s19, s10
	s_mov_b32 s1, 0
	s_cselect_b32 s10, s15, s0
	s_cmp_lt_i32 s10, 1
	s_cbranch_scc1 .LBB109_25
; %bb.4:
	s_sub_i32 s0, 0, s17
	s_load_dwordx2 s[20:21], s[4:5], 0x0
	s_mul_i32 s0, s0, s18
	s_mul_hi_u32 s0, s18, s0
	s_add_i32 s0, s18, s0
	s_load_dwordx2 s[18:19], s[4:5], 0x6c
	s_mul_hi_u32 s0, s6, s0
	s_load_dword s4, s[8:9], 0x0
	s_mul_i32 s15, s0, s17
	s_sub_i32 s5, s6, s15
	s_add_i32 s15, s0, 1
	s_sub_i32 s22, s5, s17
	s_cmp_ge_u32 s5, s17
	s_cselect_b32 s0, s15, s0
	s_cselect_b32 s5, s22, s5
	s_add_i32 s8, s0, 1
	s_cmp_ge_u32 s5, s17
	s_cselect_b32 s0, s8, s0
	s_mul_i32 s5, s0, s17
	s_sub_i32 s5, s6, s5
	s_waitcnt lgkmcnt(0)
	s_mul_i32 s0, s0, s18
	s_mul_i32 s5, s5, s19
	s_add_i32 s0, s0, s5
	s_lshl_b64 s[8:9], s[0:1], 1
	s_add_u32 s5, s20, s8
	s_addc_u32 s6, s21, s9
	s_and_b32 s8, s14, 0xff
	s_cmp_lt_u32 s10, 4
	s_cbranch_scc1 .LBB109_19
; %bb.5:
	v_add_nc_u32_e32 v1, s12, v0
	v_mov_b32_e32 v9, 1
	v_mov_b32_e32 v10, 0x8000
	s_and_b32 s1, s10, 0x7ffffffc
	s_lshl_b32 s9, s13, 10
	v_add_nc_u32_e32 v4, 0x300, v1
	v_add_nc_u32_e32 v2, 0x200, v1
	;; [unrolled: 1-line block ×3, first 2 shown]
	v_mul_lo_u32 v8, s13, v1
	s_mov_b32 s14, 0
	v_mul_lo_u32 v5, s13, v4
	v_mul_lo_u32 v6, s13, v2
	;; [unrolled: 1-line block ×3, first 2 shown]
	v_mov_b32_e32 v2, 0
	s_mov_b32 s15, 0
	s_branch .LBB109_7
.LBB109_6:                              ;   in Loop: Header=BB109_7 Depth=1
	s_or_b32 exec_lo, exec_lo, s17
	v_add_nc_u32_e32 v4, 0x400, v4
	s_add_i32 s15, s15, 4
	s_add_i32 s14, s14, s9
	s_cmp_eq_u32 s1, s15
	s_cbranch_scc1 .LBB109_19
.LBB109_7:                              ; =>This Inner Loop Header: Depth=1
	v_add_nc_u32_e32 v1, 0xfffffd00, v4
	s_mov_b32 s17, exec_lo
	v_cmpx_gt_u32_e64 s7, v1
	s_cbranch_execz .LBB109_10
; %bb.8:                                ;   in Loop: Header=BB109_7 Depth=1
	v_add_nc_u32_e32 v1, s14, v8
	v_lshlrev_b64 v[11:12], 1, v[1:2]
	v_add_co_u32 v11, s0, s5, v11
	v_add_co_ci_u32_e64 v12, null, s6, v12, s0
	global_load_ushort v1, v[11:12], off
	s_waitcnt vmcnt(0)
	v_cmp_lt_i16_e64 s0, -1, v1
	v_lshlrev_b32_e32 v12, 16, v1
	v_cndmask_b32_e64 v11, 0xffff, v10, s0
	v_cmp_o_f32_e64 s0, v12, v12
	v_xor_b32_sdwa v1, v11, v1 dst_sel:DWORD dst_unused:UNUSED_PAD src0_sel:DWORD src1_sel:WORD_0
	v_cndmask_b32_e64 v1, 0xffff, v1, s0
	v_xor_b32_e32 v11, s4, v1
	v_and_b32_e32 v11, s11, v11
	v_cmp_eq_u32_e64 s0, 0, v11
	s_and_b32 exec_lo, exec_lo, s0
; %bb.9:                                ;   in Loop: Header=BB109_7 Depth=1
	v_bfe_u32 v1, v1, s8, 8
	v_lshlrev_b32_e32 v1, 2, v1
	ds_add_u32 v1, v9
.LBB109_10:                             ;   in Loop: Header=BB109_7 Depth=1
	s_or_b32 exec_lo, exec_lo, s17
	v_add_nc_u32_e32 v1, 0xfffffe00, v4
	s_mov_b32 s17, exec_lo
	v_cmpx_gt_u32_e64 s7, v1
	s_cbranch_execz .LBB109_13
; %bb.11:                               ;   in Loop: Header=BB109_7 Depth=1
	v_add_nc_u32_e32 v1, s14, v7
	v_lshlrev_b64 v[11:12], 1, v[1:2]
	v_add_co_u32 v11, s0, s5, v11
	v_add_co_ci_u32_e64 v12, null, s6, v12, s0
	global_load_ushort v1, v[11:12], off
	s_waitcnt vmcnt(0)
	v_cmp_lt_i16_e64 s0, -1, v1
	v_lshlrev_b32_e32 v12, 16, v1
	v_cndmask_b32_e64 v11, 0xffff, v10, s0
	v_cmp_o_f32_e64 s0, v12, v12
	v_xor_b32_sdwa v1, v11, v1 dst_sel:DWORD dst_unused:UNUSED_PAD src0_sel:DWORD src1_sel:WORD_0
	v_cndmask_b32_e64 v1, 0xffff, v1, s0
	v_xor_b32_e32 v11, s4, v1
	v_and_b32_e32 v11, s11, v11
	v_cmp_eq_u32_e64 s0, 0, v11
	s_and_b32 exec_lo, exec_lo, s0
; %bb.12:                               ;   in Loop: Header=BB109_7 Depth=1
	v_bfe_u32 v1, v1, s8, 8
	v_lshlrev_b32_e32 v1, 2, v1
	ds_add_u32 v1, v9
.LBB109_13:                             ;   in Loop: Header=BB109_7 Depth=1
	s_or_b32 exec_lo, exec_lo, s17
	v_add_nc_u32_e32 v1, 0xffffff00, v4
	s_mov_b32 s17, exec_lo
	v_cmpx_gt_u32_e64 s7, v1
	s_cbranch_execz .LBB109_16
; %bb.14:                               ;   in Loop: Header=BB109_7 Depth=1
	v_add_nc_u32_e32 v1, s14, v6
	v_lshlrev_b64 v[11:12], 1, v[1:2]
	v_add_co_u32 v11, s0, s5, v11
	v_add_co_ci_u32_e64 v12, null, s6, v12, s0
	global_load_ushort v1, v[11:12], off
	s_waitcnt vmcnt(0)
	v_cmp_lt_i16_e64 s0, -1, v1
	v_lshlrev_b32_e32 v12, 16, v1
	v_cndmask_b32_e64 v11, 0xffff, v10, s0
	v_cmp_o_f32_e64 s0, v12, v12
	v_xor_b32_sdwa v1, v11, v1 dst_sel:DWORD dst_unused:UNUSED_PAD src0_sel:DWORD src1_sel:WORD_0
	v_cndmask_b32_e64 v1, 0xffff, v1, s0
	v_xor_b32_e32 v11, s4, v1
	v_and_b32_e32 v11, s11, v11
	v_cmp_eq_u32_e64 s0, 0, v11
	s_and_b32 exec_lo, exec_lo, s0
; %bb.15:                               ;   in Loop: Header=BB109_7 Depth=1
	v_bfe_u32 v1, v1, s8, 8
	v_lshlrev_b32_e32 v1, 2, v1
	ds_add_u32 v1, v9
.LBB109_16:                             ;   in Loop: Header=BB109_7 Depth=1
	s_or_b32 exec_lo, exec_lo, s17
	s_mov_b32 s17, exec_lo
	v_cmpx_gt_u32_e64 s7, v4
	s_cbranch_execz .LBB109_6
; %bb.17:                               ;   in Loop: Header=BB109_7 Depth=1
	v_add_nc_u32_e32 v1, s14, v5
	v_lshlrev_b64 v[11:12], 1, v[1:2]
	v_add_co_u32 v11, s0, s5, v11
	v_add_co_ci_u32_e64 v12, null, s6, v12, s0
	global_load_ushort v1, v[11:12], off
	s_waitcnt vmcnt(0)
	v_cmp_lt_i16_e64 s0, -1, v1
	v_lshlrev_b32_e32 v12, 16, v1
	v_cndmask_b32_e64 v11, 0xffff, v10, s0
	v_cmp_o_f32_e64 s0, v12, v12
	v_xor_b32_sdwa v1, v11, v1 dst_sel:DWORD dst_unused:UNUSED_PAD src0_sel:DWORD src1_sel:WORD_0
	v_cndmask_b32_e64 v1, 0xffff, v1, s0
	v_xor_b32_e32 v11, s4, v1
	v_and_b32_e32 v11, s11, v11
	v_cmp_eq_u32_e64 s0, 0, v11
	s_and_b32 exec_lo, exec_lo, s0
	s_cbranch_execz .LBB109_6
; %bb.18:                               ;   in Loop: Header=BB109_7 Depth=1
	v_bfe_u32 v1, v1, s8, 8
	v_lshlrev_b32_e32 v1, 2, v1
	ds_add_u32 v1, v9
	s_branch .LBB109_6
.LBB109_19:
	s_and_b32 s9, s10, 3
	s_cmp_eq_u32 s9, 0
	s_cbranch_scc1 .LBB109_25
; %bb.20:
	s_lshl_b32 s0, s1, 8
	v_mov_b32_e32 v2, 0
	v_add3_u32 v4, s0, s12, v0
	v_mov_b32_e32 v5, 1
	v_mov_b32_e32 v6, 0x8000
	s_lshl_b32 s1, s13, 8
	v_mul_lo_u32 v1, s13, v4
	s_inst_prefetch 0x1
	s_branch .LBB109_22
	.p2align	6
.LBB109_21:                             ;   in Loop: Header=BB109_22 Depth=1
	s_or_b32 exec_lo, exec_lo, s10
	v_add_nc_u32_e32 v1, s1, v1
	v_add_nc_u32_e32 v4, 0x100, v4
	s_add_i32 s9, s9, -1
	s_cmp_lg_u32 s9, 0
	s_cbranch_scc0 .LBB109_25
.LBB109_22:                             ; =>This Inner Loop Header: Depth=1
	s_mov_b32 s10, exec_lo
	v_cmpx_gt_u32_e64 s7, v4
	s_cbranch_execz .LBB109_21
; %bb.23:                               ;   in Loop: Header=BB109_22 Depth=1
	v_lshlrev_b64 v[7:8], 1, v[1:2]
	v_add_co_u32 v7, s0, s5, v7
	v_add_co_ci_u32_e64 v8, null, s6, v8, s0
	global_load_ushort v7, v[7:8], off
	s_waitcnt vmcnt(0)
	v_cmp_lt_i16_e64 s0, -1, v7
	v_lshlrev_b32_e32 v9, 16, v7
	v_cndmask_b32_e64 v8, 0xffff, v6, s0
	v_cmp_o_f32_e64 s0, v9, v9
	v_xor_b32_sdwa v7, v8, v7 dst_sel:DWORD dst_unused:UNUSED_PAD src0_sel:DWORD src1_sel:WORD_0
	v_cndmask_b32_e64 v7, 0xffff, v7, s0
	v_xor_b32_e32 v8, s4, v7
	v_and_b32_e32 v8, s11, v8
	v_cmp_eq_u32_e64 s0, 0, v8
	s_and_b32 exec_lo, exec_lo, s0
	s_cbranch_execz .LBB109_21
; %bb.24:                               ;   in Loop: Header=BB109_22 Depth=1
	v_bfe_u32 v7, v7, s8, 8
	v_lshlrev_b32_e32 v7, 2, v7
	ds_add_u32 v7, v5
	s_branch .LBB109_21
.LBB109_25:
	s_inst_prefetch 0x2
	s_waitcnt lgkmcnt(0)
	s_barrier
	buffer_gl0_inv
	s_and_saveexec_b32 s0, vcc_lo
	s_cbranch_execz .LBB109_27
; %bb.26:
	ds_read_b32 v2, v3
	v_lshl_or_b32 v0, s16, 8, v0
	v_mov_b32_e32 v1, 0
	v_lshlrev_b64 v[0:1], 1, v[0:1]
	v_add_co_u32 v0, vcc_lo, s2, v0
	v_add_co_ci_u32_e64 v1, null, s3, v1, vcc_lo
	s_waitcnt lgkmcnt(0)
	global_store_short v[0:1], v2, off
.LBB109_27:
	s_endpgm
	.section	.rodata,"a",@progbits
	.p2align	6, 0x0
	.amdhsa_kernel _ZN2at6native6mbtopk23computeBlockDigitCountsIN3c108BFloat16EjjLi2EEEvNS_4cuda6detail10TensorInfoIKT_T0_EEjPjjSA_iijT1_PSD_Ps
		.amdhsa_group_segment_fixed_size 1024
		.amdhsa_private_segment_fixed_size 0
		.amdhsa_kernarg_size 528
		.amdhsa_user_sgpr_count 6
		.amdhsa_user_sgpr_private_segment_buffer 1
		.amdhsa_user_sgpr_dispatch_ptr 0
		.amdhsa_user_sgpr_queue_ptr 0
		.amdhsa_user_sgpr_kernarg_segment_ptr 1
		.amdhsa_user_sgpr_dispatch_id 0
		.amdhsa_user_sgpr_flat_scratch_init 0
		.amdhsa_user_sgpr_private_segment_size 0
		.amdhsa_wavefront_size32 1
		.amdhsa_uses_dynamic_stack 0
		.amdhsa_system_sgpr_private_segment_wavefront_offset 0
		.amdhsa_system_sgpr_workgroup_id_x 1
		.amdhsa_system_sgpr_workgroup_id_y 1
		.amdhsa_system_sgpr_workgroup_id_z 1
		.amdhsa_system_sgpr_workgroup_info 0
		.amdhsa_system_vgpr_workitem_id 0
		.amdhsa_next_free_vgpr 13
		.amdhsa_next_free_sgpr 23
		.amdhsa_reserve_vcc 1
		.amdhsa_reserve_flat_scratch 0
		.amdhsa_float_round_mode_32 0
		.amdhsa_float_round_mode_16_64 0
		.amdhsa_float_denorm_mode_32 3
		.amdhsa_float_denorm_mode_16_64 3
		.amdhsa_dx10_clamp 1
		.amdhsa_ieee_mode 1
		.amdhsa_fp16_overflow 0
		.amdhsa_workgroup_processor_mode 1
		.amdhsa_memory_ordered 1
		.amdhsa_forward_progress 1
		.amdhsa_shared_vgpr_count 0
		.amdhsa_exception_fp_ieee_invalid_op 0
		.amdhsa_exception_fp_denorm_src 0
		.amdhsa_exception_fp_ieee_div_zero 0
		.amdhsa_exception_fp_ieee_overflow 0
		.amdhsa_exception_fp_ieee_underflow 0
		.amdhsa_exception_fp_ieee_inexact 0
		.amdhsa_exception_int_div_zero 0
	.end_amdhsa_kernel
	.section	.text._ZN2at6native6mbtopk23computeBlockDigitCountsIN3c108BFloat16EjjLi2EEEvNS_4cuda6detail10TensorInfoIKT_T0_EEjPjjSA_iijT1_PSD_Ps,"axG",@progbits,_ZN2at6native6mbtopk23computeBlockDigitCountsIN3c108BFloat16EjjLi2EEEvNS_4cuda6detail10TensorInfoIKT_T0_EEjPjjSA_iijT1_PSD_Ps,comdat
.Lfunc_end109:
	.size	_ZN2at6native6mbtopk23computeBlockDigitCountsIN3c108BFloat16EjjLi2EEEvNS_4cuda6detail10TensorInfoIKT_T0_EEjPjjSA_iijT1_PSD_Ps, .Lfunc_end109-_ZN2at6native6mbtopk23computeBlockDigitCountsIN3c108BFloat16EjjLi2EEEvNS_4cuda6detail10TensorInfoIKT_T0_EEjPjjSA_iijT1_PSD_Ps
                                        ; -- End function
	.set _ZN2at6native6mbtopk23computeBlockDigitCountsIN3c108BFloat16EjjLi2EEEvNS_4cuda6detail10TensorInfoIKT_T0_EEjPjjSA_iijT1_PSD_Ps.num_vgpr, 13
	.set _ZN2at6native6mbtopk23computeBlockDigitCountsIN3c108BFloat16EjjLi2EEEvNS_4cuda6detail10TensorInfoIKT_T0_EEjPjjSA_iijT1_PSD_Ps.num_agpr, 0
	.set _ZN2at6native6mbtopk23computeBlockDigitCountsIN3c108BFloat16EjjLi2EEEvNS_4cuda6detail10TensorInfoIKT_T0_EEjPjjSA_iijT1_PSD_Ps.numbered_sgpr, 23
	.set _ZN2at6native6mbtopk23computeBlockDigitCountsIN3c108BFloat16EjjLi2EEEvNS_4cuda6detail10TensorInfoIKT_T0_EEjPjjSA_iijT1_PSD_Ps.num_named_barrier, 0
	.set _ZN2at6native6mbtopk23computeBlockDigitCountsIN3c108BFloat16EjjLi2EEEvNS_4cuda6detail10TensorInfoIKT_T0_EEjPjjSA_iijT1_PSD_Ps.private_seg_size, 0
	.set _ZN2at6native6mbtopk23computeBlockDigitCountsIN3c108BFloat16EjjLi2EEEvNS_4cuda6detail10TensorInfoIKT_T0_EEjPjjSA_iijT1_PSD_Ps.uses_vcc, 1
	.set _ZN2at6native6mbtopk23computeBlockDigitCountsIN3c108BFloat16EjjLi2EEEvNS_4cuda6detail10TensorInfoIKT_T0_EEjPjjSA_iijT1_PSD_Ps.uses_flat_scratch, 0
	.set _ZN2at6native6mbtopk23computeBlockDigitCountsIN3c108BFloat16EjjLi2EEEvNS_4cuda6detail10TensorInfoIKT_T0_EEjPjjSA_iijT1_PSD_Ps.has_dyn_sized_stack, 0
	.set _ZN2at6native6mbtopk23computeBlockDigitCountsIN3c108BFloat16EjjLi2EEEvNS_4cuda6detail10TensorInfoIKT_T0_EEjPjjSA_iijT1_PSD_Ps.has_recursion, 0
	.set _ZN2at6native6mbtopk23computeBlockDigitCountsIN3c108BFloat16EjjLi2EEEvNS_4cuda6detail10TensorInfoIKT_T0_EEjPjjSA_iijT1_PSD_Ps.has_indirect_call, 0
	.section	.AMDGPU.csdata,"",@progbits
; Kernel info:
; codeLenInByte = 1548
; TotalNumSgprs: 25
; NumVgprs: 13
; ScratchSize: 0
; MemoryBound: 0
; FloatMode: 240
; IeeeMode: 1
; LDSByteSize: 1024 bytes/workgroup (compile time only)
; SGPRBlocks: 0
; VGPRBlocks: 1
; NumSGPRsForWavesPerEU: 25
; NumVGPRsForWavesPerEU: 13
; Occupancy: 16
; WaveLimiterHint : 1
; COMPUTE_PGM_RSRC2:SCRATCH_EN: 0
; COMPUTE_PGM_RSRC2:USER_SGPR: 6
; COMPUTE_PGM_RSRC2:TRAP_HANDLER: 0
; COMPUTE_PGM_RSRC2:TGID_X_EN: 1
; COMPUTE_PGM_RSRC2:TGID_Y_EN: 1
; COMPUTE_PGM_RSRC2:TGID_Z_EN: 1
; COMPUTE_PGM_RSRC2:TIDIG_COMP_CNT: 0
	.section	.text._ZN2at6native6mbtopk10gatherTopKIN3c108BFloat16EjLi2EEEvNS_4cuda6detail10TensorInfoIKT_T0_EESA_SA_bjSA_NS7_IS8_SA_EESA_NS7_IlSA_EESA_jjPS8_PjSF_j,"axG",@progbits,_ZN2at6native6mbtopk10gatherTopKIN3c108BFloat16EjLi2EEEvNS_4cuda6detail10TensorInfoIKT_T0_EESA_SA_bjSA_NS7_IS8_SA_EESA_NS7_IlSA_EESA_jjPS8_PjSF_j,comdat
	.protected	_ZN2at6native6mbtopk10gatherTopKIN3c108BFloat16EjLi2EEEvNS_4cuda6detail10TensorInfoIKT_T0_EESA_SA_bjSA_NS7_IS8_SA_EESA_NS7_IlSA_EESA_jjPS8_PjSF_j ; -- Begin function _ZN2at6native6mbtopk10gatherTopKIN3c108BFloat16EjLi2EEEvNS_4cuda6detail10TensorInfoIKT_T0_EESA_SA_bjSA_NS7_IS8_SA_EESA_NS7_IlSA_EESA_jjPS8_PjSF_j
	.globl	_ZN2at6native6mbtopk10gatherTopKIN3c108BFloat16EjLi2EEEvNS_4cuda6detail10TensorInfoIKT_T0_EESA_SA_bjSA_NS7_IS8_SA_EESA_NS7_IlSA_EESA_jjPS8_PjSF_j
	.p2align	8
	.type	_ZN2at6native6mbtopk10gatherTopKIN3c108BFloat16EjLi2EEEvNS_4cuda6detail10TensorInfoIKT_T0_EESA_SA_bjSA_NS7_IS8_SA_EESA_NS7_IlSA_EESA_jjPS8_PjSF_j,@function
_ZN2at6native6mbtopk10gatherTopKIN3c108BFloat16EjLi2EEEvNS_4cuda6detail10TensorInfoIKT_T0_EESA_SA_bjSA_NS7_IS8_SA_EESA_NS7_IlSA_EESA_jjPS8_PjSF_j: ; @_ZN2at6native6mbtopk10gatherTopKIN3c108BFloat16EjLi2EEEvNS_4cuda6detail10TensorInfoIKT_T0_EESA_SA_bjSA_NS7_IS8_SA_EESA_NS7_IlSA_EESA_jjPS8_PjSF_j
; %bb.0:
	s_clause 0x1
	s_load_dwordx2 s[0:1], s[4:5], 0x2d8
	s_load_dword s2, s[4:5], 0x2d0
	s_waitcnt lgkmcnt(0)
	s_mul_i32 s1, s1, s8
	s_add_i32 s1, s1, s7
	s_mul_i32 s0, s1, s0
	s_add_i32 s0, s0, s6
	s_cmp_ge_u32 s0, s2
	s_cbranch_scc1 .LBB110_40
; %bb.1:
	s_clause 0x3
	s_load_dwordx8 s[8:15], s[4:5], 0x2a8
	s_load_dword s37, s[4:5], 0xc
	s_load_dword s36, s[4:5], 0xfc
	;; [unrolled: 1-line block ×3, first 2 shown]
	s_mov_b32 s7, 0
	s_load_dwordx2 s[2:3], s[4:5], 0x1d0
	s_waitcnt lgkmcnt(0)
	v_cvt_f32_u32_e32 v1, s10
	v_cvt_f32_u32_e32 v2, s37
	;; [unrolled: 1-line block ×4, first 2 shown]
	s_sub_i32 s6, 0, s10
	v_rcp_iflag_f32_e32 v1, v1
	v_rcp_iflag_f32_e32 v2, v2
	;; [unrolled: 1-line block ×4, first 2 shown]
	v_mul_f32_e32 v1, 0x4f7ffffe, v1
	v_mul_f32_e32 v2, 0x4f7ffffe, v2
	;; [unrolled: 1-line block ×4, first 2 shown]
	v_cvt_u32_f32_e32 v1, v1
	v_cvt_u32_f32_e32 v2, v2
	v_cvt_u32_f32_e32 v3, v3
	v_cvt_u32_f32_e32 v4, v4
	v_readfirstlane_b32 s1, v1
	v_readfirstlane_b32 s17, v2
	;; [unrolled: 1-line block ×4, first 2 shown]
	v_mov_b32_e32 v1, 0
	s_mul_i32 s6, s6, s1
	s_mul_hi_u32 s6, s1, s6
	s_add_i32 s1, s1, s6
	s_mul_hi_u32 s1, s0, s1
	s_mul_i32 s6, s1, s10
	s_add_i32 s11, s1, 1
	s_sub_i32 s6, s0, s6
	s_sub_i32 s16, s6, s10
	s_cmp_ge_u32 s6, s10
	s_cselect_b32 s1, s11, s1
	s_cselect_b32 s6, s16, s6
	s_add_i32 s11, s1, 1
	s_cmp_ge_u32 s6, s10
	s_cselect_b32 s6, s11, s1
	s_sub_i32 s1, 0, s37
	s_sub_i32 s11, 0, s36
	;; [unrolled: 1-line block ×3, first 2 shown]
	s_mul_i32 s16, s6, s10
	s_mul_i32 s1, s1, s17
	;; [unrolled: 1-line block ×4, first 2 shown]
	s_sub_i32 s11, s0, s16
	s_mul_hi_u32 s0, s17, s1
	s_mul_hi_u32 s1, s20, s22
	;; [unrolled: 1-line block ×3, first 2 shown]
	s_lshl_b64 s[18:19], s[6:7], 1
	s_add_i32 s17, s17, s0
	s_add_i32 s30, s20, s1
	;; [unrolled: 1-line block ×3, first 2 shown]
	s_add_u32 s0, s12, s18
	s_addc_u32 s1, s13, s19
	s_mul_hi_u32 s41, s6, s17
	global_load_ushort v1, v1, s[0:1]
	s_clause 0x4
	s_load_dwordx2 s[26:27], s[4:5], 0x15c
	s_load_dwordx2 s[20:21], s[4:5], 0xf0
	;; [unrolled: 1-line block ×5, first 2 shown]
	v_cmp_ne_u32_e64 s0, 0, v0
	v_cmp_eq_u32_e64 s1, 0, v0
	s_mul_hi_u32 s40, s6, s30
	s_mul_hi_u32 s39, s6, s31
	s_waitcnt vmcnt(0)
	v_readfirstlane_b32 s38, v1
	s_and_saveexec_b32 s42, s1
	s_cbranch_execz .LBB110_17
; %bb.2:
	s_load_dwordx2 s[12:13], s[4:5], 0x2c8
	s_mov_b32 s17, s7
	s_lshl_b64 s[30:31], s[16:17], 2
	s_add_u32 s16, s14, s30
	s_addc_u32 s17, s15, s31
	s_waitcnt lgkmcnt(0)
	s_add_u32 s18, s12, s30
	s_addc_u32 s19, s13, s31
	s_cmp_lt_u32 s10, 4
	s_cbranch_scc1 .LBB110_14
; %bb.3:
	s_mov_b32 s43, s7
	s_mov_b32 s44, s7
	;; [unrolled: 1-line block ×3, first 2 shown]
.LBB110_4:                              ; =>This Inner Loop Header: Depth=1
	s_add_u32 s16, s14, s30
	s_addc_u32 s17, s15, s31
	s_add_u32 s34, s12, s30
	s_load_dwordx4 s[16:19], s[16:17], 0x0
	s_addc_u32 s35, s13, s31
	s_cmp_ge_u32 s45, s11
	s_cbranch_scc0 .LBB110_11
; %bb.5:                                ;   in Loop: Header=BB110_4 Depth=1
	s_add_i32 s46, s45, 1
	s_cmp_ge_u32 s46, s11
	s_cbranch_scc0 .LBB110_12
.LBB110_6:                              ;   in Loop: Header=BB110_4 Depth=1
	s_add_i32 s46, s46, 1
	s_cmp_ge_u32 s46, s11
	s_cbranch_scc0 .LBB110_13
.LBB110_7:                              ;   in Loop: Header=BB110_4 Depth=1
	s_add_i32 s46, s46, 1
	s_cmp_ge_u32 s46, s11
	s_cbranch_scc1 .LBB110_9
.LBB110_8:                              ;   in Loop: Header=BB110_4 Depth=1
	s_load_dword s34, s[34:35], 0xc
	s_waitcnt lgkmcnt(0)
	s_add_i32 s7, s7, s19
	s_add_i32 s43, s34, s43
.LBB110_9:                              ;   in Loop: Header=BB110_4 Depth=1
	s_waitcnt lgkmcnt(0)
	s_add_i32 s16, s16, s44
	s_add_i32 s16, s16, s17
	;; [unrolled: 1-line block ×4, first 2 shown]
	s_add_u32 s14, s14, 16
	s_addc_u32 s15, s15, 0
	s_add_u32 s12, s12, 16
	s_addc_u32 s13, s13, 0
	s_add_i32 s35, s46, 4
	s_add_u32 s18, s12, s30
	s_addc_u32 s19, s13, s31
	s_add_u32 s16, s14, s30
	s_addc_u32 s17, s15, s31
	s_add_i32 s34, s46, 1
	s_cmp_ge_u32 s35, s10
	s_cbranch_scc1 .LBB110_15
; %bb.10:                               ;   in Loop: Header=BB110_4 Depth=1
	s_mov_b32 s45, s34
	s_branch .LBB110_4
.LBB110_11:                             ;   in Loop: Header=BB110_4 Depth=1
	s_load_dword s46, s[34:35], 0x0
	s_waitcnt lgkmcnt(0)
	s_add_i32 s7, s16, s7
	s_add_i32 s43, s46, s43
	;; [unrolled: 1-line block ×3, first 2 shown]
	s_cmp_ge_u32 s46, s11
	s_cbranch_scc1 .LBB110_6
.LBB110_12:                             ;   in Loop: Header=BB110_4 Depth=1
	s_load_dword s47, s[34:35], 0x4
	s_waitcnt lgkmcnt(0)
	s_add_i32 s7, s7, s17
	s_add_i32 s43, s47, s43
	;; [unrolled: 1-line block ×3, first 2 shown]
	s_cmp_ge_u32 s46, s11
	s_cbranch_scc1 .LBB110_7
.LBB110_13:                             ;   in Loop: Header=BB110_4 Depth=1
	s_load_dword s47, s[34:35], 0x8
	s_waitcnt lgkmcnt(0)
	s_add_i32 s7, s7, s18
	s_add_i32 s43, s47, s43
	;; [unrolled: 1-line block ×3, first 2 shown]
	s_cmp_ge_u32 s46, s11
	s_cbranch_scc0 .LBB110_8
	s_branch .LBB110_9
.LBB110_14:
	s_mov_b32 s43, 0
	s_mov_b32 s44, 0
	;; [unrolled: 1-line block ×3, first 2 shown]
	s_cmp_ge_u32 s12, s10
	s_cbranch_scc0 .LBB110_38
	s_branch .LBB110_16
.LBB110_15:
	s_add_i32 s12, s45, 4
	s_cmp_ge_u32 s12, s10
	s_cbranch_scc0 .LBB110_38
.LBB110_16:
	v_mov_b32_e32 v1, s43
	v_mov_b32_e32 v2, s44
	;; [unrolled: 1-line block ×4, first 2 shown]
	ds_write_b96 v4, v[1:3] offset:1056
.LBB110_17:
	s_or_b32 exec_lo, exec_lo, s42
	s_load_dwordx4 s[12:15], s[4:5], 0xd8
	s_mul_i32 s7, s9, s11
	s_add_i32 s11, s11, 1
	s_lshl_b32 s18, s7, 8
	s_waitcnt lgkmcnt(0)
	s_barrier
	buffer_gl0_inv
	s_sub_i32 s7, s12, s18
	s_add_u32 s16, s7, 0xff
	s_addc_u32 s17, 0, 0
	s_lshr_b64 s[16:17], s[16:17], 8
	s_cmp_lt_u32 s11, s10
	s_mov_b32 s11, 0
	s_cselect_b32 s7, s9, s16
	s_cmp_eq_u32 s7, 0
	s_cbranch_scc1 .LBB110_40
; %bb.18:
	s_mul_i32 s9, s41, s37
	s_add_i32 s10, s41, 1
	s_sub_i32 s9, s6, s9
	v_mov_b32_e32 v5, 0
	s_sub_i32 s15, s9, s37
	s_cmp_ge_u32 s9, s37
	v_lshrrev_b32_e32 v4, 3, v0
	s_cselect_b32 s10, s10, s41
	s_cselect_b32 s9, s15, s9
	s_add_i32 s15, s10, 1
	s_cmp_ge_u32 s9, s37
	s_mul_i32 s9, s40, s36
	s_cselect_b32 s10, s15, s10
	s_sub_i32 s9, s6, s9
	s_mul_i32 s15, s10, s37
	s_mul_i32 s10, s10, s28
	s_sub_i32 s15, s6, s15
	s_add_i32 s16, s40, 1
	s_mul_i32 s15, s15, s29
	s_sub_i32 s17, s9, s36
	s_add_i32 s10, s10, s15
	s_cmp_ge_u32 s9, s36
	ds_read_b96 v[1:3], v5 offset:1056
	s_cselect_b32 s15, s16, s40
	s_cselect_b32 s9, s17, s9
	s_add_i32 s16, s15, 1
	s_cmp_ge_u32 s9, s36
	s_mul_i32 s9, s39, s33
	s_cselect_b32 s15, s16, s15
	s_sub_i32 s9, s6, s9
	s_mul_i32 s16, s15, s36
	s_mul_i32 s15, s15, s26
	s_sub_i32 s16, s6, s16
	s_add_i32 s19, s39, 1
	s_mul_i32 s16, s16, s27
	s_sub_i32 s26, s9, s33
	s_add_i32 s16, s15, s16
	s_cmp_ge_u32 s9, s33
	s_mov_b32 s17, s11
	s_cselect_b32 s15, s19, s39
	s_cselect_b32 s9, s26, s9
	s_add_i32 s19, s15, 1
	s_cmp_ge_u32 s9, s33
	s_mov_b32 s27, s11
	s_cselect_b32 s9, s19, s15
	s_lshl_b64 s[10:11], s[10:11], 1
	s_mul_i32 s15, s9, s33
	s_mul_i32 s9, s9, s24
	s_sub_i32 s6, s6, s15
	s_sext_i32_i16 s19, s38
	s_mul_i32 s6, s6, s25
	v_add_nc_u32_e32 v9, -1, v0
	s_add_i32 s26, s9, s6
	s_add_u32 s6, s22, s10
	s_addc_u32 s9, s23, s11
	s_lshl_b64 s[10:11], s[16:17], 1
	s_mov_b32 s22, 0x8000
	s_add_u32 s10, s20, s10
	s_addc_u32 s11, s21, s11
	s_lshl_b64 s[16:17], s[26:27], 3
	v_and_b32_e32 v4, 28, v4
	s_add_u32 s15, s2, s16
	s_addc_u32 s16, s3, s17
	s_and_b32 s2, 0xffff, s38
	s_cmp_gt_i32 s19, -1
	s_clause 0x1
	s_load_dword s19, s[4:5], 0xe8
	s_load_dword s4, s[4:5], 0x1c8
	v_lshrrev_b32_e32 v8, 3, v9
	s_cselect_b32 s3, s22, 0xffff
	s_lshl_b32 s17, s38, 16
	s_waitcnt lgkmcnt(0)
	v_add_nc_u32_e32 v6, v1, v2
	v_cmp_o_f32_e64 s17, s17, s17
	v_lshl_add_u32 v7, v0, 2, v4
	v_and_b32_e32 v4, 0x1ffffffc, v8
	v_add_nc_u32_e32 v1, s18, v0
	s_xor_b32 s2, s3, s2
	v_and_b32_e32 v2, 0xfc, v0
	v_lshlrev_b32_e32 v10, 5, v0
	v_mbcnt_lo_u32_b32 v8, -1, 0
	s_and_b32 s3, s17, exec_lo
	s_cselect_b32 s17, s2, 0xffff
	v_cmp_gt_u32_e64 s2, 32, v0
	v_lshl_add_u32 v0, v9, 2, v4
	v_add_nc_u32_e32 v9, v2, v10
	v_and_b32_e32 v10, 15, v8
	v_mul_lo_u32 v4, s19, v1
	v_bfe_i32 v11, v8, 4, 1
	v_add_nc_u32_e32 v12, -1, v8
	v_mov_b32_e32 v13, 0x8000
	s_bitcmp1_b32 s14, 0
                                        ; implicit-def: $vgpr14
	s_cselect_b32 s3, -1, 0
	s_lshl_b32 s5, s19, 8
	s_branch .LBB110_21
.LBB110_19:                             ;   in Loop: Header=BB110_21 Depth=1
	s_or_b32 exec_lo, exec_lo, s14
	v_add_nc_u32_e32 v6, v17, v6
.LBB110_20:                             ;   in Loop: Header=BB110_21 Depth=1
	v_add_nc_u32_e32 v3, v16, v3
	v_add_nc_u32_e32 v4, s5, v4
	v_add_nc_u32_e32 v1, 0x100, v1
	s_add_i32 s7, s7, -1
	s_cmp_lg_u32 s7, 0
	s_cbranch_scc0 .LBB110_40
.LBB110_21:                             ; =>This Inner Loop Header: Depth=1
	v_mov_b32_e32 v2, 0
	v_mov_b32_e32 v15, 0
	s_mov_b32 s14, exec_lo
	v_cmpx_gt_u32_e64 s12, v1
	s_cbranch_execz .LBB110_23
; %bb.22:                               ;   in Loop: Header=BB110_21 Depth=1
	v_lshlrev_b64 v[14:15], 1, v[4:5]
	v_add_co_u32 v14, vcc_lo, s6, v14
	v_add_co_ci_u32_e64 v15, null, s9, v15, vcc_lo
	global_load_ushort v14, v[14:15], off
	s_waitcnt vmcnt(0)
	v_cmp_lt_i16_e32 vcc_lo, -1, v14
	v_lshlrev_b32_e32 v15, 16, v14
	v_cndmask_b32_e32 v2, 0xffff, v13, vcc_lo
	v_cmp_o_f32_e32 vcc_lo, v15, v15
	v_xor_b32_sdwa v2, v2, v14 dst_sel:DWORD dst_unused:UNUSED_PAD src0_sel:DWORD src1_sel:WORD_0
	v_cndmask_b32_e32 v15, 0xffff, v2, vcc_lo
	v_cmp_lt_u32_e32 vcc_lo, s17, v15
	v_cndmask_b32_e64 v2, 0, 1, vcc_lo
	v_cmp_gt_u32_e32 vcc_lo, s17, v15
	v_cndmask_b32_e64 v16, 0, 1, vcc_lo
	v_cmp_eq_u32_e32 vcc_lo, s17, v15
	v_cndmask_b32_e64 v2, v16, v2, s3
	v_cndmask_b32_e64 v15, 0, 1, vcc_lo
	v_and_b32_e32 v2, 1, v2
.LBB110_23:                             ;   in Loop: Header=BB110_21 Depth=1
	s_or_b32 exec_lo, exec_lo, s14
	ds_write_b32 v7, v2
	s_waitcnt lgkmcnt(0)
	s_barrier
	buffer_gl0_inv
	s_and_saveexec_b32 s14, s2
	s_cbranch_execz .LBB110_25
; %bb.24:                               ;   in Loop: Header=BB110_21 Depth=1
	ds_read2_b32 v[16:17], v9 offset1:1
	ds_read2_b32 v[18:19], v9 offset0:2 offset1:3
	ds_read2_b32 v[20:21], v9 offset0:4 offset1:5
	;; [unrolled: 1-line block ×3, first 2 shown]
	v_cmp_ne_u32_e32 vcc_lo, 0, v10
	; wave barrier
	s_waitcnt lgkmcnt(3)
	v_add_nc_u32_e32 v17, v17, v16
	s_waitcnt lgkmcnt(2)
	v_add3_u32 v17, v17, v18, v19
	s_waitcnt lgkmcnt(1)
	v_add3_u32 v17, v17, v20, v21
	;; [unrolled: 2-line block ×3, first 2 shown]
	v_mov_b32_dpp v18, v17 row_shr:1 row_mask:0xf bank_mask:0xf
	v_cndmask_b32_e32 v18, 0, v18, vcc_lo
	v_cmp_lt_u32_e32 vcc_lo, 1, v10
	v_add_nc_u32_e32 v17, v18, v17
	v_mov_b32_dpp v18, v17 row_shr:2 row_mask:0xf bank_mask:0xf
	v_cndmask_b32_e32 v18, 0, v18, vcc_lo
	v_cmp_lt_u32_e32 vcc_lo, 3, v10
	v_add_nc_u32_e32 v17, v17, v18
	;; [unrolled: 4-line block ×3, first 2 shown]
	v_mov_b32_dpp v18, v17 row_shr:8 row_mask:0xf bank_mask:0xf
	v_cndmask_b32_e32 v18, 0, v18, vcc_lo
	v_cmp_gt_i32_e32 vcc_lo, 0, v12
	v_add_nc_u32_e32 v17, v17, v18
	v_cndmask_b32_e32 v19, v12, v8, vcc_lo
	ds_swizzle_b32 v18, v17 offset:swizzle(BROADCAST,32,15)
	v_lshlrev_b32_e32 v19, 2, v19
	s_waitcnt lgkmcnt(0)
	v_and_b32_e32 v18, v11, v18
	v_add_nc_u32_e32 v17, v17, v18
	ds_bpermute_b32 v17, v19, v17
	s_waitcnt lgkmcnt(0)
	v_add_nc_u32_e32 v16, v17, v16
	v_cndmask_b32_e64 v22, v16, v2, s1
	ds_write_b32 v9, v22
	; wave barrier
	ds_read2_b32 v[16:17], v9 offset0:1 offset1:2
	ds_read2_b32 v[18:19], v9 offset0:3 offset1:4
	;; [unrolled: 1-line block ×3, first 2 shown]
	ds_read_b32 v23, v9 offset:28
	s_waitcnt lgkmcnt(3)
	v_add_nc_u32_e32 v16, v16, v22
	v_add_nc_u32_e32 v17, v17, v16
	s_waitcnt lgkmcnt(2)
	v_add_nc_u32_e32 v18, v18, v17
	v_add_nc_u32_e32 v19, v19, v18
	;; [unrolled: 3-line block ×3, first 2 shown]
	s_waitcnt lgkmcnt(0)
	v_add_nc_u32_e32 v22, v23, v21
	ds_write2_b32 v9, v16, v17 offset0:1 offset1:2
	ds_write2_b32 v9, v18, v19 offset0:3 offset1:4
	;; [unrolled: 1-line block ×3, first 2 shown]
	ds_write_b32 v9, v22 offset:28
.LBB110_25:                             ;   in Loop: Header=BB110_21 Depth=1
	s_or_b32 exec_lo, exec_lo, s14
	v_mov_b32_e32 v17, 0
	s_waitcnt lgkmcnt(0)
	s_barrier
	buffer_gl0_inv
	s_and_saveexec_b32 s14, s0
; %bb.26:                               ;   in Loop: Header=BB110_21 Depth=1
	ds_read_b32 v17, v0
; %bb.27:                               ;   in Loop: Header=BB110_21 Depth=1
	s_or_b32 exec_lo, exec_lo, s14
	ds_read_b32 v16, v5 offset:1048
	s_mov_b32 s14, exec_lo
	s_waitcnt lgkmcnt(0)
	s_barrier
	buffer_gl0_inv
	v_cmpx_ne_u32_e32 0, v2
	s_cbranch_execz .LBB110_29
; %bb.28:                               ;   in Loop: Header=BB110_21 Depth=1
	v_add_nc_u32_e32 v2, v17, v3
	v_mov_b32_e32 v18, v5
	v_mov_b32_e32 v20, v5
	v_mul_lo_u32 v17, v2, s4
	v_mul_lo_u32 v19, v2, s8
	v_mov_b32_e32 v2, v5
	v_lshlrev_b64 v[17:18], 1, v[17:18]
	v_lshlrev_b64 v[19:20], 3, v[19:20]
	v_add_co_u32 v17, vcc_lo, s10, v17
	v_add_co_ci_u32_e64 v18, null, s11, v18, vcc_lo
	v_add_co_u32 v19, vcc_lo, s15, v19
	v_add_co_ci_u32_e64 v20, null, s16, v20, vcc_lo
	global_store_short v[17:18], v14, off
	global_store_dwordx2 v[19:20], v[1:2], off
.LBB110_29:                             ;   in Loop: Header=BB110_21 Depth=1
	s_or_b32 exec_lo, exec_lo, s14
	v_cmp_le_u32_e32 vcc_lo, s13, v6
	s_cbranch_vccnz .LBB110_20
; %bb.30:                               ;   in Loop: Header=BB110_21 Depth=1
	ds_write_b32 v7, v15
	s_waitcnt lgkmcnt(0)
	s_waitcnt_vscnt null, 0x0
	s_barrier
	buffer_gl0_inv
	s_and_saveexec_b32 s14, s2
	s_cbranch_execz .LBB110_32
; %bb.31:                               ;   in Loop: Header=BB110_21 Depth=1
	ds_read2_b32 v[17:18], v9 offset1:1
	ds_read2_b32 v[19:20], v9 offset0:2 offset1:3
	ds_read2_b32 v[21:22], v9 offset0:4 offset1:5
	;; [unrolled: 1-line block ×3, first 2 shown]
	v_cmp_ne_u32_e32 vcc_lo, 0, v10
	; wave barrier
	s_waitcnt lgkmcnt(3)
	v_add_nc_u32_e32 v2, v18, v17
	s_waitcnt lgkmcnt(2)
	v_add3_u32 v2, v2, v19, v20
	s_waitcnt lgkmcnt(1)
	v_add3_u32 v2, v2, v21, v22
	;; [unrolled: 2-line block ×3, first 2 shown]
	v_mov_b32_dpp v18, v2 row_shr:1 row_mask:0xf bank_mask:0xf
	v_cndmask_b32_e32 v18, 0, v18, vcc_lo
	v_cmp_lt_u32_e32 vcc_lo, 1, v10
	v_add_nc_u32_e32 v2, v18, v2
	v_mov_b32_dpp v18, v2 row_shr:2 row_mask:0xf bank_mask:0xf
	v_cndmask_b32_e32 v18, 0, v18, vcc_lo
	v_cmp_lt_u32_e32 vcc_lo, 3, v10
	v_add_nc_u32_e32 v2, v2, v18
	;; [unrolled: 4-line block ×3, first 2 shown]
	v_mov_b32_dpp v18, v2 row_shr:8 row_mask:0xf bank_mask:0xf
	v_cndmask_b32_e32 v18, 0, v18, vcc_lo
	v_cmp_gt_i32_e32 vcc_lo, 0, v12
	v_add_nc_u32_e32 v2, v2, v18
	v_cndmask_b32_e32 v19, v12, v8, vcc_lo
	ds_swizzle_b32 v18, v2 offset:swizzle(BROADCAST,32,15)
	v_lshlrev_b32_e32 v19, 2, v19
	s_waitcnt lgkmcnt(0)
	v_and_b32_e32 v18, v11, v18
	v_add_nc_u32_e32 v2, v2, v18
	ds_bpermute_b32 v2, v19, v2
	s_waitcnt lgkmcnt(0)
	v_add_nc_u32_e32 v2, v2, v17
	v_cndmask_b32_e64 v2, v2, v15, s1
	ds_write_b32 v9, v2
	; wave barrier
	ds_read2_b32 v[17:18], v9 offset0:1 offset1:2
	ds_read2_b32 v[19:20], v9 offset0:3 offset1:4
	;; [unrolled: 1-line block ×3, first 2 shown]
	ds_read_b32 v23, v9 offset:28
	s_waitcnt lgkmcnt(3)
	v_add_nc_u32_e32 v2, v17, v2
	v_add_nc_u32_e32 v17, v18, v2
	s_waitcnt lgkmcnt(2)
	v_add_nc_u32_e32 v18, v19, v17
	v_add_nc_u32_e32 v19, v20, v18
	s_waitcnt lgkmcnt(1)
	v_add_nc_u32_e32 v20, v21, v19
	v_add_nc_u32_e32 v21, v22, v20
	s_waitcnt lgkmcnt(0)
	v_add_nc_u32_e32 v22, v23, v21
	ds_write2_b32 v9, v2, v17 offset0:1 offset1:2
	ds_write2_b32 v9, v18, v19 offset0:3 offset1:4
	;; [unrolled: 1-line block ×3, first 2 shown]
	ds_write_b32 v9, v22 offset:28
.LBB110_32:                             ;   in Loop: Header=BB110_21 Depth=1
	s_or_b32 exec_lo, exec_lo, s14
	v_mov_b32_e32 v2, 0
	s_waitcnt lgkmcnt(0)
	s_barrier
	buffer_gl0_inv
	s_and_saveexec_b32 s14, s0
; %bb.33:                               ;   in Loop: Header=BB110_21 Depth=1
	ds_read_b32 v2, v0
; %bb.34:                               ;   in Loop: Header=BB110_21 Depth=1
	s_or_b32 exec_lo, exec_lo, s14
	ds_read_b32 v17, v5 offset:1048
	s_mov_b32 s14, exec_lo
	s_waitcnt lgkmcnt(0)
	s_barrier
	buffer_gl0_inv
	v_cmpx_ne_u32_e32 0, v15
	s_cbranch_execz .LBB110_19
; %bb.35:                               ;   in Loop: Header=BB110_21 Depth=1
	v_add_nc_u32_e32 v2, v2, v6
	v_cmp_gt_u32_e32 vcc_lo, s13, v2
	s_and_b32 exec_lo, exec_lo, vcc_lo
	s_cbranch_execz .LBB110_19
; %bb.36:                               ;   in Loop: Header=BB110_21 Depth=1
	v_mul_lo_u32 v18, v2, s4
	v_mul_lo_u32 v20, v2, s8
	v_mov_b32_e32 v19, v5
	v_mov_b32_e32 v21, v5
	;; [unrolled: 1-line block ×3, first 2 shown]
	v_lshlrev_b64 v[18:19], 1, v[18:19]
	v_lshlrev_b64 v[20:21], 3, v[20:21]
	v_add_co_u32 v18, vcc_lo, s10, v18
	v_add_co_ci_u32_e64 v19, null, s11, v19, vcc_lo
	v_add_co_u32 v20, vcc_lo, s15, v20
	v_add_co_ci_u32_e64 v21, null, s16, v21, vcc_lo
	global_store_short v[18:19], v14, off
	global_store_dwordx2 v[20:21], v[1:2], off
	s_branch .LBB110_19
	.p2align	6
.LBB110_37:                             ;   in Loop: Header=BB110_38 Depth=1
	s_add_u32 s16, s16, 4
	s_addc_u32 s17, s17, 0
	s_waitcnt lgkmcnt(0)
	s_add_i32 s44, s13, s44
	s_add_u32 s18, s18, 4
	s_addc_u32 s19, s19, 0
	s_add_i32 s12, s12, 1
	s_cmp_lt_u32 s12, s10
	s_cbranch_scc0 .LBB110_16
.LBB110_38:                             ; =>This Inner Loop Header: Depth=1
	s_load_dword s13, s[16:17], 0x0
	s_cmp_ge_u32 s12, s11
	s_cbranch_scc1 .LBB110_37
; %bb.39:                               ;   in Loop: Header=BB110_38 Depth=1
	s_load_dword s14, s[18:19], 0x0
	s_waitcnt lgkmcnt(0)
	s_add_i32 s7, s13, s7
	s_add_i32 s43, s14, s43
	s_branch .LBB110_37
.LBB110_40:
	s_endpgm
	.section	.rodata,"a",@progbits
	.p2align	6, 0x0
	.amdhsa_kernel _ZN2at6native6mbtopk10gatherTopKIN3c108BFloat16EjLi2EEEvNS_4cuda6detail10TensorInfoIKT_T0_EESA_SA_bjSA_NS7_IS8_SA_EESA_NS7_IlSA_EESA_jjPS8_PjSF_j
		.amdhsa_group_segment_fixed_size 1068
		.amdhsa_private_segment_fixed_size 0
		.amdhsa_kernarg_size 984
		.amdhsa_user_sgpr_count 6
		.amdhsa_user_sgpr_private_segment_buffer 1
		.amdhsa_user_sgpr_dispatch_ptr 0
		.amdhsa_user_sgpr_queue_ptr 0
		.amdhsa_user_sgpr_kernarg_segment_ptr 1
		.amdhsa_user_sgpr_dispatch_id 0
		.amdhsa_user_sgpr_flat_scratch_init 0
		.amdhsa_user_sgpr_private_segment_size 0
		.amdhsa_wavefront_size32 1
		.amdhsa_uses_dynamic_stack 0
		.amdhsa_system_sgpr_private_segment_wavefront_offset 0
		.amdhsa_system_sgpr_workgroup_id_x 1
		.amdhsa_system_sgpr_workgroup_id_y 1
		.amdhsa_system_sgpr_workgroup_id_z 1
		.amdhsa_system_sgpr_workgroup_info 0
		.amdhsa_system_vgpr_workitem_id 0
		.amdhsa_next_free_vgpr 25
		.amdhsa_next_free_sgpr 48
		.amdhsa_reserve_vcc 1
		.amdhsa_reserve_flat_scratch 0
		.amdhsa_float_round_mode_32 0
		.amdhsa_float_round_mode_16_64 0
		.amdhsa_float_denorm_mode_32 3
		.amdhsa_float_denorm_mode_16_64 3
		.amdhsa_dx10_clamp 1
		.amdhsa_ieee_mode 1
		.amdhsa_fp16_overflow 0
		.amdhsa_workgroup_processor_mode 1
		.amdhsa_memory_ordered 1
		.amdhsa_forward_progress 1
		.amdhsa_shared_vgpr_count 0
		.amdhsa_exception_fp_ieee_invalid_op 0
		.amdhsa_exception_fp_denorm_src 0
		.amdhsa_exception_fp_ieee_div_zero 0
		.amdhsa_exception_fp_ieee_overflow 0
		.amdhsa_exception_fp_ieee_underflow 0
		.amdhsa_exception_fp_ieee_inexact 0
		.amdhsa_exception_int_div_zero 0
	.end_amdhsa_kernel
	.section	.text._ZN2at6native6mbtopk10gatherTopKIN3c108BFloat16EjLi2EEEvNS_4cuda6detail10TensorInfoIKT_T0_EESA_SA_bjSA_NS7_IS8_SA_EESA_NS7_IlSA_EESA_jjPS8_PjSF_j,"axG",@progbits,_ZN2at6native6mbtopk10gatherTopKIN3c108BFloat16EjLi2EEEvNS_4cuda6detail10TensorInfoIKT_T0_EESA_SA_bjSA_NS7_IS8_SA_EESA_NS7_IlSA_EESA_jjPS8_PjSF_j,comdat
.Lfunc_end110:
	.size	_ZN2at6native6mbtopk10gatherTopKIN3c108BFloat16EjLi2EEEvNS_4cuda6detail10TensorInfoIKT_T0_EESA_SA_bjSA_NS7_IS8_SA_EESA_NS7_IlSA_EESA_jjPS8_PjSF_j, .Lfunc_end110-_ZN2at6native6mbtopk10gatherTopKIN3c108BFloat16EjLi2EEEvNS_4cuda6detail10TensorInfoIKT_T0_EESA_SA_bjSA_NS7_IS8_SA_EESA_NS7_IlSA_EESA_jjPS8_PjSF_j
                                        ; -- End function
	.set _ZN2at6native6mbtopk10gatherTopKIN3c108BFloat16EjLi2EEEvNS_4cuda6detail10TensorInfoIKT_T0_EESA_SA_bjSA_NS7_IS8_SA_EESA_NS7_IlSA_EESA_jjPS8_PjSF_j.num_vgpr, 25
	.set _ZN2at6native6mbtopk10gatherTopKIN3c108BFloat16EjLi2EEEvNS_4cuda6detail10TensorInfoIKT_T0_EESA_SA_bjSA_NS7_IS8_SA_EESA_NS7_IlSA_EESA_jjPS8_PjSF_j.num_agpr, 0
	.set _ZN2at6native6mbtopk10gatherTopKIN3c108BFloat16EjLi2EEEvNS_4cuda6detail10TensorInfoIKT_T0_EESA_SA_bjSA_NS7_IS8_SA_EESA_NS7_IlSA_EESA_jjPS8_PjSF_j.numbered_sgpr, 48
	.set _ZN2at6native6mbtopk10gatherTopKIN3c108BFloat16EjLi2EEEvNS_4cuda6detail10TensorInfoIKT_T0_EESA_SA_bjSA_NS7_IS8_SA_EESA_NS7_IlSA_EESA_jjPS8_PjSF_j.num_named_barrier, 0
	.set _ZN2at6native6mbtopk10gatherTopKIN3c108BFloat16EjLi2EEEvNS_4cuda6detail10TensorInfoIKT_T0_EESA_SA_bjSA_NS7_IS8_SA_EESA_NS7_IlSA_EESA_jjPS8_PjSF_j.private_seg_size, 0
	.set _ZN2at6native6mbtopk10gatherTopKIN3c108BFloat16EjLi2EEEvNS_4cuda6detail10TensorInfoIKT_T0_EESA_SA_bjSA_NS7_IS8_SA_EESA_NS7_IlSA_EESA_jjPS8_PjSF_j.uses_vcc, 1
	.set _ZN2at6native6mbtopk10gatherTopKIN3c108BFloat16EjLi2EEEvNS_4cuda6detail10TensorInfoIKT_T0_EESA_SA_bjSA_NS7_IS8_SA_EESA_NS7_IlSA_EESA_jjPS8_PjSF_j.uses_flat_scratch, 0
	.set _ZN2at6native6mbtopk10gatherTopKIN3c108BFloat16EjLi2EEEvNS_4cuda6detail10TensorInfoIKT_T0_EESA_SA_bjSA_NS7_IS8_SA_EESA_NS7_IlSA_EESA_jjPS8_PjSF_j.has_dyn_sized_stack, 0
	.set _ZN2at6native6mbtopk10gatherTopKIN3c108BFloat16EjLi2EEEvNS_4cuda6detail10TensorInfoIKT_T0_EESA_SA_bjSA_NS7_IS8_SA_EESA_NS7_IlSA_EESA_jjPS8_PjSF_j.has_recursion, 0
	.set _ZN2at6native6mbtopk10gatherTopKIN3c108BFloat16EjLi2EEEvNS_4cuda6detail10TensorInfoIKT_T0_EESA_SA_bjSA_NS7_IS8_SA_EESA_NS7_IlSA_EESA_jjPS8_PjSF_j.has_indirect_call, 0
	.section	.AMDGPU.csdata,"",@progbits
; Kernel info:
; codeLenInByte = 2704
; TotalNumSgprs: 50
; NumVgprs: 25
; ScratchSize: 0
; MemoryBound: 0
; FloatMode: 240
; IeeeMode: 1
; LDSByteSize: 1068 bytes/workgroup (compile time only)
; SGPRBlocks: 0
; VGPRBlocks: 3
; NumSGPRsForWavesPerEU: 50
; NumVGPRsForWavesPerEU: 25
; Occupancy: 16
; WaveLimiterHint : 1
; COMPUTE_PGM_RSRC2:SCRATCH_EN: 0
; COMPUTE_PGM_RSRC2:USER_SGPR: 6
; COMPUTE_PGM_RSRC2:TRAP_HANDLER: 0
; COMPUTE_PGM_RSRC2:TGID_X_EN: 1
; COMPUTE_PGM_RSRC2:TGID_Y_EN: 1
; COMPUTE_PGM_RSRC2:TGID_Z_EN: 1
; COMPUTE_PGM_RSRC2:TIDIG_COMP_CNT: 0
	.section	.text._ZN2at6native6sbtopk10gatherTopKIN3c108BFloat16EjLi2ELb0EEEvNS_4cuda6detail10TensorInfoIKT_T0_EESA_SA_bSA_SA_NS7_IS8_SA_EESA_NS7_IlSA_EESA_PS8_,"axG",@progbits,_ZN2at6native6sbtopk10gatherTopKIN3c108BFloat16EjLi2ELb0EEEvNS_4cuda6detail10TensorInfoIKT_T0_EESA_SA_bSA_SA_NS7_IS8_SA_EESA_NS7_IlSA_EESA_PS8_,comdat
	.protected	_ZN2at6native6sbtopk10gatherTopKIN3c108BFloat16EjLi2ELb0EEEvNS_4cuda6detail10TensorInfoIKT_T0_EESA_SA_bSA_SA_NS7_IS8_SA_EESA_NS7_IlSA_EESA_PS8_ ; -- Begin function _ZN2at6native6sbtopk10gatherTopKIN3c108BFloat16EjLi2ELb0EEEvNS_4cuda6detail10TensorInfoIKT_T0_EESA_SA_bSA_SA_NS7_IS8_SA_EESA_NS7_IlSA_EESA_PS8_
	.globl	_ZN2at6native6sbtopk10gatherTopKIN3c108BFloat16EjLi2ELb0EEEvNS_4cuda6detail10TensorInfoIKT_T0_EESA_SA_bSA_SA_NS7_IS8_SA_EESA_NS7_IlSA_EESA_PS8_
	.p2align	8
	.type	_ZN2at6native6sbtopk10gatherTopKIN3c108BFloat16EjLi2ELb0EEEvNS_4cuda6detail10TensorInfoIKT_T0_EESA_SA_bSA_SA_NS7_IS8_SA_EESA_NS7_IlSA_EESA_PS8_,@function
_ZN2at6native6sbtopk10gatherTopKIN3c108BFloat16EjLi2ELb0EEEvNS_4cuda6detail10TensorInfoIKT_T0_EESA_SA_bSA_SA_NS7_IS8_SA_EESA_NS7_IlSA_EESA_PS8_: ; @_ZN2at6native6sbtopk10gatherTopKIN3c108BFloat16EjLi2ELb0EEEvNS_4cuda6detail10TensorInfoIKT_T0_EESA_SA_bSA_SA_NS7_IS8_SA_EESA_NS7_IlSA_EESA_PS8_
; %bb.0:
	s_clause 0x1
	s_load_dwordx2 s[12:13], s[4:5], 0x2b8
	s_load_dwordx4 s[36:39], s[4:5], 0xd8
	s_add_u32 s10, s4, 0x2b8
	s_addc_u32 s11, s5, 0
	s_waitcnt lgkmcnt(0)
	s_mul_i32 s0, s13, s8
	s_add_i32 s0, s0, s7
	s_mul_i32 s54, s0, s12
	s_add_i32 s54, s54, s6
	s_cmp_ge_u32 s54, s39
	s_cbranch_scc1 .LBB111_410
; %bb.1:
	s_clause 0x9
	s_load_dword s2, s[4:5], 0xc
	s_load_dword s56, s[4:5], 0xfc
	;; [unrolled: 1-line block ×3, first 2 shown]
	s_load_dwordx2 s[42:43], s[4:5], 0xf0
	s_load_dwordx2 s[46:47], s[4:5], 0x23c
	;; [unrolled: 1-line block ×4, first 2 shown]
	s_load_dword s40, s[4:5], 0xe8
	s_load_dwordx2 s[8:9], s[4:5], 0x6c
	s_load_dwordx2 s[0:1], s[4:5], 0x0
	v_cmp_eq_u32_e64 s3, 0, v0
	s_mov_b32 s35, 0
	s_waitcnt lgkmcnt(0)
	v_cvt_f32_u32_e32 v1, s2
	v_cvt_f32_u32_e32 v2, s56
	v_cvt_f32_u32_e32 v3, s55
	s_sub_i32 s7, 0, s2
	s_sub_i32 s16, 0, s56
	v_rcp_iflag_f32_e32 v1, v1
	v_rcp_iflag_f32_e32 v2, v2
	;; [unrolled: 1-line block ×3, first 2 shown]
	s_sub_i32 s17, 0, s55
	v_mul_f32_e32 v1, 0x4f7ffffe, v1
	v_mul_f32_e32 v2, 0x4f7ffffe, v2
	;; [unrolled: 1-line block ×3, first 2 shown]
	v_cvt_u32_f32_e32 v1, v1
	v_cvt_u32_f32_e32 v2, v2
	;; [unrolled: 1-line block ×3, first 2 shown]
	v_readfirstlane_b32 s13, v1
	v_readfirstlane_b32 s14, v2
	v_readfirstlane_b32 s15, v3
	s_mul_i32 s7, s7, s13
	s_mul_i32 s16, s16, s14
	;; [unrolled: 1-line block ×3, first 2 shown]
	s_mul_hi_u32 s7, s13, s7
	s_mul_hi_u32 s16, s14, s16
	;; [unrolled: 1-line block ×3, first 2 shown]
	s_add_i32 s13, s13, s7
	s_add_i32 s14, s14, s16
	s_add_i32 s15, s15, s17
	s_mul_hi_u32 s7, s54, s13
	s_mul_hi_u32 s58, s54, s14
	;; [unrolled: 1-line block ×3, first 2 shown]
	s_and_saveexec_b32 s13, s3
	s_cbranch_execz .LBB111_3
; %bb.2:
	v_mov_b32_e32 v1, 0
	v_mov_b32_e32 v2, s36
	;; [unrolled: 1-line block ×3, first 2 shown]
	ds_write_b96 v1, v[1:3] offset:4096
.LBB111_3:
	s_or_b32 exec_lo, exec_lo, s13
	s_mul_i32 s13, s7, s2
	s_add_i32 s14, s7, 1
	s_sub_i32 s13, s54, s13
	s_waitcnt lgkmcnt(0)
	s_sub_i32 s15, s13, s2
	s_cmp_ge_u32 s13, s2
	s_barrier
	s_cselect_b32 s7, s14, s7
	s_cselect_b32 s13, s15, s13
	buffer_gl0_inv
	s_load_dword s15, s[10:11], 0xc
	s_add_i32 s14, s7, 1
	s_cmp_ge_u32 s13, s2
	v_mov_b32_e32 v9, 0
	s_cselect_b32 s7, s14, s7
	v_mul_lo_u32 v7, s40, v0
	s_mul_i32 s2, s7, s2
	s_mul_i32 s7, s7, s8
	s_sub_i32 s2, s54, s2
	v_mov_b32_e32 v8, v9
	s_mul_i32 s2, s2, s9
	v_mbcnt_lo_u32_b32 v18, -1, 0
	s_add_i32 s34, s7, s2
	v_cmp_gt_u32_e32 vcc_lo, 32, v0
	s_lshl_b64 s[8:9], s[34:35], 1
	v_lshlrev_b64 v[1:2], 1, v[7:8]
	s_add_u32 s50, s0, s8
	s_addc_u32 s51, s1, s9
	s_bitcmp1_b32 s38, 0
	v_cmp_gt_i32_e64 s0, 4, v18
	s_cselect_b32 s2, -1, 0
	s_waitcnt lgkmcnt(0)
	s_and_b32 s52, s15, 0xffff
	s_xor_b32 s59, s2, -1
	s_lshl_b32 s60, s52, 2
	s_and_b32 s62, vcc_lo, s0
	v_cvt_f32_u32_e32 v3, s60
	v_add_co_u32 v5, vcc_lo, s50, v1
	v_add_co_ci_u32_e64 v6, null, s51, v2, vcc_lo
	v_lshlrev_b64 v[1:2], v18, -1
	s_bfe_u32 s1, s52, 0x80008
	v_rcp_iflag_f32_e32 v2, v3
	s_lshl_b32 s61, s1, 3
	s_bfe_u32 s7, s15, 0xb0005
	s_cmpk_gt_u32 s36, 0x600
	v_add_nc_u32_e32 v3, 2, v0
	s_cselect_b32 s63, -1, 0
	s_cmp_gt_u32 s52, 31
	v_cvt_f32_u32_e32 v8, s52
	s_cselect_b32 s64, -1, 0
	s_add_i32 s65, s52, -1
	v_mul_f32_e32 v2, 0x4f7ffffe, v2
	s_add_i32 s13, s65, s36
	s_cmp_lt_u32 s6, s12
	v_max_u32_e32 v3, s36, v3
	s_cselect_b32 s6, 12, 18
	v_cvt_u32_f32_e32 v2, v2
	s_add_u32 s38, s10, s6
	s_addc_u32 s39, s11, 0
	s_add_i32 s7, s7, -1
	s_bfe_u32 s66, s52, 0x30005
	s_and_b32 s6, s7, 0xffff
	v_xad_u32 v3, v0, -1, v3
	s_cmp_gt_u32 s6, 6
	v_readfirstlane_b32 s6, v2
	s_cselect_b32 s67, -1, 0
	s_cmp_lg_u32 s66, 0
	v_not_b32_e32 v17, v1
	s_cselect_b32 s68, -1, 0
	s_sub_i32 s7, 0, s60
	v_lshrrev_b32_e32 v1, 1, v0
	s_mul_i32 s7, s7, s6
	v_add_nc_u32_e32 v4, -2, v3
	s_mul_hi_u32 s7, s6, s7
	v_rcp_iflag_f32_e32 v8, v8
	s_add_i32 s69, s6, s7
	s_movk_i32 s8, 0x1f0
	s_mul_hi_u32 s6, s36, s69
	v_lshrrev_b32_e32 v2, 1, v4
	s_mul_i32 s6, s6, s60
	v_and_or_b32 v22, v1, s8, 0xc00
	s_sub_i32 s6, s36, s6
	v_lshlrev_b32_e32 v19, 2, v0
	s_sub_i32 s8, s6, s60
	s_cmp_ge_u32 s6, s60
	v_add_nc_u32_e32 v1, 1, v2
	s_cselect_b32 s6, s8, s6
	v_mul_f32_e32 v2, 0x4f7ffffe, v8
	s_sub_i32 s8, s6, s60
	s_cmp_ge_u32 s6, s60
	v_and_b32_e32 v12, 7, v1
	s_cselect_b32 s6, s8, s6
	v_cvt_u32_f32_e32 v2, v2
	s_sub_i32 s70, s36, s6
	s_sub_i32 s8, 0, s52
	v_add_nc_u32_e32 v25, s70, v0
	v_and_b32_e32 v26, -8, v1
	v_readfirstlane_b32 s9, v2
	v_and_b32_e32 v23, -2, v3
	v_cmp_lt_u32_e64 s7, 31, v3
	v_mul_lo_u32 v8, v25, s40
	v_lshlrev_b32_e32 v20, 1, v0
	s_mul_i32 s8, s8, s9
	v_cmp_ne_u32_e64 s10, v3, v23
	s_mul_hi_u32 s8, s9, s8
	v_or_b32_e32 v3, 3, v19
	s_add_i32 s71, s9, s8
	s_mov_b32 s41, s40
	v_lshlrev_b64 v[1:2], 1, v[8:9]
	s_mul_hi_u32 s9, s13, s71
	v_lshlrev_b32_e32 v28, 2, v12
	s_mul_i32 s9, s9, s52
	v_mul_lo_u32 v30, s40, v3
	s_sub_i32 s11, s13, s9
	v_add_co_u32 v10, vcc_lo, s50, v1
	v_add3_u32 v1, s52, s36, v0
	s_sub_i32 s12, s11, s52
	s_cmp_ge_u32 s11, s52
	v_add_co_ci_u32_e64 v11, null, s51, v2, vcc_lo
	s_cselect_b32 s12, s12, s11
	v_or_b32_e32 v2, 2, v19
	v_subrev_nc_u32_e32 v1, s6, v1
	s_sub_i32 s14, s12, s52
	s_cmp_ge_u32 s12, s52
	v_cmp_ne_u32_e64 s9, 0, v12
	s_cselect_b32 s14, s14, s12
	v_mad_u64_u32 v[12:13], null, s40, v19, s[40:41]
	v_mul_lo_u32 v29, s40, v2
	v_mul_lo_u32 v32, s40, v1
	s_sub_i32 s72, s13, s14
	v_cmp_eq_u32_e64 s0, 0, v18
	v_cmp_gt_u32_e64 s1, s36, v0
	v_cmp_gt_u32_e64 s15, 2, v0
	v_add_nc_u32_e32 v21, 0xc00, v20
	v_add_nc_u32_e32 v24, v0, v23
	v_cmp_lt_u32_e64 s8, 13, v4
	v_cmp_gt_u32_e64 s11, s70, v19
	v_cmp_gt_u32_e64 s12, s36, v25
	v_cmp_gt_u32_e64 s13, s72, v0
	v_lshlrev_b32_e32 v31, 2, v7
	v_lshlrev_b32_e32 v33, 3, v0
	v_lshl_or_b32 v34, v18, 2, 0xc00
	v_mov_b32_e32 v39, s37
	v_mov_b32_e32 v35, 0x8000
	v_mov_b32_e32 v36, -1
	v_mov_b32_e32 v38, 0
	v_mov_b32_e32 v27, 0
	;; [unrolled: 1-line block ×3, first 2 shown]
	s_mul_i32 s53, s40, s52
	s_lshl_b32 s74, s52, 3
	s_lshl_b32 s73, s53, 2
	;; [unrolled: 1-line block ×3, first 2 shown]
	s_mov_b32 s82, 14
	s_movk_i32 s77, 0x3f80
	s_mov_b32 s78, 0
                                        ; implicit-def: $sgpr76
                                        ; implicit-def: $sgpr81
                                        ; implicit-def: $sgpr80
                                        ; implicit-def: $sgpr83
                                        ; implicit-def: $sgpr79
                                        ; implicit-def: $sgpr87
                                        ; implicit-def: $sgpr88
                                        ; implicit-def: $sgpr84
                                        ; implicit-def: $sgpr86
                                        ; implicit-def: $sgpr85
	s_branch .LBB111_6
.LBB111_4:                              ;   in Loop: Header=BB111_6 Depth=1
	s_or_b32 exec_lo, exec_lo, s17
	v_mov_b32_e32 v39, v4
	s_andn2_b32 s17, s85, exec_lo
	s_and_b32 s16, s16, exec_lo
	s_andn2_b32 s86, s86, exec_lo
	s_or_b32 s85, s17, s16
	s_andn2_b32 s84, s84, exec_lo
	s_andn2_b32 s88, s88, exec_lo
	;; [unrolled: 1-line block ×3, first 2 shown]
	s_orn2_b32 s17, s14, exec_lo
.LBB111_5:                              ;   in Loop: Header=BB111_6 Depth=1
	s_or_b32 exec_lo, exec_lo, s6
	s_and_b32 s6, exec_lo, s17
	s_or_b32 s35, s6, s35
	s_andn2_b32 s6, s79, exec_lo
	s_and_b32 s14, s85, exec_lo
	s_andn2_b32 s16, s83, exec_lo
	s_or_b32 s79, s6, s14
	s_and_b32 s6, s86, exec_lo
	s_andn2_b32 s14, s80, exec_lo
	s_and_b32 s17, s84, exec_lo
	s_or_b32 s83, s16, s6
	s_or_b32 s80, s14, s17
	s_andn2_b32 s6, s81, exec_lo
	s_and_b32 s14, s88, exec_lo
	s_andn2_b32 s16, s76, exec_lo
	s_and_b32 s17, s87, exec_lo
	s_or_b32 s81, s6, s14
	s_or_b32 s76, s16, s17
	s_andn2_b32 exec_lo, exec_lo, s35
	s_cbranch_execz .LBB111_406
.LBB111_6:                              ; =>This Loop Header: Depth=1
                                        ;     Child Loop BB111_11 Depth 2
                                        ;     Child Loop BB111_32 Depth 2
	;; [unrolled: 1-line block ×26, first 2 shown]
	ds_read_b64 v[1:2], v9 offset:4096
	s_waitcnt lgkmcnt(0)
	v_readfirstlane_b32 s89, v1
	s_cmp_lg_u32 s89, 0
	s_cbranch_scc1 .LBB111_51
; %bb.7:                                ;   in Loop: Header=BB111_6 Depth=1
	s_and_b32 vcc_lo, exec_lo, s63
	s_cbranch_vccz .LBB111_19
; %bb.8:                                ;   in Loop: Header=BB111_6 Depth=1
	v_cmp_gt_u32_e32 vcc_lo, 0x601, v2
	s_mov_b32 s16, 0
	s_mov_b32 s6, 0
	s_cbranch_vccz .LBB111_20
; %bb.9:                                ;   in Loop: Header=BB111_6 Depth=1
	global_load_ushort v1, v9, s[38:39]
	global_load_ushort v4, v[5:6], off
	v_mov_b32_e32 v3, v0
	s_mov_b32 s17, 0
	s_waitcnt vmcnt(1)
	v_add_nc_u32_e32 v2, v0, v1
	v_mul_lo_u32 v8, s40, v2
	v_mul_lo_u32 v2, s40, v1
	s_branch .LBB111_11
.LBB111_10:                             ;   in Loop: Header=BB111_11 Depth=2
	s_or_b32 exec_lo, exec_lo, s14
	v_add_nc_u32_e32 v8, v8, v2
	v_mov_b32_e32 v4, v13
	s_andn2_b32 exec_lo, exec_lo, s17
	s_cbranch_execz .LBB111_26
.LBB111_11:                             ;   Parent Loop BB111_6 Depth=1
                                        ; =>  This Inner Loop Header: Depth=2
	v_add_nc_u32_e32 v3, v3, v1
	s_waitcnt lgkmcnt(0)
	v_mov_b32_e32 v14, 0
	v_mov_b32_e32 v13, 0
	s_mov_b32 s14, exec_lo
	v_cmp_le_u32_e32 vcc_lo, s36, v3
	v_cmpx_gt_u32_e64 s36, v3
	s_cbranch_execz .LBB111_13
; %bb.12:                               ;   in Loop: Header=BB111_11 Depth=2
	v_lshlrev_b64 v[15:16], 1, v[8:9]
	v_add_co_u32 v15, s6, s50, v15
	v_add_co_ci_u32_e64 v16, null, s51, v16, s6
	global_load_ushort v13, v[15:16], off
.LBB111_13:                             ;   in Loop: Header=BB111_11 Depth=2
	s_or_b32 exec_lo, exec_lo, s14
	s_waitcnt vmcnt(0)
	v_cmp_lt_i16_e64 s6, -1, v4
	v_lshlrev_b32_e32 v16, 16, v4
	v_cndmask_b32_e64 v15, 0xffff, v35, s6
	v_cmp_o_f32_e64 s6, v16, v16
	v_xor_b32_sdwa v15, v15, v4 dst_sel:DWORD dst_unused:UNUSED_PAD src0_sel:DWORD src1_sel:WORD_0
	v_cndmask_b32_e64 v15, 0xffff, v15, s6
	v_and_b32_e32 v15, v15, v37
	v_cmp_eq_u32_e64 s6, v15, v27
	s_cmp_lg_u32 s6, 0
	s_cselect_b32 s14, -1, 0
	s_and_b32 s14, s0, s14
	s_and_saveexec_b32 s18, s14
	s_cbranch_execz .LBB111_17
; %bb.14:                               ;   in Loop: Header=BB111_11 Depth=2
	s_mov_b32 s21, exec_lo
	s_bcnt1_i32_b32 s19, s6
	v_mbcnt_lo_u32_b32 v14, s21, 0
	s_mov_b32 s20, exec_lo
                                        ; implicit-def: $vgpr15
	v_cmpx_eq_u32_e32 0, v14
; %bb.15:                               ;   in Loop: Header=BB111_11 Depth=2
	s_bcnt1_i32_b32 s14, s21
	s_mul_i32 s14, s19, s14
	v_mov_b32_e32 v15, s14
	ds_add_rtn_u32 v15, v9, v15 offset:4104
; %bb.16:                               ;   in Loop: Header=BB111_11 Depth=2
	s_or_b32 exec_lo, exec_lo, s20
	s_waitcnt lgkmcnt(0)
	v_readfirstlane_b32 s14, v15
	v_mad_u32_u24 v14, s19, v14, s14
.LBB111_17:                             ;   in Loop: Header=BB111_11 Depth=2
	s_or_b32 exec_lo, exec_lo, s18
	ds_bpermute_b32 v14, v9, v14
	s_and_b32 s14, exec_lo, vcc_lo
	s_or_b32 s17, s14, s17
	s_and_saveexec_b32 s14, s6
	s_cbranch_execz .LBB111_10
; %bb.18:                               ;   in Loop: Header=BB111_11 Depth=2
	v_and_b32_e32 v15, s6, v17
	v_bcnt_u32_b32 v15, v15, 0
	v_lshlrev_b32_e32 v15, 1, v15
	s_waitcnt lgkmcnt(0)
	v_lshl_add_u32 v14, v14, 1, v15
	ds_write_b16 v14, v4
	s_branch .LBB111_10
.LBB111_19:                             ;   in Loop: Header=BB111_6 Depth=1
	s_mov_b32 s16, -1
	s_mov_b32 s6, 0
.LBB111_20:                             ;   in Loop: Header=BB111_6 Depth=1
	s_and_b32 vcc_lo, exec_lo, s16
	s_cbranch_vccz .LBB111_49
.LBB111_21:                             ;   in Loop: Header=BB111_6 Depth=1
	s_and_saveexec_b32 s14, s1
	s_cbranch_execz .LBB111_46
; %bb.22:                               ;   in Loop: Header=BB111_6 Depth=1
	global_load_ushort v1, v9, s[38:39]
	global_load_ushort v40, v[5:6], off
	v_mov_b32_e32 v2, v0
	s_mov_b32 s16, exec_lo
	s_waitcnt vmcnt(1)
	v_add_nc_u32_e32 v13, v0, v1
	v_readfirstlane_b32 s17, v1
	v_cmpx_gt_u32_e64 s36, v13
	s_cbranch_execz .LBB111_45
; %bb.23:                               ;   in Loop: Header=BB111_6 Depth=1
	s_mov_b32 s6, 0
	s_mul_i32 s18, s40, s17
                                        ; implicit-def: $vgpr2
                                        ; implicit-def: $vgpr1
                                        ; implicit-def: $vgpr3
	s_and_saveexec_b32 s19, s7
	s_xor_b32 s19, exec_lo, s19
	s_cbranch_execnz .LBB111_29
; %bb.24:                               ;   in Loop: Header=BB111_6 Depth=1
	s_andn2_saveexec_b32 s19, s19
	s_cbranch_execnz .LBB111_40
.LBB111_25:                             ;   in Loop: Header=BB111_6 Depth=1
	s_or_b32 exec_lo, exec_lo, s19
	s_and_saveexec_b32 s18, s6
	s_cbranch_execnz .LBB111_41
	s_branch .LBB111_44
.LBB111_26:                             ;   in Loop: Header=BB111_6 Depth=1
	s_or_b32 exec_lo, exec_lo, s17
	s_waitcnt lgkmcnt(0)
	s_barrier
	buffer_gl0_inv
	s_and_saveexec_b32 s6, s3
	s_cbranch_execz .LBB111_28
; %bb.27:                               ;   in Loop: Header=BB111_6 Depth=1
	ds_read_b32 v1, v9 offset:4104
	s_waitcnt lgkmcnt(0)
	ds_write_b32 v9, v1 offset:4096
.LBB111_28:                             ;   in Loop: Header=BB111_6 Depth=1
	s_or_b32 exec_lo, exec_lo, s6
	s_waitcnt lgkmcnt(0)
	s_mov_b32 s6, -1
	s_barrier
	s_and_b32 vcc_lo, exec_lo, s16
	s_cbranch_vccnz .LBB111_21
	s_branch .LBB111_49
.LBB111_29:                             ;   in Loop: Header=BB111_6 Depth=1
	v_cvt_f32_u32_e32 v1, s17
	v_add_nc_u32_e32 v2, s17, v13
	s_sub_i32 s6, 0, s17
	s_not_b32 s20, s18
	v_rcp_iflag_f32_e32 v1, v1
	v_max_u32_e32 v2, s36, v2
	v_sub_nc_u32_e32 v2, v2, v0
	v_mul_f32_e32 v1, 0x4f7ffffe, v1
	v_cvt_u32_f32_e32 v1, v1
	v_mul_lo_u32 v3, s6, v1
	s_lshl_b32 s6, s17, 1
	v_cmp_ne_u32_e32 vcc_lo, s6, v2
	v_cndmask_b32_e64 v4, 0, 1, vcc_lo
	v_mul_hi_u32 v3, v1, v3
	v_or_b32_e32 v4, s6, v4
	v_add_nc_u32_e32 v1, v1, v3
	v_sub_nc_u32_e32 v2, v2, v4
	v_mul_hi_u32 v1, v2, v1
	v_mul_lo_u32 v3, v1, s17
	v_sub_nc_u32_e32 v2, v2, v3
	v_add_nc_u32_e32 v3, 1, v1
	v_subrev_nc_u32_e32 v4, s17, v2
	v_cmp_le_u32_e64 s6, s17, v2
	v_cndmask_b32_e64 v1, v1, v3, s6
	v_cndmask_b32_e64 v2, v2, v4, s6
	v_add_nc_u32_e32 v3, 1, v1
	v_cmp_le_u32_e64 s6, s17, v2
	v_mul_lo_u32 v2, s40, v13
	v_cndmask_b32_e64 v1, v1, v3, s6
	s_abs_i32 s6, s18
	v_add_co_ci_u32_e64 v1, null, 0, v1, vcc_lo
	v_mul_hi_u32 v3, s6, v1
	v_mul_lo_u32 v1, s6, v1
	s_ashr_i32 s6, s20, 31
	s_cmp_eq_u32 s17, 1
	v_xor_b32_e32 v2, s6, v2
	s_cselect_b32 s20, -1, 0
	v_cmp_eq_u32_e32 vcc_lo, 0, v3
	v_cmp_le_u32_e64 s6, v1, v2
	v_mov_b32_e32 v1, v0
                                        ; implicit-def: $vgpr2
	s_and_b32 s20, vcc_lo, s20
	s_and_b32 s21, s20, s6
	s_mov_b32 s20, -1
	s_and_saveexec_b32 s6, s21
	s_cbranch_execz .LBB111_39
; %bb.30:                               ;   in Loop: Header=BB111_6 Depth=1
	v_add_nc_u32_e32 v14, 1, v13
	s_waitcnt vmcnt(0)
	v_lshlrev_b32_e32 v1, 16, v40
	v_mov_b32_e32 v8, 0
                                        ; implicit-def: $vgpr40
	v_mov_b32_e32 v16, v14
	v_mov_b32_e32 v15, v13
	s_and_saveexec_b32 s20, s8
	s_cbranch_execz .LBB111_34
; %bb.31:                               ;   in Loop: Header=BB111_6 Depth=1
	v_mov_b32_e32 v16, v14
	v_mov_b32_e32 v41, v26
	;; [unrolled: 1-line block ×4, first 2 shown]
	s_mov_b32 s21, 0
	s_mov_b32 s22, 0
.LBB111_32:                             ;   Parent Loop BB111_6 Depth=1
                                        ; =>  This Inner Loop Header: Depth=2
	v_add_nc_u32_e32 v4, 2, v16
	v_mul_lo_u32 v8, v15, s40
	v_add_nc_u32_e32 v14, 4, v16
	v_mul_lo_u32 v2, v16, s41
	;; [unrolled: 2-line block ×3, first 2 shown]
	v_mov_b32_e32 v3, v9
	v_add_nc_u32_e32 v49, 8, v16
	v_mul_lo_u32 v45, v14, s41
	v_mov_b32_e32 v44, v9
	v_add_nc_u32_e32 v51, 10, v16
	v_mul_lo_u32 v47, v40, s41
	v_lshlrev_b64 v[53:54], 1, v[8:9]
	v_mov_b32_e32 v46, v9
	v_mul_lo_u32 v49, v49, s41
	v_lshlrev_b64 v[2:3], 1, v[2:3]
	v_mov_b32_e32 v48, v9
	;; [unrolled: 3-line block ×3, first 2 shown]
	v_lshlrev_b64 v[45:46], 1, v[45:46]
	v_add_co_u32 v53, vcc_lo, s50, v53
	v_mov_b32_e32 v52, v9
	v_lshlrev_b64 v[47:48], 1, v[47:48]
	v_add_co_ci_u32_e64 v54, null, s51, v54, vcc_lo
	v_add_co_u32 v2, vcc_lo, s50, v2
	v_lshlrev_b64 v[49:50], 1, v[49:50]
	v_add_co_ci_u32_e64 v3, null, s51, v3, vcc_lo
	v_add_co_u32 v43, vcc_lo, s50, v43
	;; [unrolled: 3-line block ×3, first 2 shown]
	v_add_co_ci_u32_e64 v46, null, s51, v46, vcc_lo
	v_add_co_u32 v47, vcc_lo, s50, v47
	v_lshrrev_b32_e32 v1, 16, v1
	v_add_co_ci_u32_e64 v48, null, s51, v48, vcc_lo
	v_add_co_u32 v49, vcc_lo, s50, v49
	v_add_co_ci_u32_e64 v50, null, s51, v50, vcc_lo
	v_add_co_u32 v51, vcc_lo, s50, v51
	v_add_co_ci_u32_e64 v52, null, s51, v52, vcc_lo
	s_clause 0x6
	global_load_short_d16_hi v1, v[53:54], off
	global_load_ushort v2, v[2:3], off
	global_load_ushort v3, v[43:44], off
	;; [unrolled: 1-line block ×6, first 2 shown]
	v_add_nc_u32_e32 v8, 2, v15
	v_add_nc_u32_e32 v46, 12, v16
	;; [unrolled: 1-line block ×4, first 2 shown]
	v_mov_b32_e32 v47, v9
	v_mul_lo_u32 v8, v8, s40
	v_mul_lo_u32 v46, v46, s41
	;; [unrolled: 1-line block ×3, first 2 shown]
	v_mov_b32_e32 v49, v9
	v_add_nc_u32_e32 v40, 6, v15
	v_add_nc_u32_e32 v54, 8, v15
	;; [unrolled: 1-line block ×4, first 2 shown]
	v_lshlrev_b64 v[50:51], 1, v[8:9]
	v_mul_lo_u32 v8, v14, s40
	v_lshlrev_b64 v[46:47], 1, v[46:47]
	v_lshlrev_b64 v[48:49], 1, v[48:49]
	v_add_nc_u32_e32 v60, 14, v15
	v_add_nc_u32_e32 v41, -8, v41
	s_add_i32 s22, s22, 16
	v_add_nc_u32_e32 v16, 16, v16
	v_add_co_u32 v46, vcc_lo, s50, v46
	v_lshlrev_b64 v[52:53], 1, v[8:9]
	v_mul_lo_u32 v8, v40, s40
	v_add_co_ci_u32_e64 v47, null, s51, v47, vcc_lo
	v_add_co_u32 v48, vcc_lo, s50, v48
	v_add_co_ci_u32_e64 v49, null, s51, v49, vcc_lo
	v_add_co_u32 v50, vcc_lo, s50, v50
	v_add_co_ci_u32_e64 v51, null, s51, v51, vcc_lo
	global_load_ushort v14, v[46:47], off
	v_add_co_u32 v46, vcc_lo, s50, v52
	v_add_co_ci_u32_e64 v47, null, s51, v53, vcc_lo
	v_lshlrev_b64 v[52:53], 1, v[8:9]
	v_mul_lo_u32 v8, v54, s40
	v_add_nc_u32_e32 v15, 16, v15
	v_add_co_u32 v52, vcc_lo, s50, v52
	v_add_co_ci_u32_e64 v53, null, s51, v53, vcc_lo
	v_lshlrev_b64 v[54:55], 1, v[8:9]
	v_mul_lo_u32 v8, v56, s40
	v_add_co_u32 v54, vcc_lo, s50, v54
	v_add_co_ci_u32_e64 v55, null, s51, v55, vcc_lo
	v_lshlrev_b64 v[56:57], 1, v[8:9]
	v_mul_lo_u32 v8, v58, s40
	;; [unrolled: 4-line block ×3, first 2 shown]
	v_add_co_u32 v58, vcc_lo, s50, v58
	v_add_co_ci_u32_e64 v59, null, s51, v59, vcc_lo
	v_lshlrev_b64 v[60:61], 1, v[8:9]
	v_mov_b32_e32 v8, s22
	v_add_co_u32 v60, vcc_lo, s50, v60
	v_add_co_ci_u32_e64 v61, null, s51, v61, vcc_lo
	v_cmp_eq_u32_e32 vcc_lo, 0, v41
	s_clause 0x7
	global_load_short_d16_hi v2, v[50:51], off
	global_load_short_d16_hi v3, v[46:47], off
	;; [unrolled: 1-line block ×3, first 2 shown]
	global_load_ushort v47, v[60:61], off
	global_load_short_d16_hi v43, v[54:55], off
	global_load_short_d16_hi v44, v[56:57], off
	;; [unrolled: 1-line block ×3, first 2 shown]
	global_load_ushort v40, v[48:49], off
	s_or_b32 s21, vcc_lo, s21
	s_waitcnt vmcnt(5)
	ds_write_b128 v42, v[1:4]
	s_waitcnt vmcnt(4)
	v_perm_b32 v46, v47, v14, 0x5040100
	s_waitcnt vmcnt(0)
	v_perm_b32 v1, v40, v47, 0x5040100
	ds_write_b128 v42, v[43:46] offset:16
	v_add_nc_u32_e32 v42, 32, v42
	s_andn2_b32 exec_lo, exec_lo, s21
	s_cbranch_execnz .LBB111_32
; %bb.33:                               ;   in Loop: Header=BB111_6 Depth=1
	s_or_b32 exec_lo, exec_lo, s21
.LBB111_34:                             ;   in Loop: Header=BB111_6 Depth=1
	s_or_b32 exec_lo, exec_lo, s20
	s_and_saveexec_b32 s20, s9
	s_cbranch_execz .LBB111_38
; %bb.35:                               ;   in Loop: Header=BB111_6 Depth=1
	v_lshl_add_u32 v2, v8, 1, v20
	v_mov_b32_e32 v3, v28
	s_mov_b32 s21, 0
	s_inst_prefetch 0x1
	.p2align	6
.LBB111_36:                             ;   Parent Loop BB111_6 Depth=1
                                        ; =>  This Inner Loop Header: Depth=2
	v_mul_lo_u32 v8, v15, s40
	v_mul_lo_u32 v40, v16, s41
	v_mov_b32_e32 v41, v9
	v_add_nc_u32_e32 v3, -4, v3
	v_add_nc_u32_e32 v16, 2, v16
	v_add_nc_u32_e32 v15, 2, v15
	v_lshlrev_b64 v[42:43], 1, v[8:9]
	v_lshlrev_b64 v[40:41], 1, v[40:41]
	v_add_co_u32 v42, vcc_lo, s50, v42
	v_add_co_ci_u32_e64 v43, null, s51, v43, vcc_lo
	v_add_co_u32 v40, vcc_lo, s50, v40
	v_add_co_ci_u32_e64 v41, null, s51, v41, vcc_lo
	s_clause 0x1
	global_load_ushort v4, v[42:43], off
	global_load_ushort v40, v[40:41], off
	v_cmp_eq_u32_e32 vcc_lo, 0, v3
	s_or_b32 s21, vcc_lo, s21
	s_waitcnt vmcnt(1)
	v_alignbit_b32 v1, v4, v1, 16
	s_waitcnt vmcnt(0)
	v_perm_b32 v4, v40, v4, 0x5040100
	ds_write_b32 v2, v1
	v_add_nc_u32_e32 v2, 4, v2
	v_mov_b32_e32 v1, v4
	s_andn2_b32 exec_lo, exec_lo, s21
	s_cbranch_execnz .LBB111_36
; %bb.37:                               ;   in Loop: Header=BB111_6 Depth=1
	s_inst_prefetch 0x2
	s_or_b32 exec_lo, exec_lo, s21
.LBB111_38:                             ;   in Loop: Header=BB111_6 Depth=1
	s_or_b32 exec_lo, exec_lo, s20
	v_add_nc_u32_e32 v13, v13, v23
	v_mov_b32_e32 v1, v24
	s_orn2_b32 s20, s10, exec_lo
	v_add_nc_u32_e32 v2, -1, v13
.LBB111_39:                             ;   in Loop: Header=BB111_6 Depth=1
	s_or_b32 exec_lo, exec_lo, s6
	v_mov_b32_e32 v3, s18
	s_and_b32 s6, s20, exec_lo
	s_andn2_saveexec_b32 s19, s19
	s_cbranch_execz .LBB111_25
.LBB111_40:                             ;   in Loop: Header=BB111_6 Depth=1
	v_mov_b32_e32 v3, s18
	v_mov_b32_e32 v1, v0
	s_or_b32 s6, s6, exec_lo
	s_or_b32 exec_lo, exec_lo, s19
	s_and_saveexec_b32 s18, s6
	s_cbranch_execz .LBB111_44
.LBB111_41:                             ;   in Loop: Header=BB111_6 Depth=1
	v_mul_lo_u32 v8, s40, v13
	s_mov_b32 s19, 0
	s_sub_i32 s6, 0, s17
	.p2align	6
.LBB111_42:                             ;   Parent Loop BB111_6 Depth=1
                                        ; =>  This Inner Loop Header: Depth=2
	v_lshlrev_b64 v[14:15], 1, v[8:9]
	s_waitcnt vmcnt(0)
	v_mov_b32_e32 v2, v40
	v_mov_b32_e32 v4, v13
	v_add_nc_u32_e32 v8, v8, v3
	v_add_co_u32 v14, vcc_lo, s50, v14
	v_add_co_ci_u32_e64 v15, null, s51, v15, vcc_lo
	v_add_nc_u32_e32 v13, s17, v4
	global_load_ushort v40, v[14:15], off
	v_lshlrev_b32_e32 v14, 1, v1
	v_cmp_le_u32_e32 vcc_lo, s36, v13
	v_mov_b32_e32 v1, v4
	ds_write_b16 v14, v2
	s_or_b32 s19, vcc_lo, s19
	s_andn2_b32 exec_lo, exec_lo, s19
	s_cbranch_execnz .LBB111_42
; %bb.43:                               ;   in Loop: Header=BB111_6 Depth=1
	s_or_b32 exec_lo, exec_lo, s19
	v_add_nc_u32_e32 v2, s6, v13
.LBB111_44:                             ;   in Loop: Header=BB111_6 Depth=1
	s_or_b32 exec_lo, exec_lo, s18
.LBB111_45:                             ;   in Loop: Header=BB111_6 Depth=1
	s_or_b32 exec_lo, exec_lo, s16
	v_lshlrev_b32_e32 v1, 1, v2
	s_waitcnt vmcnt(0)
	ds_write_b16 v1, v40
.LBB111_46:                             ;   in Loop: Header=BB111_6 Depth=1
	s_or_b32 exec_lo, exec_lo, s14
	s_waitcnt lgkmcnt(0)
	s_barrier
	buffer_gl0_inv
	s_and_saveexec_b32 s6, s3
; %bb.47:                               ;   in Loop: Header=BB111_6 Depth=1
	v_mov_b32_e32 v1, s36
	ds_write_b32 v9, v1 offset:4096
; %bb.48:                               ;   in Loop: Header=BB111_6 Depth=1
	s_or_b32 exec_lo, exec_lo, s6
	s_mov_b32 s6, -1
	s_waitcnt lgkmcnt(0)
	s_barrier
.LBB111_49:                             ;   in Loop: Header=BB111_6 Depth=1
	s_and_b32 vcc_lo, exec_lo, s6
	s_mov_b32 s89, 0
	s_cbranch_vccz .LBB111_51
; %bb.50:                               ;   in Loop: Header=BB111_6 Depth=1
	buffer_gl0_inv
	ds_read_b32 v1, v9 offset:4096
	s_waitcnt lgkmcnt(0)
	v_readfirstlane_b32 s89, v1
.LBB111_51:                             ;   in Loop: Header=BB111_6 Depth=1
	s_cmp_lt_i32 s89, 1
	s_mov_b32 s6, -1
                                        ; implicit-def: $vgpr1
	s_cbranch_scc1 .LBB111_61
; %bb.52:                               ;   in Loop: Header=BB111_6 Depth=1
	s_and_b32 vcc_lo, exec_lo, s6
	s_cbranch_vccnz .LBB111_72
.LBB111_53:                             ;   in Loop: Header=BB111_6 Depth=1
	s_lshl_b32 s6, s78, 7
	s_and_saveexec_b32 s14, s0
.LBB111_54:                             ;   in Loop: Header=BB111_6 Depth=1
	v_lshl_add_u32 v8, s6, 2, v22
	ds_write_b128 v8, v[1:4]
.LBB111_55:                             ;   in Loop: Header=BB111_6 Depth=1
	s_or_b32 exec_lo, exec_lo, s14
	s_waitcnt lgkmcnt(0)
	s_barrier
	buffer_gl0_inv
	s_and_saveexec_b32 s14, s62
	s_cbranch_execz .LBB111_85
; %bb.56:                               ;   in Loop: Header=BB111_6 Depth=1
	v_mov_b32_e32 v1, 0
	s_andn2_b32 vcc_lo, exec_lo, s64
	s_cbranch_vccnz .LBB111_84
; %bb.57:                               ;   in Loop: Header=BB111_6 Depth=1
	s_andn2_b32 vcc_lo, exec_lo, s67
	s_cbranch_vccnz .LBB111_81
; %bb.58:                               ;   in Loop: Header=BB111_6 Depth=1
	v_lshl_add_u32 v2, s78, 9, v34
	v_mov_b32_e32 v1, 0
	s_mov_b32 s16, 0
	.p2align	6
.LBB111_59:                             ;   Parent Loop BB111_6 Depth=1
                                        ; =>  This Inner Loop Header: Depth=2
	ds_read2_b32 v[3:4], v2 offset1:4
	ds_read2_b32 v[13:14], v2 offset0:8 offset1:12
	ds_read2_b32 v[15:16], v2 offset0:16 offset1:20
	;; [unrolled: 1-line block ×3, first 2 shown]
	v_add_nc_u32_e32 v2, 0x80, v2
	s_add_i32 s16, s16, 8
	s_cmp_eq_u32 s61, s16
	s_waitcnt lgkmcnt(3)
	v_add3_u32 v1, v3, v1, v4
	s_waitcnt lgkmcnt(2)
	v_add3_u32 v1, v13, v1, v14
	;; [unrolled: 2-line block ×4, first 2 shown]
	s_cbranch_scc0 .LBB111_59
; %bb.60:                               ;   in Loop: Header=BB111_6 Depth=1
	s_mov_b32 s16, s61
	s_andn2_b32 vcc_lo, exec_lo, s68
	s_cbranch_vccz .LBB111_82
	s_branch .LBB111_84
.LBB111_61:                             ;   in Loop: Header=BB111_6 Depth=1
	v_mov_b32_e32 v1, 0
	v_mov_b32_e32 v2, 0
	;; [unrolled: 1-line block ×4, first 2 shown]
	s_and_saveexec_b32 s25, s11
	s_cbranch_execz .LBB111_65
; %bb.62:                               ;   in Loop: Header=BB111_6 Depth=1
	v_mov_b32_e32 v13, v19
	s_mov_b32 s26, 0
	s_mov_b32 s27, 0
	;; [unrolled: 1-line block ×6, first 2 shown]
.LBB111_63:                             ;   Parent Loop BB111_6 Depth=1
                                        ; =>  This Inner Loop Header: Depth=2
	v_add_nc_u32_e32 v8, s27, v31
	v_add_nc_u32_e32 v13, s60, v13
	v_lshlrev_b64 v[1:2], 1, v[8:9]
	v_add_nc_u32_e32 v8, s27, v12
	v_lshlrev_b64 v[3:4], 1, v[8:9]
	v_add_nc_u32_e32 v8, s27, v29
	v_add_co_u32 v1, vcc_lo, s50, v1
	v_add_co_ci_u32_e64 v2, null, s51, v2, vcc_lo
	v_lshlrev_b64 v[14:15], 1, v[8:9]
	v_add_nc_u32_e32 v8, s27, v30
	s_add_i32 s27, s27, s73
	global_load_ushort v16, v[1:2], off
	v_add_co_u32 v1, vcc_lo, s50, v3
	v_add_co_ci_u32_e64 v2, null, s51, v4, vcc_lo
	v_add_co_u32 v14, vcc_lo, s50, v14
	v_add_co_ci_u32_e64 v15, null, s51, v15, vcc_lo
	v_lshlrev_b64 v[3:4], 1, v[8:9]
	s_clause 0x1
	global_load_ushort v8, v[1:2], off
	global_load_ushort v14, v[14:15], off
	v_add_co_u32 v1, vcc_lo, s50, v3
	v_add_co_ci_u32_e64 v2, null, s51, v4, vcc_lo
	v_cmp_le_u32_e32 vcc_lo, s70, v13
	global_load_ushort v1, v[1:2], off
	s_waitcnt vmcnt(3)
	v_cmp_lt_i16_e64 s6, -1, v16
	v_lshlrev_b32_e32 v3, 16, v16
	v_cndmask_b32_e64 v2, 0xffff, v35, s6
	s_waitcnt vmcnt(2)
	v_cmp_lt_i16_e64 s6, -1, v8
	v_xor_b32_sdwa v2, v2, v16 dst_sel:DWORD dst_unused:UNUSED_PAD src0_sel:DWORD src1_sel:WORD_0
	s_waitcnt vmcnt(1)
	v_cmp_lt_i16_e64 s14, -1, v14
	v_lshlrev_b32_e32 v15, 16, v14
	v_cndmask_b32_e64 v4, 0xffff, v35, s6
	v_cmp_o_f32_e64 s6, v3, v3
	v_lshlrev_b32_e32 v3, 16, v8
	v_xor_b32_sdwa v4, v4, v8 dst_sel:DWORD dst_unused:UNUSED_PAD src0_sel:DWORD src1_sel:WORD_0
	v_cndmask_b32_e64 v2, 0xffff, v2, s6
	v_cmp_o_f32_e64 s6, v3, v3
	v_cndmask_b32_e64 v8, 0xffff, v35, s14
	v_and_b32_e32 v16, v2, v37
	v_cndmask_b32_e64 v3, 0xffff, v4, s6
	s_waitcnt vmcnt(0)
	v_cmp_lt_i16_e64 s6, -1, v1
	v_xor_b32_sdwa v4, v8, v14 dst_sel:DWORD dst_unused:UNUSED_PAD src0_sel:DWORD src1_sel:WORD_0
	v_bfe_u32 v2, v2, s82, 2
	v_lshlrev_b32_e32 v14, 16, v1
	v_cndmask_b32_e64 v8, 0xffff, v35, s6
	v_cmp_o_f32_e64 s6, v15, v15
	v_cmp_eq_u32_e64 s14, 0, v2
	v_cmp_eq_u32_e64 s16, 1, v2
	v_cmp_o_f32_e64 s19, v14, v14
	v_xor_b32_sdwa v1, v8, v1 dst_sel:DWORD dst_unused:UNUSED_PAD src0_sel:DWORD src1_sel:WORD_0
	v_cndmask_b32_e64 v4, 0xffff, v4, s6
	v_cmp_eq_u32_e64 s6, v16, v27
	v_and_b32_e32 v8, v3, v37
	v_bfe_u32 v3, v3, s82, 2
	v_cmp_eq_u32_e64 s17, 2, v2
	v_cmp_eq_u32_e64 s18, 3, v2
	s_and_b32 s14, s6, s14
	v_cndmask_b32_e64 v1, 0xffff, v1, s19
	v_cmp_eq_u32_e64 s19, v8, v27
	v_cmp_eq_u32_e64 s20, 0, v3
	v_cndmask_b32_e64 v8, 0, 1, s14
	v_cmp_eq_u32_e64 s14, 1, v3
	s_and_b32 s16, s6, s16
	v_and_b32_e32 v2, v4, v37
	v_bfe_u32 v4, v4, s82, 2
	v_cndmask_b32_e64 v14, 0, 1, s16
	v_cmp_eq_u32_e64 s16, 2, v3
	s_and_b32 s17, s6, s17
	s_and_b32 s6, s6, s18
	v_cndmask_b32_e64 v15, 0, 1, s17
	s_and_b32 s20, s19, s20
	s_and_b32 s14, s19, s14
	v_cmp_eq_u32_e64 s17, 3, v3
	v_cndmask_b32_e64 v3, 0, 1, s6
	v_cmp_eq_u32_e64 s6, v2, v27
	v_cmp_eq_u32_e64 s18, 0, v4
	v_cmp_ne_u32_e64 s21, 0, v8
	v_cndmask_b32_e64 v8, 0, 1, s20
	v_cmp_eq_u32_e64 s20, 1, v4
	v_cmp_ne_u32_e64 s22, 0, v14
	v_cndmask_b32_e64 v14, 0, 1, s14
	v_cmp_eq_u32_e64 s14, 2, v4
	s_and_b32 s16, s19, s16
	v_and_b32_e32 v2, v1, v37
	v_bfe_u32 v1, v1, s82, 2
	v_cmp_ne_u32_e64 s23, 0, v15
	v_cndmask_b32_e64 v15, 0, 1, s16
	v_cmp_eq_u32_e64 s16, 3, v4
	s_and_b32 s17, s19, s17
	s_and_b32 s18, s6, s18
	;; [unrolled: 1-line block ×4, first 2 shown]
	v_cmp_ne_u32_e64 s24, 0, v3
	v_cndmask_b32_e64 v3, 0, 1, s17
	v_cmp_eq_u32_e64 s17, v2, v27
	v_cmp_eq_u32_e64 s19, 0, v1
	s_bcnt1_i32_b32 s33, s21
	v_cmp_ne_u32_e64 s21, 0, v8
	v_cndmask_b32_e64 v2, 0, 1, s18
	v_cmp_eq_u32_e64 s18, 1, v1
	v_cndmask_b32_e64 v4, 0, 1, s20
	v_cmp_eq_u32_e64 s20, 2, v1
	;; [unrolled: 2-line block ×3, first 2 shown]
	s_and_b32 s6, s6, s16
	s_bcnt1_i32_b32 s91, s24
	v_cndmask_b32_e64 v1, 0, 1, s6
	v_cmp_ne_u32_e64 s24, 0, v3
	s_and_b32 s16, s17, s19
	s_and_b32 s18, s17, s18
	s_and_b32 s19, s17, s20
	s_and_b32 s14, s17, s14
	v_cmp_ne_u32_e64 s6, 0, v2
	v_cndmask_b32_e64 v2, 0, 1, s16
	v_cmp_ne_u32_e64 s16, 0, v4
	v_cndmask_b32_e64 v3, 0, 1, s18
	v_cndmask_b32_e64 v4, 0, 1, s19
	v_cmp_ne_u32_e64 s19, 0, v1
	v_cndmask_b32_e64 v1, 0, 1, s14
	s_bcnt1_i32_b32 s34, s22
	v_cmp_ne_u32_e64 s22, 0, v14
	s_bcnt1_i32_b32 s90, s23
	v_cmp_ne_u32_e64 s23, 0, v15
	s_add_i32 s28, s91, s28
	v_cmp_ne_u32_e64 s18, 0, v8
	s_bcnt1_i32_b32 s20, s24
	s_bcnt1_i32_b32 s24, s6
	s_add_i32 s20, s28, s20
	v_cmp_ne_u32_e64 s6, 0, v2
	s_bcnt1_i32_b32 s28, s16
	v_cmp_ne_u32_e64 s14, 0, v3
	v_cmp_ne_u32_e64 s16, 0, v4
	v_cmp_ne_u32_e64 s17, 0, v1
	s_add_i32 s31, s33, s31
	s_add_i32 s30, s34, s30
	;; [unrolled: 1-line block ×3, first 2 shown]
	s_bcnt1_i32_b32 s21, s21
	s_bcnt1_i32_b32 s22, s22
	s_bcnt1_i32_b32 s23, s23
	s_add_i32 s21, s31, s21
	s_add_i32 s22, s30, s22
	;; [unrolled: 1-line block ×3, first 2 shown]
	s_bcnt1_i32_b32 s18, s18
	s_bcnt1_i32_b32 s19, s19
	s_add_i32 s21, s21, s24
	s_add_i32 s22, s22, s28
	;; [unrolled: 1-line block ×4, first 2 shown]
	s_bcnt1_i32_b32 s6, s6
	s_bcnt1_i32_b32 s14, s14
	;; [unrolled: 1-line block ×4, first 2 shown]
	s_add_i32 s31, s21, s6
	s_add_i32 s30, s22, s14
	;; [unrolled: 1-line block ×4, first 2 shown]
	v_mov_b32_e32 v1, s31
	v_mov_b32_e32 v2, s30
	;; [unrolled: 1-line block ×4, first 2 shown]
	s_or_b32 s26, vcc_lo, s26
	s_andn2_b32 exec_lo, exec_lo, s26
	s_cbranch_execnz .LBB111_63
; %bb.64:                               ;   in Loop: Header=BB111_6 Depth=1
	s_or_b32 exec_lo, exec_lo, s26
.LBB111_65:                             ;   in Loop: Header=BB111_6 Depth=1
	s_or_b32 exec_lo, exec_lo, s25
	s_and_saveexec_b32 s18, s12
	s_cbranch_execz .LBB111_71
; %bb.66:                               ;   in Loop: Header=BB111_6 Depth=1
	global_load_ushort v15, v[10:11], off
	v_mov_b32_e32 v8, v32
	v_mov_b32_e32 v13, v25
	s_mov_b32 s19, 0
	s_branch .LBB111_68
.LBB111_67:                             ;   in Loop: Header=BB111_68 Depth=2
	s_or_b32 exec_lo, exec_lo, s14
	s_waitcnt vmcnt(0)
	v_cmp_lt_i16_e64 s6, -1, v15
	v_lshlrev_b32_e32 v40, 16, v15
	s_and_b32 s14, exec_lo, vcc_lo
	v_add_nc_u32_e32 v8, s53, v8
	s_or_b32 s19, s14, s19
	v_cndmask_b32_e64 v16, 0xffff, v35, s6
	v_cmp_o_f32_e64 s6, v40, v40
	v_xor_b32_sdwa v15, v16, v15 dst_sel:DWORD dst_unused:UNUSED_PAD src0_sel:DWORD src1_sel:WORD_0
	v_cndmask_b32_e64 v15, 0xffff, v15, s6
	v_and_b32_e32 v16, v15, v37
	v_bfe_u32 v15, v15, s82, 2
	v_cmp_eq_u32_e32 vcc_lo, v16, v27
	v_cmp_eq_u32_e64 s6, 0, v15
	v_cmp_eq_u32_e64 s14, 1, v15
	;; [unrolled: 1-line block ×4, first 2 shown]
	s_and_b32 s6, vcc_lo, s6
	v_cndmask_b32_e64 v15, 0, 1, s6
	s_and_b32 s6, vcc_lo, s14
	v_cndmask_b32_e64 v16, 0, 1, s6
	;; [unrolled: 2-line block ×3, first 2 shown]
	s_and_b32 s6, vcc_lo, s17
	v_cmp_ne_u32_e32 vcc_lo, 0, v15
	v_cndmask_b32_e64 v41, 0, 1, s6
	v_cmp_ne_u32_e64 s6, 0, v16
	v_cmp_ne_u32_e64 s14, 0, v40
	v_mov_b32_e32 v15, v14
	s_bcnt1_i32_b32 s17, vcc_lo
	v_cmp_ne_u32_e64 s16, 0, v41
	s_bcnt1_i32_b32 s6, s6
	s_bcnt1_i32_b32 s14, s14
	v_add_nc_u32_e32 v1, s17, v1
	v_add_nc_u32_e32 v2, s6, v2
	s_bcnt1_i32_b32 s16, s16
	v_add_nc_u32_e32 v3, s14, v3
	v_add_nc_u32_e32 v4, s16, v4
	s_andn2_b32 exec_lo, exec_lo, s19
	s_cbranch_execz .LBB111_70
.LBB111_68:                             ;   Parent Loop BB111_6 Depth=1
                                        ; =>  This Inner Loop Header: Depth=2
	v_add_nc_u32_e32 v13, s52, v13
	v_mov_b32_e32 v14, 0
	s_mov_b32 s14, exec_lo
	v_cmp_le_u32_e32 vcc_lo, s36, v13
	v_cmpx_gt_u32_e64 s36, v13
	s_cbranch_execz .LBB111_67
; %bb.69:                               ;   in Loop: Header=BB111_68 Depth=2
	v_lshlrev_b64 v[40:41], 1, v[8:9]
	v_add_co_u32 v40, s6, s50, v40
	v_add_co_ci_u32_e64 v41, null, s51, v41, s6
	global_load_ushort v14, v[40:41], off
	s_branch .LBB111_67
.LBB111_70:                             ;   in Loop: Header=BB111_6 Depth=1
	s_or_b32 exec_lo, exec_lo, s19
.LBB111_71:                             ;   in Loop: Header=BB111_6 Depth=1
	s_or_b32 exec_lo, exec_lo, s18
	s_branch .LBB111_53
.LBB111_72:                             ;   in Loop: Header=BB111_6 Depth=1
	s_mul_hi_u32 s6, s89, s69
	v_mov_b32_e32 v1, 0
	s_mul_i32 s6, s6, s60
	v_mov_b32_e32 v2, 0
	s_sub_i32 s6, s89, s6
	v_mov_b32_e32 v3, 0
	s_sub_i32 s14, s6, s60
	s_cmp_ge_u32 s6, s60
	v_mov_b32_e32 v4, 0
	s_cselect_b32 s6, s14, s6
	s_mov_b32 s91, exec_lo
	s_sub_i32 s14, s6, s60
	s_cmp_ge_u32 s6, s60
	s_cselect_b32 s6, s14, s6
	s_sub_i32 s90, s89, s6
	v_cmpx_gt_u32_e64 s90, v19
	s_cbranch_execz .LBB111_76
; %bb.73:                               ;   in Loop: Header=BB111_6 Depth=1
	v_mov_b32_e32 v8, v33
	v_mov_b32_e32 v13, v19
	s_mov_b32 s92, 0
	s_mov_b32 s93, 0
	;; [unrolled: 1-line block ×5, first 2 shown]
.LBB111_74:                             ;   Parent Loop BB111_6 Depth=1
                                        ; =>  This Inner Loop Header: Depth=2
	ds_read_b64 v[1:2], v8
	v_add_nc_u32_e32 v13, s60, v13
	v_add_nc_u32_e32 v8, s74, v8
	v_cmp_le_u32_e32 vcc_lo, s90, v13
	s_waitcnt lgkmcnt(0)
	v_cmp_lt_i16_e64 s6, -1, v1
	v_lshlrev_b32_e32 v4, 16, v1
	v_and_b32_e32 v15, 0xffff0000, v1
	v_lshlrev_b32_e32 v40, 16, v2
	v_and_b32_e32 v42, 0xffff0000, v2
	v_cndmask_b32_e64 v3, 0xffff, v35, s6
	v_cmp_gt_i16_sdwa s6, v1, v36 src0_sel:WORD_1 src1_sel:DWORD
	v_cmp_o_f32_e64 s17, v4, v4
	v_cmp_o_f32_e64 s14, v40, v40
	;; [unrolled: 1-line block ×3, first 2 shown]
	v_xor_b32_sdwa v3, v3, v1 dst_sel:DWORD dst_unused:UNUSED_PAD src0_sel:DWORD src1_sel:WORD_0
	v_cndmask_b32_e64 v14, 0xffff, v35, s6
	v_cmp_lt_i16_e64 s6, -1, v2
	v_cndmask_b32_e64 v3, 0xffff, v3, s17
	v_xor_b32_sdwa v1, v14, v1 dst_sel:DWORD dst_unused:UNUSED_PAD src0_sel:DWORD src1_sel:WORD_1
	v_cndmask_b32_e64 v16, 0xffff, v35, s6
	v_cmp_gt_i16_sdwa s6, v2, v36 src0_sel:WORD_1 src1_sel:DWORD
	v_xor_b32_sdwa v14, v16, v2 dst_sel:DWORD dst_unused:UNUSED_PAD src0_sel:DWORD src1_sel:WORD_0
	v_cndmask_b32_e64 v41, 0xffff, v35, s6
	v_cmp_o_f32_e64 s6, v15, v15
	v_cndmask_b32_e64 v4, 0xffff, v14, s14
	v_xor_b32_sdwa v2, v41, v2 dst_sel:DWORD dst_unused:UNUSED_PAD src0_sel:DWORD src1_sel:WORD_1
	v_cndmask_b32_e64 v1, 0xffff, v1, s6
	v_and_b32_e32 v14, v3, v37
	v_bfe_u32 v3, v3, s82, 2
	v_and_b32_e32 v16, v4, v37
	v_cndmask_b32_e64 v2, 0xffff, v2, s16
	v_and_b32_e32 v15, v1, v37
	v_bfe_u32 v1, v1, s82, 2
	v_bfe_u32 v4, v4, s82, 2
	v_cmp_eq_u32_e64 s6, v14, v27
	v_cmp_eq_u32_e64 s18, 0, v3
	v_and_b32_e32 v40, v2, v37
	v_bfe_u32 v2, v2, s82, 2
	v_cmp_eq_u32_e64 s14, v15, v27
	v_cmp_eq_u32_e64 s19, 0, v1
	v_cmp_eq_u32_e64 s16, v16, v27
	v_cmp_eq_u32_e64 s20, 0, v4
	s_and_b32 s18, s6, s18
	v_cmp_eq_u32_e64 s17, v40, v27
	v_cmp_eq_u32_e64 s21, 0, v2
	;; [unrolled: 1-line block ×5, first 2 shown]
	v_cndmask_b32_e64 v1, 0, 1, s18
	s_and_b32 s18, s14, s19
	v_cmp_eq_u32_e64 s22, 1, v3
	v_cmp_eq_u32_e64 s25, 1, v2
	;; [unrolled: 1-line block ×4, first 2 shown]
	v_cndmask_b32_e64 v2, 0, 1, s18
	s_and_b32 s18, s16, s20
	v_cmp_eq_u32_e64 s26, 2, v3
	v_cmp_eq_u32_e64 s30, 3, v3
	v_cndmask_b32_e64 v3, 0, 1, s18
	s_and_b32 s18, s17, s21
	v_cmp_eq_u32_e64 s24, 1, v4
	v_cmp_eq_u32_e64 s28, 2, v4
	;; [unrolled: 1-line block ×3, first 2 shown]
	v_cndmask_b32_e64 v4, 0, 1, s18
	s_and_b32 s18, s6, s22
	v_cndmask_b32_e64 v14, 0, 1, s18
	s_and_b32 s18, s14, s23
	;; [unrolled: 2-line block ×4, first 2 shown]
	v_cmp_ne_u32_e64 s19, 0, v15
	v_cndmask_b32_e64 v40, 0, 1, s18
	s_and_b32 s18, s6, s26
	s_and_b32 s6, s6, s30
	v_cndmask_b32_e64 v41, 0, 1, s18
	s_and_b32 s18, s14, s27
	v_cndmask_b32_e64 v45, 0, 1, s6
	;; [unrolled: 2-line block ×7, first 2 shown]
	v_cndmask_b32_e64 v48, 0, 1, s6
	v_cmp_ne_u32_e64 s6, 0, v1
	v_cmp_ne_u32_e64 s18, 0, v14
	;; [unrolled: 1-line block ×11, first 2 shown]
	s_bcnt1_i32_b32 s6, s6
	s_bcnt1_i32_b32 s18, s18
	;; [unrolled: 1-line block ×4, first 2 shown]
	v_cmp_ne_u32_e64 s17, 0, v4
	v_cmp_ne_u32_e64 s21, 0, v40
	;; [unrolled: 1-line block ×4, first 2 shown]
	s_bcnt1_i32_b32 s14, s14
	s_bcnt1_i32_b32 s19, s19
	s_bcnt1_i32_b32 s23, s23
	s_bcnt1_i32_b32 s27, s27
	s_add_i32 s6, s6, s96
	s_add_i32 s18, s18, s95
	s_add_i32 s22, s22, s94
	s_add_i32 s26, s26, s93
	s_bcnt1_i32_b32 s16, s16
	s_bcnt1_i32_b32 s20, s20
	s_bcnt1_i32_b32 s24, s24
	s_bcnt1_i32_b32 s28, s28
	s_add_i32 s6, s6, s14
	s_add_i32 s14, s18, s19
	s_add_i32 s18, s22, s23
	s_add_i32 s19, s26, s27
	;; [unrolled: 8-line block ×3, first 2 shown]
	s_add_i32 s96, s6, s17
	s_add_i32 s95, s14, s21
	;; [unrolled: 1-line block ×4, first 2 shown]
	v_mov_b32_e32 v1, s96
	v_mov_b32_e32 v2, s95
	;; [unrolled: 1-line block ×4, first 2 shown]
	s_or_b32 s92, vcc_lo, s92
	s_andn2_b32 exec_lo, exec_lo, s92
	s_cbranch_execnz .LBB111_74
; %bb.75:                               ;   in Loop: Header=BB111_6 Depth=1
	s_or_b32 exec_lo, exec_lo, s92
.LBB111_76:                             ;   in Loop: Header=BB111_6 Depth=1
	s_or_b32 exec_lo, exec_lo, s91
	v_add_nc_u32_e32 v8, s90, v0
	s_mov_b32 s19, exec_lo
	v_cmpx_gt_u32_e64 s89, v8
	s_cbranch_execz .LBB111_80
; %bb.77:                               ;   in Loop: Header=BB111_6 Depth=1
	v_lshlrev_b32_e32 v13, 1, v8
	s_mov_b32 s20, 0
.LBB111_78:                             ;   Parent Loop BB111_6 Depth=1
                                        ; =>  This Inner Loop Header: Depth=2
	ds_read_u16 v14, v13
	v_add_nc_u32_e32 v8, s52, v8
	v_add_nc_u32_e32 v13, s75, v13
	v_cmp_le_u32_e32 vcc_lo, s89, v8
	s_waitcnt lgkmcnt(0)
	v_cmp_lt_i16_e64 s6, -1, v14
	v_lshlrev_b32_e32 v16, 16, v14
	v_cndmask_b32_e64 v15, 0xffff, v35, s6
	v_cmp_o_f32_e64 s6, v16, v16
	v_xor_b32_sdwa v14, v15, v14 dst_sel:DWORD dst_unused:UNUSED_PAD src0_sel:DWORD src1_sel:WORD_0
	v_cndmask_b32_e64 v14, 0xffff, v14, s6
	v_and_b32_e32 v15, v14, v37
	v_bfe_u32 v14, v14, s82, 2
	v_cmp_eq_u32_e64 s6, v15, v27
	v_cmp_eq_u32_e64 s14, 0, v14
	;; [unrolled: 1-line block ×5, first 2 shown]
	s_and_b32 s14, s6, s14
	v_cndmask_b32_e64 v14, 0, 1, s14
	s_and_b32 s14, s6, s16
	v_cndmask_b32_e64 v15, 0, 1, s14
	s_and_b32 s14, s6, s17
	s_and_b32 s6, s6, s18
	v_cndmask_b32_e64 v16, 0, 1, s14
	v_cndmask_b32_e64 v40, 0, 1, s6
	v_cmp_ne_u32_e64 s6, 0, v14
	v_cmp_ne_u32_e64 s14, 0, v15
	;; [unrolled: 1-line block ×4, first 2 shown]
	s_bcnt1_i32_b32 s6, s6
	s_bcnt1_i32_b32 s14, s14
	v_add_nc_u32_e32 v1, s6, v1
	s_bcnt1_i32_b32 s16, s16
	s_bcnt1_i32_b32 s17, s17
	v_add_nc_u32_e32 v2, s14, v2
	v_add_nc_u32_e32 v3, s16, v3
	;; [unrolled: 1-line block ×3, first 2 shown]
	s_or_b32 s20, vcc_lo, s20
	s_andn2_b32 exec_lo, exec_lo, s20
	s_cbranch_execnz .LBB111_78
; %bb.79:                               ;   in Loop: Header=BB111_6 Depth=1
	s_or_b32 exec_lo, exec_lo, s20
.LBB111_80:                             ;   in Loop: Header=BB111_6 Depth=1
	s_or_b32 exec_lo, exec_lo, s19
	s_lshl_b32 s6, s78, 7
	s_and_saveexec_b32 s14, s0
	s_cbranch_execnz .LBB111_54
	s_branch .LBB111_55
.LBB111_81:                             ;   in Loop: Header=BB111_6 Depth=1
	v_mov_b32_e32 v1, 0
	s_mov_b32 s16, 0
	s_andn2_b32 vcc_lo, exec_lo, s68
	s_cbranch_vccnz .LBB111_84
.LBB111_82:                             ;   in Loop: Header=BB111_6 Depth=1
	s_lshl_b32 s17, s78, 9
	s_lshl_b32 s16, s16, 4
	v_add3_u32 v2, s17, s16, v34
	s_mov_b32 s16, s66
.LBB111_83:                             ;   Parent Loop BB111_6 Depth=1
                                        ; =>  This Inner Loop Header: Depth=2
	ds_read_b32 v3, v2
	v_add_nc_u32_e32 v2, 16, v2
	s_add_i32 s16, s16, -1
	s_cmp_lg_u32 s16, 0
	s_waitcnt lgkmcnt(0)
	v_add_nc_u32_e32 v1, v3, v1
	s_cbranch_scc1 .LBB111_83
.LBB111_84:                             ;   in Loop: Header=BB111_6 Depth=1
	v_add_lshl_u32 v2, s6, v18, 2
	ds_write_b32 v2, v1 offset:3072
.LBB111_85:                             ;   in Loop: Header=BB111_6 Depth=1
	s_or_b32 exec_lo, exec_lo, s14
	s_lshl_b32 s6, s6, 2
	s_waitcnt lgkmcnt(0)
	v_mov_b32_e32 v1, s6
	s_barrier
	buffer_gl0_inv
	v_cmp_eq_u32_e64 s14, 1, v39
	s_lshl_b32 s18, 3, s82
	ds_read_b128 v[1:4], v1 offset:3072
	s_mov_b32 s27, -1
	s_not_b32 s19, s18
	s_mov_b32 s16, 0
	s_andn2_b32 vcc_lo, exec_lo, s59
	s_mov_b32 s24, 0
	s_mov_b32 s23, 0
                                        ; implicit-def: $sgpr25
                                        ; implicit-def: $sgpr26
                                        ; implicit-def: $vgpr8
	s_waitcnt lgkmcnt(0)
	v_readfirstlane_b32 s17, v1
	v_readfirstlane_b32 s20, v2
	;; [unrolled: 1-line block ×4, first 2 shown]
                                        ; implicit-def: $vgpr4
                                        ; implicit-def: $vgpr1
                                        ; implicit-def: $vgpr2
                                        ; implicit-def: $vgpr3
	s_cbranch_vccnz .LBB111_243
; %bb.86:                               ;   in Loop: Header=BB111_6 Depth=1
	s_cmp_eq_u32 s17, 1
	v_mov_b32_e32 v2, v27
	v_mov_b32_e32 v3, v37
	;; [unrolled: 1-line block ×3, first 2 shown]
	s_cselect_b32 s6, -1, 0
	s_mov_b32 s29, -1
	s_and_b32 s6, s6, s14
                                        ; implicit-def: $sgpr26
                                        ; implicit-def: $sgpr25
	s_and_saveexec_b32 s23, s6
	s_cbranch_execz .LBB111_112
; %bb.87:                               ;   in Loop: Header=BB111_6 Depth=1
	ds_read_b32 v1, v9 offset:4096
	s_waitcnt lgkmcnt(0)
	s_barrier
	buffer_gl0_inv
	v_readfirstlane_b32 s27, v1
	s_and_saveexec_b32 s24, s15
; %bb.88:                               ;   in Loop: Header=BB111_6 Depth=1
	ds_write_b16 v21, v9
; %bb.89:                               ;   in Loop: Header=BB111_6 Depth=1
	s_or_b32 exec_lo, exec_lo, s24
	v_and_b32_e32 v2, s19, v27
	v_or_b32_e32 v3, s18, v37
	s_mov_b32 s25, -1
	s_mov_b32 s26, 0
	s_cmp_eq_u32 s27, 0
	s_mov_b32 s24, 0
	s_mov_b32 s28, -1
	s_waitcnt lgkmcnt(0)
	s_barrier
	buffer_gl0_inv
                                        ; implicit-def: $vgpr8
	s_cbranch_scc1 .LBB111_100
; %bb.90:                               ;   in Loop: Header=BB111_6 Depth=1
	s_add_i32 s24, s27, s65
                                        ; implicit-def: $vgpr8
	s_mul_hi_u32 s28, s24, s71
	s_mul_i32 s28, s28, s52
	s_sub_i32 s28, s24, s28
	s_sub_i32 s29, s28, s52
	s_cmp_ge_u32 s28, s52
	s_cselect_b32 s28, s29, s28
	s_sub_i32 s29, s28, s52
	s_cmp_ge_u32 s28, s52
	s_cselect_b32 s28, s29, s28
	s_mov_b32 s29, exec_lo
	s_sub_i32 s30, s24, s28
	s_mov_b32 s28, 0
	s_mov_b32 s24, 0
	v_cmpx_gt_u32_e64 s30, v0
	s_cbranch_execz .LBB111_99
; %bb.91:                               ;   in Loop: Header=BB111_6 Depth=1
	v_mov_b32_e32 v1, v20
	v_mov_b32_e32 v4, v0
                                        ; implicit-def: $sgpr31
	s_branch .LBB111_94
.LBB111_92:                             ;   in Loop: Header=BB111_94 Depth=2
	s_or_b32 exec_lo, exec_lo, s33
	s_waitcnt lgkmcnt(0)
	s_barrier
	buffer_gl0_inv
	ds_read_b32 v8, v9 offset:3072
	s_mov_b32 s33, -1
	s_mov_b32 s34, -1
	s_waitcnt lgkmcnt(0)
	s_barrier
	buffer_gl0_inv
	v_and_b32_e32 v13, 0x7fff, v8
	v_cmp_ne_u32_e32 vcc_lo, 0, v13
	s_cbranch_vccz .LBB111_97
.LBB111_93:                             ;   in Loop: Header=BB111_94 Depth=2
	s_and_b32 s33, exec_lo, s33
	s_or_b32 s24, s33, s24
	s_andn2_b32 s31, s31, exec_lo
	s_and_b32 s33, s34, exec_lo
	s_or_b32 s31, s31, s33
	s_andn2_b32 exec_lo, exec_lo, s24
	s_cbranch_execz .LBB111_98
.LBB111_94:                             ;   Parent Loop BB111_6 Depth=1
                                        ; =>  This Inner Loop Header: Depth=2
	s_mov_b32 s33, exec_lo
	v_cmpx_gt_u32_e64 s27, v4
	s_cbranch_execz .LBB111_92
; %bb.95:                               ;   in Loop: Header=BB111_94 Depth=2
	ds_read_u16 v8, v1
	s_waitcnt lgkmcnt(0)
	v_cmp_lt_i16_e32 vcc_lo, -1, v8
	v_lshlrev_b32_e32 v14, 16, v8
	v_cndmask_b32_e32 v13, 0xffff, v35, vcc_lo
	v_cmp_o_f32_e32 vcc_lo, v14, v14
	v_xor_b32_sdwa v13, v13, v8 dst_sel:DWORD dst_unused:UNUSED_PAD src0_sel:DWORD src1_sel:WORD_0
	v_cndmask_b32_e32 v13, 0xffff, v13, vcc_lo
	v_and_b32_e32 v13, v13, v3
	v_cmp_eq_u32_e32 vcc_lo, v13, v2
	s_and_b32 exec_lo, exec_lo, vcc_lo
	s_cbranch_execz .LBB111_92
; %bb.96:                               ;   in Loop: Header=BB111_94 Depth=2
	v_perm_b32 v8, v8, s77, 0x5040100
	ds_write_b32 v9, v8 offset:3072
	s_branch .LBB111_92
.LBB111_97:                             ;   in Loop: Header=BB111_94 Depth=2
	v_add_nc_u32_e32 v4, s52, v4
	v_add_nc_u32_e32 v1, s75, v1
	s_mov_b32 s34, 0
	v_cmp_le_u32_e32 vcc_lo, s30, v4
	s_orn2_b32 s33, vcc_lo, exec_lo
	s_branch .LBB111_93
.LBB111_98:                             ;   in Loop: Header=BB111_6 Depth=1
	s_or_b32 exec_lo, exec_lo, s24
	v_lshrrev_b32_e32 v8, 16, v8
	s_and_b32 s24, s31, exec_lo
.LBB111_99:                             ;   in Loop: Header=BB111_6 Depth=1
	s_or_b32 exec_lo, exec_lo, s29
.LBB111_100:                            ;   in Loop: Header=BB111_6 Depth=1
	s_and_b32 vcc_lo, exec_lo, s28
	s_cbranch_vccz .LBB111_111
; %bb.101:                              ;   in Loop: Header=BB111_6 Depth=1
                                        ; implicit-def: $vgpr8
	s_and_saveexec_b32 s25, s13
	s_cbranch_execz .LBB111_110
; %bb.102:                              ;   in Loop: Header=BB111_6 Depth=1
	v_mov_b32_e32 v8, v7
	v_mov_b32_e32 v1, v0
	s_mov_b32 s26, 0
                                        ; implicit-def: $sgpr27
	s_branch .LBB111_105
.LBB111_103:                            ;   in Loop: Header=BB111_105 Depth=2
	s_or_b32 exec_lo, exec_lo, s28
	s_waitcnt lgkmcnt(0)
	s_barrier
	buffer_gl0_inv
	ds_read_b32 v4, v9 offset:3072
	s_mov_b32 s28, -1
	s_mov_b32 s29, -1
	s_waitcnt lgkmcnt(0)
	s_barrier
	buffer_gl0_inv
	v_and_b32_e32 v13, 0x7fff, v4
	v_cmp_ne_u32_e32 vcc_lo, 0, v13
	s_cbranch_vccz .LBB111_108
.LBB111_104:                            ;   in Loop: Header=BB111_105 Depth=2
	s_and_b32 s28, exec_lo, s28
	s_or_b32 s26, s28, s26
	s_andn2_b32 s27, s27, exec_lo
	s_and_b32 s28, s29, exec_lo
	s_or_b32 s27, s27, s28
	s_andn2_b32 exec_lo, exec_lo, s26
	s_cbranch_execz .LBB111_109
.LBB111_105:                            ;   Parent Loop BB111_6 Depth=1
                                        ; =>  This Inner Loop Header: Depth=2
	s_mov_b32 s28, exec_lo
	v_cmpx_gt_u32_e64 s36, v1
	s_cbranch_execz .LBB111_103
; %bb.106:                              ;   in Loop: Header=BB111_105 Depth=2
	v_lshlrev_b64 v[13:14], 1, v[8:9]
	v_add_co_u32 v13, vcc_lo, s50, v13
	v_add_co_ci_u32_e64 v14, null, s51, v14, vcc_lo
	global_load_ushort v4, v[13:14], off
	s_waitcnt vmcnt(0)
	v_cmp_lt_i16_e32 vcc_lo, -1, v4
	v_lshlrev_b32_e32 v14, 16, v4
	v_cndmask_b32_e32 v13, 0xffff, v35, vcc_lo
	v_cmp_o_f32_e32 vcc_lo, v14, v14
	v_xor_b32_sdwa v13, v13, v4 dst_sel:DWORD dst_unused:UNUSED_PAD src0_sel:DWORD src1_sel:WORD_0
	v_cndmask_b32_e32 v13, 0xffff, v13, vcc_lo
	v_and_b32_e32 v13, v13, v3
	v_cmp_eq_u32_e32 vcc_lo, v13, v2
	s_and_b32 exec_lo, exec_lo, vcc_lo
	s_cbranch_execz .LBB111_103
; %bb.107:                              ;   in Loop: Header=BB111_105 Depth=2
	v_perm_b32 v4, v4, s77, 0x5040100
	ds_write_b32 v9, v4 offset:3072
	s_branch .LBB111_103
.LBB111_108:                            ;   in Loop: Header=BB111_105 Depth=2
	v_add_nc_u32_e32 v1, s52, v1
	v_add_nc_u32_e32 v8, s53, v8
	s_mov_b32 s29, 0
	v_cmp_le_u32_e32 vcc_lo, s72, v1
	s_orn2_b32 s28, vcc_lo, exec_lo
	s_branch .LBB111_104
.LBB111_109:                            ;   in Loop: Header=BB111_6 Depth=1
	s_or_b32 exec_lo, exec_lo, s26
	v_lshrrev_b32_e32 v8, 16, v4
	s_andn2_b32 s24, s24, exec_lo
	s_and_b32 s26, s27, exec_lo
	s_or_b32 s24, s24, s26
.LBB111_110:                            ;   in Loop: Header=BB111_6 Depth=1
	s_or_b32 exec_lo, exec_lo, s25
	s_mov_b32 s25, 0
	s_mov_b32 s26, -1
.LBB111_111:                            ;   in Loop: Header=BB111_6 Depth=1
	s_orn2_b32 s29, s24, exec_lo
.LBB111_112:                            ;   in Loop: Header=BB111_6 Depth=1
	s_or_b32 exec_lo, exec_lo, s23
	s_mov_b32 s27, 0
	s_mov_b32 s24, 0
	s_mov_b32 s23, 0
                                        ; implicit-def: $vgpr4
                                        ; implicit-def: $vgpr1
	s_and_saveexec_b32 s28, s29
	s_cbranch_execz .LBB111_242
; %bb.113:                              ;   in Loop: Header=BB111_6 Depth=1
	v_mov_b32_e32 v4, 1
	v_mov_b32_e32 v1, 1
	s_xor_b32 s23, s6, -1
	s_mov_b32 s30, 0
	s_and_saveexec_b32 s6, s23
	s_cbranch_execz .LBB111_122
; %bb.114:                              ;   in Loop: Header=BB111_6 Depth=1
	s_mov_b32 s23, exec_lo
	v_cmpx_ge_u32_e64 s17, v39
	s_xor_b32 s23, exec_lo, s23
	s_cbranch_execz .LBB111_119
; %bb.115:                              ;   in Loop: Header=BB111_6 Depth=1
	ds_read_b32 v1, v9 offset:4096
	v_and_b32_e32 v2, s19, v2
	v_or_b32_e32 v3, s18, v3
	s_waitcnt lgkmcnt(0)
	v_cmp_ne_u32_e32 vcc_lo, 0, v1
	s_cbranch_vccnz .LBB111_119
; %bb.116:                              ;   in Loop: Header=BB111_6 Depth=1
	s_and_saveexec_b32 s24, s3
; %bb.117:                              ;   in Loop: Header=BB111_6 Depth=1
	v_mov_b32_e32 v1, s17
	ds_write_b32 v9, v1 offset:4100
; %bb.118:                              ;   in Loop: Header=BB111_6 Depth=1
	s_or_b32 exec_lo, exec_lo, s24
	s_waitcnt lgkmcnt(0)
	s_barrier
	buffer_gl0_inv
.LBB111_119:                            ;   in Loop: Header=BB111_6 Depth=1
	s_or_saveexec_b32 s23, s23
	v_mov_b32_e32 v1, 8
	v_mov_b32_e32 v4, v39
	s_mov_b32 s24, 0
	s_xor_b32 exec_lo, exec_lo, s23
; %bb.120:                              ;   in Loop: Header=BB111_6 Depth=1
	v_subrev_nc_u32_e32 v4, s17, v39
	v_mov_b32_e32 v1, 0
	s_mov_b32 s24, exec_lo
; %bb.121:                              ;   in Loop: Header=BB111_6 Depth=1
	s_or_b32 exec_lo, exec_lo, s23
	s_and_b32 s30, s24, exec_lo
.LBB111_122:                            ;   in Loop: Header=BB111_6 Depth=1
	s_or_b32 exec_lo, exec_lo, s6
	s_mov_b32 s29, -1
                                        ; implicit-def: $sgpr23
                                        ; implicit-def: $sgpr24
	s_and_saveexec_b32 s6, s30
	s_xor_b32 s6, exec_lo, s6
	s_cbranch_execz .LBB111_239
; %bb.123:                              ;   in Loop: Header=BB111_6 Depth=1
	v_cmp_eq_u32_e32 vcc_lo, 1, v4
	s_cmp_eq_u32 s20, 1
	s_mov_b32 s31, -1
	s_cselect_b32 s23, -1, 0
                                        ; implicit-def: $sgpr24
	s_and_b32 s30, s23, vcc_lo
                                        ; implicit-def: $sgpr23
	s_and_saveexec_b32 s29, s30
	s_cbranch_execz .LBB111_149
; %bb.124:                              ;   in Loop: Header=BB111_6 Depth=1
	ds_read_b32 v8, v9 offset:4096
	s_waitcnt lgkmcnt(0)
	s_barrier
	buffer_gl0_inv
	v_readfirstlane_b32 s33, v8
	s_and_saveexec_b32 s23, s15
; %bb.125:                              ;   in Loop: Header=BB111_6 Depth=1
	ds_write_b16 v21, v9
; %bb.126:                              ;   in Loop: Header=BB111_6 Depth=1
	s_or_b32 exec_lo, exec_lo, s23
	s_lshl_b32 s23, 1, s82
	v_or_b32_e32 v3, s18, v3
	v_and_or_b32 v2, v2, s19, s23
	s_mov_b32 s23, -1
	s_mov_b32 s24, 0
	s_cmp_eq_u32 s33, 0
	s_mov_b32 s31, 0
	s_mov_b32 s34, -1
	s_waitcnt lgkmcnt(0)
	s_barrier
	buffer_gl0_inv
                                        ; implicit-def: $vgpr8
	s_cbranch_scc1 .LBB111_137
; %bb.127:                              ;   in Loop: Header=BB111_6 Depth=1
	s_add_i32 s31, s33, s65
                                        ; implicit-def: $vgpr8
	s_mul_hi_u32 s34, s31, s71
	s_mul_i32 s34, s34, s52
	s_sub_i32 s34, s31, s34
	s_sub_i32 s89, s34, s52
	s_cmp_ge_u32 s34, s52
	s_cselect_b32 s34, s89, s34
	s_sub_i32 s89, s34, s52
	s_cmp_ge_u32 s34, s52
	s_cselect_b32 s34, s89, s34
	s_mov_b32 s89, exec_lo
	s_sub_i32 s90, s31, s34
	s_mov_b32 s34, 0
	s_mov_b32 s31, 0
	v_cmpx_gt_u32_e64 s90, v0
	s_cbranch_execz .LBB111_136
; %bb.128:                              ;   in Loop: Header=BB111_6 Depth=1
	v_mov_b32_e32 v8, v20
	v_mov_b32_e32 v13, v0
                                        ; implicit-def: $sgpr91
	s_branch .LBB111_131
.LBB111_129:                            ;   in Loop: Header=BB111_131 Depth=2
	s_or_b32 exec_lo, exec_lo, s92
	s_waitcnt lgkmcnt(0)
	s_barrier
	buffer_gl0_inv
	ds_read_b32 v14, v9 offset:3072
	s_mov_b32 s92, -1
	s_mov_b32 s93, -1
	s_waitcnt lgkmcnt(0)
	s_barrier
	buffer_gl0_inv
	v_and_b32_e32 v15, 0x7fff, v14
	v_cmp_ne_u32_e32 vcc_lo, 0, v15
	s_cbranch_vccz .LBB111_134
.LBB111_130:                            ;   in Loop: Header=BB111_131 Depth=2
	s_and_b32 s92, exec_lo, s92
	s_or_b32 s31, s92, s31
	s_andn2_b32 s91, s91, exec_lo
	s_and_b32 s92, s93, exec_lo
	s_or_b32 s91, s91, s92
	s_andn2_b32 exec_lo, exec_lo, s31
	s_cbranch_execz .LBB111_135
.LBB111_131:                            ;   Parent Loop BB111_6 Depth=1
                                        ; =>  This Inner Loop Header: Depth=2
	s_mov_b32 s92, exec_lo
	v_cmpx_gt_u32_e64 s33, v13
	s_cbranch_execz .LBB111_129
; %bb.132:                              ;   in Loop: Header=BB111_131 Depth=2
	ds_read_u16 v14, v8
	s_waitcnt lgkmcnt(0)
	v_cmp_lt_i16_e32 vcc_lo, -1, v14
	v_lshlrev_b32_e32 v16, 16, v14
	v_cndmask_b32_e32 v15, 0xffff, v35, vcc_lo
	v_cmp_o_f32_e32 vcc_lo, v16, v16
	v_xor_b32_sdwa v15, v15, v14 dst_sel:DWORD dst_unused:UNUSED_PAD src0_sel:DWORD src1_sel:WORD_0
	v_cndmask_b32_e32 v15, 0xffff, v15, vcc_lo
	v_and_b32_e32 v15, v15, v3
	v_cmp_eq_u32_e32 vcc_lo, v15, v2
	s_and_b32 exec_lo, exec_lo, vcc_lo
	s_cbranch_execz .LBB111_129
; %bb.133:                              ;   in Loop: Header=BB111_131 Depth=2
	v_perm_b32 v14, v14, s77, 0x5040100
	ds_write_b32 v9, v14 offset:3072
	s_branch .LBB111_129
.LBB111_134:                            ;   in Loop: Header=BB111_131 Depth=2
	v_add_nc_u32_e32 v13, s52, v13
	v_add_nc_u32_e32 v8, s75, v8
	s_mov_b32 s93, 0
	v_cmp_le_u32_e32 vcc_lo, s90, v13
	s_orn2_b32 s92, vcc_lo, exec_lo
	s_branch .LBB111_130
.LBB111_135:                            ;   in Loop: Header=BB111_6 Depth=1
	s_or_b32 exec_lo, exec_lo, s31
	v_lshrrev_b32_e32 v8, 16, v14
	s_and_b32 s31, s91, exec_lo
.LBB111_136:                            ;   in Loop: Header=BB111_6 Depth=1
	s_or_b32 exec_lo, exec_lo, s89
.LBB111_137:                            ;   in Loop: Header=BB111_6 Depth=1
	s_and_b32 vcc_lo, exec_lo, s34
	s_cbranch_vccz .LBB111_148
; %bb.138:                              ;   in Loop: Header=BB111_6 Depth=1
                                        ; implicit-def: $vgpr8
	s_and_saveexec_b32 s23, s13
	s_cbranch_execz .LBB111_147
; %bb.139:                              ;   in Loop: Header=BB111_6 Depth=1
	v_mov_b32_e32 v8, v7
	v_mov_b32_e32 v13, v0
	s_mov_b32 s24, 0
                                        ; implicit-def: $sgpr33
	s_branch .LBB111_142
.LBB111_140:                            ;   in Loop: Header=BB111_142 Depth=2
	s_or_b32 exec_lo, exec_lo, s34
	s_waitcnt lgkmcnt(0)
	s_barrier
	buffer_gl0_inv
	ds_read_b32 v14, v9 offset:3072
	s_mov_b32 s34, -1
	s_mov_b32 s89, -1
	s_waitcnt lgkmcnt(0)
	s_barrier
	buffer_gl0_inv
	v_and_b32_e32 v15, 0x7fff, v14
	v_cmp_eq_u32_e32 vcc_lo, 0, v15
	s_cbranch_vccnz .LBB111_145
.LBB111_141:                            ;   in Loop: Header=BB111_142 Depth=2
	s_and_b32 s34, exec_lo, s34
	s_or_b32 s24, s34, s24
	s_andn2_b32 s33, s33, exec_lo
	s_and_b32 s34, s89, exec_lo
	s_or_b32 s33, s33, s34
	s_andn2_b32 exec_lo, exec_lo, s24
	s_cbranch_execz .LBB111_146
.LBB111_142:                            ;   Parent Loop BB111_6 Depth=1
                                        ; =>  This Inner Loop Header: Depth=2
	s_mov_b32 s34, exec_lo
	v_cmpx_gt_u32_e64 s36, v13
	s_cbranch_execz .LBB111_140
; %bb.143:                              ;   in Loop: Header=BB111_142 Depth=2
	v_lshlrev_b64 v[14:15], 1, v[8:9]
	v_add_co_u32 v14, vcc_lo, s50, v14
	v_add_co_ci_u32_e64 v15, null, s51, v15, vcc_lo
	global_load_ushort v14, v[14:15], off
	s_waitcnt vmcnt(0)
	v_cmp_lt_i16_e32 vcc_lo, -1, v14
	v_lshlrev_b32_e32 v16, 16, v14
	v_cndmask_b32_e32 v15, 0xffff, v35, vcc_lo
	v_cmp_o_f32_e32 vcc_lo, v16, v16
	v_xor_b32_sdwa v15, v15, v14 dst_sel:DWORD dst_unused:UNUSED_PAD src0_sel:DWORD src1_sel:WORD_0
	v_cndmask_b32_e32 v15, 0xffff, v15, vcc_lo
	v_and_b32_e32 v15, v15, v3
	v_cmp_eq_u32_e32 vcc_lo, v15, v2
	s_and_b32 exec_lo, exec_lo, vcc_lo
	s_cbranch_execz .LBB111_140
; %bb.144:                              ;   in Loop: Header=BB111_142 Depth=2
	v_perm_b32 v14, v14, s77, 0x5040100
	ds_write_b32 v9, v14 offset:3072
	s_branch .LBB111_140
.LBB111_145:                            ;   in Loop: Header=BB111_142 Depth=2
	v_add_nc_u32_e32 v13, s52, v13
	v_add_nc_u32_e32 v8, s53, v8
	s_mov_b32 s89, 0
	v_cmp_le_u32_e32 vcc_lo, s72, v13
	s_orn2_b32 s34, vcc_lo, exec_lo
	s_branch .LBB111_141
.LBB111_146:                            ;   in Loop: Header=BB111_6 Depth=1
	s_or_b32 exec_lo, exec_lo, s24
	v_lshrrev_b32_e32 v8, 16, v14
	s_andn2_b32 s24, s31, exec_lo
	s_and_b32 s31, s33, exec_lo
	s_or_b32 s31, s24, s31
.LBB111_147:                            ;   in Loop: Header=BB111_6 Depth=1
	s_or_b32 exec_lo, exec_lo, s23
	s_mov_b32 s23, 0
	s_mov_b32 s24, -1
.LBB111_148:                            ;   in Loop: Header=BB111_6 Depth=1
	s_orn2_b32 s31, s31, exec_lo
.LBB111_149:                            ;   in Loop: Header=BB111_6 Depth=1
	s_or_b32 exec_lo, exec_lo, s29
	s_mov_b32 s33, 0
	s_and_saveexec_b32 s29, s31
	s_cbranch_execz .LBB111_238
; %bb.150:                              ;   in Loop: Header=BB111_6 Depth=1
	v_mov_b32_e32 v13, 1
	v_mov_b32_e32 v1, 1
	s_xor_b32 s31, s30, -1
	s_mov_b32 s89, 0
	s_and_saveexec_b32 s30, s31
	s_cbranch_execz .LBB111_159
; %bb.151:                              ;   in Loop: Header=BB111_6 Depth=1
	s_mov_b32 s31, exec_lo
	v_cmpx_ge_u32_e64 s20, v4
	s_xor_b32 s31, exec_lo, s31
	s_cbranch_execz .LBB111_156
; %bb.152:                              ;   in Loop: Header=BB111_6 Depth=1
	ds_read_b32 v1, v9 offset:4096
	s_lshl_b32 s33, 1, s82
	v_or_b32_e32 v3, s18, v3
	v_and_or_b32 v2, v2, s19, s33
	s_waitcnt lgkmcnt(0)
	v_cmp_ne_u32_e32 vcc_lo, 0, v1
	s_cbranch_vccnz .LBB111_156
; %bb.153:                              ;   in Loop: Header=BB111_6 Depth=1
	s_and_saveexec_b32 s33, s3
; %bb.154:                              ;   in Loop: Header=BB111_6 Depth=1
	v_mov_b32_e32 v1, s20
	ds_write_b32 v9, v1 offset:4100
; %bb.155:                              ;   in Loop: Header=BB111_6 Depth=1
	s_or_b32 exec_lo, exec_lo, s33
	s_waitcnt lgkmcnt(0)
	s_barrier
	buffer_gl0_inv
.LBB111_156:                            ;   in Loop: Header=BB111_6 Depth=1
	s_or_saveexec_b32 s31, s31
	v_mov_b32_e32 v1, 8
	s_mov_b32 s33, 0
	s_xor_b32 exec_lo, exec_lo, s31
; %bb.157:                              ;   in Loop: Header=BB111_6 Depth=1
	v_subrev_nc_u32_e32 v4, s20, v4
	v_mov_b32_e32 v1, 0
	s_mov_b32 s33, exec_lo
; %bb.158:                              ;   in Loop: Header=BB111_6 Depth=1
	s_or_b32 exec_lo, exec_lo, s31
	v_mov_b32_e32 v13, v4
	s_and_b32 s89, s33, exec_lo
.LBB111_159:                            ;   in Loop: Header=BB111_6 Depth=1
	s_or_b32 exec_lo, exec_lo, s30
	s_mov_b32 s34, -1
                                        ; implicit-def: $sgpr31
                                        ; implicit-def: $sgpr33
	s_and_saveexec_b32 s30, s89
	s_cbranch_execz .LBB111_237
; %bb.160:                              ;   in Loop: Header=BB111_6 Depth=1
	v_cmp_eq_u32_e32 vcc_lo, 1, v13
	s_cmp_eq_u32 s21, 1
	s_mov_b32 s90, -1
	s_cselect_b32 s31, -1, 0
                                        ; implicit-def: $sgpr33
	s_and_b32 s89, s31, vcc_lo
                                        ; implicit-def: $sgpr31
	s_and_saveexec_b32 s34, s89
	s_cbranch_execz .LBB111_186
; %bb.161:                              ;   in Loop: Header=BB111_6 Depth=1
	ds_read_b32 v4, v9 offset:4096
	s_waitcnt lgkmcnt(0)
	s_barrier
	buffer_gl0_inv
	v_readfirstlane_b32 s91, v4
	s_and_saveexec_b32 s31, s15
; %bb.162:                              ;   in Loop: Header=BB111_6 Depth=1
	ds_write_b16 v21, v9
; %bb.163:                              ;   in Loop: Header=BB111_6 Depth=1
	s_or_b32 exec_lo, exec_lo, s31
	s_lshl_b32 s31, 2, s82
	v_or_b32_e32 v3, s18, v3
	v_and_or_b32 v2, v2, s19, s31
	s_mov_b32 s31, -1
	s_mov_b32 s33, 0
	s_cmp_eq_u32 s91, 0
	s_mov_b32 s90, 0
	s_mov_b32 s92, -1
	s_waitcnt lgkmcnt(0)
	s_barrier
	buffer_gl0_inv
                                        ; implicit-def: $vgpr8
	s_cbranch_scc1 .LBB111_174
; %bb.164:                              ;   in Loop: Header=BB111_6 Depth=1
	s_add_i32 s90, s91, s65
                                        ; implicit-def: $vgpr8
	s_mul_hi_u32 s92, s90, s71
	s_mul_i32 s92, s92, s52
	s_sub_i32 s92, s90, s92
	s_sub_i32 s93, s92, s52
	s_cmp_ge_u32 s92, s52
	s_cselect_b32 s92, s93, s92
	s_sub_i32 s93, s92, s52
	s_cmp_ge_u32 s92, s52
	s_cselect_b32 s92, s93, s92
	s_mov_b32 s93, exec_lo
	s_sub_i32 s94, s90, s92
	s_mov_b32 s92, 0
	s_mov_b32 s90, 0
	v_cmpx_gt_u32_e64 s94, v0
	s_cbranch_execz .LBB111_173
; %bb.165:                              ;   in Loop: Header=BB111_6 Depth=1
	v_mov_b32_e32 v4, v20
	v_mov_b32_e32 v8, v0
                                        ; implicit-def: $sgpr95
	s_branch .LBB111_168
.LBB111_166:                            ;   in Loop: Header=BB111_168 Depth=2
	s_or_b32 exec_lo, exec_lo, s96
	s_waitcnt lgkmcnt(0)
	s_barrier
	buffer_gl0_inv
	ds_read_b32 v14, v9 offset:3072
	s_mov_b32 s96, -1
	s_mov_b32 s97, -1
	s_waitcnt lgkmcnt(0)
	s_barrier
	buffer_gl0_inv
	v_and_b32_e32 v15, 0x7fff, v14
	v_cmp_ne_u32_e32 vcc_lo, 0, v15
	s_cbranch_vccz .LBB111_171
.LBB111_167:                            ;   in Loop: Header=BB111_168 Depth=2
	s_and_b32 s96, exec_lo, s96
	s_or_b32 s90, s96, s90
	s_andn2_b32 s95, s95, exec_lo
	s_and_b32 s96, s97, exec_lo
	s_or_b32 s95, s95, s96
	s_andn2_b32 exec_lo, exec_lo, s90
	s_cbranch_execz .LBB111_172
.LBB111_168:                            ;   Parent Loop BB111_6 Depth=1
                                        ; =>  This Inner Loop Header: Depth=2
	s_mov_b32 s96, exec_lo
	v_cmpx_gt_u32_e64 s91, v8
	s_cbranch_execz .LBB111_166
; %bb.169:                              ;   in Loop: Header=BB111_168 Depth=2
	ds_read_u16 v14, v4
	s_waitcnt lgkmcnt(0)
	v_cmp_lt_i16_e32 vcc_lo, -1, v14
	v_lshlrev_b32_e32 v16, 16, v14
	v_cndmask_b32_e32 v15, 0xffff, v35, vcc_lo
	v_cmp_o_f32_e32 vcc_lo, v16, v16
	v_xor_b32_sdwa v15, v15, v14 dst_sel:DWORD dst_unused:UNUSED_PAD src0_sel:DWORD src1_sel:WORD_0
	v_cndmask_b32_e32 v15, 0xffff, v15, vcc_lo
	v_and_b32_e32 v15, v15, v3
	v_cmp_eq_u32_e32 vcc_lo, v15, v2
	s_and_b32 exec_lo, exec_lo, vcc_lo
	s_cbranch_execz .LBB111_166
; %bb.170:                              ;   in Loop: Header=BB111_168 Depth=2
	v_perm_b32 v14, v14, s77, 0x5040100
	ds_write_b32 v9, v14 offset:3072
	s_branch .LBB111_166
.LBB111_171:                            ;   in Loop: Header=BB111_168 Depth=2
	v_add_nc_u32_e32 v8, s52, v8
	v_add_nc_u32_e32 v4, s75, v4
	s_mov_b32 s97, 0
	v_cmp_le_u32_e32 vcc_lo, s94, v8
	s_orn2_b32 s96, vcc_lo, exec_lo
	s_branch .LBB111_167
.LBB111_172:                            ;   in Loop: Header=BB111_6 Depth=1
	s_or_b32 exec_lo, exec_lo, s90
	v_lshrrev_b32_e32 v8, 16, v14
	s_and_b32 s90, s95, exec_lo
.LBB111_173:                            ;   in Loop: Header=BB111_6 Depth=1
	s_or_b32 exec_lo, exec_lo, s93
.LBB111_174:                            ;   in Loop: Header=BB111_6 Depth=1
	s_and_b32 vcc_lo, exec_lo, s92
	s_cbranch_vccz .LBB111_185
; %bb.175:                              ;   in Loop: Header=BB111_6 Depth=1
                                        ; implicit-def: $vgpr8
	s_and_saveexec_b32 s31, s13
	s_cbranch_execz .LBB111_184
; %bb.176:                              ;   in Loop: Header=BB111_6 Depth=1
	v_mov_b32_e32 v8, v7
	v_mov_b32_e32 v4, v0
	s_mov_b32 s33, 0
                                        ; implicit-def: $sgpr91
	s_branch .LBB111_179
.LBB111_177:                            ;   in Loop: Header=BB111_179 Depth=2
	s_or_b32 exec_lo, exec_lo, s92
	s_waitcnt lgkmcnt(0)
	s_barrier
	buffer_gl0_inv
	ds_read_b32 v14, v9 offset:3072
	s_mov_b32 s92, -1
	s_mov_b32 s93, -1
	s_waitcnt lgkmcnt(0)
	s_barrier
	buffer_gl0_inv
	v_and_b32_e32 v15, 0x7fff, v14
	v_cmp_eq_u32_e32 vcc_lo, 0, v15
	s_cbranch_vccnz .LBB111_182
.LBB111_178:                            ;   in Loop: Header=BB111_179 Depth=2
	s_and_b32 s92, exec_lo, s92
	s_or_b32 s33, s92, s33
	s_andn2_b32 s91, s91, exec_lo
	s_and_b32 s92, s93, exec_lo
	s_or_b32 s91, s91, s92
	s_andn2_b32 exec_lo, exec_lo, s33
	s_cbranch_execz .LBB111_183
.LBB111_179:                            ;   Parent Loop BB111_6 Depth=1
                                        ; =>  This Inner Loop Header: Depth=2
	s_mov_b32 s92, exec_lo
	v_cmpx_gt_u32_e64 s36, v4
	s_cbranch_execz .LBB111_177
; %bb.180:                              ;   in Loop: Header=BB111_179 Depth=2
	v_lshlrev_b64 v[14:15], 1, v[8:9]
	v_add_co_u32 v14, vcc_lo, s50, v14
	v_add_co_ci_u32_e64 v15, null, s51, v15, vcc_lo
	global_load_ushort v14, v[14:15], off
	s_waitcnt vmcnt(0)
	v_cmp_lt_i16_e32 vcc_lo, -1, v14
	v_lshlrev_b32_e32 v16, 16, v14
	v_cndmask_b32_e32 v15, 0xffff, v35, vcc_lo
	v_cmp_o_f32_e32 vcc_lo, v16, v16
	v_xor_b32_sdwa v15, v15, v14 dst_sel:DWORD dst_unused:UNUSED_PAD src0_sel:DWORD src1_sel:WORD_0
	v_cndmask_b32_e32 v15, 0xffff, v15, vcc_lo
	v_and_b32_e32 v15, v15, v3
	v_cmp_eq_u32_e32 vcc_lo, v15, v2
	s_and_b32 exec_lo, exec_lo, vcc_lo
	s_cbranch_execz .LBB111_177
; %bb.181:                              ;   in Loop: Header=BB111_179 Depth=2
	v_perm_b32 v14, v14, s77, 0x5040100
	ds_write_b32 v9, v14 offset:3072
	s_branch .LBB111_177
.LBB111_182:                            ;   in Loop: Header=BB111_179 Depth=2
	v_add_nc_u32_e32 v4, s52, v4
	v_add_nc_u32_e32 v8, s53, v8
	s_mov_b32 s93, 0
	v_cmp_le_u32_e32 vcc_lo, s72, v4
	s_orn2_b32 s92, vcc_lo, exec_lo
	s_branch .LBB111_178
.LBB111_183:                            ;   in Loop: Header=BB111_6 Depth=1
	s_or_b32 exec_lo, exec_lo, s33
	v_lshrrev_b32_e32 v8, 16, v14
	s_andn2_b32 s33, s90, exec_lo
	s_and_b32 s90, s91, exec_lo
	s_or_b32 s90, s33, s90
.LBB111_184:                            ;   in Loop: Header=BB111_6 Depth=1
	s_or_b32 exec_lo, exec_lo, s31
	s_mov_b32 s31, 0
	s_mov_b32 s33, -1
.LBB111_185:                            ;   in Loop: Header=BB111_6 Depth=1
	s_orn2_b32 s90, s90, exec_lo
.LBB111_186:                            ;   in Loop: Header=BB111_6 Depth=1
	s_or_b32 exec_lo, exec_lo, s34
	s_mov_b32 s91, 0
	s_and_saveexec_b32 s34, s90
	s_cbranch_execz .LBB111_236
; %bb.187:                              ;   in Loop: Header=BB111_6 Depth=1
	v_mov_b32_e32 v4, 1
	v_mov_b32_e32 v1, 1
	s_xor_b32 s90, s89, -1
	s_mov_b32 s93, 0
	s_and_saveexec_b32 s89, s90
	s_cbranch_execz .LBB111_196
; %bb.188:                              ;   in Loop: Header=BB111_6 Depth=1
	s_mov_b32 s90, exec_lo
	v_cmpx_ge_u32_e64 s21, v13
	s_xor_b32 s90, exec_lo, s90
	s_cbranch_execz .LBB111_193
; %bb.189:                              ;   in Loop: Header=BB111_6 Depth=1
	ds_read_b32 v1, v9 offset:4096
	s_lshl_b32 s91, 2, s82
	v_or_b32_e32 v3, s18, v3
	v_and_or_b32 v2, v2, s19, s91
	s_waitcnt lgkmcnt(0)
	v_cmp_ne_u32_e32 vcc_lo, 0, v1
	s_cbranch_vccnz .LBB111_193
; %bb.190:                              ;   in Loop: Header=BB111_6 Depth=1
	s_and_saveexec_b32 s91, s3
; %bb.191:                              ;   in Loop: Header=BB111_6 Depth=1
	v_mov_b32_e32 v1, s21
	ds_write_b32 v9, v1 offset:4100
; %bb.192:                              ;   in Loop: Header=BB111_6 Depth=1
	s_or_b32 exec_lo, exec_lo, s91
	s_waitcnt lgkmcnt(0)
	s_barrier
	buffer_gl0_inv
.LBB111_193:                            ;   in Loop: Header=BB111_6 Depth=1
	s_or_saveexec_b32 s90, s90
	v_mov_b32_e32 v1, 8
	s_mov_b32 s91, 0
	s_xor_b32 exec_lo, exec_lo, s90
; %bb.194:                              ;   in Loop: Header=BB111_6 Depth=1
	v_subrev_nc_u32_e32 v13, s21, v13
	v_mov_b32_e32 v1, 0
	s_mov_b32 s91, exec_lo
; %bb.195:                              ;   in Loop: Header=BB111_6 Depth=1
	s_or_b32 exec_lo, exec_lo, s90
	v_mov_b32_e32 v4, v13
	s_and_b32 s93, s91, exec_lo
.LBB111_196:                            ;   in Loop: Header=BB111_6 Depth=1
	s_or_b32 exec_lo, exec_lo, s89
	s_mov_b32 s90, -1
                                        ; implicit-def: $sgpr92
                                        ; implicit-def: $sgpr91
	s_and_saveexec_b32 s89, s93
	s_cbranch_execz .LBB111_235
; %bb.197:                              ;   in Loop: Header=BB111_6 Depth=1
	v_cmp_eq_u32_e32 vcc_lo, 1, v4
	s_cmp_eq_u32 s22, 1
	s_mov_b32 s94, -1
	s_cselect_b32 s90, -1, 0
                                        ; implicit-def: $sgpr92
                                        ; implicit-def: $sgpr91
	s_and_b32 s90, s90, vcc_lo
	s_and_saveexec_b32 s93, s90
	s_cbranch_execz .LBB111_223
; %bb.198:                              ;   in Loop: Header=BB111_6 Depth=1
	ds_read_b32 v8, v9 offset:4096
	s_waitcnt lgkmcnt(0)
	s_barrier
	buffer_gl0_inv
	v_readfirstlane_b32 s95, v8
	s_and_saveexec_b32 s91, s15
; %bb.199:                              ;   in Loop: Header=BB111_6 Depth=1
	ds_write_b16 v21, v9
; %bb.200:                              ;   in Loop: Header=BB111_6 Depth=1
	s_or_b32 exec_lo, exec_lo, s91
	v_or_b32_e32 v2, s18, v2
	v_or_b32_e32 v3, s18, v3
	s_mov_b32 s91, -1
	s_mov_b32 s92, 0
	s_cmp_eq_u32 s95, 0
	s_mov_b32 s94, 0
	s_mov_b32 s96, -1
	s_waitcnt lgkmcnt(0)
	s_barrier
	buffer_gl0_inv
                                        ; implicit-def: $vgpr8
	s_cbranch_scc1 .LBB111_211
; %bb.201:                              ;   in Loop: Header=BB111_6 Depth=1
	s_add_i32 s94, s95, s65
                                        ; implicit-def: $vgpr8
	s_mul_hi_u32 s96, s94, s71
	s_mul_i32 s96, s96, s52
	s_sub_i32 s96, s94, s96
	s_sub_i32 s97, s96, s52
	s_cmp_ge_u32 s96, s52
	s_cselect_b32 s96, s97, s96
	s_sub_i32 s97, s96, s52
	s_cmp_ge_u32 s96, s52
	s_cselect_b32 s96, s97, s96
	s_mov_b32 s97, exec_lo
	s_sub_i32 s98, s94, s96
	s_mov_b32 s96, 0
	s_mov_b32 s94, 0
	v_cmpx_gt_u32_e64 s98, v0
	s_cbranch_execz .LBB111_210
; %bb.202:                              ;   in Loop: Header=BB111_6 Depth=1
	v_mov_b32_e32 v8, v20
	v_mov_b32_e32 v13, v0
                                        ; implicit-def: $sgpr99
	s_branch .LBB111_205
.LBB111_203:                            ;   in Loop: Header=BB111_205 Depth=2
	s_or_b32 exec_lo, exec_lo, s104
	s_waitcnt lgkmcnt(0)
	s_barrier
	buffer_gl0_inv
	ds_read_b32 v14, v9 offset:3072
	s_mov_b32 s104, -1
	s_mov_b32 vcc_hi, -1
	s_waitcnt lgkmcnt(0)
	s_barrier
	buffer_gl0_inv
	v_and_b32_e32 v15, 0x7fff, v14
	v_cmp_ne_u32_e32 vcc_lo, 0, v15
	s_cbranch_vccz .LBB111_208
.LBB111_204:                            ;   in Loop: Header=BB111_205 Depth=2
	s_and_b32 s104, exec_lo, s104
	s_or_b32 s94, s104, s94
	s_andn2_b32 s99, s99, exec_lo
	s_and_b32 s104, vcc_hi, exec_lo
	s_or_b32 s99, s99, s104
	s_andn2_b32 exec_lo, exec_lo, s94
	s_cbranch_execz .LBB111_209
.LBB111_205:                            ;   Parent Loop BB111_6 Depth=1
                                        ; =>  This Inner Loop Header: Depth=2
	s_mov_b32 s104, exec_lo
	v_cmpx_gt_u32_e64 s95, v13
	s_cbranch_execz .LBB111_203
; %bb.206:                              ;   in Loop: Header=BB111_205 Depth=2
	ds_read_u16 v14, v8
	s_waitcnt lgkmcnt(0)
	v_cmp_lt_i16_e32 vcc_lo, -1, v14
	v_lshlrev_b32_e32 v16, 16, v14
	v_cndmask_b32_e32 v15, 0xffff, v35, vcc_lo
	v_cmp_o_f32_e32 vcc_lo, v16, v16
	v_xor_b32_sdwa v15, v15, v14 dst_sel:DWORD dst_unused:UNUSED_PAD src0_sel:DWORD src1_sel:WORD_0
	v_cndmask_b32_e32 v15, 0xffff, v15, vcc_lo
	v_and_b32_e32 v15, v15, v3
	v_cmp_eq_u32_e32 vcc_lo, v15, v2
	s_and_b32 exec_lo, exec_lo, vcc_lo
	s_cbranch_execz .LBB111_203
; %bb.207:                              ;   in Loop: Header=BB111_205 Depth=2
	v_perm_b32 v14, v14, s77, 0x5040100
	ds_write_b32 v9, v14 offset:3072
	s_branch .LBB111_203
.LBB111_208:                            ;   in Loop: Header=BB111_205 Depth=2
	v_add_nc_u32_e32 v13, s52, v13
	v_add_nc_u32_e32 v8, s75, v8
	s_mov_b32 vcc_hi, 0
	v_cmp_le_u32_e32 vcc_lo, s98, v13
	s_orn2_b32 s104, vcc_lo, exec_lo
	s_branch .LBB111_204
.LBB111_209:                            ;   in Loop: Header=BB111_6 Depth=1
	s_or_b32 exec_lo, exec_lo, s94
	v_lshrrev_b32_e32 v8, 16, v14
	s_and_b32 s94, s99, exec_lo
.LBB111_210:                            ;   in Loop: Header=BB111_6 Depth=1
	s_or_b32 exec_lo, exec_lo, s97
.LBB111_211:                            ;   in Loop: Header=BB111_6 Depth=1
	s_and_b32 vcc_lo, exec_lo, s96
	s_cbranch_vccz .LBB111_222
; %bb.212:                              ;   in Loop: Header=BB111_6 Depth=1
                                        ; implicit-def: $vgpr8
	s_and_saveexec_b32 s91, s13
	s_cbranch_execz .LBB111_221
; %bb.213:                              ;   in Loop: Header=BB111_6 Depth=1
	v_mov_b32_e32 v8, v7
	v_mov_b32_e32 v13, v0
	s_mov_b32 s92, 0
                                        ; implicit-def: $sgpr95
	s_branch .LBB111_216
.LBB111_214:                            ;   in Loop: Header=BB111_216 Depth=2
	s_or_b32 exec_lo, exec_lo, s96
	s_waitcnt lgkmcnt(0)
	s_barrier
	buffer_gl0_inv
	ds_read_b32 v14, v9 offset:3072
	s_mov_b32 s96, -1
	s_mov_b32 s97, -1
	s_waitcnt lgkmcnt(0)
	s_barrier
	buffer_gl0_inv
	v_and_b32_e32 v15, 0x7fff, v14
	v_cmp_eq_u32_e32 vcc_lo, 0, v15
	s_cbranch_vccnz .LBB111_219
.LBB111_215:                            ;   in Loop: Header=BB111_216 Depth=2
	s_and_b32 s96, exec_lo, s96
	s_or_b32 s92, s96, s92
	s_andn2_b32 s95, s95, exec_lo
	s_and_b32 s96, s97, exec_lo
	s_or_b32 s95, s95, s96
	s_andn2_b32 exec_lo, exec_lo, s92
	s_cbranch_execz .LBB111_220
.LBB111_216:                            ;   Parent Loop BB111_6 Depth=1
                                        ; =>  This Inner Loop Header: Depth=2
	s_mov_b32 s96, exec_lo
	v_cmpx_gt_u32_e64 s36, v13
	s_cbranch_execz .LBB111_214
; %bb.217:                              ;   in Loop: Header=BB111_216 Depth=2
	v_lshlrev_b64 v[14:15], 1, v[8:9]
	v_add_co_u32 v14, vcc_lo, s50, v14
	v_add_co_ci_u32_e64 v15, null, s51, v15, vcc_lo
	global_load_ushort v14, v[14:15], off
	s_waitcnt vmcnt(0)
	v_cmp_lt_i16_e32 vcc_lo, -1, v14
	v_lshlrev_b32_e32 v16, 16, v14
	v_cndmask_b32_e32 v15, 0xffff, v35, vcc_lo
	v_cmp_o_f32_e32 vcc_lo, v16, v16
	v_xor_b32_sdwa v15, v15, v14 dst_sel:DWORD dst_unused:UNUSED_PAD src0_sel:DWORD src1_sel:WORD_0
	v_cndmask_b32_e32 v15, 0xffff, v15, vcc_lo
	v_and_b32_e32 v15, v15, v3
	v_cmp_eq_u32_e32 vcc_lo, v15, v2
	s_and_b32 exec_lo, exec_lo, vcc_lo
	s_cbranch_execz .LBB111_214
; %bb.218:                              ;   in Loop: Header=BB111_216 Depth=2
	v_perm_b32 v14, v14, s77, 0x5040100
	ds_write_b32 v9, v14 offset:3072
	s_branch .LBB111_214
.LBB111_219:                            ;   in Loop: Header=BB111_216 Depth=2
	v_add_nc_u32_e32 v13, s52, v13
	v_add_nc_u32_e32 v8, s53, v8
	s_mov_b32 s97, 0
	v_cmp_le_u32_e32 vcc_lo, s72, v13
	s_orn2_b32 s96, vcc_lo, exec_lo
	s_branch .LBB111_215
.LBB111_220:                            ;   in Loop: Header=BB111_6 Depth=1
	s_or_b32 exec_lo, exec_lo, s92
	v_lshrrev_b32_e32 v8, 16, v14
	s_andn2_b32 s92, s94, exec_lo
	s_and_b32 s94, s95, exec_lo
	s_or_b32 s94, s92, s94
.LBB111_221:                            ;   in Loop: Header=BB111_6 Depth=1
	s_or_b32 exec_lo, exec_lo, s91
	s_mov_b32 s91, 0
	s_mov_b32 s92, -1
.LBB111_222:                            ;   in Loop: Header=BB111_6 Depth=1
	s_orn2_b32 s94, s94, exec_lo
.LBB111_223:                            ;   in Loop: Header=BB111_6 Depth=1
	s_or_b32 exec_lo, exec_lo, s93
	s_mov_b32 s95, 0
	s_and_saveexec_b32 s93, s94
	s_cbranch_execz .LBB111_234
; %bb.224:                              ;   in Loop: Header=BB111_6 Depth=1
	v_mov_b32_e32 v1, 1
	v_mov_b32_e32 v13, 1
	s_xor_b32 s94, s90, -1
	s_and_saveexec_b32 s90, s94
	s_cbranch_execz .LBB111_233
; %bb.225:                              ;   in Loop: Header=BB111_6 Depth=1
	s_mov_b32 s94, exec_lo
	v_cmpx_ge_u32_e64 s22, v4
	s_xor_b32 s94, exec_lo, s94
	s_cbranch_execz .LBB111_230
; %bb.226:                              ;   in Loop: Header=BB111_6 Depth=1
	ds_read_b32 v1, v9 offset:4096
	v_or_b32_e32 v2, s18, v2
	v_or_b32_e32 v3, s18, v3
	s_waitcnt lgkmcnt(0)
	v_cmp_ne_u32_e32 vcc_lo, 0, v1
	s_cbranch_vccnz .LBB111_230
; %bb.227:                              ;   in Loop: Header=BB111_6 Depth=1
	s_and_saveexec_b32 s95, s3
; %bb.228:                              ;   in Loop: Header=BB111_6 Depth=1
	v_mov_b32_e32 v1, s22
	ds_write_b32 v9, v1 offset:4100
; %bb.229:                              ;   in Loop: Header=BB111_6 Depth=1
	s_or_b32 exec_lo, exec_lo, s95
	s_waitcnt lgkmcnt(0)
	s_barrier
	buffer_gl0_inv
.LBB111_230:                            ;   in Loop: Header=BB111_6 Depth=1
	s_andn2_saveexec_b32 s94, s94
; %bb.231:                              ;   in Loop: Header=BB111_6 Depth=1
	v_subrev_nc_u32_e32 v4, s22, v4
; %bb.232:                              ;   in Loop: Header=BB111_6 Depth=1
	s_or_b32 exec_lo, exec_lo, s94
	v_mov_b32_e32 v1, 8
	v_mov_b32_e32 v13, v4
.LBB111_233:                            ;   in Loop: Header=BB111_6 Depth=1
	s_or_b32 exec_lo, exec_lo, s90
	v_mov_b32_e32 v4, v13
	s_mov_b32 s95, exec_lo
.LBB111_234:                            ;   in Loop: Header=BB111_6 Depth=1
	s_or_b32 exec_lo, exec_lo, s93
	s_orn2_b32 s90, s95, exec_lo
.LBB111_235:                            ;   in Loop: Header=BB111_6 Depth=1
	s_or_b32 exec_lo, exec_lo, s89
	v_mov_b32_e32 v13, v4
	s_andn2_b32 s33, s33, exec_lo
	s_and_b32 s89, s92, exec_lo
	s_andn2_b32 s31, s31, exec_lo
	s_and_b32 s91, s91, exec_lo
	s_or_b32 s33, s33, s89
	s_or_b32 s31, s31, s91
	s_and_b32 s91, s90, exec_lo
.LBB111_236:                            ;   in Loop: Header=BB111_6 Depth=1
	s_or_b32 exec_lo, exec_lo, s34
	s_orn2_b32 s34, s91, exec_lo
.LBB111_237:                            ;   in Loop: Header=BB111_6 Depth=1
	s_or_b32 exec_lo, exec_lo, s30
	v_mov_b32_e32 v4, v13
	s_andn2_b32 s24, s24, exec_lo
	s_and_b32 s30, s33, exec_lo
	s_andn2_b32 s23, s23, exec_lo
	s_and_b32 s31, s31, exec_lo
	s_or_b32 s24, s24, s30
	s_or_b32 s23, s23, s31
	s_and_b32 s33, s34, exec_lo
.LBB111_238:                            ;   in Loop: Header=BB111_6 Depth=1
	s_or_b32 exec_lo, exec_lo, s29
	s_orn2_b32 s29, s33, exec_lo
.LBB111_239:                            ;   in Loop: Header=BB111_6 Depth=1
	s_or_b32 exec_lo, exec_lo, s6
	s_mov_b32 s6, 0
	s_mov_b32 s30, 0
	s_and_saveexec_b32 s31, s29
	s_xor_b32 s29, exec_lo, s31
; %bb.240:                              ;   in Loop: Header=BB111_6 Depth=1
	v_cmp_ne_u32_e32 vcc_lo, 8, v1
	v_cmp_eq_u32_e64 s6, 8, v1
	s_and_b32 s30, vcc_lo, exec_lo
	s_and_b32 s6, s6, exec_lo
; %bb.241:                              ;   in Loop: Header=BB111_6 Depth=1
	s_or_b32 exec_lo, exec_lo, s29
	s_andn2_b32 s26, s26, exec_lo
	s_and_b32 s24, s24, exec_lo
	s_andn2_b32 s25, s25, exec_lo
	s_and_b32 s23, s23, exec_lo
	s_or_b32 s26, s26, s24
	s_or_b32 s25, s25, s23
	s_and_b32 s23, s30, exec_lo
	s_and_b32 s24, s6, exec_lo
.LBB111_242:                            ;   in Loop: Header=BB111_6 Depth=1
	s_or_b32 exec_lo, exec_lo, s28
.LBB111_243:                            ;   in Loop: Header=BB111_6 Depth=1
	s_and_b32 vcc_lo, exec_lo, s27
	s_cbranch_vccz .LBB111_256
; %bb.244:                              ;   in Loop: Header=BB111_6 Depth=1
	s_cmp_eq_u32 s22, 1
	s_mov_b32 s26, -1
	s_cselect_b32 s6, -1, 0
                                        ; implicit-def: $sgpr16
	s_and_b32 s6, s6, s14
                                        ; implicit-def: $sgpr14
	s_and_saveexec_b32 s25, s6
	s_cbranch_execz .LBB111_271
; %bb.245:                              ;   in Loop: Header=BB111_6 Depth=1
	ds_read_b32 v1, v9 offset:4096
	s_waitcnt lgkmcnt(0)
	s_barrier
	buffer_gl0_inv
	v_readfirstlane_b32 s27, v1
	s_and_saveexec_b32 s14, s15
; %bb.246:                              ;   in Loop: Header=BB111_6 Depth=1
	ds_write_b16 v21, v9
; %bb.247:                              ;   in Loop: Header=BB111_6 Depth=1
	s_or_b32 exec_lo, exec_lo, s14
	v_or_b32_e32 v27, s18, v27
	v_or_b32_e32 v37, s18, v37
	s_mov_b32 s16, -1
	s_mov_b32 s14, 0
	s_cmp_eq_u32 s27, 0
	s_mov_b32 s26, 0
	s_mov_b32 s28, -1
	s_waitcnt lgkmcnt(0)
	s_barrier
	buffer_gl0_inv
                                        ; implicit-def: $vgpr38
	s_cbranch_scc1 .LBB111_259
; %bb.248:                              ;   in Loop: Header=BB111_6 Depth=1
	s_add_i32 s26, s27, s65
                                        ; implicit-def: $vgpr38
	s_mul_hi_u32 s28, s26, s71
	s_mul_i32 s28, s28, s52
	s_sub_i32 s28, s26, s28
	s_sub_i32 s29, s28, s52
	s_cmp_ge_u32 s28, s52
	s_cselect_b32 s28, s29, s28
	s_sub_i32 s29, s28, s52
	s_cmp_ge_u32 s28, s52
	s_cselect_b32 s28, s29, s28
	s_mov_b32 s29, exec_lo
	s_sub_i32 s30, s26, s28
	s_mov_b32 s28, 0
	s_mov_b32 s26, 0
	v_cmpx_gt_u32_e64 s30, v0
	s_cbranch_execz .LBB111_258
; %bb.249:                              ;   in Loop: Header=BB111_6 Depth=1
	v_mov_b32_e32 v1, v20
	v_mov_b32_e32 v2, v0
                                        ; implicit-def: $sgpr31
	s_branch .LBB111_252
.LBB111_250:                            ;   in Loop: Header=BB111_252 Depth=2
	s_or_b32 exec_lo, exec_lo, s33
	s_waitcnt lgkmcnt(0)
	s_barrier
	buffer_gl0_inv
	ds_read_b32 v3, v9 offset:3072
	s_mov_b32 s33, -1
	s_mov_b32 s34, -1
	s_waitcnt lgkmcnt(0)
	s_barrier
	buffer_gl0_inv
	v_and_b32_e32 v4, 0x7fff, v3
	v_cmp_ne_u32_e32 vcc_lo, 0, v4
	s_cbranch_vccz .LBB111_255
.LBB111_251:                            ;   in Loop: Header=BB111_252 Depth=2
	s_and_b32 s33, exec_lo, s33
	s_or_b32 s26, s33, s26
	s_andn2_b32 s31, s31, exec_lo
	s_and_b32 s33, s34, exec_lo
	s_or_b32 s31, s31, s33
	s_andn2_b32 exec_lo, exec_lo, s26
	s_cbranch_execz .LBB111_257
.LBB111_252:                            ;   Parent Loop BB111_6 Depth=1
                                        ; =>  This Inner Loop Header: Depth=2
	s_mov_b32 s33, exec_lo
	v_cmpx_gt_u32_e64 s27, v2
	s_cbranch_execz .LBB111_250
; %bb.253:                              ;   in Loop: Header=BB111_252 Depth=2
	ds_read_u16 v3, v1
	s_waitcnt lgkmcnt(0)
	v_cmp_lt_i16_e32 vcc_lo, -1, v3
	v_lshlrev_b32_e32 v8, 16, v3
	v_cndmask_b32_e32 v4, 0xffff, v35, vcc_lo
	v_cmp_o_f32_e32 vcc_lo, v8, v8
	v_xor_b32_sdwa v4, v4, v3 dst_sel:DWORD dst_unused:UNUSED_PAD src0_sel:DWORD src1_sel:WORD_0
	v_cndmask_b32_e32 v4, 0xffff, v4, vcc_lo
	v_and_b32_e32 v4, v4, v37
	v_cmp_eq_u32_e32 vcc_lo, v4, v27
	s_and_b32 exec_lo, exec_lo, vcc_lo
	s_cbranch_execz .LBB111_250
; %bb.254:                              ;   in Loop: Header=BB111_252 Depth=2
	v_perm_b32 v3, v3, s77, 0x5040100
	ds_write_b32 v9, v3 offset:3072
	s_branch .LBB111_250
.LBB111_255:                            ;   in Loop: Header=BB111_252 Depth=2
	v_add_nc_u32_e32 v2, s52, v2
	v_add_nc_u32_e32 v1, s75, v1
	s_mov_b32 s34, 0
	v_cmp_le_u32_e32 vcc_lo, s30, v2
	s_orn2_b32 s33, vcc_lo, exec_lo
	s_branch .LBB111_251
.LBB111_256:                            ;   in Loop: Header=BB111_6 Depth=1
	v_mov_b32_e32 v27, v2
	v_mov_b32_e32 v37, v3
	;; [unrolled: 1-line block ×3, first 2 shown]
	s_mov_b32 s14, 0
	s_and_saveexec_b32 s6, s24
	s_cbranch_execnz .LBB111_402
	s_branch .LBB111_403
.LBB111_257:                            ;   in Loop: Header=BB111_6 Depth=1
	s_or_b32 exec_lo, exec_lo, s26
	v_lshrrev_b32_e32 v38, 16, v3
	s_and_b32 s26, s31, exec_lo
.LBB111_258:                            ;   in Loop: Header=BB111_6 Depth=1
	s_or_b32 exec_lo, exec_lo, s29
.LBB111_259:                            ;   in Loop: Header=BB111_6 Depth=1
	s_and_b32 vcc_lo, exec_lo, s28
	s_cbranch_vccz .LBB111_270
; %bb.260:                              ;   in Loop: Header=BB111_6 Depth=1
                                        ; implicit-def: $vgpr38
	s_and_saveexec_b32 s14, s13
	s_cbranch_execz .LBB111_269
; %bb.261:                              ;   in Loop: Header=BB111_6 Depth=1
	v_mov_b32_e32 v8, v7
	v_mov_b32_e32 v1, v0
	s_mov_b32 s16, 0
                                        ; implicit-def: $sgpr27
	s_branch .LBB111_264
.LBB111_262:                            ;   in Loop: Header=BB111_264 Depth=2
	s_or_b32 exec_lo, exec_lo, s28
	s_waitcnt lgkmcnt(0)
	s_barrier
	buffer_gl0_inv
	ds_read_b32 v2, v9 offset:3072
	s_mov_b32 s28, -1
	s_mov_b32 s29, -1
	s_waitcnt lgkmcnt(0)
	s_barrier
	buffer_gl0_inv
	v_and_b32_e32 v3, 0x7fff, v2
	v_cmp_ne_u32_e32 vcc_lo, 0, v3
	s_cbranch_vccz .LBB111_267
.LBB111_263:                            ;   in Loop: Header=BB111_264 Depth=2
	s_and_b32 s28, exec_lo, s28
	s_or_b32 s16, s28, s16
	s_andn2_b32 s27, s27, exec_lo
	s_and_b32 s28, s29, exec_lo
	s_or_b32 s27, s27, s28
	s_andn2_b32 exec_lo, exec_lo, s16
	s_cbranch_execz .LBB111_268
.LBB111_264:                            ;   Parent Loop BB111_6 Depth=1
                                        ; =>  This Inner Loop Header: Depth=2
	s_mov_b32 s28, exec_lo
	v_cmpx_gt_u32_e64 s36, v1
	s_cbranch_execz .LBB111_262
; %bb.265:                              ;   in Loop: Header=BB111_264 Depth=2
	v_lshlrev_b64 v[2:3], 1, v[8:9]
	v_add_co_u32 v2, vcc_lo, s50, v2
	v_add_co_ci_u32_e64 v3, null, s51, v3, vcc_lo
	global_load_ushort v2, v[2:3], off
	s_waitcnt vmcnt(0)
	v_cmp_lt_i16_e32 vcc_lo, -1, v2
	v_lshlrev_b32_e32 v4, 16, v2
	v_cndmask_b32_e32 v3, 0xffff, v35, vcc_lo
	v_cmp_o_f32_e32 vcc_lo, v4, v4
	v_xor_b32_sdwa v3, v3, v2 dst_sel:DWORD dst_unused:UNUSED_PAD src0_sel:DWORD src1_sel:WORD_0
	v_cndmask_b32_e32 v3, 0xffff, v3, vcc_lo
	v_and_b32_e32 v3, v3, v37
	v_cmp_eq_u32_e32 vcc_lo, v3, v27
	s_and_b32 exec_lo, exec_lo, vcc_lo
	s_cbranch_execz .LBB111_262
; %bb.266:                              ;   in Loop: Header=BB111_264 Depth=2
	v_perm_b32 v2, v2, s77, 0x5040100
	ds_write_b32 v9, v2 offset:3072
	s_branch .LBB111_262
.LBB111_267:                            ;   in Loop: Header=BB111_264 Depth=2
	v_add_nc_u32_e32 v1, s52, v1
	v_add_nc_u32_e32 v8, s53, v8
	s_mov_b32 s29, 0
	v_cmp_le_u32_e32 vcc_lo, s72, v1
	s_orn2_b32 s28, vcc_lo, exec_lo
	s_branch .LBB111_263
.LBB111_268:                            ;   in Loop: Header=BB111_6 Depth=1
	s_or_b32 exec_lo, exec_lo, s16
	v_lshrrev_b32_e32 v38, 16, v2
	s_andn2_b32 s16, s26, exec_lo
	s_and_b32 s26, s27, exec_lo
	s_or_b32 s26, s16, s26
.LBB111_269:                            ;   in Loop: Header=BB111_6 Depth=1
	s_or_b32 exec_lo, exec_lo, s14
	s_mov_b32 s16, 0
	s_mov_b32 s14, -1
.LBB111_270:                            ;   in Loop: Header=BB111_6 Depth=1
	s_orn2_b32 s26, s26, exec_lo
.LBB111_271:                            ;   in Loop: Header=BB111_6 Depth=1
	s_or_b32 exec_lo, exec_lo, s25
                                        ; implicit-def: $vgpr4
                                        ; implicit-def: $vgpr1
	s_and_saveexec_b32 s25, s26
	s_cbranch_execz .LBB111_401
; %bb.272:                              ;   in Loop: Header=BB111_6 Depth=1
	v_mov_b32_e32 v4, 1
	v_mov_b32_e32 v1, 1
	s_xor_b32 s26, s6, -1
	s_mov_b32 s28, 0
	s_and_saveexec_b32 s6, s26
	s_cbranch_execz .LBB111_281
; %bb.273:                              ;   in Loop: Header=BB111_6 Depth=1
	s_mov_b32 s26, exec_lo
	v_cmpx_ge_u32_e64 s22, v39
	s_xor_b32 s26, exec_lo, s26
	s_cbranch_execz .LBB111_278
; %bb.274:                              ;   in Loop: Header=BB111_6 Depth=1
	ds_read_b32 v1, v9 offset:4096
	v_or_b32_e32 v27, s18, v27
	v_or_b32_e32 v37, s18, v37
	s_waitcnt lgkmcnt(0)
	v_cmp_ne_u32_e32 vcc_lo, 0, v1
	s_cbranch_vccnz .LBB111_278
; %bb.275:                              ;   in Loop: Header=BB111_6 Depth=1
	s_and_saveexec_b32 s27, s3
; %bb.276:                              ;   in Loop: Header=BB111_6 Depth=1
	v_mov_b32_e32 v1, s22
	ds_write_b32 v9, v1 offset:4100
; %bb.277:                              ;   in Loop: Header=BB111_6 Depth=1
	s_or_b32 exec_lo, exec_lo, s27
	s_waitcnt lgkmcnt(0)
	s_barrier
	buffer_gl0_inv
.LBB111_278:                            ;   in Loop: Header=BB111_6 Depth=1
	s_or_saveexec_b32 s26, s26
	v_mov_b32_e32 v1, 5
	s_mov_b32 s27, 0
	s_xor_b32 exec_lo, exec_lo, s26
; %bb.279:                              ;   in Loop: Header=BB111_6 Depth=1
	v_subrev_nc_u32_e32 v39, s22, v39
	v_mov_b32_e32 v1, 0
	s_mov_b32 s27, exec_lo
; %bb.280:                              ;   in Loop: Header=BB111_6 Depth=1
	s_or_b32 exec_lo, exec_lo, s26
	v_mov_b32_e32 v4, v39
	s_and_b32 s28, s27, exec_lo
.LBB111_281:                            ;   in Loop: Header=BB111_6 Depth=1
	s_or_b32 exec_lo, exec_lo, s6
	s_mov_b32 s27, -1
                                        ; implicit-def: $sgpr22
                                        ; implicit-def: $sgpr26
	s_and_saveexec_b32 s6, s28
	s_xor_b32 s6, exec_lo, s6
	s_cbranch_execz .LBB111_398
; %bb.282:                              ;   in Loop: Header=BB111_6 Depth=1
	v_cmp_eq_u32_e32 vcc_lo, 1, v4
	s_cmp_eq_u32 s21, 1
	s_mov_b32 s29, -1
	s_cselect_b32 s22, -1, 0
                                        ; implicit-def: $sgpr26
	s_and_b32 s28, s22, vcc_lo
                                        ; implicit-def: $sgpr22
	s_and_saveexec_b32 s27, s28
	s_cbranch_execz .LBB111_308
; %bb.283:                              ;   in Loop: Header=BB111_6 Depth=1
	ds_read_b32 v2, v9 offset:4096
	s_waitcnt lgkmcnt(0)
	s_barrier
	buffer_gl0_inv
	v_readfirstlane_b32 s30, v2
	s_and_saveexec_b32 s22, s15
; %bb.284:                              ;   in Loop: Header=BB111_6 Depth=1
	ds_write_b16 v21, v9
; %bb.285:                              ;   in Loop: Header=BB111_6 Depth=1
	s_or_b32 exec_lo, exec_lo, s22
	s_lshl_b32 s22, 2, s82
	v_or_b32_e32 v37, s18, v37
	v_and_or_b32 v27, v27, s19, s22
	s_mov_b32 s22, -1
	s_mov_b32 s26, 0
	s_cmp_eq_u32 s30, 0
	s_mov_b32 s29, 0
	s_mov_b32 s31, -1
	s_waitcnt lgkmcnt(0)
	s_barrier
	buffer_gl0_inv
                                        ; implicit-def: $vgpr38
	s_cbranch_scc1 .LBB111_296
; %bb.286:                              ;   in Loop: Header=BB111_6 Depth=1
	s_add_i32 s29, s30, s65
                                        ; implicit-def: $vgpr38
	s_mul_hi_u32 s31, s29, s71
	s_mul_i32 s31, s31, s52
	s_sub_i32 s31, s29, s31
	s_sub_i32 s33, s31, s52
	s_cmp_ge_u32 s31, s52
	s_cselect_b32 s31, s33, s31
	s_sub_i32 s33, s31, s52
	s_cmp_ge_u32 s31, s52
	s_cselect_b32 s31, s33, s31
	s_mov_b32 s33, exec_lo
	s_sub_i32 s34, s29, s31
	s_mov_b32 s31, 0
	s_mov_b32 s29, 0
	v_cmpx_gt_u32_e64 s34, v0
	s_cbranch_execz .LBB111_295
; %bb.287:                              ;   in Loop: Header=BB111_6 Depth=1
	v_mov_b32_e32 v2, v20
	v_mov_b32_e32 v3, v0
                                        ; implicit-def: $sgpr89
	s_branch .LBB111_290
.LBB111_288:                            ;   in Loop: Header=BB111_290 Depth=2
	s_or_b32 exec_lo, exec_lo, s90
	s_waitcnt lgkmcnt(0)
	s_barrier
	buffer_gl0_inv
	ds_read_b32 v8, v9 offset:3072
	s_mov_b32 s90, -1
	s_mov_b32 s91, -1
	s_waitcnt lgkmcnt(0)
	s_barrier
	buffer_gl0_inv
	v_and_b32_e32 v13, 0x7fff, v8
	v_cmp_ne_u32_e32 vcc_lo, 0, v13
	s_cbranch_vccz .LBB111_293
.LBB111_289:                            ;   in Loop: Header=BB111_290 Depth=2
	s_and_b32 s90, exec_lo, s90
	s_or_b32 s29, s90, s29
	s_andn2_b32 s89, s89, exec_lo
	s_and_b32 s90, s91, exec_lo
	s_or_b32 s89, s89, s90
	s_andn2_b32 exec_lo, exec_lo, s29
	s_cbranch_execz .LBB111_294
.LBB111_290:                            ;   Parent Loop BB111_6 Depth=1
                                        ; =>  This Inner Loop Header: Depth=2
	s_mov_b32 s90, exec_lo
	v_cmpx_gt_u32_e64 s30, v3
	s_cbranch_execz .LBB111_288
; %bb.291:                              ;   in Loop: Header=BB111_290 Depth=2
	ds_read_u16 v8, v2
	s_waitcnt lgkmcnt(0)
	v_cmp_lt_i16_e32 vcc_lo, -1, v8
	v_lshlrev_b32_e32 v14, 16, v8
	v_cndmask_b32_e32 v13, 0xffff, v35, vcc_lo
	v_cmp_o_f32_e32 vcc_lo, v14, v14
	v_xor_b32_sdwa v13, v13, v8 dst_sel:DWORD dst_unused:UNUSED_PAD src0_sel:DWORD src1_sel:WORD_0
	v_cndmask_b32_e32 v13, 0xffff, v13, vcc_lo
	v_and_b32_e32 v13, v13, v37
	v_cmp_eq_u32_e32 vcc_lo, v13, v27
	s_and_b32 exec_lo, exec_lo, vcc_lo
	s_cbranch_execz .LBB111_288
; %bb.292:                              ;   in Loop: Header=BB111_290 Depth=2
	v_perm_b32 v8, v8, s77, 0x5040100
	ds_write_b32 v9, v8 offset:3072
	s_branch .LBB111_288
.LBB111_293:                            ;   in Loop: Header=BB111_290 Depth=2
	v_add_nc_u32_e32 v3, s52, v3
	v_add_nc_u32_e32 v2, s75, v2
	s_mov_b32 s91, 0
	v_cmp_le_u32_e32 vcc_lo, s34, v3
	s_orn2_b32 s90, vcc_lo, exec_lo
	s_branch .LBB111_289
.LBB111_294:                            ;   in Loop: Header=BB111_6 Depth=1
	s_or_b32 exec_lo, exec_lo, s29
	v_lshrrev_b32_e32 v38, 16, v8
	s_and_b32 s29, s89, exec_lo
.LBB111_295:                            ;   in Loop: Header=BB111_6 Depth=1
	s_or_b32 exec_lo, exec_lo, s33
.LBB111_296:                            ;   in Loop: Header=BB111_6 Depth=1
	s_and_b32 vcc_lo, exec_lo, s31
	s_cbranch_vccz .LBB111_307
; %bb.297:                              ;   in Loop: Header=BB111_6 Depth=1
                                        ; implicit-def: $vgpr38
	s_and_saveexec_b32 s22, s13
	s_cbranch_execz .LBB111_306
; %bb.298:                              ;   in Loop: Header=BB111_6 Depth=1
	v_mov_b32_e32 v8, v7
	v_mov_b32_e32 v2, v0
	s_mov_b32 s26, 0
                                        ; implicit-def: $sgpr30
	s_branch .LBB111_301
.LBB111_299:                            ;   in Loop: Header=BB111_301 Depth=2
	s_or_b32 exec_lo, exec_lo, s31
	s_waitcnt lgkmcnt(0)
	s_barrier
	buffer_gl0_inv
	ds_read_b32 v3, v9 offset:3072
	s_mov_b32 s31, -1
	s_mov_b32 s33, -1
	s_waitcnt lgkmcnt(0)
	s_barrier
	buffer_gl0_inv
	v_and_b32_e32 v13, 0x7fff, v3
	v_cmp_eq_u32_e32 vcc_lo, 0, v13
	s_cbranch_vccnz .LBB111_304
.LBB111_300:                            ;   in Loop: Header=BB111_301 Depth=2
	s_and_b32 s31, exec_lo, s31
	s_or_b32 s26, s31, s26
	s_andn2_b32 s30, s30, exec_lo
	s_and_b32 s31, s33, exec_lo
	s_or_b32 s30, s30, s31
	s_andn2_b32 exec_lo, exec_lo, s26
	s_cbranch_execz .LBB111_305
.LBB111_301:                            ;   Parent Loop BB111_6 Depth=1
                                        ; =>  This Inner Loop Header: Depth=2
	s_mov_b32 s31, exec_lo
	v_cmpx_gt_u32_e64 s36, v2
	s_cbranch_execz .LBB111_299
; %bb.302:                              ;   in Loop: Header=BB111_301 Depth=2
	v_lshlrev_b64 v[13:14], 1, v[8:9]
	v_add_co_u32 v13, vcc_lo, s50, v13
	v_add_co_ci_u32_e64 v14, null, s51, v14, vcc_lo
	global_load_ushort v3, v[13:14], off
	s_waitcnt vmcnt(0)
	v_cmp_lt_i16_e32 vcc_lo, -1, v3
	v_lshlrev_b32_e32 v14, 16, v3
	v_cndmask_b32_e32 v13, 0xffff, v35, vcc_lo
	v_cmp_o_f32_e32 vcc_lo, v14, v14
	v_xor_b32_sdwa v13, v13, v3 dst_sel:DWORD dst_unused:UNUSED_PAD src0_sel:DWORD src1_sel:WORD_0
	v_cndmask_b32_e32 v13, 0xffff, v13, vcc_lo
	v_and_b32_e32 v13, v13, v37
	v_cmp_eq_u32_e32 vcc_lo, v13, v27
	s_and_b32 exec_lo, exec_lo, vcc_lo
	s_cbranch_execz .LBB111_299
; %bb.303:                              ;   in Loop: Header=BB111_301 Depth=2
	v_perm_b32 v3, v3, s77, 0x5040100
	ds_write_b32 v9, v3 offset:3072
	s_branch .LBB111_299
.LBB111_304:                            ;   in Loop: Header=BB111_301 Depth=2
	v_add_nc_u32_e32 v2, s52, v2
	v_add_nc_u32_e32 v8, s53, v8
	s_mov_b32 s33, 0
	v_cmp_le_u32_e32 vcc_lo, s72, v2
	s_orn2_b32 s31, vcc_lo, exec_lo
	s_branch .LBB111_300
.LBB111_305:                            ;   in Loop: Header=BB111_6 Depth=1
	s_or_b32 exec_lo, exec_lo, s26
	v_lshrrev_b32_e32 v38, 16, v3
	s_andn2_b32 s26, s29, exec_lo
	s_and_b32 s29, s30, exec_lo
	s_or_b32 s29, s26, s29
.LBB111_306:                            ;   in Loop: Header=BB111_6 Depth=1
	s_or_b32 exec_lo, exec_lo, s22
	s_mov_b32 s22, 0
	s_mov_b32 s26, -1
.LBB111_307:                            ;   in Loop: Header=BB111_6 Depth=1
	s_orn2_b32 s29, s29, exec_lo
.LBB111_308:                            ;   in Loop: Header=BB111_6 Depth=1
	s_or_b32 exec_lo, exec_lo, s27
	s_mov_b32 s30, 0
	s_and_saveexec_b32 s27, s29
	s_cbranch_execz .LBB111_397
; %bb.309:                              ;   in Loop: Header=BB111_6 Depth=1
	v_mov_b32_e32 v2, 1
	v_mov_b32_e32 v1, 1
	s_xor_b32 s29, s28, -1
	s_mov_b32 s31, 0
	s_and_saveexec_b32 s28, s29
	s_cbranch_execz .LBB111_318
; %bb.310:                              ;   in Loop: Header=BB111_6 Depth=1
	s_mov_b32 s29, exec_lo
	v_cmpx_ge_u32_e64 s21, v4
	s_xor_b32 s29, exec_lo, s29
	s_cbranch_execz .LBB111_315
; %bb.311:                              ;   in Loop: Header=BB111_6 Depth=1
	ds_read_b32 v1, v9 offset:4096
	s_lshl_b32 s30, 2, s82
	v_or_b32_e32 v37, s18, v37
	v_and_or_b32 v27, v27, s19, s30
	s_waitcnt lgkmcnt(0)
	v_cmp_ne_u32_e32 vcc_lo, 0, v1
	s_cbranch_vccnz .LBB111_315
; %bb.312:                              ;   in Loop: Header=BB111_6 Depth=1
	s_and_saveexec_b32 s30, s3
; %bb.313:                              ;   in Loop: Header=BB111_6 Depth=1
	v_mov_b32_e32 v1, s21
	ds_write_b32 v9, v1 offset:4100
; %bb.314:                              ;   in Loop: Header=BB111_6 Depth=1
	s_or_b32 exec_lo, exec_lo, s30
	s_waitcnt lgkmcnt(0)
	s_barrier
	buffer_gl0_inv
.LBB111_315:                            ;   in Loop: Header=BB111_6 Depth=1
	s_or_saveexec_b32 s29, s29
	v_mov_b32_e32 v1, 5
	s_mov_b32 s30, 0
	s_xor_b32 exec_lo, exec_lo, s29
; %bb.316:                              ;   in Loop: Header=BB111_6 Depth=1
	v_subrev_nc_u32_e32 v4, s21, v4
	v_mov_b32_e32 v1, 0
	s_mov_b32 s30, exec_lo
; %bb.317:                              ;   in Loop: Header=BB111_6 Depth=1
	s_or_b32 exec_lo, exec_lo, s29
	v_mov_b32_e32 v2, v4
	s_and_b32 s31, s30, exec_lo
.LBB111_318:                            ;   in Loop: Header=BB111_6 Depth=1
	s_or_b32 exec_lo, exec_lo, s28
	s_mov_b32 s30, -1
                                        ; implicit-def: $sgpr28
                                        ; implicit-def: $sgpr29
	s_and_saveexec_b32 s21, s31
	s_cbranch_execz .LBB111_396
; %bb.319:                              ;   in Loop: Header=BB111_6 Depth=1
	v_cmp_eq_u32_e32 vcc_lo, 1, v2
	s_cmp_eq_u32 s20, 1
	s_mov_b32 s33, -1
	s_cselect_b32 s28, -1, 0
                                        ; implicit-def: $sgpr29
	s_and_b32 s31, s28, vcc_lo
                                        ; implicit-def: $sgpr28
	s_and_saveexec_b32 s30, s31
	s_cbranch_execz .LBB111_345
; %bb.320:                              ;   in Loop: Header=BB111_6 Depth=1
	ds_read_b32 v3, v9 offset:4096
	s_waitcnt lgkmcnt(0)
	s_barrier
	buffer_gl0_inv
	v_readfirstlane_b32 s34, v3
	s_and_saveexec_b32 s28, s15
; %bb.321:                              ;   in Loop: Header=BB111_6 Depth=1
	ds_write_b16 v21, v9
; %bb.322:                              ;   in Loop: Header=BB111_6 Depth=1
	s_or_b32 exec_lo, exec_lo, s28
	s_lshl_b32 s28, 1, s82
	v_or_b32_e32 v37, s18, v37
	v_and_or_b32 v27, v27, s19, s28
	s_mov_b32 s28, -1
	s_mov_b32 s29, 0
	s_cmp_eq_u32 s34, 0
	s_mov_b32 s33, 0
	s_mov_b32 s89, -1
	s_waitcnt lgkmcnt(0)
	s_barrier
	buffer_gl0_inv
                                        ; implicit-def: $vgpr38
	s_cbranch_scc1 .LBB111_333
; %bb.323:                              ;   in Loop: Header=BB111_6 Depth=1
	s_add_i32 s33, s34, s65
                                        ; implicit-def: $vgpr38
	s_mul_hi_u32 s89, s33, s71
	s_mul_i32 s89, s89, s52
	s_sub_i32 s89, s33, s89
	s_sub_i32 s90, s89, s52
	s_cmp_ge_u32 s89, s52
	s_cselect_b32 s89, s90, s89
	s_sub_i32 s90, s89, s52
	s_cmp_ge_u32 s89, s52
	s_cselect_b32 s89, s90, s89
	s_mov_b32 s90, exec_lo
	s_sub_i32 s91, s33, s89
	s_mov_b32 s89, 0
	s_mov_b32 s33, 0
	v_cmpx_gt_u32_e64 s91, v0
	s_cbranch_execz .LBB111_332
; %bb.324:                              ;   in Loop: Header=BB111_6 Depth=1
	v_mov_b32_e32 v3, v20
	v_mov_b32_e32 v4, v0
                                        ; implicit-def: $sgpr92
	s_branch .LBB111_327
.LBB111_325:                            ;   in Loop: Header=BB111_327 Depth=2
	s_or_b32 exec_lo, exec_lo, s93
	s_waitcnt lgkmcnt(0)
	s_barrier
	buffer_gl0_inv
	ds_read_b32 v8, v9 offset:3072
	s_mov_b32 s93, -1
	s_mov_b32 s94, -1
	s_waitcnt lgkmcnt(0)
	s_barrier
	buffer_gl0_inv
	v_and_b32_e32 v13, 0x7fff, v8
	v_cmp_ne_u32_e32 vcc_lo, 0, v13
	s_cbranch_vccz .LBB111_330
.LBB111_326:                            ;   in Loop: Header=BB111_327 Depth=2
	s_and_b32 s93, exec_lo, s93
	s_or_b32 s33, s93, s33
	s_andn2_b32 s92, s92, exec_lo
	s_and_b32 s93, s94, exec_lo
	s_or_b32 s92, s92, s93
	s_andn2_b32 exec_lo, exec_lo, s33
	s_cbranch_execz .LBB111_331
.LBB111_327:                            ;   Parent Loop BB111_6 Depth=1
                                        ; =>  This Inner Loop Header: Depth=2
	s_mov_b32 s93, exec_lo
	v_cmpx_gt_u32_e64 s34, v4
	s_cbranch_execz .LBB111_325
; %bb.328:                              ;   in Loop: Header=BB111_327 Depth=2
	ds_read_u16 v8, v3
	s_waitcnt lgkmcnt(0)
	v_cmp_lt_i16_e32 vcc_lo, -1, v8
	v_lshlrev_b32_e32 v14, 16, v8
	v_cndmask_b32_e32 v13, 0xffff, v35, vcc_lo
	v_cmp_o_f32_e32 vcc_lo, v14, v14
	v_xor_b32_sdwa v13, v13, v8 dst_sel:DWORD dst_unused:UNUSED_PAD src0_sel:DWORD src1_sel:WORD_0
	v_cndmask_b32_e32 v13, 0xffff, v13, vcc_lo
	v_and_b32_e32 v13, v13, v37
	v_cmp_eq_u32_e32 vcc_lo, v13, v27
	s_and_b32 exec_lo, exec_lo, vcc_lo
	s_cbranch_execz .LBB111_325
; %bb.329:                              ;   in Loop: Header=BB111_327 Depth=2
	v_perm_b32 v8, v8, s77, 0x5040100
	ds_write_b32 v9, v8 offset:3072
	s_branch .LBB111_325
.LBB111_330:                            ;   in Loop: Header=BB111_327 Depth=2
	v_add_nc_u32_e32 v4, s52, v4
	v_add_nc_u32_e32 v3, s75, v3
	s_mov_b32 s94, 0
	v_cmp_le_u32_e32 vcc_lo, s91, v4
	s_orn2_b32 s93, vcc_lo, exec_lo
	s_branch .LBB111_326
.LBB111_331:                            ;   in Loop: Header=BB111_6 Depth=1
	s_or_b32 exec_lo, exec_lo, s33
	v_lshrrev_b32_e32 v38, 16, v8
	s_and_b32 s33, s92, exec_lo
.LBB111_332:                            ;   in Loop: Header=BB111_6 Depth=1
	s_or_b32 exec_lo, exec_lo, s90
.LBB111_333:                            ;   in Loop: Header=BB111_6 Depth=1
	s_and_b32 vcc_lo, exec_lo, s89
	s_cbranch_vccz .LBB111_344
; %bb.334:                              ;   in Loop: Header=BB111_6 Depth=1
                                        ; implicit-def: $vgpr38
	s_and_saveexec_b32 s28, s13
	s_cbranch_execz .LBB111_343
; %bb.335:                              ;   in Loop: Header=BB111_6 Depth=1
	v_mov_b32_e32 v8, v7
	v_mov_b32_e32 v3, v0
	s_mov_b32 s29, 0
                                        ; implicit-def: $sgpr34
	s_branch .LBB111_338
.LBB111_336:                            ;   in Loop: Header=BB111_338 Depth=2
	s_or_b32 exec_lo, exec_lo, s89
	s_waitcnt lgkmcnt(0)
	s_barrier
	buffer_gl0_inv
	ds_read_b32 v4, v9 offset:3072
	s_mov_b32 s89, -1
	s_mov_b32 s90, -1
	s_waitcnt lgkmcnt(0)
	s_barrier
	buffer_gl0_inv
	v_and_b32_e32 v13, 0x7fff, v4
	v_cmp_eq_u32_e32 vcc_lo, 0, v13
	s_cbranch_vccnz .LBB111_341
.LBB111_337:                            ;   in Loop: Header=BB111_338 Depth=2
	s_and_b32 s89, exec_lo, s89
	s_or_b32 s29, s89, s29
	s_andn2_b32 s34, s34, exec_lo
	s_and_b32 s89, s90, exec_lo
	s_or_b32 s34, s34, s89
	s_andn2_b32 exec_lo, exec_lo, s29
	s_cbranch_execz .LBB111_342
.LBB111_338:                            ;   Parent Loop BB111_6 Depth=1
                                        ; =>  This Inner Loop Header: Depth=2
	s_mov_b32 s89, exec_lo
	v_cmpx_gt_u32_e64 s36, v3
	s_cbranch_execz .LBB111_336
; %bb.339:                              ;   in Loop: Header=BB111_338 Depth=2
	v_lshlrev_b64 v[13:14], 1, v[8:9]
	v_add_co_u32 v13, vcc_lo, s50, v13
	v_add_co_ci_u32_e64 v14, null, s51, v14, vcc_lo
	global_load_ushort v4, v[13:14], off
	s_waitcnt vmcnt(0)
	v_cmp_lt_i16_e32 vcc_lo, -1, v4
	v_lshlrev_b32_e32 v14, 16, v4
	v_cndmask_b32_e32 v13, 0xffff, v35, vcc_lo
	v_cmp_o_f32_e32 vcc_lo, v14, v14
	v_xor_b32_sdwa v13, v13, v4 dst_sel:DWORD dst_unused:UNUSED_PAD src0_sel:DWORD src1_sel:WORD_0
	v_cndmask_b32_e32 v13, 0xffff, v13, vcc_lo
	v_and_b32_e32 v13, v13, v37
	v_cmp_eq_u32_e32 vcc_lo, v13, v27
	s_and_b32 exec_lo, exec_lo, vcc_lo
	s_cbranch_execz .LBB111_336
; %bb.340:                              ;   in Loop: Header=BB111_338 Depth=2
	v_perm_b32 v4, v4, s77, 0x5040100
	ds_write_b32 v9, v4 offset:3072
	s_branch .LBB111_336
.LBB111_341:                            ;   in Loop: Header=BB111_338 Depth=2
	v_add_nc_u32_e32 v3, s52, v3
	v_add_nc_u32_e32 v8, s53, v8
	s_mov_b32 s90, 0
	v_cmp_le_u32_e32 vcc_lo, s72, v3
	s_orn2_b32 s89, vcc_lo, exec_lo
	s_branch .LBB111_337
.LBB111_342:                            ;   in Loop: Header=BB111_6 Depth=1
	s_or_b32 exec_lo, exec_lo, s29
	v_lshrrev_b32_e32 v38, 16, v4
	s_andn2_b32 s29, s33, exec_lo
	s_and_b32 s33, s34, exec_lo
	s_or_b32 s33, s29, s33
.LBB111_343:                            ;   in Loop: Header=BB111_6 Depth=1
	s_or_b32 exec_lo, exec_lo, s28
	s_mov_b32 s28, 0
	s_mov_b32 s29, -1
.LBB111_344:                            ;   in Loop: Header=BB111_6 Depth=1
	s_orn2_b32 s33, s33, exec_lo
.LBB111_345:                            ;   in Loop: Header=BB111_6 Depth=1
	s_or_b32 exec_lo, exec_lo, s30
	s_mov_b32 s34, 0
	s_and_saveexec_b32 s30, s33
	s_cbranch_execz .LBB111_395
; %bb.346:                              ;   in Loop: Header=BB111_6 Depth=1
	v_mov_b32_e32 v3, 1
	v_mov_b32_e32 v1, 1
	s_xor_b32 s33, s31, -1
	s_mov_b32 s89, 0
	s_and_saveexec_b32 s31, s33
	s_cbranch_execz .LBB111_355
; %bb.347:                              ;   in Loop: Header=BB111_6 Depth=1
	s_mov_b32 s33, exec_lo
	v_cmpx_ge_u32_e64 s20, v2
	s_xor_b32 s33, exec_lo, s33
	s_cbranch_execz .LBB111_352
; %bb.348:                              ;   in Loop: Header=BB111_6 Depth=1
	ds_read_b32 v1, v9 offset:4096
	s_lshl_b32 s34, 1, s82
	v_or_b32_e32 v37, s18, v37
	v_and_or_b32 v27, v27, s19, s34
	s_waitcnt lgkmcnt(0)
	v_cmp_ne_u32_e32 vcc_lo, 0, v1
	s_cbranch_vccnz .LBB111_352
; %bb.349:                              ;   in Loop: Header=BB111_6 Depth=1
	s_and_saveexec_b32 s34, s3
; %bb.350:                              ;   in Loop: Header=BB111_6 Depth=1
	v_mov_b32_e32 v1, s20
	ds_write_b32 v9, v1 offset:4100
; %bb.351:                              ;   in Loop: Header=BB111_6 Depth=1
	s_or_b32 exec_lo, exec_lo, s34
	s_waitcnt lgkmcnt(0)
	s_barrier
	buffer_gl0_inv
.LBB111_352:                            ;   in Loop: Header=BB111_6 Depth=1
	s_or_saveexec_b32 s33, s33
	v_mov_b32_e32 v1, 5
	s_mov_b32 s34, 0
	s_xor_b32 exec_lo, exec_lo, s33
; %bb.353:                              ;   in Loop: Header=BB111_6 Depth=1
	v_subrev_nc_u32_e32 v2, s20, v2
	v_mov_b32_e32 v1, 0
	s_mov_b32 s34, exec_lo
; %bb.354:                              ;   in Loop: Header=BB111_6 Depth=1
	s_or_b32 exec_lo, exec_lo, s33
	v_mov_b32_e32 v3, v2
	s_and_b32 s89, s34, exec_lo
.LBB111_355:                            ;   in Loop: Header=BB111_6 Depth=1
	s_or_b32 exec_lo, exec_lo, s31
	s_mov_b32 s31, -1
                                        ; implicit-def: $sgpr34
                                        ; implicit-def: $sgpr33
	s_and_saveexec_b32 s20, s89
	s_cbranch_execz .LBB111_394
; %bb.356:                              ;   in Loop: Header=BB111_6 Depth=1
	v_cmp_eq_u32_e32 vcc_lo, 1, v3
	s_cmp_eq_u32 s17, 1
	s_mov_b32 s90, -1
	s_cselect_b32 s31, -1, 0
                                        ; implicit-def: $sgpr34
                                        ; implicit-def: $sgpr33
	s_and_b32 s31, s31, vcc_lo
	s_and_saveexec_b32 s89, s31
	s_cbranch_execz .LBB111_382
; %bb.357:                              ;   in Loop: Header=BB111_6 Depth=1
	ds_read_b32 v2, v9 offset:4096
	s_waitcnt lgkmcnt(0)
	s_barrier
	buffer_gl0_inv
	v_readfirstlane_b32 s91, v2
	s_and_saveexec_b32 s33, s15
; %bb.358:                              ;   in Loop: Header=BB111_6 Depth=1
	ds_write_b16 v21, v9
; %bb.359:                              ;   in Loop: Header=BB111_6 Depth=1
	s_or_b32 exec_lo, exec_lo, s33
	v_and_b32_e32 v27, s19, v27
	v_or_b32_e32 v37, s18, v37
	s_mov_b32 s33, -1
	s_mov_b32 s34, 0
	s_cmp_eq_u32 s91, 0
	s_mov_b32 s90, 0
	s_mov_b32 s92, -1
	s_waitcnt lgkmcnt(0)
	s_barrier
	buffer_gl0_inv
                                        ; implicit-def: $vgpr38
	s_cbranch_scc1 .LBB111_370
; %bb.360:                              ;   in Loop: Header=BB111_6 Depth=1
	s_add_i32 s90, s91, s65
                                        ; implicit-def: $vgpr38
	s_mul_hi_u32 s92, s90, s71
	s_mul_i32 s92, s92, s52
	s_sub_i32 s92, s90, s92
	s_sub_i32 s93, s92, s52
	s_cmp_ge_u32 s92, s52
	s_cselect_b32 s92, s93, s92
	s_sub_i32 s93, s92, s52
	s_cmp_ge_u32 s92, s52
	s_cselect_b32 s92, s93, s92
	s_mov_b32 s93, exec_lo
	s_sub_i32 s94, s90, s92
	s_mov_b32 s92, 0
	s_mov_b32 s90, 0
	v_cmpx_gt_u32_e64 s94, v0
	s_cbranch_execz .LBB111_369
; %bb.361:                              ;   in Loop: Header=BB111_6 Depth=1
	v_mov_b32_e32 v2, v20
	v_mov_b32_e32 v4, v0
                                        ; implicit-def: $sgpr95
	s_branch .LBB111_364
.LBB111_362:                            ;   in Loop: Header=BB111_364 Depth=2
	s_or_b32 exec_lo, exec_lo, s96
	s_waitcnt lgkmcnt(0)
	s_barrier
	buffer_gl0_inv
	ds_read_b32 v8, v9 offset:3072
	s_mov_b32 s96, -1
	s_mov_b32 s97, -1
	s_waitcnt lgkmcnt(0)
	s_barrier
	buffer_gl0_inv
	v_and_b32_e32 v13, 0x7fff, v8
	v_cmp_ne_u32_e32 vcc_lo, 0, v13
	s_cbranch_vccz .LBB111_367
.LBB111_363:                            ;   in Loop: Header=BB111_364 Depth=2
	s_and_b32 s96, exec_lo, s96
	s_or_b32 s90, s96, s90
	s_andn2_b32 s95, s95, exec_lo
	s_and_b32 s96, s97, exec_lo
	s_or_b32 s95, s95, s96
	s_andn2_b32 exec_lo, exec_lo, s90
	s_cbranch_execz .LBB111_368
.LBB111_364:                            ;   Parent Loop BB111_6 Depth=1
                                        ; =>  This Inner Loop Header: Depth=2
	s_mov_b32 s96, exec_lo
	v_cmpx_gt_u32_e64 s91, v4
	s_cbranch_execz .LBB111_362
; %bb.365:                              ;   in Loop: Header=BB111_364 Depth=2
	ds_read_u16 v8, v2
	s_waitcnt lgkmcnt(0)
	v_cmp_lt_i16_e32 vcc_lo, -1, v8
	v_lshlrev_b32_e32 v14, 16, v8
	v_cndmask_b32_e32 v13, 0xffff, v35, vcc_lo
	v_cmp_o_f32_e32 vcc_lo, v14, v14
	v_xor_b32_sdwa v13, v13, v8 dst_sel:DWORD dst_unused:UNUSED_PAD src0_sel:DWORD src1_sel:WORD_0
	v_cndmask_b32_e32 v13, 0xffff, v13, vcc_lo
	v_and_b32_e32 v13, v13, v37
	v_cmp_eq_u32_e32 vcc_lo, v13, v27
	s_and_b32 exec_lo, exec_lo, vcc_lo
	s_cbranch_execz .LBB111_362
; %bb.366:                              ;   in Loop: Header=BB111_364 Depth=2
	v_perm_b32 v8, v8, s77, 0x5040100
	ds_write_b32 v9, v8 offset:3072
	s_branch .LBB111_362
.LBB111_367:                            ;   in Loop: Header=BB111_364 Depth=2
	v_add_nc_u32_e32 v4, s52, v4
	v_add_nc_u32_e32 v2, s75, v2
	s_mov_b32 s97, 0
	v_cmp_le_u32_e32 vcc_lo, s94, v4
	s_orn2_b32 s96, vcc_lo, exec_lo
	s_branch .LBB111_363
.LBB111_368:                            ;   in Loop: Header=BB111_6 Depth=1
	s_or_b32 exec_lo, exec_lo, s90
	v_lshrrev_b32_e32 v38, 16, v8
	s_and_b32 s90, s95, exec_lo
.LBB111_369:                            ;   in Loop: Header=BB111_6 Depth=1
	s_or_b32 exec_lo, exec_lo, s93
.LBB111_370:                            ;   in Loop: Header=BB111_6 Depth=1
	s_and_b32 vcc_lo, exec_lo, s92
	s_cbranch_vccz .LBB111_381
; %bb.371:                              ;   in Loop: Header=BB111_6 Depth=1
                                        ; implicit-def: $vgpr38
	s_and_saveexec_b32 s33, s13
	s_cbranch_execz .LBB111_380
; %bb.372:                              ;   in Loop: Header=BB111_6 Depth=1
	v_mov_b32_e32 v8, v7
	v_mov_b32_e32 v2, v0
	s_mov_b32 s34, 0
                                        ; implicit-def: $sgpr91
	s_branch .LBB111_375
.LBB111_373:                            ;   in Loop: Header=BB111_375 Depth=2
	s_or_b32 exec_lo, exec_lo, s92
	s_waitcnt lgkmcnt(0)
	s_barrier
	buffer_gl0_inv
	ds_read_b32 v4, v9 offset:3072
	s_mov_b32 s92, -1
	s_mov_b32 s93, -1
	s_waitcnt lgkmcnt(0)
	s_barrier
	buffer_gl0_inv
	v_and_b32_e32 v13, 0x7fff, v4
	v_cmp_eq_u32_e32 vcc_lo, 0, v13
	s_cbranch_vccnz .LBB111_378
.LBB111_374:                            ;   in Loop: Header=BB111_375 Depth=2
	s_and_b32 s92, exec_lo, s92
	s_or_b32 s34, s92, s34
	s_andn2_b32 s91, s91, exec_lo
	s_and_b32 s92, s93, exec_lo
	s_or_b32 s91, s91, s92
	s_andn2_b32 exec_lo, exec_lo, s34
	s_cbranch_execz .LBB111_379
.LBB111_375:                            ;   Parent Loop BB111_6 Depth=1
                                        ; =>  This Inner Loop Header: Depth=2
	s_mov_b32 s92, exec_lo
	v_cmpx_gt_u32_e64 s36, v2
	s_cbranch_execz .LBB111_373
; %bb.376:                              ;   in Loop: Header=BB111_375 Depth=2
	v_lshlrev_b64 v[13:14], 1, v[8:9]
	v_add_co_u32 v13, vcc_lo, s50, v13
	v_add_co_ci_u32_e64 v14, null, s51, v14, vcc_lo
	global_load_ushort v4, v[13:14], off
	s_waitcnt vmcnt(0)
	v_cmp_lt_i16_e32 vcc_lo, -1, v4
	v_lshlrev_b32_e32 v14, 16, v4
	v_cndmask_b32_e32 v13, 0xffff, v35, vcc_lo
	v_cmp_o_f32_e32 vcc_lo, v14, v14
	v_xor_b32_sdwa v13, v13, v4 dst_sel:DWORD dst_unused:UNUSED_PAD src0_sel:DWORD src1_sel:WORD_0
	v_cndmask_b32_e32 v13, 0xffff, v13, vcc_lo
	v_and_b32_e32 v13, v13, v37
	v_cmp_eq_u32_e32 vcc_lo, v13, v27
	s_and_b32 exec_lo, exec_lo, vcc_lo
	s_cbranch_execz .LBB111_373
; %bb.377:                              ;   in Loop: Header=BB111_375 Depth=2
	v_perm_b32 v4, v4, s77, 0x5040100
	ds_write_b32 v9, v4 offset:3072
	s_branch .LBB111_373
.LBB111_378:                            ;   in Loop: Header=BB111_375 Depth=2
	v_add_nc_u32_e32 v2, s52, v2
	v_add_nc_u32_e32 v8, s53, v8
	s_mov_b32 s93, 0
	v_cmp_le_u32_e32 vcc_lo, s72, v2
	s_orn2_b32 s92, vcc_lo, exec_lo
	s_branch .LBB111_374
.LBB111_379:                            ;   in Loop: Header=BB111_6 Depth=1
	s_or_b32 exec_lo, exec_lo, s34
	v_lshrrev_b32_e32 v38, 16, v4
	s_andn2_b32 s34, s90, exec_lo
	s_and_b32 s90, s91, exec_lo
	s_or_b32 s90, s34, s90
.LBB111_380:                            ;   in Loop: Header=BB111_6 Depth=1
	s_or_b32 exec_lo, exec_lo, s33
	s_mov_b32 s33, 0
	s_mov_b32 s34, -1
.LBB111_381:                            ;   in Loop: Header=BB111_6 Depth=1
	s_orn2_b32 s90, s90, exec_lo
.LBB111_382:                            ;   in Loop: Header=BB111_6 Depth=1
	s_or_b32 exec_lo, exec_lo, s89
	s_mov_b32 s91, 0
	s_and_saveexec_b32 s89, s90
	s_cbranch_execz .LBB111_393
; %bb.383:                              ;   in Loop: Header=BB111_6 Depth=1
	v_mov_b32_e32 v1, 1
	v_mov_b32_e32 v2, 1
	s_xor_b32 s90, s31, -1
	s_and_saveexec_b32 s31, s90
	s_cbranch_execz .LBB111_392
; %bb.384:                              ;   in Loop: Header=BB111_6 Depth=1
	s_mov_b32 s90, exec_lo
	v_cmpx_ge_u32_e64 s17, v3
	s_xor_b32 s90, exec_lo, s90
	s_cbranch_execz .LBB111_389
; %bb.385:                              ;   in Loop: Header=BB111_6 Depth=1
	ds_read_b32 v1, v9 offset:4096
	v_and_b32_e32 v27, s19, v27
	v_or_b32_e32 v37, s18, v37
	s_waitcnt lgkmcnt(0)
	v_cmp_ne_u32_e32 vcc_lo, 0, v1
	s_cbranch_vccnz .LBB111_389
; %bb.386:                              ;   in Loop: Header=BB111_6 Depth=1
	s_and_saveexec_b32 s18, s3
; %bb.387:                              ;   in Loop: Header=BB111_6 Depth=1
	v_mov_b32_e32 v1, s17
	ds_write_b32 v9, v1 offset:4100
; %bb.388:                              ;   in Loop: Header=BB111_6 Depth=1
	s_or_b32 exec_lo, exec_lo, s18
	s_waitcnt lgkmcnt(0)
	s_barrier
	buffer_gl0_inv
.LBB111_389:                            ;   in Loop: Header=BB111_6 Depth=1
	s_andn2_saveexec_b32 s18, s90
; %bb.390:                              ;   in Loop: Header=BB111_6 Depth=1
	v_subrev_nc_u32_e32 v3, s17, v3
; %bb.391:                              ;   in Loop: Header=BB111_6 Depth=1
	s_or_b32 exec_lo, exec_lo, s18
	v_mov_b32_e32 v1, 5
	v_mov_b32_e32 v2, v3
.LBB111_392:                            ;   in Loop: Header=BB111_6 Depth=1
	s_or_b32 exec_lo, exec_lo, s31
	v_mov_b32_e32 v3, v2
	s_mov_b32 s91, exec_lo
.LBB111_393:                            ;   in Loop: Header=BB111_6 Depth=1
	s_or_b32 exec_lo, exec_lo, s89
	s_orn2_b32 s31, s91, exec_lo
.LBB111_394:                            ;   in Loop: Header=BB111_6 Depth=1
	s_or_b32 exec_lo, exec_lo, s20
	v_mov_b32_e32 v2, v3
	s_andn2_b32 s17, s29, exec_lo
	s_and_b32 s18, s34, exec_lo
	s_andn2_b32 s19, s28, exec_lo
	s_and_b32 s20, s33, exec_lo
	s_or_b32 s29, s17, s18
	s_or_b32 s28, s19, s20
	s_and_b32 s34, s31, exec_lo
.LBB111_395:                            ;   in Loop: Header=BB111_6 Depth=1
	s_or_b32 exec_lo, exec_lo, s30
	s_orn2_b32 s30, s34, exec_lo
.LBB111_396:                            ;   in Loop: Header=BB111_6 Depth=1
	s_or_b32 exec_lo, exec_lo, s21
	v_mov_b32_e32 v4, v2
	s_andn2_b32 s17, s26, exec_lo
	s_and_b32 s18, s29, exec_lo
	s_andn2_b32 s19, s22, exec_lo
	s_and_b32 s20, s28, exec_lo
	s_or_b32 s26, s17, s18
	s_or_b32 s22, s19, s20
	s_and_b32 s30, s30, exec_lo
.LBB111_397:                            ;   in Loop: Header=BB111_6 Depth=1
	s_or_b32 exec_lo, exec_lo, s27
	s_orn2_b32 s27, s30, exec_lo
.LBB111_398:                            ;   in Loop: Header=BB111_6 Depth=1
	s_or_b32 exec_lo, exec_lo, s6
	s_mov_b32 s6, s24
	s_mov_b32 s17, s23
	s_and_saveexec_b32 s18, s27
; %bb.399:                              ;   in Loop: Header=BB111_6 Depth=1
	v_cmp_ne_u32_e32 vcc_lo, 5, v1
	v_cmp_eq_u32_e64 s6, 5, v1
	s_andn2_b32 s17, s23, exec_lo
	s_andn2_b32 s19, s24, exec_lo
	s_and_b32 s20, vcc_lo, exec_lo
	s_and_b32 s6, s6, exec_lo
	s_or_b32 s17, s17, s20
	s_or_b32 s6, s19, s6
; %bb.400:                              ;   in Loop: Header=BB111_6 Depth=1
	s_or_b32 exec_lo, exec_lo, s18
	s_andn2_b32 s14, s14, exec_lo
	s_and_b32 s18, s26, exec_lo
	s_andn2_b32 s16, s16, exec_lo
	s_and_b32 s19, s22, exec_lo
	s_or_b32 s14, s14, s18
	s_or_b32 s16, s16, s19
	s_andn2_b32 s18, s23, exec_lo
	s_and_b32 s17, s17, exec_lo
	s_andn2_b32 s19, s24, exec_lo
	s_and_b32 s6, s6, exec_lo
	s_or_b32 s23, s18, s17
	s_or_b32 s24, s19, s6
.LBB111_401:                            ;   in Loop: Header=BB111_6 Depth=1
	s_or_b32 exec_lo, exec_lo, s25
	s_mov_b32 s25, 0
	s_mov_b32 s26, 0
	s_and_saveexec_b32 s6, s24
.LBB111_402:                            ;   in Loop: Header=BB111_6 Depth=1
	v_mov_b32_e32 v1, 0
	s_or_b32 s23, s23, exec_lo
.LBB111_403:                            ;   in Loop: Header=BB111_6 Depth=1
	s_or_b32 exec_lo, exec_lo, s6
	s_andn2_b32 s6, s86, exec_lo
	s_and_b32 s14, s14, exec_lo
	s_andn2_b32 s18, s84, exec_lo
	s_and_b32 s16, s16, exec_lo
	v_mov_b32_e32 v39, v4
	s_or_b32 s86, s6, s14
	s_or_b32 s84, s18, s16
	s_andn2_b32 s6, s88, exec_lo
	s_and_b32 s14, s26, exec_lo
	s_andn2_b32 s16, s87, exec_lo
	s_and_b32 s18, s25, exec_lo
	s_mov_b32 s17, -1
	s_andn2_b32 s85, s85, exec_lo
	s_or_b32 s88, s6, s14
	s_or_b32 s87, s16, s18
	s_and_saveexec_b32 s6, s23
	s_xor_b32 s6, exec_lo, s6
	s_cbranch_execz .LBB111_5
; %bb.404:                              ;   in Loop: Header=BB111_6 Depth=1
	s_mov_b32 s14, -1
	s_mov_b32 s16, -1
	s_mov_b32 s17, exec_lo
	v_cmpx_eq_u32_e32 0, v1
	s_cbranch_execz .LBB111_4
; %bb.405:                              ;   in Loop: Header=BB111_6 Depth=1
	s_xor_b32 s78, s78, 1
	s_add_i32 s18, s82, -2
	s_cmp_eq_u32 s82, 0
	s_mov_b32 s82, s18
	s_cselect_b32 s14, -1, 0
	s_xor_b32 s16, exec_lo, -1
	s_orn2_b32 s14, s14, exec_lo
	s_branch .LBB111_4
.LBB111_406:
	s_or_b32 exec_lo, exec_lo, s35
	s_xor_b32 s7, s83, -1
	s_xor_b32 s12, s80, -1
	;; [unrolled: 1-line block ×5, first 2 shown]
	s_mov_b32 s9, 0
	s_and_saveexec_b32 s10, s8
	s_xor_b32 s8, exec_lo, s10
	s_cbranch_execnz .LBB111_411
; %bb.407:
	s_andn2_saveexec_b32 s0, s8
	s_cbranch_execnz .LBB111_430
.LBB111_408:
	s_or_b32 exec_lo, exec_lo, s0
	s_and_saveexec_b32 s0, s9
.LBB111_409:
	; divergent unreachable
.LBB111_410:
	s_endpgm
.LBB111_411:
	s_mov_b32 s10, 0
	s_and_saveexec_b32 s9, s11
	s_xor_b32 s9, exec_lo, s9
	s_cbranch_execz .LBB111_428
; %bb.412:
	s_mov_b32 s11, 0
	s_and_saveexec_b32 s10, s12
	s_xor_b32 s10, exec_lo, s10
	s_cbranch_execz .LBB111_426
; %bb.413:
	;; [unrolled: 5-line block ×3, first 2 shown]
	s_and_saveexec_b32 s7, s6
	s_xor_b32 s6, exec_lo, s7
; %bb.415:
	v_and_b32_e32 v1, 0x8000, v27
	v_mov_b32_e32 v2, 0xffff
	v_cmp_eq_u32_e32 vcc_lo, 0, v1
	v_cndmask_b32_e32 v1, 0x8000, v2, vcc_lo
	v_xor_b32_e32 v38, v1, v27
; %bb.416:
	s_or_b32 exec_lo, exec_lo, s6
	s_and_saveexec_b32 s6, s3
; %bb.417:
	v_mov_b32_e32 v1, 0
	ds_write_b32 v1, v1 offset:4108
; %bb.418:
	s_or_b32 exec_lo, exec_lo, s6
	v_mov_b32_e32 v9, 0
	s_waitcnt lgkmcnt(0)
	s_barrier
	buffer_gl0_inv
	s_and_saveexec_b32 s3, s1
	s_cbranch_execz .LBB111_420
; %bb.419:
	global_load_ushort v9, v[5:6], off
.LBB111_420:
	s_or_b32 exec_lo, exec_lo, s3
	s_mul_i32 s3, s58, s56
	s_add_i32 s12, s36, 31
	s_sub_i32 s3, s54, s3
	s_andn2_b32 s12, s12, 31
	s_add_i32 s6, s58, 1
	s_sub_i32 s7, s3, s56
	s_cmp_ge_u32 s3, s56
	v_mov_b32_e32 v8, 0x8000
	s_cselect_b32 s6, s6, s58
	s_cselect_b32 s3, s7, s3
	s_add_i32 s7, s6, 1
	s_cmp_ge_u32 s3, s56
	v_cmp_lt_i16_e32 vcc_lo, -1, v38
	s_cselect_b32 s3, s7, s6
	s_mul_i32 s7, s57, s55
	s_mul_i32 s6, s3, s56
	;; [unrolled: 1-line block ×3, first 2 shown]
	s_sub_i32 s6, s54, s6
	v_cndmask_b32_e32 v1, 0xffff, v8, vcc_lo
	s_mul_i32 s6, s6, s49
	v_lshlrev_b32_e32 v2, 16, v38
	s_add_i32 s6, s3, s6
	s_sub_i32 s3, s54, s7
	s_add_i32 s7, s57, 1
	s_sub_i32 s13, s3, s55
	s_cmp_ge_u32 s3, s55
	v_xor_b32_sdwa v1, v1, v38 dst_sel:DWORD dst_unused:UNUSED_PAD src0_sel:DWORD src1_sel:WORD_0
	s_cselect_b32 s7, s7, s57
	s_cselect_b32 s3, s13, s3
	s_add_i32 s13, s7, 1
	s_cmp_ge_u32 s3, s55
	v_cmp_o_f32_e32 vcc_lo, v2, v2
	s_cselect_b32 s3, s13, s7
	s_clause 0x1
	s_load_dword s13, s[4:5], 0x1c8
	s_load_dword s5, s[4:5], 0x2a8
	s_mul_i32 s7, s3, s55
	s_mul_i32 s3, s3, s46
	s_sub_i32 s7, s54, s7
	v_cndmask_b32_e32 v7, 0xffff, v1, vcc_lo
	s_mul_i32 s16, s7, s47
	s_mov_b32 s7, 0
	s_add_i32 s16, s3, s16
	s_lshl_b64 s[14:15], s[6:7], 1
	s_mov_b32 s17, s7
	s_add_u32 s6, s42, s14
	s_addc_u32 s14, s43, s15
	s_lshl_b64 s[16:17], s[16:17], 3
	v_cmp_gt_u32_e32 vcc_lo, s12, v0
	s_add_u32 s15, s44, s16
	s_mov_b32 s4, -1
	s_addc_u32 s16, s45, s17
	s_mov_b32 s3, 0
	s_and_saveexec_b32 s17, vcc_lo
	s_cbranch_execnz .LBB111_431
; %bb.421:
	s_or_b32 exec_lo, exec_lo, s17
	s_and_saveexec_b32 s2, s4
	s_cbranch_execnz .LBB111_448
.LBB111_422:
	s_or_b32 exec_lo, exec_lo, s2
	s_and_saveexec_b32 s0, s3
	s_xor_b32 s0, exec_lo, s0
	s_cbranch_execnz .LBB111_473
.LBB111_423:
	s_or_b32 exec_lo, exec_lo, s0
	s_and_b32 s12, s7, exec_lo
.LBB111_424:
	s_andn2_saveexec_b32 s0, s11
	s_cbranch_execnz .LBB111_475
.LBB111_425:
	s_or_b32 exec_lo, exec_lo, s0
	s_and_b32 s11, s12, exec_lo
.LBB111_426:
	s_andn2_saveexec_b32 s0, s10
	s_cbranch_execnz .LBB111_474
.LBB111_427:
	s_or_b32 exec_lo, exec_lo, s0
	s_and_b32 s10, s11, exec_lo
.LBB111_428:
	s_andn2_saveexec_b32 s0, s9
	s_cbranch_execnz .LBB111_469
.LBB111_429:
	s_or_b32 exec_lo, exec_lo, s0
	s_and_b32 s9, s10, exec_lo
	s_andn2_saveexec_b32 s0, s8
	s_cbranch_execz .LBB111_408
.LBB111_430:
	s_or_b32 s9, s9, exec_lo
	s_trap 2
	s_or_b32 exec_lo, exec_lo, s0
	s_and_saveexec_b32 s0, s9
	s_cbranch_execnz .LBB111_409
	s_branch .LBB111_410
.LBB111_431:
	v_add_nc_u32_e32 v1, s52, v0
	v_mov_b32_e32 v2, 0
	v_mov_b32_e32 v3, v0
	s_mov_b32 s18, 0
                                        ; implicit-def: $sgpr19
                                        ; implicit-def: $vgpr11
	v_mul_lo_u32 v1, s40, v1
	s_branch .LBB111_433
.LBB111_432:                            ;   in Loop: Header=BB111_433 Depth=1
	s_or_b32 exec_lo, exec_lo, s21
	s_xor_b32 s3, s20, -1
	s_and_b32 s4, exec_lo, s4
	v_mov_b32_e32 v3, v10
	s_or_b32 s18, s4, s18
	s_waitcnt vmcnt(0)
	v_mov_b32_e32 v9, v12
	s_andn2_b32 s4, s19, exec_lo
	s_and_b32 s3, s3, exec_lo
	s_or_b32 s19, s4, s3
	s_andn2_b32 exec_lo, exec_lo, s18
	s_cbranch_execz .LBB111_447
.LBB111_433:                            ; =>This Inner Loop Header: Depth=1
	v_add_nc_u32_e32 v10, s52, v3
	v_mov_b32_e32 v12, 0
	s_mov_b32 s4, exec_lo
	v_cmpx_gt_u32_e64 s36, v10
	s_cbranch_execz .LBB111_435
; %bb.434:                              ;   in Loop: Header=BB111_433 Depth=1
	v_lshlrev_b64 v[12:13], 1, v[1:2]
	v_add_co_u32 v12, s3, s50, v12
	v_add_co_ci_u32_e64 v13, null, s51, v13, s3
	global_load_ushort v12, v[12:13], off
.LBB111_435:                            ;   in Loop: Header=BB111_433 Depth=1
	s_or_b32 exec_lo, exec_lo, s4
	s_mov_b32 s20, 0
	s_mov_b32 s4, exec_lo
	v_cmpx_gt_u32_e64 s36, v3
	s_cbranch_execz .LBB111_437
; %bb.436:                              ;   in Loop: Header=BB111_433 Depth=1
	s_waitcnt vmcnt(0)
	v_cmp_lt_i16_e64 s3, -1, v9
	v_lshlrev_b32_e32 v13, 16, v9
	v_cndmask_b32_e64 v4, 0xffff, v8, s3
	v_cmp_o_f32_e64 s3, v13, v13
	v_xor_b32_sdwa v4, v4, v9 dst_sel:DWORD dst_unused:UNUSED_PAD src0_sel:DWORD src1_sel:WORD_0
	v_cndmask_b32_e64 v4, 0xffff, v4, s3
	v_cmp_gt_u32_e64 s3, v4, v7
	v_cndmask_b32_e64 v13, 0, 1, s3
	v_cmp_lt_u32_e64 s3, v4, v7
	v_cndmask_b32_e64 v4, 0, 1, s3
	v_cndmask_b32_e64 v4, v4, v13, s2
	v_and_b32_e32 v4, 1, v4
	v_cmp_eq_u32_e64 s3, 1, v4
	s_and_b32 s20, s3, exec_lo
.LBB111_437:                            ;   in Loop: Header=BB111_433 Depth=1
	s_or_b32 exec_lo, exec_lo, s4
	v_cndmask_b32_e64 v4, 0, 1, s20
	v_cmp_ne_u32_e64 s3, 0, v4
	s_cmp_lg_u32 s3, 0
	s_cselect_b32 s4, -1, 0
	s_and_b32 s4, s0, s4
	s_and_saveexec_b32 s21, s4
	s_cbranch_execz .LBB111_441
; %bb.438:                              ;   in Loop: Header=BB111_433 Depth=1
	s_mov_b32 s24, exec_lo
	s_bcnt1_i32_b32 s22, s3
	v_mbcnt_lo_u32_b32 v4, s24, 0
	s_mov_b32 s23, exec_lo
                                        ; implicit-def: $vgpr11
	v_cmpx_eq_u32_e32 0, v4
	s_cbranch_execz .LBB111_440
; %bb.439:                              ;   in Loop: Header=BB111_433 Depth=1
	s_bcnt1_i32_b32 s4, s24
	s_mul_i32 s4, s22, s4
	s_waitcnt lgkmcnt(0)
	v_mov_b32_e32 v11, s4
	ds_add_rtn_u32 v11, v2, v11 offset:4108
.LBB111_440:                            ;   in Loop: Header=BB111_433 Depth=1
	s_or_b32 exec_lo, exec_lo, s23
	s_waitcnt lgkmcnt(0)
	v_readfirstlane_b32 s4, v11
	v_mad_u32_u24 v11, s22, v4, s4
.LBB111_441:                            ;   in Loop: Header=BB111_433 Depth=1
	s_or_b32 exec_lo, exec_lo, s21
	s_waitcnt lgkmcnt(0)
	ds_bpermute_b32 v11, v2, v11
	s_mov_b32 s4, -1
	s_mov_b32 s22, -1
	s_and_saveexec_b32 s21, s20
	s_cbranch_execz .LBB111_445
; %bb.442:                              ;   in Loop: Header=BB111_433 Depth=1
	v_and_b32_e32 v4, s3, v17
	s_mov_b32 s20, 0
	s_mov_b32 s22, exec_lo
	s_waitcnt lgkmcnt(0)
	v_bcnt_u32_b32 v4, v4, v11
	v_cmpx_gt_u32_e64 s37, v4
	s_cbranch_execz .LBB111_444
; %bb.443:                              ;   in Loop: Header=BB111_433 Depth=1
	v_mul_lo_u32 v13, v4, s13
	v_mul_lo_u32 v15, v4, s5
	v_mov_b32_e32 v14, v2
	v_mov_b32_e32 v16, v2
	;; [unrolled: 1-line block ×3, first 2 shown]
	s_mov_b32 s20, exec_lo
	v_lshlrev_b64 v[13:14], 1, v[13:14]
	v_lshlrev_b64 v[15:16], 3, v[15:16]
	v_add_co_u32 v13, s3, s6, v13
	v_add_co_ci_u32_e64 v14, null, s14, v14, s3
	v_add_co_u32 v15, s3, s15, v15
	v_add_co_ci_u32_e64 v16, null, s16, v16, s3
	s_waitcnt vmcnt(0)
	global_store_short v[13:14], v9, off
	global_store_dwordx2 v[15:16], v[3:4], off
.LBB111_444:                            ;   in Loop: Header=BB111_433 Depth=1
	s_or_b32 exec_lo, exec_lo, s22
	s_orn2_b32 s22, s20, exec_lo
.LBB111_445:                            ;   in Loop: Header=BB111_433 Depth=1
	s_or_b32 exec_lo, exec_lo, s21
	s_mov_b32 s20, -1
	s_and_saveexec_b32 s21, s22
	s_cbranch_execz .LBB111_432
; %bb.446:                              ;   in Loop: Header=BB111_433 Depth=1
	v_cmp_le_u32_e64 s3, s12, v10
	v_add_nc_u32_e32 v1, s53, v1
	s_xor_b32 s20, exec_lo, -1
	s_orn2_b32 s4, s3, exec_lo
	s_branch .LBB111_432
.LBB111_447:
	s_or_b32 exec_lo, exec_lo, s18
	s_mov_b32 s3, exec_lo
	s_orn2_b32 s4, s19, exec_lo
	s_or_b32 exec_lo, exec_lo, s17
	s_and_saveexec_b32 s2, s4
	s_cbranch_execz .LBB111_422
.LBB111_448:
	s_waitcnt vmcnt(0)
	v_mov_b32_e32 v9, 0
	s_waitcnt lgkmcnt(0)
	s_waitcnt_vscnt null, 0x0
	s_barrier
	buffer_gl0_inv
	s_and_saveexec_b32 s4, s1
	s_cbranch_execz .LBB111_450
; %bb.449:
	global_load_ushort v9, v[5:6], off
.LBB111_450:
	s_or_b32 exec_lo, exec_lo, s4
	s_mov_b32 s1, 0
	s_and_saveexec_b32 s4, vcc_lo
	s_cbranch_execz .LBB111_472
; %bb.451:
	v_add_nc_u32_e32 v1, s52, v0
	v_mov_b32_e32 v3, 0
	v_mov_b32_e32 v4, 0x8000
	s_mov_b32 s7, 0
                                        ; implicit-def: $sgpr17
                                        ; implicit-def: $vgpr6
	v_mul_lo_u32 v2, s40, v1
	s_branch .LBB111_454
.LBB111_452:                            ;   in Loop: Header=BB111_454 Depth=1
	s_or_b32 exec_lo, exec_lo, s18
	s_orn2_b32 s20, s21, exec_lo
	s_orn2_b32 s19, s19, exec_lo
.LBB111_453:                            ;   in Loop: Header=BB111_454 Depth=1
	s_or_b32 exec_lo, exec_lo, s1
	s_xor_b32 s1, s20, -1
	s_and_b32 s18, exec_lo, s19
	v_mov_b32_e32 v0, v5
	s_or_b32 s7, s18, s7
	s_waitcnt vmcnt(0)
	v_mov_b32_e32 v9, v8
	s_andn2_b32 s17, s17, exec_lo
	s_and_b32 s1, s1, exec_lo
	s_or_b32 s17, s17, s1
	s_andn2_b32 exec_lo, exec_lo, s7
	s_cbranch_execz .LBB111_470
.LBB111_454:                            ; =>This Inner Loop Header: Depth=1
	v_add_nc_u32_e32 v5, s52, v0
	v_mov_b32_e32 v8, 0
	s_mov_b32 s1, exec_lo
	v_cmpx_gt_u32_e64 s36, v5
	s_cbranch_execz .LBB111_456
; %bb.455:                              ;   in Loop: Header=BB111_454 Depth=1
	v_lshlrev_b64 v[10:11], 1, v[2:3]
	v_add_co_u32 v10, vcc_lo, s50, v10
	v_add_co_ci_u32_e64 v11, null, s51, v11, vcc_lo
	global_load_ushort v8, v[10:11], off
.LBB111_456:                            ;   in Loop: Header=BB111_454 Depth=1
	s_or_b32 exec_lo, exec_lo, s1
	s_mov_b32 s18, 0
	s_mov_b32 s1, exec_lo
	v_cmpx_gt_u32_e64 s36, v0
	s_cbranch_execz .LBB111_458
; %bb.457:                              ;   in Loop: Header=BB111_454 Depth=1
	s_waitcnt vmcnt(0)
	v_cmp_lt_i16_e32 vcc_lo, -1, v9
	v_lshlrev_b32_e32 v10, 16, v9
	v_cndmask_b32_e32 v1, 0xffff, v4, vcc_lo
	v_cmp_o_f32_e32 vcc_lo, v10, v10
	v_xor_b32_sdwa v1, v1, v9 dst_sel:DWORD dst_unused:UNUSED_PAD src0_sel:DWORD src1_sel:WORD_0
	v_cndmask_b32_e32 v1, 0xffff, v1, vcc_lo
	v_cmp_eq_u32_e32 vcc_lo, v1, v7
	s_and_b32 s18, vcc_lo, exec_lo
.LBB111_458:                            ;   in Loop: Header=BB111_454 Depth=1
	s_or_b32 exec_lo, exec_lo, s1
	v_cndmask_b32_e64 v1, 0, 1, s18
	v_cmp_ne_u32_e32 vcc_lo, 0, v1
	s_cmp_lg_u32 vcc_lo, 0
	s_cselect_b32 s1, -1, 0
	s_and_b32 s1, s0, s1
	s_and_saveexec_b32 s19, s1
	s_cbranch_execz .LBB111_462
; %bb.459:                              ;   in Loop: Header=BB111_454 Depth=1
	s_mov_b32 s22, exec_lo
	s_bcnt1_i32_b32 s20, vcc_lo
	v_mbcnt_lo_u32_b32 v1, s22, 0
	s_mov_b32 s21, exec_lo
                                        ; implicit-def: $vgpr6
	v_cmpx_eq_u32_e32 0, v1
; %bb.460:                              ;   in Loop: Header=BB111_454 Depth=1
	s_bcnt1_i32_b32 s1, s22
	s_mul_i32 s1, s20, s1
	v_mov_b32_e32 v6, s1
	ds_add_rtn_u32 v6, v3, v6 offset:4108
; %bb.461:                              ;   in Loop: Header=BB111_454 Depth=1
	s_or_b32 exec_lo, exec_lo, s21
	s_waitcnt lgkmcnt(0)
	v_readfirstlane_b32 s1, v6
	v_mad_u32_u24 v6, s20, v1, s1
.LBB111_462:                            ;   in Loop: Header=BB111_454 Depth=1
	s_or_b32 exec_lo, exec_lo, s19
	ds_bpermute_b32 v6, v3, v6
	s_cmp_eq_u32 vcc_lo, 0
	s_mov_b32 s19, -1
	s_cselect_b32 s20, -1, 0
	s_waitcnt lgkmcnt(0)
	v_cmp_gt_u32_e64 s1, s37, v6
	s_or_b32 s21, s20, s1
	s_mov_b32 s20, -1
	s_and_saveexec_b32 s1, s21
	s_cbranch_execz .LBB111_453
; %bb.463:                              ;   in Loop: Header=BB111_454 Depth=1
	v_and_b32_e32 v1, vcc_lo, v17
	v_sub_nc_u32_e32 v10, s37, v6
	s_mov_b32 s21, -1
	v_bcnt_u32_b32 v1, v1, 0
	v_bcnt_u32_b32 v1, 0, v1
	v_cmp_gt_u32_e32 vcc_lo, v10, v1
	s_and_b32 s22, s18, vcc_lo
	s_and_saveexec_b32 s18, s22
	s_cbranch_execz .LBB111_467
; %bb.464:                              ;   in Loop: Header=BB111_454 Depth=1
	v_add_nc_u32_e32 v1, v6, v1
	s_mov_b32 s20, 0
	s_mov_b32 s21, exec_lo
	v_cmpx_gt_u32_e64 s37, v1
	s_cbranch_execz .LBB111_466
; %bb.465:                              ;   in Loop: Header=BB111_454 Depth=1
	v_mul_lo_u32 v10, v1, s13
	v_mul_lo_u32 v12, v1, s5
	v_mov_b32_e32 v11, v3
	v_mov_b32_e32 v13, v3
	;; [unrolled: 1-line block ×3, first 2 shown]
	s_mov_b32 s20, exec_lo
	v_lshlrev_b64 v[10:11], 1, v[10:11]
	v_lshlrev_b64 v[12:13], 3, v[12:13]
	v_add_co_u32 v10, vcc_lo, s6, v10
	v_add_co_ci_u32_e64 v11, null, s14, v11, vcc_lo
	v_add_co_u32 v12, vcc_lo, s15, v12
	v_add_co_ci_u32_e64 v13, null, s16, v13, vcc_lo
	s_waitcnt vmcnt(0)
	global_store_short v[10:11], v9, off
	global_store_dwordx2 v[12:13], v[0:1], off
.LBB111_466:                            ;   in Loop: Header=BB111_454 Depth=1
	s_or_b32 exec_lo, exec_lo, s21
	s_xor_b32 s21, exec_lo, -1
	s_orn2_b32 s20, s20, exec_lo
.LBB111_467:                            ;   in Loop: Header=BB111_454 Depth=1
	s_or_b32 exec_lo, exec_lo, s18
	s_and_saveexec_b32 s18, s20
	s_cbranch_execz .LBB111_452
; %bb.468:                              ;   in Loop: Header=BB111_454 Depth=1
	v_cmp_le_u32_e32 vcc_lo, s12, v5
	v_add_nc_u32_e32 v2, s53, v2
	s_or_b32 s21, s21, exec_lo
	s_orn2_b32 s19, vcc_lo, exec_lo
	s_branch .LBB111_452
.LBB111_469:
	s_or_b32 s10, s10, exec_lo
	s_trap 2
	s_branch .LBB111_429
.LBB111_470:
	s_or_b32 exec_lo, exec_lo, s7
	s_mov_b32 s0, 0
	s_and_saveexec_b32 s1, s17
	s_xor_b32 s1, exec_lo, s1
	s_cbranch_execnz .LBB111_476
.LBB111_471:
	s_or_b32 exec_lo, exec_lo, s1
	s_and_b32 s1, s0, exec_lo
.LBB111_472:
	s_or_b32 exec_lo, exec_lo, s4
	s_and_b32 s7, s1, exec_lo
	s_andn2_b32 s3, s3, exec_lo
	s_or_b32 exec_lo, exec_lo, s2
	s_and_saveexec_b32 s0, s3
	s_xor_b32 s0, exec_lo, s0
	s_cbranch_execz .LBB111_423
.LBB111_473:
	s_or_b32 s7, s7, exec_lo
	s_trap 2
	s_branch .LBB111_423
.LBB111_474:
	s_or_b32 s11, s11, exec_lo
	s_trap 2
	s_branch .LBB111_427
.LBB111_475:
	s_or_b32 s12, s12, exec_lo
	s_trap 2
	s_branch .LBB111_425
.LBB111_476:
	s_mov_b32 s0, exec_lo
	s_trap 2
	s_branch .LBB111_471
	.section	.rodata,"a",@progbits
	.p2align	6, 0x0
	.amdhsa_kernel _ZN2at6native6sbtopk10gatherTopKIN3c108BFloat16EjLi2ELb0EEEvNS_4cuda6detail10TensorInfoIKT_T0_EESA_SA_bSA_SA_NS7_IS8_SA_EESA_NS7_IlSA_EESA_PS8_
		.amdhsa_group_segment_fixed_size 4112
		.amdhsa_private_segment_fixed_size 0
		.amdhsa_kernarg_size 952
		.amdhsa_user_sgpr_count 6
		.amdhsa_user_sgpr_private_segment_buffer 1
		.amdhsa_user_sgpr_dispatch_ptr 0
		.amdhsa_user_sgpr_queue_ptr 0
		.amdhsa_user_sgpr_kernarg_segment_ptr 1
		.amdhsa_user_sgpr_dispatch_id 0
		.amdhsa_user_sgpr_flat_scratch_init 0
		.amdhsa_user_sgpr_private_segment_size 0
		.amdhsa_wavefront_size32 1
		.amdhsa_uses_dynamic_stack 0
		.amdhsa_system_sgpr_private_segment_wavefront_offset 0
		.amdhsa_system_sgpr_workgroup_id_x 1
		.amdhsa_system_sgpr_workgroup_id_y 1
		.amdhsa_system_sgpr_workgroup_id_z 1
		.amdhsa_system_sgpr_workgroup_info 0
		.amdhsa_system_vgpr_workitem_id 0
		.amdhsa_next_free_vgpr 62
		.amdhsa_next_free_sgpr 105
		.amdhsa_reserve_vcc 1
		.amdhsa_reserve_flat_scratch 0
		.amdhsa_float_round_mode_32 0
		.amdhsa_float_round_mode_16_64 0
		.amdhsa_float_denorm_mode_32 3
		.amdhsa_float_denorm_mode_16_64 3
		.amdhsa_dx10_clamp 1
		.amdhsa_ieee_mode 1
		.amdhsa_fp16_overflow 0
		.amdhsa_workgroup_processor_mode 1
		.amdhsa_memory_ordered 1
		.amdhsa_forward_progress 1
		.amdhsa_shared_vgpr_count 0
		.amdhsa_exception_fp_ieee_invalid_op 0
		.amdhsa_exception_fp_denorm_src 0
		.amdhsa_exception_fp_ieee_div_zero 0
		.amdhsa_exception_fp_ieee_overflow 0
		.amdhsa_exception_fp_ieee_underflow 0
		.amdhsa_exception_fp_ieee_inexact 0
		.amdhsa_exception_int_div_zero 0
	.end_amdhsa_kernel
	.section	.text._ZN2at6native6sbtopk10gatherTopKIN3c108BFloat16EjLi2ELb0EEEvNS_4cuda6detail10TensorInfoIKT_T0_EESA_SA_bSA_SA_NS7_IS8_SA_EESA_NS7_IlSA_EESA_PS8_,"axG",@progbits,_ZN2at6native6sbtopk10gatherTopKIN3c108BFloat16EjLi2ELb0EEEvNS_4cuda6detail10TensorInfoIKT_T0_EESA_SA_bSA_SA_NS7_IS8_SA_EESA_NS7_IlSA_EESA_PS8_,comdat
.Lfunc_end111:
	.size	_ZN2at6native6sbtopk10gatherTopKIN3c108BFloat16EjLi2ELb0EEEvNS_4cuda6detail10TensorInfoIKT_T0_EESA_SA_bSA_SA_NS7_IS8_SA_EESA_NS7_IlSA_EESA_PS8_, .Lfunc_end111-_ZN2at6native6sbtopk10gatherTopKIN3c108BFloat16EjLi2ELb0EEEvNS_4cuda6detail10TensorInfoIKT_T0_EESA_SA_bSA_SA_NS7_IS8_SA_EESA_NS7_IlSA_EESA_PS8_
                                        ; -- End function
	.set _ZN2at6native6sbtopk10gatherTopKIN3c108BFloat16EjLi2ELb0EEEvNS_4cuda6detail10TensorInfoIKT_T0_EESA_SA_bSA_SA_NS7_IS8_SA_EESA_NS7_IlSA_EESA_PS8_.num_vgpr, 62
	.set _ZN2at6native6sbtopk10gatherTopKIN3c108BFloat16EjLi2ELb0EEEvNS_4cuda6detail10TensorInfoIKT_T0_EESA_SA_bSA_SA_NS7_IS8_SA_EESA_NS7_IlSA_EESA_PS8_.num_agpr, 0
	.set _ZN2at6native6sbtopk10gatherTopKIN3c108BFloat16EjLi2ELb0EEEvNS_4cuda6detail10TensorInfoIKT_T0_EESA_SA_bSA_SA_NS7_IS8_SA_EESA_NS7_IlSA_EESA_PS8_.numbered_sgpr, 105
	.set _ZN2at6native6sbtopk10gatherTopKIN3c108BFloat16EjLi2ELb0EEEvNS_4cuda6detail10TensorInfoIKT_T0_EESA_SA_bSA_SA_NS7_IS8_SA_EESA_NS7_IlSA_EESA_PS8_.num_named_barrier, 0
	.set _ZN2at6native6sbtopk10gatherTopKIN3c108BFloat16EjLi2ELb0EEEvNS_4cuda6detail10TensorInfoIKT_T0_EESA_SA_bSA_SA_NS7_IS8_SA_EESA_NS7_IlSA_EESA_PS8_.private_seg_size, 0
	.set _ZN2at6native6sbtopk10gatherTopKIN3c108BFloat16EjLi2ELb0EEEvNS_4cuda6detail10TensorInfoIKT_T0_EESA_SA_bSA_SA_NS7_IS8_SA_EESA_NS7_IlSA_EESA_PS8_.uses_vcc, 1
	.set _ZN2at6native6sbtopk10gatherTopKIN3c108BFloat16EjLi2ELb0EEEvNS_4cuda6detail10TensorInfoIKT_T0_EESA_SA_bSA_SA_NS7_IS8_SA_EESA_NS7_IlSA_EESA_PS8_.uses_flat_scratch, 0
	.set _ZN2at6native6sbtopk10gatherTopKIN3c108BFloat16EjLi2ELb0EEEvNS_4cuda6detail10TensorInfoIKT_T0_EESA_SA_bSA_SA_NS7_IS8_SA_EESA_NS7_IlSA_EESA_PS8_.has_dyn_sized_stack, 0
	.set _ZN2at6native6sbtopk10gatherTopKIN3c108BFloat16EjLi2ELb0EEEvNS_4cuda6detail10TensorInfoIKT_T0_EESA_SA_bSA_SA_NS7_IS8_SA_EESA_NS7_IlSA_EESA_PS8_.has_recursion, 0
	.set _ZN2at6native6sbtopk10gatherTopKIN3c108BFloat16EjLi2ELb0EEEvNS_4cuda6detail10TensorInfoIKT_T0_EESA_SA_bSA_SA_NS7_IS8_SA_EESA_NS7_IlSA_EESA_PS8_.has_indirect_call, 0
	.section	.AMDGPU.csdata,"",@progbits
; Kernel info:
; codeLenInByte = 16784
; TotalNumSgprs: 107
; NumVgprs: 62
; ScratchSize: 0
; MemoryBound: 0
; FloatMode: 240
; IeeeMode: 1
; LDSByteSize: 4112 bytes/workgroup (compile time only)
; SGPRBlocks: 0
; VGPRBlocks: 7
; NumSGPRsForWavesPerEU: 107
; NumVGPRsForWavesPerEU: 62
; Occupancy: 16
; WaveLimiterHint : 1
; COMPUTE_PGM_RSRC2:SCRATCH_EN: 0
; COMPUTE_PGM_RSRC2:USER_SGPR: 6
; COMPUTE_PGM_RSRC2:TRAP_HANDLER: 0
; COMPUTE_PGM_RSRC2:TGID_X_EN: 1
; COMPUTE_PGM_RSRC2:TGID_Y_EN: 1
; COMPUTE_PGM_RSRC2:TGID_Z_EN: 1
; COMPUTE_PGM_RSRC2:TIDIG_COMP_CNT: 0
	.section	.text._ZN2at6native6mbtopk23computeBlockDigitCountsIN3c108BFloat16EjjLi3EEEvNS_4cuda6detail10TensorInfoIKT_T0_EEjPjjSA_iijT1_PSD_Ps,"axG",@progbits,_ZN2at6native6mbtopk23computeBlockDigitCountsIN3c108BFloat16EjjLi3EEEvNS_4cuda6detail10TensorInfoIKT_T0_EEjPjjSA_iijT1_PSD_Ps,comdat
	.protected	_ZN2at6native6mbtopk23computeBlockDigitCountsIN3c108BFloat16EjjLi3EEEvNS_4cuda6detail10TensorInfoIKT_T0_EEjPjjSA_iijT1_PSD_Ps ; -- Begin function _ZN2at6native6mbtopk23computeBlockDigitCountsIN3c108BFloat16EjjLi3EEEvNS_4cuda6detail10TensorInfoIKT_T0_EEjPjjSA_iijT1_PSD_Ps
	.globl	_ZN2at6native6mbtopk23computeBlockDigitCountsIN3c108BFloat16EjjLi3EEEvNS_4cuda6detail10TensorInfoIKT_T0_EEjPjjSA_iijT1_PSD_Ps
	.p2align	8
	.type	_ZN2at6native6mbtopk23computeBlockDigitCountsIN3c108BFloat16EjjLi3EEEvNS_4cuda6detail10TensorInfoIKT_T0_EEjPjjSA_iijT1_PSD_Ps,@function
_ZN2at6native6mbtopk23computeBlockDigitCountsIN3c108BFloat16EjjLi3EEEvNS_4cuda6detail10TensorInfoIKT_T0_EEjPjjSA_iijT1_PSD_Ps: ; @_ZN2at6native6mbtopk23computeBlockDigitCountsIN3c108BFloat16EjjLi3EEEvNS_4cuda6detail10TensorInfoIKT_T0_EEjPjjSA_iijT1_PSD_Ps
; %bb.0:
	s_clause 0x2
	s_load_dwordx2 s[10:11], s[4:5], 0xf8
	s_load_dwordx4 s[12:15], s[4:5], 0xe8
	s_load_dwordx2 s[0:1], s[4:5], 0x110
	s_mov_b32 s9, 0
	s_waitcnt lgkmcnt(0)
	v_cvt_f32_u32_e32 v1, s10
	s_sub_i32 s3, 0, s10
	s_mul_i32 s1, s1, s8
	s_add_i32 s1, s1, s7
	v_rcp_iflag_f32_e32 v1, v1
	s_mul_i32 s18, s1, s0
	s_add_i32 s18, s18, s6
	v_mul_f32_e32 v1, 0x4f7ffffe, v1
	v_cvt_u32_f32_e32 v1, v1
	v_readfirstlane_b32 s2, v1
	s_mul_i32 s3, s3, s2
	s_mul_hi_u32 s0, s2, s3
	s_add_i32 s2, s2, s0
	s_mul_hi_u32 s0, s18, s2
	s_mul_i32 s1, s0, s10
	s_add_i32 s2, s0, 1
	s_sub_i32 s1, s18, s1
	s_sub_i32 s3, s1, s10
	s_cmp_ge_u32 s1, s10
	s_cselect_b32 s0, s2, s0
	s_cselect_b32 s1, s3, s1
	s_add_i32 s2, s0, 1
	s_cmp_ge_u32 s1, s10
	s_cselect_b32 s8, s2, s0
	s_cmp_ge_u32 s8, s12
	s_cbranch_scc1 .LBB112_27
; %bb.1:
	s_clause 0x1
	s_load_dwordx2 s[6:7], s[4:5], 0xc
	s_load_dwordx4 s[0:3], s[4:5], 0x100
	s_lshl_b64 s[16:17], s[8:9], 2
	v_cmp_gt_u32_e32 vcc_lo, 0x100, v0
	v_lshlrev_b32_e32 v3, 2, v0
	s_waitcnt lgkmcnt(0)
	v_cvt_f32_u32_e32 v1, s7
	v_cvt_f32_u32_e32 v2, s6
	s_add_u32 s16, s0, s16
	s_addc_u32 s17, s1, s17
	s_sub_i32 s0, 0, s7
	v_rcp_iflag_f32_e32 v1, v1
	v_rcp_iflag_f32_e32 v2, v2
	v_mul_f32_e32 v1, 0x4f7ffffe, v1
	v_cvt_u32_f32_e32 v1, v1
	v_readfirstlane_b32 s9, v1
	v_mul_f32_e32 v1, 0x4f7ffffe, v2
	s_mul_i32 s0, s0, s9
	v_cvt_u32_f32_e32 v1, v1
	s_mul_hi_u32 s0, s9, s0
	s_add_i32 s9, s9, s0
	v_readfirstlane_b32 s19, v1
	s_mul_hi_u32 s0, s8, s9
	s_mul_i32 s1, s0, s7
	s_add_i32 s9, s0, 1
	s_sub_i32 s1, s8, s1
	s_sub_i32 s12, s1, s7
	s_cmp_ge_u32 s1, s7
	s_cselect_b32 s0, s9, s0
	s_cselect_b32 s1, s12, s1
	s_add_i32 s9, s0, 1
	s_cmp_ge_u32 s1, s7
	s_cselect_b32 s0, s9, s0
	s_and_saveexec_b32 s1, vcc_lo
; %bb.2:
	v_mov_b32_e32 v1, 0
	ds_write_b32 v3, v1
; %bb.3:
	s_or_b32 exec_lo, exec_lo, s1
	s_load_dword s9, s[4:5], 0xd8
	s_mul_i32 s1, s8, s10
	s_waitcnt lgkmcnt(0)
	s_sub_i32 s1, s18, s1
	s_barrier
	s_mul_i32 s12, s15, s1
	s_add_i32 s1, s1, 1
	s_lshl_b32 s12, s12, 8
	buffer_gl0_inv
	s_sub_i32 s20, s9, s12
	s_add_u32 s20, s20, 0xff
	s_addc_u32 s21, 0, 0
	s_lshr_b64 s[20:21], s[20:21], 8
	s_cmp_lt_u32 s1, s10
	s_mov_b32 s1, 0
	s_cselect_b32 s10, s15, s20
	s_cmp_lt_i32 s10, 1
	s_cbranch_scc1 .LBB112_25
; %bb.4:
	s_sub_i32 s15, 0, s6
	s_clause 0x1
	s_load_dwordx4 s[20:23], s[4:5], 0x6c
	s_load_dwordx2 s[24:25], s[4:5], 0x0
	s_mul_i32 s15, s15, s19
	s_mul_i32 s7, s0, s7
	s_mul_hi_u32 s15, s19, s15
	s_sub_i32 s7, s8, s7
	s_add_i32 s19, s19, s15
	s_mul_hi_u32 s15, s0, s19
	s_mul_i32 s19, s15, s6
	s_sub_i32 s8, s0, s19
	s_add_i32 s19, s15, 1
	s_waitcnt lgkmcnt(0)
	s_sub_i32 s23, s8, s6
	s_cmp_ge_u32 s8, s6
	s_cselect_b32 s5, s19, s15
	s_cselect_b32 s4, s23, s8
	s_add_i32 s8, s5, 1
	s_cmp_ge_u32 s4, s6
	s_load_dword s4, s[16:17], 0x0
	s_cselect_b32 s5, s8, s5
	s_mul_i32 s7, s7, s22
	s_mul_i32 s6, s5, s6
	;; [unrolled: 1-line block ×3, first 2 shown]
	s_sub_i32 s0, s0, s6
	s_mul_i32 s0, s0, s21
	s_add_i32 s0, s0, s7
	s_add_i32 s0, s0, s5
	s_lshl_b64 s[6:7], s[0:1], 1
	s_add_u32 s5, s24, s6
	s_addc_u32 s6, s25, s7
	s_and_b32 s7, s14, 0xff
	s_cmp_lt_u32 s10, 4
	s_cbranch_scc1 .LBB112_19
; %bb.5:
	v_add_nc_u32_e32 v1, s12, v0
	v_mov_b32_e32 v9, 1
	v_mov_b32_e32 v10, 0x8000
	s_and_b32 s1, s10, 0x7ffffffc
	s_lshl_b32 s8, s13, 10
	v_add_nc_u32_e32 v4, 0x300, v1
	v_add_nc_u32_e32 v2, 0x200, v1
	;; [unrolled: 1-line block ×3, first 2 shown]
	v_mul_lo_u32 v8, s13, v1
	s_mov_b32 s14, 0
	v_mul_lo_u32 v5, s13, v4
	v_mul_lo_u32 v6, s13, v2
	;; [unrolled: 1-line block ×3, first 2 shown]
	v_mov_b32_e32 v2, 0
	s_mov_b32 s15, 0
	s_branch .LBB112_7
.LBB112_6:                              ;   in Loop: Header=BB112_7 Depth=1
	s_or_b32 exec_lo, exec_lo, s16
	v_add_nc_u32_e32 v4, 0x400, v4
	s_add_i32 s15, s15, 4
	s_add_i32 s14, s14, s8
	s_cmp_eq_u32 s1, s15
	s_cbranch_scc1 .LBB112_19
.LBB112_7:                              ; =>This Inner Loop Header: Depth=1
	v_add_nc_u32_e32 v1, 0xfffffd00, v4
	s_mov_b32 s16, exec_lo
	v_cmpx_gt_u32_e64 s9, v1
	s_cbranch_execz .LBB112_10
; %bb.8:                                ;   in Loop: Header=BB112_7 Depth=1
	v_add_nc_u32_e32 v1, s14, v8
	v_lshlrev_b64 v[11:12], 1, v[1:2]
	v_add_co_u32 v11, s0, s5, v11
	v_add_co_ci_u32_e64 v12, null, s6, v12, s0
	global_load_ushort v1, v[11:12], off
	s_waitcnt vmcnt(0)
	v_cmp_lt_i16_e64 s0, -1, v1
	v_lshlrev_b32_e32 v12, 16, v1
	v_cndmask_b32_e64 v11, 0xffff, v10, s0
	v_cmp_o_f32_e64 s0, v12, v12
	v_xor_b32_sdwa v1, v11, v1 dst_sel:DWORD dst_unused:UNUSED_PAD src0_sel:DWORD src1_sel:WORD_0
	v_cndmask_b32_e64 v1, 0xffff, v1, s0
	s_waitcnt lgkmcnt(0)
	v_xor_b32_e32 v11, s4, v1
	v_and_b32_e32 v11, s11, v11
	v_cmp_eq_u32_e64 s0, 0, v11
	s_and_b32 exec_lo, exec_lo, s0
; %bb.9:                                ;   in Loop: Header=BB112_7 Depth=1
	v_bfe_u32 v1, v1, s7, 8
	v_lshlrev_b32_e32 v1, 2, v1
	ds_add_u32 v1, v9
.LBB112_10:                             ;   in Loop: Header=BB112_7 Depth=1
	s_or_b32 exec_lo, exec_lo, s16
	v_add_nc_u32_e32 v1, 0xfffffe00, v4
	s_mov_b32 s16, exec_lo
	v_cmpx_gt_u32_e64 s9, v1
	s_cbranch_execz .LBB112_13
; %bb.11:                               ;   in Loop: Header=BB112_7 Depth=1
	v_add_nc_u32_e32 v1, s14, v7
	v_lshlrev_b64 v[11:12], 1, v[1:2]
	v_add_co_u32 v11, s0, s5, v11
	v_add_co_ci_u32_e64 v12, null, s6, v12, s0
	global_load_ushort v1, v[11:12], off
	s_waitcnt vmcnt(0)
	v_cmp_lt_i16_e64 s0, -1, v1
	v_lshlrev_b32_e32 v12, 16, v1
	v_cndmask_b32_e64 v11, 0xffff, v10, s0
	v_cmp_o_f32_e64 s0, v12, v12
	v_xor_b32_sdwa v1, v11, v1 dst_sel:DWORD dst_unused:UNUSED_PAD src0_sel:DWORD src1_sel:WORD_0
	v_cndmask_b32_e64 v1, 0xffff, v1, s0
	s_waitcnt lgkmcnt(0)
	v_xor_b32_e32 v11, s4, v1
	v_and_b32_e32 v11, s11, v11
	v_cmp_eq_u32_e64 s0, 0, v11
	s_and_b32 exec_lo, exec_lo, s0
; %bb.12:                               ;   in Loop: Header=BB112_7 Depth=1
	v_bfe_u32 v1, v1, s7, 8
	v_lshlrev_b32_e32 v1, 2, v1
	ds_add_u32 v1, v9
.LBB112_13:                             ;   in Loop: Header=BB112_7 Depth=1
	s_or_b32 exec_lo, exec_lo, s16
	v_add_nc_u32_e32 v1, 0xffffff00, v4
	s_mov_b32 s16, exec_lo
	v_cmpx_gt_u32_e64 s9, v1
	s_cbranch_execz .LBB112_16
; %bb.14:                               ;   in Loop: Header=BB112_7 Depth=1
	v_add_nc_u32_e32 v1, s14, v6
	v_lshlrev_b64 v[11:12], 1, v[1:2]
	v_add_co_u32 v11, s0, s5, v11
	v_add_co_ci_u32_e64 v12, null, s6, v12, s0
	global_load_ushort v1, v[11:12], off
	s_waitcnt vmcnt(0)
	v_cmp_lt_i16_e64 s0, -1, v1
	v_lshlrev_b32_e32 v12, 16, v1
	v_cndmask_b32_e64 v11, 0xffff, v10, s0
	v_cmp_o_f32_e64 s0, v12, v12
	v_xor_b32_sdwa v1, v11, v1 dst_sel:DWORD dst_unused:UNUSED_PAD src0_sel:DWORD src1_sel:WORD_0
	v_cndmask_b32_e64 v1, 0xffff, v1, s0
	s_waitcnt lgkmcnt(0)
	v_xor_b32_e32 v11, s4, v1
	v_and_b32_e32 v11, s11, v11
	v_cmp_eq_u32_e64 s0, 0, v11
	s_and_b32 exec_lo, exec_lo, s0
; %bb.15:                               ;   in Loop: Header=BB112_7 Depth=1
	v_bfe_u32 v1, v1, s7, 8
	v_lshlrev_b32_e32 v1, 2, v1
	ds_add_u32 v1, v9
.LBB112_16:                             ;   in Loop: Header=BB112_7 Depth=1
	s_or_b32 exec_lo, exec_lo, s16
	s_mov_b32 s16, exec_lo
	v_cmpx_gt_u32_e64 s9, v4
	s_cbranch_execz .LBB112_6
; %bb.17:                               ;   in Loop: Header=BB112_7 Depth=1
	v_add_nc_u32_e32 v1, s14, v5
	v_lshlrev_b64 v[11:12], 1, v[1:2]
	v_add_co_u32 v11, s0, s5, v11
	v_add_co_ci_u32_e64 v12, null, s6, v12, s0
	global_load_ushort v1, v[11:12], off
	s_waitcnt vmcnt(0)
	v_cmp_lt_i16_e64 s0, -1, v1
	v_lshlrev_b32_e32 v12, 16, v1
	v_cndmask_b32_e64 v11, 0xffff, v10, s0
	v_cmp_o_f32_e64 s0, v12, v12
	v_xor_b32_sdwa v1, v11, v1 dst_sel:DWORD dst_unused:UNUSED_PAD src0_sel:DWORD src1_sel:WORD_0
	v_cndmask_b32_e64 v1, 0xffff, v1, s0
	s_waitcnt lgkmcnt(0)
	v_xor_b32_e32 v11, s4, v1
	v_and_b32_e32 v11, s11, v11
	v_cmp_eq_u32_e64 s0, 0, v11
	s_and_b32 exec_lo, exec_lo, s0
	s_cbranch_execz .LBB112_6
; %bb.18:                               ;   in Loop: Header=BB112_7 Depth=1
	v_bfe_u32 v1, v1, s7, 8
	v_lshlrev_b32_e32 v1, 2, v1
	ds_add_u32 v1, v9
	s_branch .LBB112_6
.LBB112_19:
	s_and_b32 s8, s10, 3
	s_cmp_eq_u32 s8, 0
	s_cbranch_scc1 .LBB112_25
; %bb.20:
	s_lshl_b32 s0, s1, 8
	v_mov_b32_e32 v2, 0
	v_add3_u32 v4, s0, s12, v0
	v_mov_b32_e32 v5, 1
	v_mov_b32_e32 v6, 0x8000
	s_lshl_b32 s1, s13, 8
	v_mul_lo_u32 v1, s13, v4
	s_inst_prefetch 0x1
	s_branch .LBB112_22
	.p2align	6
.LBB112_21:                             ;   in Loop: Header=BB112_22 Depth=1
	s_or_b32 exec_lo, exec_lo, s10
	v_add_nc_u32_e32 v1, s1, v1
	v_add_nc_u32_e32 v4, 0x100, v4
	s_add_i32 s8, s8, -1
	s_cmp_lg_u32 s8, 0
	s_cbranch_scc0 .LBB112_25
.LBB112_22:                             ; =>This Inner Loop Header: Depth=1
	s_mov_b32 s10, exec_lo
	v_cmpx_gt_u32_e64 s9, v4
	s_cbranch_execz .LBB112_21
; %bb.23:                               ;   in Loop: Header=BB112_22 Depth=1
	v_lshlrev_b64 v[7:8], 1, v[1:2]
	v_add_co_u32 v7, s0, s5, v7
	v_add_co_ci_u32_e64 v8, null, s6, v8, s0
	global_load_ushort v7, v[7:8], off
	s_waitcnt vmcnt(0)
	v_cmp_lt_i16_e64 s0, -1, v7
	v_lshlrev_b32_e32 v9, 16, v7
	v_cndmask_b32_e64 v8, 0xffff, v6, s0
	v_cmp_o_f32_e64 s0, v9, v9
	v_xor_b32_sdwa v7, v8, v7 dst_sel:DWORD dst_unused:UNUSED_PAD src0_sel:DWORD src1_sel:WORD_0
	v_cndmask_b32_e64 v7, 0xffff, v7, s0
	s_waitcnt lgkmcnt(0)
	v_xor_b32_e32 v8, s4, v7
	v_and_b32_e32 v8, s11, v8
	v_cmp_eq_u32_e64 s0, 0, v8
	s_and_b32 exec_lo, exec_lo, s0
	s_cbranch_execz .LBB112_21
; %bb.24:                               ;   in Loop: Header=BB112_22 Depth=1
	v_bfe_u32 v7, v7, s7, 8
	v_lshlrev_b32_e32 v7, 2, v7
	ds_add_u32 v7, v5
	s_branch .LBB112_21
.LBB112_25:
	s_inst_prefetch 0x2
	s_waitcnt lgkmcnt(0)
	s_barrier
	buffer_gl0_inv
	s_and_saveexec_b32 s0, vcc_lo
	s_cbranch_execz .LBB112_27
; %bb.26:
	ds_read_b32 v2, v3
	v_lshl_or_b32 v0, s18, 8, v0
	v_mov_b32_e32 v1, 0
	v_lshlrev_b64 v[0:1], 1, v[0:1]
	v_add_co_u32 v0, vcc_lo, s2, v0
	v_add_co_ci_u32_e64 v1, null, s3, v1, vcc_lo
	s_waitcnt lgkmcnt(0)
	global_store_short v[0:1], v2, off
.LBB112_27:
	s_endpgm
	.section	.rodata,"a",@progbits
	.p2align	6, 0x0
	.amdhsa_kernel _ZN2at6native6mbtopk23computeBlockDigitCountsIN3c108BFloat16EjjLi3EEEvNS_4cuda6detail10TensorInfoIKT_T0_EEjPjjSA_iijT1_PSD_Ps
		.amdhsa_group_segment_fixed_size 1024
		.amdhsa_private_segment_fixed_size 0
		.amdhsa_kernarg_size 528
		.amdhsa_user_sgpr_count 6
		.amdhsa_user_sgpr_private_segment_buffer 1
		.amdhsa_user_sgpr_dispatch_ptr 0
		.amdhsa_user_sgpr_queue_ptr 0
		.amdhsa_user_sgpr_kernarg_segment_ptr 1
		.amdhsa_user_sgpr_dispatch_id 0
		.amdhsa_user_sgpr_flat_scratch_init 0
		.amdhsa_user_sgpr_private_segment_size 0
		.amdhsa_wavefront_size32 1
		.amdhsa_uses_dynamic_stack 0
		.amdhsa_system_sgpr_private_segment_wavefront_offset 0
		.amdhsa_system_sgpr_workgroup_id_x 1
		.amdhsa_system_sgpr_workgroup_id_y 1
		.amdhsa_system_sgpr_workgroup_id_z 1
		.amdhsa_system_sgpr_workgroup_info 0
		.amdhsa_system_vgpr_workitem_id 0
		.amdhsa_next_free_vgpr 13
		.amdhsa_next_free_sgpr 26
		.amdhsa_reserve_vcc 1
		.amdhsa_reserve_flat_scratch 0
		.amdhsa_float_round_mode_32 0
		.amdhsa_float_round_mode_16_64 0
		.amdhsa_float_denorm_mode_32 3
		.amdhsa_float_denorm_mode_16_64 3
		.amdhsa_dx10_clamp 1
		.amdhsa_ieee_mode 1
		.amdhsa_fp16_overflow 0
		.amdhsa_workgroup_processor_mode 1
		.amdhsa_memory_ordered 1
		.amdhsa_forward_progress 1
		.amdhsa_shared_vgpr_count 0
		.amdhsa_exception_fp_ieee_invalid_op 0
		.amdhsa_exception_fp_denorm_src 0
		.amdhsa_exception_fp_ieee_div_zero 0
		.amdhsa_exception_fp_ieee_overflow 0
		.amdhsa_exception_fp_ieee_underflow 0
		.amdhsa_exception_fp_ieee_inexact 0
		.amdhsa_exception_int_div_zero 0
	.end_amdhsa_kernel
	.section	.text._ZN2at6native6mbtopk23computeBlockDigitCountsIN3c108BFloat16EjjLi3EEEvNS_4cuda6detail10TensorInfoIKT_T0_EEjPjjSA_iijT1_PSD_Ps,"axG",@progbits,_ZN2at6native6mbtopk23computeBlockDigitCountsIN3c108BFloat16EjjLi3EEEvNS_4cuda6detail10TensorInfoIKT_T0_EEjPjjSA_iijT1_PSD_Ps,comdat
.Lfunc_end112:
	.size	_ZN2at6native6mbtopk23computeBlockDigitCountsIN3c108BFloat16EjjLi3EEEvNS_4cuda6detail10TensorInfoIKT_T0_EEjPjjSA_iijT1_PSD_Ps, .Lfunc_end112-_ZN2at6native6mbtopk23computeBlockDigitCountsIN3c108BFloat16EjjLi3EEEvNS_4cuda6detail10TensorInfoIKT_T0_EEjPjjSA_iijT1_PSD_Ps
                                        ; -- End function
	.set _ZN2at6native6mbtopk23computeBlockDigitCountsIN3c108BFloat16EjjLi3EEEvNS_4cuda6detail10TensorInfoIKT_T0_EEjPjjSA_iijT1_PSD_Ps.num_vgpr, 13
	.set _ZN2at6native6mbtopk23computeBlockDigitCountsIN3c108BFloat16EjjLi3EEEvNS_4cuda6detail10TensorInfoIKT_T0_EEjPjjSA_iijT1_PSD_Ps.num_agpr, 0
	.set _ZN2at6native6mbtopk23computeBlockDigitCountsIN3c108BFloat16EjjLi3EEEvNS_4cuda6detail10TensorInfoIKT_T0_EEjPjjSA_iijT1_PSD_Ps.numbered_sgpr, 26
	.set _ZN2at6native6mbtopk23computeBlockDigitCountsIN3c108BFloat16EjjLi3EEEvNS_4cuda6detail10TensorInfoIKT_T0_EEjPjjSA_iijT1_PSD_Ps.num_named_barrier, 0
	.set _ZN2at6native6mbtopk23computeBlockDigitCountsIN3c108BFloat16EjjLi3EEEvNS_4cuda6detail10TensorInfoIKT_T0_EEjPjjSA_iijT1_PSD_Ps.private_seg_size, 0
	.set _ZN2at6native6mbtopk23computeBlockDigitCountsIN3c108BFloat16EjjLi3EEEvNS_4cuda6detail10TensorInfoIKT_T0_EEjPjjSA_iijT1_PSD_Ps.uses_vcc, 1
	.set _ZN2at6native6mbtopk23computeBlockDigitCountsIN3c108BFloat16EjjLi3EEEvNS_4cuda6detail10TensorInfoIKT_T0_EEjPjjSA_iijT1_PSD_Ps.uses_flat_scratch, 0
	.set _ZN2at6native6mbtopk23computeBlockDigitCountsIN3c108BFloat16EjjLi3EEEvNS_4cuda6detail10TensorInfoIKT_T0_EEjPjjSA_iijT1_PSD_Ps.has_dyn_sized_stack, 0
	.set _ZN2at6native6mbtopk23computeBlockDigitCountsIN3c108BFloat16EjjLi3EEEvNS_4cuda6detail10TensorInfoIKT_T0_EEjPjjSA_iijT1_PSD_Ps.has_recursion, 0
	.set _ZN2at6native6mbtopk23computeBlockDigitCountsIN3c108BFloat16EjjLi3EEEvNS_4cuda6detail10TensorInfoIKT_T0_EEjPjjSA_iijT1_PSD_Ps.has_indirect_call, 0
	.section	.AMDGPU.csdata,"",@progbits
; Kernel info:
; codeLenInByte = 1680
; TotalNumSgprs: 28
; NumVgprs: 13
; ScratchSize: 0
; MemoryBound: 0
; FloatMode: 240
; IeeeMode: 1
; LDSByteSize: 1024 bytes/workgroup (compile time only)
; SGPRBlocks: 0
; VGPRBlocks: 1
; NumSGPRsForWavesPerEU: 28
; NumVGPRsForWavesPerEU: 13
; Occupancy: 16
; WaveLimiterHint : 1
; COMPUTE_PGM_RSRC2:SCRATCH_EN: 0
; COMPUTE_PGM_RSRC2:USER_SGPR: 6
; COMPUTE_PGM_RSRC2:TRAP_HANDLER: 0
; COMPUTE_PGM_RSRC2:TGID_X_EN: 1
; COMPUTE_PGM_RSRC2:TGID_Y_EN: 1
; COMPUTE_PGM_RSRC2:TGID_Z_EN: 1
; COMPUTE_PGM_RSRC2:TIDIG_COMP_CNT: 0
	.section	.text._ZN2at6native6mbtopk10gatherTopKIN3c108BFloat16EjLi3EEEvNS_4cuda6detail10TensorInfoIKT_T0_EESA_SA_bjSA_NS7_IS8_SA_EESA_NS7_IlSA_EESA_jjPS8_PjSF_j,"axG",@progbits,_ZN2at6native6mbtopk10gatherTopKIN3c108BFloat16EjLi3EEEvNS_4cuda6detail10TensorInfoIKT_T0_EESA_SA_bjSA_NS7_IS8_SA_EESA_NS7_IlSA_EESA_jjPS8_PjSF_j,comdat
	.protected	_ZN2at6native6mbtopk10gatherTopKIN3c108BFloat16EjLi3EEEvNS_4cuda6detail10TensorInfoIKT_T0_EESA_SA_bjSA_NS7_IS8_SA_EESA_NS7_IlSA_EESA_jjPS8_PjSF_j ; -- Begin function _ZN2at6native6mbtopk10gatherTopKIN3c108BFloat16EjLi3EEEvNS_4cuda6detail10TensorInfoIKT_T0_EESA_SA_bjSA_NS7_IS8_SA_EESA_NS7_IlSA_EESA_jjPS8_PjSF_j
	.globl	_ZN2at6native6mbtopk10gatherTopKIN3c108BFloat16EjLi3EEEvNS_4cuda6detail10TensorInfoIKT_T0_EESA_SA_bjSA_NS7_IS8_SA_EESA_NS7_IlSA_EESA_jjPS8_PjSF_j
	.p2align	8
	.type	_ZN2at6native6mbtopk10gatherTopKIN3c108BFloat16EjLi3EEEvNS_4cuda6detail10TensorInfoIKT_T0_EESA_SA_bjSA_NS7_IS8_SA_EESA_NS7_IlSA_EESA_jjPS8_PjSF_j,@function
_ZN2at6native6mbtopk10gatherTopKIN3c108BFloat16EjLi3EEEvNS_4cuda6detail10TensorInfoIKT_T0_EESA_SA_bjSA_NS7_IS8_SA_EESA_NS7_IlSA_EESA_jjPS8_PjSF_j: ; @_ZN2at6native6mbtopk10gatherTopKIN3c108BFloat16EjLi3EEEvNS_4cuda6detail10TensorInfoIKT_T0_EESA_SA_bjSA_NS7_IS8_SA_EESA_NS7_IlSA_EESA_jjPS8_PjSF_j
; %bb.0:
	s_clause 0x1
	s_load_dwordx2 s[0:1], s[4:5], 0x2d8
	s_load_dword s2, s[4:5], 0x2d0
	s_waitcnt lgkmcnt(0)
	s_mul_i32 s1, s1, s8
	s_add_i32 s1, s1, s7
	s_mul_i32 s0, s1, s0
	s_add_i32 s0, s0, s6
	s_cmp_ge_u32 s0, s2
	s_cbranch_scc1 .LBB113_40
; %bb.1:
	s_clause 0x3
	s_load_dwordx8 s[8:15], s[4:5], 0x2a8
	s_load_dwordx2 s[36:37], s[4:5], 0xc
	s_load_dwordx2 s[34:35], s[4:5], 0xfc
	s_load_dwordx2 s[6:7], s[4:5], 0x1dc
	s_mov_b32 s39, 0
	s_load_dwordx2 s[2:3], s[4:5], 0x1d0
	s_waitcnt lgkmcnt(0)
	v_cvt_f32_u32_e32 v1, s10
	v_cvt_f32_u32_e32 v2, s37
	s_sub_i32 s1, 0, s10
	v_cvt_f32_u32_e32 v4, s35
	v_cvt_f32_u32_e32 v3, s36
	v_rcp_iflag_f32_e32 v1, v1
	v_rcp_iflag_f32_e32 v2, v2
	v_cvt_f32_u32_e32 v5, s34
	v_rcp_iflag_f32_e32 v4, v4
	v_rcp_iflag_f32_e32 v3, v3
	v_cvt_f32_u32_e32 v6, s7
	v_rcp_iflag_f32_e32 v5, v5
	v_rcp_iflag_f32_e32 v6, v6
	v_mul_f32_e32 v1, 0x4f7ffffe, v1
	v_mul_f32_e32 v2, 0x4f7ffffe, v2
	;; [unrolled: 1-line block ×3, first 2 shown]
	v_cvt_u32_f32_e32 v1, v1
	v_cvt_u32_f32_e32 v2, v2
	;; [unrolled: 1-line block ×3, first 2 shown]
	v_readfirstlane_b32 s11, v1
	v_readfirstlane_b32 s18, v2
	v_mul_f32_e32 v2, 0x4f7ffffe, v4
	v_mul_f32_e32 v4, 0x4f7ffffe, v5
	;; [unrolled: 1-line block ×3, first 2 shown]
	s_mul_i32 s1, s1, s11
	v_cvt_f32_u32_e32 v1, s6
	s_mul_hi_u32 s1, s11, s1
	v_cvt_u32_f32_e32 v2, v2
	s_add_i32 s11, s11, s1
	s_mul_hi_u32 s1, s0, s11
	v_rcp_iflag_f32_e32 v1, v1
	s_mul_i32 s11, s1, s10
	s_add_i32 s16, s1, 1
	s_sub_i32 s11, s0, s11
	s_sub_i32 s17, s11, s10
	s_cmp_ge_u32 s11, s10
	s_cselect_b32 s1, s16, s1
	s_cselect_b32 s11, s17, s11
	s_add_i32 s16, s1, 1
	s_cmp_ge_u32 s11, s10
	v_mul_f32_e32 v1, 0x4f7ffffe, v1
	s_cselect_b32 s38, s16, s1
	s_sub_i32 s1, 0, s37
	s_mul_i32 s28, s38, s10
	s_mul_i32 s1, s1, s18
	s_sub_i32 s11, s0, s28
	s_mul_hi_u32 s1, s18, s1
	v_cvt_u32_f32_e32 v1, v1
	s_add_i32 s18, s18, s1
	s_mul_hi_u32 s1, s38, s18
	v_readfirstlane_b32 s18, v2
	s_mul_i32 s16, s1, s37
	v_cvt_u32_f32_e32 v2, v4
	s_sub_i32 s0, s38, s16
	s_add_i32 s16, s1, 1
	s_sub_i32 s17, s0, s37
	s_cmp_ge_u32 s0, s37
	s_cselect_b32 s1, s16, s1
	s_cselect_b32 s0, s17, s0
	s_add_i32 s16, s1, 1
	s_cmp_ge_u32 s0, s37
	s_cselect_b32 s49, s16, s1
	s_sub_i32 s0, 0, s35
	v_readfirstlane_b32 s1, v3
	s_mul_i32 s0, s0, s18
	s_sub_i32 s16, 0, s36
	s_mul_hi_u32 s0, s18, s0
	v_cvt_u32_f32_e32 v3, v5
	s_add_i32 s18, s18, s0
	s_mul_i32 s16, s16, s1
	s_mul_hi_u32 s0, s38, s18
	s_mul_hi_u32 s16, s1, s16
	s_mul_i32 s17, s0, s35
	s_add_i32 s29, s1, s16
	s_sub_i32 s1, s38, s17
	s_add_i32 s16, s0, 1
	s_sub_i32 s17, s1, s35
	s_cmp_ge_u32 s1, s35
	v_readfirstlane_b32 s18, v3
	s_cselect_b32 s0, s16, s0
	s_cselect_b32 s1, s17, s1
	s_add_i32 s16, s0, 1
	s_cmp_ge_u32 s1, s35
	v_readfirstlane_b32 s1, v2
	s_cselect_b32 s48, s16, s0
	s_sub_i32 s0, 0, s7
	s_sub_i32 s16, 0, s34
	s_mul_i32 s0, s0, s18
	s_mul_i32 s16, s16, s1
	s_mul_hi_u32 s0, s18, s0
	s_mul_hi_u32 s16, s1, s16
	s_add_i32 s18, s18, s0
	s_add_i32 s30, s1, s16
	s_mul_hi_u32 s0, s38, s18
	v_readfirstlane_b32 s18, v1
	s_mul_i32 s17, s0, s7
	s_add_i32 s16, s0, 1
	s_sub_i32 s1, s38, s17
	v_mov_b32_e32 v1, 0
	s_sub_i32 s17, s1, s7
	s_cmp_ge_u32 s1, s7
	s_mul_hi_u32 s50, s49, s29
	s_cselect_b32 s0, s16, s0
	s_cselect_b32 s1, s17, s1
	s_add_i32 s16, s0, 1
	s_cmp_ge_u32 s1, s7
	s_cselect_b32 s33, s16, s0
	s_sub_i32 s0, 0, s6
	s_mul_i32 s0, s0, s18
	s_mul_hi_u32 s16, s18, s0
	s_lshl_b64 s[0:1], s[38:39], 1
	s_add_i32 s31, s18, s16
	s_add_u32 s0, s12, s0
	s_addc_u32 s1, s13, s1
	global_load_ushort v1, v1, s[0:1]
	s_clause 0x4
	s_load_dwordx2 s[42:43], s[4:5], 0x0
	s_load_dwordx4 s[20:23], s[4:5], 0x15c
	s_load_dwordx4 s[16:19], s[4:5], 0x23c
	s_load_dwordx2 s[40:41], s[4:5], 0xf0
	s_load_dwordx4 s[24:27], s[4:5], 0x6c
	v_cmp_ne_u32_e64 s0, 0, v0
	v_cmp_eq_u32_e64 s1, 0, v0
	s_waitcnt lgkmcnt(0)
	s_mul_hi_u32 s27, s48, s30
	s_mul_hi_u32 s23, s33, s31
	s_waitcnt vmcnt(0)
	v_readfirstlane_b32 s19, v1
	s_and_saveexec_b32 s51, s1
	s_cbranch_execz .LBB113_17
; %bb.2:
	s_load_dwordx2 s[12:13], s[4:5], 0x2c8
	s_mov_b32 s29, s39
	s_lshl_b64 s[44:45], s[28:29], 2
	s_add_u32 s28, s14, s44
	s_addc_u32 s29, s15, s45
	s_waitcnt lgkmcnt(0)
	s_add_u32 s30, s12, s44
	s_addc_u32 s31, s13, s45
	s_cmp_lt_u32 s10, 4
	s_cbranch_scc1 .LBB113_14
; %bb.3:
	s_mov_b32 s52, s39
	s_mov_b32 s53, s39
	;; [unrolled: 1-line block ×3, first 2 shown]
.LBB113_4:                              ; =>This Inner Loop Header: Depth=1
	s_add_u32 s28, s14, s44
	s_addc_u32 s29, s15, s45
	s_add_u32 s46, s12, s44
	s_load_dwordx4 s[28:31], s[28:29], 0x0
	s_addc_u32 s47, s13, s45
	s_cmp_ge_u32 s54, s11
	s_cbranch_scc0 .LBB113_11
; %bb.5:                                ;   in Loop: Header=BB113_4 Depth=1
	s_add_i32 s55, s54, 1
	s_cmp_ge_u32 s55, s11
	s_cbranch_scc0 .LBB113_12
.LBB113_6:                              ;   in Loop: Header=BB113_4 Depth=1
	s_add_i32 s55, s55, 1
	s_cmp_ge_u32 s55, s11
	s_cbranch_scc0 .LBB113_13
.LBB113_7:                              ;   in Loop: Header=BB113_4 Depth=1
	s_add_i32 s55, s55, 1
	s_cmp_ge_u32 s55, s11
	s_cbranch_scc1 .LBB113_9
.LBB113_8:                              ;   in Loop: Header=BB113_4 Depth=1
	s_load_dword s46, s[46:47], 0xc
	s_waitcnt lgkmcnt(0)
	s_add_i32 s39, s39, s31
	s_add_i32 s52, s46, s52
.LBB113_9:                              ;   in Loop: Header=BB113_4 Depth=1
	s_waitcnt lgkmcnt(0)
	s_add_i32 s28, s28, s53
	s_add_i32 s28, s28, s29
	;; [unrolled: 1-line block ×4, first 2 shown]
	s_add_u32 s14, s14, 16
	s_addc_u32 s15, s15, 0
	s_add_u32 s12, s12, 16
	s_addc_u32 s13, s13, 0
	s_add_i32 s47, s55, 4
	s_add_u32 s30, s12, s44
	s_addc_u32 s31, s13, s45
	s_add_u32 s28, s14, s44
	s_addc_u32 s29, s15, s45
	s_add_i32 s46, s55, 1
	s_cmp_ge_u32 s47, s10
	s_cbranch_scc1 .LBB113_15
; %bb.10:                               ;   in Loop: Header=BB113_4 Depth=1
	s_mov_b32 s54, s46
	s_branch .LBB113_4
.LBB113_11:                             ;   in Loop: Header=BB113_4 Depth=1
	s_load_dword s55, s[46:47], 0x0
	s_waitcnt lgkmcnt(0)
	s_add_i32 s39, s28, s39
	s_add_i32 s52, s55, s52
	;; [unrolled: 1-line block ×3, first 2 shown]
	s_cmp_ge_u32 s55, s11
	s_cbranch_scc1 .LBB113_6
.LBB113_12:                             ;   in Loop: Header=BB113_4 Depth=1
	s_load_dword s56, s[46:47], 0x4
	s_waitcnt lgkmcnt(0)
	s_add_i32 s39, s39, s29
	s_add_i32 s52, s56, s52
	s_add_i32 s55, s55, 1
	s_cmp_ge_u32 s55, s11
	s_cbranch_scc1 .LBB113_7
.LBB113_13:                             ;   in Loop: Header=BB113_4 Depth=1
	s_load_dword s56, s[46:47], 0x8
	s_waitcnt lgkmcnt(0)
	s_add_i32 s39, s39, s30
	s_add_i32 s52, s56, s52
	;; [unrolled: 1-line block ×3, first 2 shown]
	s_cmp_ge_u32 s55, s11
	s_cbranch_scc0 .LBB113_8
	s_branch .LBB113_9
.LBB113_14:
	s_mov_b32 s52, 0
	s_mov_b32 s53, 0
	;; [unrolled: 1-line block ×3, first 2 shown]
	s_cmp_ge_u32 s12, s10
	s_cbranch_scc0 .LBB113_38
	s_branch .LBB113_16
.LBB113_15:
	s_add_i32 s12, s54, 4
	s_cmp_ge_u32 s12, s10
	s_cbranch_scc0 .LBB113_38
.LBB113_16:
	v_mov_b32_e32 v1, s52
	v_mov_b32_e32 v2, s53
	;; [unrolled: 1-line block ×4, first 2 shown]
	ds_write_b96 v4, v[1:3] offset:1056
.LBB113_17:
	s_or_b32 exec_lo, exec_lo, s51
	s_load_dwordx4 s[12:15], s[4:5], 0xd8
	s_waitcnt lgkmcnt(0)
	s_mul_i32 s15, s9, s11
	s_add_i32 s11, s11, 1
	s_lshl_b32 s28, s15, 8
	s_barrier
	buffer_gl0_inv
	s_sub_i32 s15, s12, s28
	s_add_u32 s30, s15, 0xff
	s_addc_u32 s31, 0, 0
	s_lshr_b64 s[30:31], s[30:31], 8
	s_cmp_lt_u32 s11, s10
	s_mov_b32 s11, 0
	s_cselect_b32 s9, s9, s30
	s_cmp_eq_u32 s9, 0
	s_cbranch_scc1 .LBB113_40
; %bb.18:
	s_mul_i32 s15, s50, s36
	s_mul_i32 s10, s49, s37
	s_sub_i32 s15, s49, s15
	s_sub_i32 s10, s38, s10
	s_add_i32 s29, s50, 1
	s_sub_i32 s30, s15, s36
	s_cmp_ge_u32 s15, s36
	s_mul_i32 s10, s10, s26
	s_cselect_b32 s29, s29, s50
	s_cselect_b32 s15, s30, s15
	s_add_i32 s30, s29, 1
	s_cmp_ge_u32 s15, s36
	s_mul_i32 s15, s48, s35
	s_cselect_b32 s29, s30, s29
	s_mul_i32 s30, s27, s34
	s_mul_i32 s31, s29, s36
	;; [unrolled: 1-line block ×3, first 2 shown]
	s_sub_i32 s26, s49, s31
	s_sub_i32 s24, s48, s30
	s_mul_i32 s25, s26, s25
	s_sub_i32 s15, s38, s15
	s_add_i32 s10, s25, s10
	s_add_i32 s25, s27, 1
	;; [unrolled: 1-line block ×3, first 2 shown]
	s_sub_i32 s26, s24, s34
	s_cmp_ge_u32 s24, s34
	s_mul_i32 s15, s15, s22
	s_cselect_b32 s25, s25, s27
	s_cselect_b32 s24, s26, s24
	s_add_i32 s26, s25, 1
	s_cmp_ge_u32 s24, s34
	s_mul_i32 s7, s33, s7
	s_cselect_b32 s24, s26, s25
	s_mul_i32 s26, s23, s6
	s_mul_i32 s25, s24, s34
	;; [unrolled: 1-line block ×3, first 2 shown]
	s_sub_i32 s25, s48, s25
	s_sub_i32 s7, s38, s7
	s_mul_i32 s21, s25, s21
	v_mov_b32_e32 v5, 0
	s_add_i32 s15, s21, s15
	s_add_i32 s21, s23, 1
	;; [unrolled: 1-line block ×3, first 2 shown]
	s_sub_i32 s15, s33, s26
	ds_read_b96 v[1:3], v5 offset:1056
	s_sub_i32 s22, s15, s6
	s_cmp_ge_u32 s15, s6
	s_mul_i32 s7, s7, s18
	s_cselect_b32 s21, s21, s23
	s_cselect_b32 s15, s22, s15
	s_add_i32 s22, s21, 1
	s_cmp_ge_u32 s15, s6
	s_load_dword s18, s[4:5], 0xe8
	s_cselect_b32 s15, s22, s21
	s_mov_b32 s21, s11
	s_mul_i32 s6, s15, s6
	s_mul_i32 s15, s15, s16
	s_sub_i32 s6, s33, s6
	v_lshrrev_b32_e32 v4, 3, v0
	s_mul_i32 s6, s6, s17
	s_mov_b32 s17, s11
	s_add_i32 s16, s6, s7
	s_lshl_b64 s[6:7], s[10:11], 1
	s_add_i32 s16, s16, s15
	s_add_u32 s6, s42, s6
	s_addc_u32 s7, s43, s7
	s_lshl_b64 s[20:21], s[20:21], 1
	v_add_nc_u32_e32 v9, -1, v0
	s_add_u32 s10, s40, s20
	s_addc_u32 s11, s41, s21
	s_lshl_b64 s[16:17], s[16:17], 3
	s_load_dword s4, s[4:5], 0x1c8
	s_add_u32 s15, s2, s16
	s_sext_i32_i16 s2, s19
	s_addc_u32 s16, s3, s17
	s_and_b32 s3, 0xffff, s19
	s_cmp_gt_i32 s2, -1
	s_mov_b32 s2, 0x8000
	v_and_b32_e32 v4, 28, v4
	v_lshrrev_b32_e32 v8, 3, v9
	s_cselect_b32 s2, s2, 0xffff
	s_lshl_b32 s17, s19, 16
	s_waitcnt lgkmcnt(0)
	v_add_nc_u32_e32 v6, v1, v2
	v_cmp_o_f32_e64 s17, s17, s17
	v_lshl_add_u32 v7, v0, 2, v4
	v_and_b32_e32 v4, 0x1ffffffc, v8
	v_add_nc_u32_e32 v1, s28, v0
	s_xor_b32 s2, s2, s3
	v_and_b32_e32 v2, 0xfc, v0
	v_lshlrev_b32_e32 v10, 5, v0
	v_mbcnt_lo_u32_b32 v8, -1, 0
	s_and_b32 s3, s17, exec_lo
	s_cselect_b32 s17, s2, 0xffff
	v_cmp_gt_u32_e64 s2, 32, v0
	v_lshl_add_u32 v0, v9, 2, v4
	v_mul_lo_u32 v4, s18, v1
	v_add_nc_u32_e32 v9, v2, v10
	v_and_b32_e32 v10, 15, v8
	v_bfe_i32 v11, v8, 4, 1
	v_add_nc_u32_e32 v12, -1, v8
	v_mov_b32_e32 v13, 0x8000
	s_bitcmp1_b32 s14, 0
                                        ; implicit-def: $vgpr14
	s_cselect_b32 s3, -1, 0
	s_lshl_b32 s5, s18, 8
	s_branch .LBB113_21
.LBB113_19:                             ;   in Loop: Header=BB113_21 Depth=1
	s_or_b32 exec_lo, exec_lo, s14
	v_add_nc_u32_e32 v6, v17, v6
.LBB113_20:                             ;   in Loop: Header=BB113_21 Depth=1
	v_add_nc_u32_e32 v3, v16, v3
	v_add_nc_u32_e32 v4, s5, v4
	;; [unrolled: 1-line block ×3, first 2 shown]
	s_add_i32 s9, s9, -1
	s_cmp_lg_u32 s9, 0
	s_cbranch_scc0 .LBB113_40
.LBB113_21:                             ; =>This Inner Loop Header: Depth=1
	v_mov_b32_e32 v2, 0
	v_mov_b32_e32 v15, 0
	s_mov_b32 s14, exec_lo
	v_cmpx_gt_u32_e64 s12, v1
	s_cbranch_execz .LBB113_23
; %bb.22:                               ;   in Loop: Header=BB113_21 Depth=1
	v_lshlrev_b64 v[14:15], 1, v[4:5]
	v_add_co_u32 v14, vcc_lo, s6, v14
	v_add_co_ci_u32_e64 v15, null, s7, v15, vcc_lo
	global_load_ushort v14, v[14:15], off
	s_waitcnt vmcnt(0)
	v_cmp_lt_i16_e32 vcc_lo, -1, v14
	v_lshlrev_b32_e32 v15, 16, v14
	v_cndmask_b32_e32 v2, 0xffff, v13, vcc_lo
	v_cmp_o_f32_e32 vcc_lo, v15, v15
	v_xor_b32_sdwa v2, v2, v14 dst_sel:DWORD dst_unused:UNUSED_PAD src0_sel:DWORD src1_sel:WORD_0
	v_cndmask_b32_e32 v15, 0xffff, v2, vcc_lo
	v_cmp_lt_u32_e32 vcc_lo, s17, v15
	v_cndmask_b32_e64 v2, 0, 1, vcc_lo
	v_cmp_gt_u32_e32 vcc_lo, s17, v15
	v_cndmask_b32_e64 v16, 0, 1, vcc_lo
	v_cmp_eq_u32_e32 vcc_lo, s17, v15
	v_cndmask_b32_e64 v2, v16, v2, s3
	v_cndmask_b32_e64 v15, 0, 1, vcc_lo
	v_and_b32_e32 v2, 1, v2
.LBB113_23:                             ;   in Loop: Header=BB113_21 Depth=1
	s_or_b32 exec_lo, exec_lo, s14
	ds_write_b32 v7, v2
	s_waitcnt lgkmcnt(0)
	s_barrier
	buffer_gl0_inv
	s_and_saveexec_b32 s14, s2
	s_cbranch_execz .LBB113_25
; %bb.24:                               ;   in Loop: Header=BB113_21 Depth=1
	ds_read2_b32 v[16:17], v9 offset1:1
	ds_read2_b32 v[18:19], v9 offset0:2 offset1:3
	ds_read2_b32 v[20:21], v9 offset0:4 offset1:5
	;; [unrolled: 1-line block ×3, first 2 shown]
	v_cmp_ne_u32_e32 vcc_lo, 0, v10
	; wave barrier
	s_waitcnt lgkmcnt(3)
	v_add_nc_u32_e32 v17, v17, v16
	s_waitcnt lgkmcnt(2)
	v_add3_u32 v17, v17, v18, v19
	s_waitcnt lgkmcnt(1)
	v_add3_u32 v17, v17, v20, v21
	;; [unrolled: 2-line block ×3, first 2 shown]
	v_mov_b32_dpp v18, v17 row_shr:1 row_mask:0xf bank_mask:0xf
	v_cndmask_b32_e32 v18, 0, v18, vcc_lo
	v_cmp_lt_u32_e32 vcc_lo, 1, v10
	v_add_nc_u32_e32 v17, v18, v17
	v_mov_b32_dpp v18, v17 row_shr:2 row_mask:0xf bank_mask:0xf
	v_cndmask_b32_e32 v18, 0, v18, vcc_lo
	v_cmp_lt_u32_e32 vcc_lo, 3, v10
	v_add_nc_u32_e32 v17, v17, v18
	;; [unrolled: 4-line block ×3, first 2 shown]
	v_mov_b32_dpp v18, v17 row_shr:8 row_mask:0xf bank_mask:0xf
	v_cndmask_b32_e32 v18, 0, v18, vcc_lo
	v_cmp_gt_i32_e32 vcc_lo, 0, v12
	v_add_nc_u32_e32 v17, v17, v18
	v_cndmask_b32_e32 v19, v12, v8, vcc_lo
	ds_swizzle_b32 v18, v17 offset:swizzle(BROADCAST,32,15)
	v_lshlrev_b32_e32 v19, 2, v19
	s_waitcnt lgkmcnt(0)
	v_and_b32_e32 v18, v11, v18
	v_add_nc_u32_e32 v17, v17, v18
	ds_bpermute_b32 v17, v19, v17
	s_waitcnt lgkmcnt(0)
	v_add_nc_u32_e32 v16, v17, v16
	v_cndmask_b32_e64 v22, v16, v2, s1
	ds_write_b32 v9, v22
	; wave barrier
	ds_read2_b32 v[16:17], v9 offset0:1 offset1:2
	ds_read2_b32 v[18:19], v9 offset0:3 offset1:4
	;; [unrolled: 1-line block ×3, first 2 shown]
	ds_read_b32 v23, v9 offset:28
	s_waitcnt lgkmcnt(3)
	v_add_nc_u32_e32 v16, v16, v22
	v_add_nc_u32_e32 v17, v17, v16
	s_waitcnt lgkmcnt(2)
	v_add_nc_u32_e32 v18, v18, v17
	v_add_nc_u32_e32 v19, v19, v18
	;; [unrolled: 3-line block ×3, first 2 shown]
	s_waitcnt lgkmcnt(0)
	v_add_nc_u32_e32 v22, v23, v21
	ds_write2_b32 v9, v16, v17 offset0:1 offset1:2
	ds_write2_b32 v9, v18, v19 offset0:3 offset1:4
	;; [unrolled: 1-line block ×3, first 2 shown]
	ds_write_b32 v9, v22 offset:28
.LBB113_25:                             ;   in Loop: Header=BB113_21 Depth=1
	s_or_b32 exec_lo, exec_lo, s14
	v_mov_b32_e32 v17, 0
	s_waitcnt lgkmcnt(0)
	s_barrier
	buffer_gl0_inv
	s_and_saveexec_b32 s14, s0
; %bb.26:                               ;   in Loop: Header=BB113_21 Depth=1
	ds_read_b32 v17, v0
; %bb.27:                               ;   in Loop: Header=BB113_21 Depth=1
	s_or_b32 exec_lo, exec_lo, s14
	ds_read_b32 v16, v5 offset:1048
	s_mov_b32 s14, exec_lo
	s_waitcnt lgkmcnt(0)
	s_barrier
	buffer_gl0_inv
	v_cmpx_ne_u32_e32 0, v2
	s_cbranch_execz .LBB113_29
; %bb.28:                               ;   in Loop: Header=BB113_21 Depth=1
	v_add_nc_u32_e32 v2, v17, v3
	v_mov_b32_e32 v18, v5
	v_mov_b32_e32 v20, v5
	v_mul_lo_u32 v17, v2, s4
	v_mul_lo_u32 v19, v2, s8
	v_mov_b32_e32 v2, v5
	v_lshlrev_b64 v[17:18], 1, v[17:18]
	v_lshlrev_b64 v[19:20], 3, v[19:20]
	v_add_co_u32 v17, vcc_lo, s10, v17
	v_add_co_ci_u32_e64 v18, null, s11, v18, vcc_lo
	v_add_co_u32 v19, vcc_lo, s15, v19
	v_add_co_ci_u32_e64 v20, null, s16, v20, vcc_lo
	global_store_short v[17:18], v14, off
	global_store_dwordx2 v[19:20], v[1:2], off
.LBB113_29:                             ;   in Loop: Header=BB113_21 Depth=1
	s_or_b32 exec_lo, exec_lo, s14
	v_cmp_le_u32_e32 vcc_lo, s13, v6
	s_cbranch_vccnz .LBB113_20
; %bb.30:                               ;   in Loop: Header=BB113_21 Depth=1
	ds_write_b32 v7, v15
	s_waitcnt lgkmcnt(0)
	s_waitcnt_vscnt null, 0x0
	s_barrier
	buffer_gl0_inv
	s_and_saveexec_b32 s14, s2
	s_cbranch_execz .LBB113_32
; %bb.31:                               ;   in Loop: Header=BB113_21 Depth=1
	ds_read2_b32 v[17:18], v9 offset1:1
	ds_read2_b32 v[19:20], v9 offset0:2 offset1:3
	ds_read2_b32 v[21:22], v9 offset0:4 offset1:5
	;; [unrolled: 1-line block ×3, first 2 shown]
	v_cmp_ne_u32_e32 vcc_lo, 0, v10
	; wave barrier
	s_waitcnt lgkmcnt(3)
	v_add_nc_u32_e32 v2, v18, v17
	s_waitcnt lgkmcnt(2)
	v_add3_u32 v2, v2, v19, v20
	s_waitcnt lgkmcnt(1)
	v_add3_u32 v2, v2, v21, v22
	;; [unrolled: 2-line block ×3, first 2 shown]
	v_mov_b32_dpp v18, v2 row_shr:1 row_mask:0xf bank_mask:0xf
	v_cndmask_b32_e32 v18, 0, v18, vcc_lo
	v_cmp_lt_u32_e32 vcc_lo, 1, v10
	v_add_nc_u32_e32 v2, v18, v2
	v_mov_b32_dpp v18, v2 row_shr:2 row_mask:0xf bank_mask:0xf
	v_cndmask_b32_e32 v18, 0, v18, vcc_lo
	v_cmp_lt_u32_e32 vcc_lo, 3, v10
	v_add_nc_u32_e32 v2, v2, v18
	;; [unrolled: 4-line block ×3, first 2 shown]
	v_mov_b32_dpp v18, v2 row_shr:8 row_mask:0xf bank_mask:0xf
	v_cndmask_b32_e32 v18, 0, v18, vcc_lo
	v_cmp_gt_i32_e32 vcc_lo, 0, v12
	v_add_nc_u32_e32 v2, v2, v18
	v_cndmask_b32_e32 v19, v12, v8, vcc_lo
	ds_swizzle_b32 v18, v2 offset:swizzle(BROADCAST,32,15)
	v_lshlrev_b32_e32 v19, 2, v19
	s_waitcnt lgkmcnt(0)
	v_and_b32_e32 v18, v11, v18
	v_add_nc_u32_e32 v2, v2, v18
	ds_bpermute_b32 v2, v19, v2
	s_waitcnt lgkmcnt(0)
	v_add_nc_u32_e32 v2, v2, v17
	v_cndmask_b32_e64 v2, v2, v15, s1
	ds_write_b32 v9, v2
	; wave barrier
	ds_read2_b32 v[17:18], v9 offset0:1 offset1:2
	ds_read2_b32 v[19:20], v9 offset0:3 offset1:4
	;; [unrolled: 1-line block ×3, first 2 shown]
	ds_read_b32 v23, v9 offset:28
	s_waitcnt lgkmcnt(3)
	v_add_nc_u32_e32 v2, v17, v2
	v_add_nc_u32_e32 v17, v18, v2
	s_waitcnt lgkmcnt(2)
	v_add_nc_u32_e32 v18, v19, v17
	v_add_nc_u32_e32 v19, v20, v18
	;; [unrolled: 3-line block ×3, first 2 shown]
	s_waitcnt lgkmcnt(0)
	v_add_nc_u32_e32 v22, v23, v21
	ds_write2_b32 v9, v2, v17 offset0:1 offset1:2
	ds_write2_b32 v9, v18, v19 offset0:3 offset1:4
	;; [unrolled: 1-line block ×3, first 2 shown]
	ds_write_b32 v9, v22 offset:28
.LBB113_32:                             ;   in Loop: Header=BB113_21 Depth=1
	s_or_b32 exec_lo, exec_lo, s14
	v_mov_b32_e32 v2, 0
	s_waitcnt lgkmcnt(0)
	s_barrier
	buffer_gl0_inv
	s_and_saveexec_b32 s14, s0
; %bb.33:                               ;   in Loop: Header=BB113_21 Depth=1
	ds_read_b32 v2, v0
; %bb.34:                               ;   in Loop: Header=BB113_21 Depth=1
	s_or_b32 exec_lo, exec_lo, s14
	ds_read_b32 v17, v5 offset:1048
	s_mov_b32 s14, exec_lo
	s_waitcnt lgkmcnt(0)
	s_barrier
	buffer_gl0_inv
	v_cmpx_ne_u32_e32 0, v15
	s_cbranch_execz .LBB113_19
; %bb.35:                               ;   in Loop: Header=BB113_21 Depth=1
	v_add_nc_u32_e32 v2, v2, v6
	v_cmp_gt_u32_e32 vcc_lo, s13, v2
	s_and_b32 exec_lo, exec_lo, vcc_lo
	s_cbranch_execz .LBB113_19
; %bb.36:                               ;   in Loop: Header=BB113_21 Depth=1
	v_mul_lo_u32 v18, v2, s4
	v_mul_lo_u32 v20, v2, s8
	v_mov_b32_e32 v19, v5
	v_mov_b32_e32 v21, v5
	;; [unrolled: 1-line block ×3, first 2 shown]
	v_lshlrev_b64 v[18:19], 1, v[18:19]
	v_lshlrev_b64 v[20:21], 3, v[20:21]
	v_add_co_u32 v18, vcc_lo, s10, v18
	v_add_co_ci_u32_e64 v19, null, s11, v19, vcc_lo
	v_add_co_u32 v20, vcc_lo, s15, v20
	v_add_co_ci_u32_e64 v21, null, s16, v21, vcc_lo
	global_store_short v[18:19], v14, off
	global_store_dwordx2 v[20:21], v[1:2], off
	s_branch .LBB113_19
	.p2align	6
.LBB113_37:                             ;   in Loop: Header=BB113_38 Depth=1
	s_add_u32 s28, s28, 4
	s_addc_u32 s29, s29, 0
	s_waitcnt lgkmcnt(0)
	s_add_i32 s53, s13, s53
	s_add_u32 s30, s30, 4
	s_addc_u32 s31, s31, 0
	s_add_i32 s12, s12, 1
	s_cmp_lt_u32 s12, s10
	s_cbranch_scc0 .LBB113_16
.LBB113_38:                             ; =>This Inner Loop Header: Depth=1
	s_load_dword s13, s[28:29], 0x0
	s_cmp_ge_u32 s12, s11
	s_cbranch_scc1 .LBB113_37
; %bb.39:                               ;   in Loop: Header=BB113_38 Depth=1
	s_load_dword s14, s[30:31], 0x0
	s_waitcnt lgkmcnt(0)
	s_add_i32 s39, s13, s39
	s_add_i32 s52, s14, s52
	s_branch .LBB113_37
.LBB113_40:
	s_endpgm
	.section	.rodata,"a",@progbits
	.p2align	6, 0x0
	.amdhsa_kernel _ZN2at6native6mbtopk10gatherTopKIN3c108BFloat16EjLi3EEEvNS_4cuda6detail10TensorInfoIKT_T0_EESA_SA_bjSA_NS7_IS8_SA_EESA_NS7_IlSA_EESA_jjPS8_PjSF_j
		.amdhsa_group_segment_fixed_size 1068
		.amdhsa_private_segment_fixed_size 0
		.amdhsa_kernarg_size 984
		.amdhsa_user_sgpr_count 6
		.amdhsa_user_sgpr_private_segment_buffer 1
		.amdhsa_user_sgpr_dispatch_ptr 0
		.amdhsa_user_sgpr_queue_ptr 0
		.amdhsa_user_sgpr_kernarg_segment_ptr 1
		.amdhsa_user_sgpr_dispatch_id 0
		.amdhsa_user_sgpr_flat_scratch_init 0
		.amdhsa_user_sgpr_private_segment_size 0
		.amdhsa_wavefront_size32 1
		.amdhsa_uses_dynamic_stack 0
		.amdhsa_system_sgpr_private_segment_wavefront_offset 0
		.amdhsa_system_sgpr_workgroup_id_x 1
		.amdhsa_system_sgpr_workgroup_id_y 1
		.amdhsa_system_sgpr_workgroup_id_z 1
		.amdhsa_system_sgpr_workgroup_info 0
		.amdhsa_system_vgpr_workitem_id 0
		.amdhsa_next_free_vgpr 25
		.amdhsa_next_free_sgpr 57
		.amdhsa_reserve_vcc 1
		.amdhsa_reserve_flat_scratch 0
		.amdhsa_float_round_mode_32 0
		.amdhsa_float_round_mode_16_64 0
		.amdhsa_float_denorm_mode_32 3
		.amdhsa_float_denorm_mode_16_64 3
		.amdhsa_dx10_clamp 1
		.amdhsa_ieee_mode 1
		.amdhsa_fp16_overflow 0
		.amdhsa_workgroup_processor_mode 1
		.amdhsa_memory_ordered 1
		.amdhsa_forward_progress 1
		.amdhsa_shared_vgpr_count 0
		.amdhsa_exception_fp_ieee_invalid_op 0
		.amdhsa_exception_fp_denorm_src 0
		.amdhsa_exception_fp_ieee_div_zero 0
		.amdhsa_exception_fp_ieee_overflow 0
		.amdhsa_exception_fp_ieee_underflow 0
		.amdhsa_exception_fp_ieee_inexact 0
		.amdhsa_exception_int_div_zero 0
	.end_amdhsa_kernel
	.section	.text._ZN2at6native6mbtopk10gatherTopKIN3c108BFloat16EjLi3EEEvNS_4cuda6detail10TensorInfoIKT_T0_EESA_SA_bjSA_NS7_IS8_SA_EESA_NS7_IlSA_EESA_jjPS8_PjSF_j,"axG",@progbits,_ZN2at6native6mbtopk10gatherTopKIN3c108BFloat16EjLi3EEEvNS_4cuda6detail10TensorInfoIKT_T0_EESA_SA_bjSA_NS7_IS8_SA_EESA_NS7_IlSA_EESA_jjPS8_PjSF_j,comdat
.Lfunc_end113:
	.size	_ZN2at6native6mbtopk10gatherTopKIN3c108BFloat16EjLi3EEEvNS_4cuda6detail10TensorInfoIKT_T0_EESA_SA_bjSA_NS7_IS8_SA_EESA_NS7_IlSA_EESA_jjPS8_PjSF_j, .Lfunc_end113-_ZN2at6native6mbtopk10gatherTopKIN3c108BFloat16EjLi3EEEvNS_4cuda6detail10TensorInfoIKT_T0_EESA_SA_bjSA_NS7_IS8_SA_EESA_NS7_IlSA_EESA_jjPS8_PjSF_j
                                        ; -- End function
	.set _ZN2at6native6mbtopk10gatherTopKIN3c108BFloat16EjLi3EEEvNS_4cuda6detail10TensorInfoIKT_T0_EESA_SA_bjSA_NS7_IS8_SA_EESA_NS7_IlSA_EESA_jjPS8_PjSF_j.num_vgpr, 25
	.set _ZN2at6native6mbtopk10gatherTopKIN3c108BFloat16EjLi3EEEvNS_4cuda6detail10TensorInfoIKT_T0_EESA_SA_bjSA_NS7_IS8_SA_EESA_NS7_IlSA_EESA_jjPS8_PjSF_j.num_agpr, 0
	.set _ZN2at6native6mbtopk10gatherTopKIN3c108BFloat16EjLi3EEEvNS_4cuda6detail10TensorInfoIKT_T0_EESA_SA_bjSA_NS7_IS8_SA_EESA_NS7_IlSA_EESA_jjPS8_PjSF_j.numbered_sgpr, 57
	.set _ZN2at6native6mbtopk10gatherTopKIN3c108BFloat16EjLi3EEEvNS_4cuda6detail10TensorInfoIKT_T0_EESA_SA_bjSA_NS7_IS8_SA_EESA_NS7_IlSA_EESA_jjPS8_PjSF_j.num_named_barrier, 0
	.set _ZN2at6native6mbtopk10gatherTopKIN3c108BFloat16EjLi3EEEvNS_4cuda6detail10TensorInfoIKT_T0_EESA_SA_bjSA_NS7_IS8_SA_EESA_NS7_IlSA_EESA_jjPS8_PjSF_j.private_seg_size, 0
	.set _ZN2at6native6mbtopk10gatherTopKIN3c108BFloat16EjLi3EEEvNS_4cuda6detail10TensorInfoIKT_T0_EESA_SA_bjSA_NS7_IS8_SA_EESA_NS7_IlSA_EESA_jjPS8_PjSF_j.uses_vcc, 1
	.set _ZN2at6native6mbtopk10gatherTopKIN3c108BFloat16EjLi3EEEvNS_4cuda6detail10TensorInfoIKT_T0_EESA_SA_bjSA_NS7_IS8_SA_EESA_NS7_IlSA_EESA_jjPS8_PjSF_j.uses_flat_scratch, 0
	.set _ZN2at6native6mbtopk10gatherTopKIN3c108BFloat16EjLi3EEEvNS_4cuda6detail10TensorInfoIKT_T0_EESA_SA_bjSA_NS7_IS8_SA_EESA_NS7_IlSA_EESA_jjPS8_PjSF_j.has_dyn_sized_stack, 0
	.set _ZN2at6native6mbtopk10gatherTopKIN3c108BFloat16EjLi3EEEvNS_4cuda6detail10TensorInfoIKT_T0_EESA_SA_bjSA_NS7_IS8_SA_EESA_NS7_IlSA_EESA_jjPS8_PjSF_j.has_recursion, 0
	.set _ZN2at6native6mbtopk10gatherTopKIN3c108BFloat16EjLi3EEEvNS_4cuda6detail10TensorInfoIKT_T0_EESA_SA_bjSA_NS7_IS8_SA_EESA_NS7_IlSA_EESA_jjPS8_PjSF_j.has_indirect_call, 0
	.section	.AMDGPU.csdata,"",@progbits
; Kernel info:
; codeLenInByte = 3024
; TotalNumSgprs: 59
; NumVgprs: 25
; ScratchSize: 0
; MemoryBound: 0
; FloatMode: 240
; IeeeMode: 1
; LDSByteSize: 1068 bytes/workgroup (compile time only)
; SGPRBlocks: 0
; VGPRBlocks: 3
; NumSGPRsForWavesPerEU: 59
; NumVGPRsForWavesPerEU: 25
; Occupancy: 16
; WaveLimiterHint : 1
; COMPUTE_PGM_RSRC2:SCRATCH_EN: 0
; COMPUTE_PGM_RSRC2:USER_SGPR: 6
; COMPUTE_PGM_RSRC2:TRAP_HANDLER: 0
; COMPUTE_PGM_RSRC2:TGID_X_EN: 1
; COMPUTE_PGM_RSRC2:TGID_Y_EN: 1
; COMPUTE_PGM_RSRC2:TGID_Z_EN: 1
; COMPUTE_PGM_RSRC2:TIDIG_COMP_CNT: 0
	.section	.text._ZN2at6native6sbtopk10gatherTopKIN3c108BFloat16EjLi3ELb0EEEvNS_4cuda6detail10TensorInfoIKT_T0_EESA_SA_bSA_SA_NS7_IS8_SA_EESA_NS7_IlSA_EESA_PS8_,"axG",@progbits,_ZN2at6native6sbtopk10gatherTopKIN3c108BFloat16EjLi3ELb0EEEvNS_4cuda6detail10TensorInfoIKT_T0_EESA_SA_bSA_SA_NS7_IS8_SA_EESA_NS7_IlSA_EESA_PS8_,comdat
	.protected	_ZN2at6native6sbtopk10gatherTopKIN3c108BFloat16EjLi3ELb0EEEvNS_4cuda6detail10TensorInfoIKT_T0_EESA_SA_bSA_SA_NS7_IS8_SA_EESA_NS7_IlSA_EESA_PS8_ ; -- Begin function _ZN2at6native6sbtopk10gatherTopKIN3c108BFloat16EjLi3ELb0EEEvNS_4cuda6detail10TensorInfoIKT_T0_EESA_SA_bSA_SA_NS7_IS8_SA_EESA_NS7_IlSA_EESA_PS8_
	.globl	_ZN2at6native6sbtopk10gatherTopKIN3c108BFloat16EjLi3ELb0EEEvNS_4cuda6detail10TensorInfoIKT_T0_EESA_SA_bSA_SA_NS7_IS8_SA_EESA_NS7_IlSA_EESA_PS8_
	.p2align	8
	.type	_ZN2at6native6sbtopk10gatherTopKIN3c108BFloat16EjLi3ELb0EEEvNS_4cuda6detail10TensorInfoIKT_T0_EESA_SA_bSA_SA_NS7_IS8_SA_EESA_NS7_IlSA_EESA_PS8_,@function
_ZN2at6native6sbtopk10gatherTopKIN3c108BFloat16EjLi3ELb0EEEvNS_4cuda6detail10TensorInfoIKT_T0_EESA_SA_bSA_SA_NS7_IS8_SA_EESA_NS7_IlSA_EESA_PS8_: ; @_ZN2at6native6sbtopk10gatherTopKIN3c108BFloat16EjLi3ELb0EEEvNS_4cuda6detail10TensorInfoIKT_T0_EESA_SA_bSA_SA_NS7_IS8_SA_EESA_NS7_IlSA_EESA_PS8_
; %bb.0:
	s_clause 0x1
	s_load_dwordx2 s[12:13], s[4:5], 0x2b8
	s_load_dwordx4 s[36:39], s[4:5], 0xd8
	s_add_u32 s10, s4, 0x2b8
	s_addc_u32 s11, s5, 0
	s_waitcnt lgkmcnt(0)
	s_mul_i32 s0, s13, s8
	s_add_i32 s0, s0, s7
	s_mul_i32 s60, s0, s12
	s_add_i32 s60, s60, s6
	s_cmp_ge_u32 s60, s39
	s_cbranch_scc1 .LBB114_410
; %bb.1:
	s_clause 0x4
	s_load_dwordx2 s[14:15], s[4:5], 0xc
	s_load_dwordx2 s[56:57], s[4:5], 0xfc
	;; [unrolled: 1-line block ×4, first 2 shown]
	s_load_dwordx4 s[0:3], s[4:5], 0x23c
                                        ; implicit-def: $vgpr62 : SGPR spill to VGPR lane
	s_mov_b32 s35, 0
	s_waitcnt lgkmcnt(0)
	v_cvt_f32_u32_e32 v1, s15
	v_cvt_f32_u32_e32 v3, s57
	;; [unrolled: 1-line block ×3, first 2 shown]
	v_writelane_b32 v62, s0, 0
	v_cvt_f32_u32_e32 v5, s55
	v_rcp_iflag_f32_e32 v1, v1
	v_rcp_iflag_f32_e32 v3, v3
	;; [unrolled: 1-line block ×3, first 2 shown]
	v_writelane_b32 v62, s1, 1
	v_rcp_iflag_f32_e32 v5, v5
	v_cvt_f32_u32_e32 v4, s56
	v_cvt_f32_u32_e32 v6, s54
	v_writelane_b32 v62, s2, 2
	v_rcp_iflag_f32_e32 v4, v4
	v_mul_f32_e32 v1, 0x4f7ffffe, v1
	v_mul_f32_e32 v3, 0x4f7ffffe, v3
	v_writelane_b32 v62, s3, 3
	s_clause 0x1
	s_load_dwordx2 s[40:41], s[4:5], 0x1d0
	s_load_dwordx2 s[0:1], s[4:5], 0xf0
	v_mul_f32_e32 v2, 0x4f7ffffe, v2
	v_cvt_u32_f32_e32 v1, v1
	v_cvt_u32_f32_e32 v3, v3
	v_mul_f32_e32 v5, 0x4f7ffffe, v5
	v_cvt_u32_f32_e32 v2, v2
	v_readfirstlane_b32 s7, v1
	v_readfirstlane_b32 s17, v3
	v_mul_f32_e32 v4, 0x4f7ffffe, v4
	v_rcp_iflag_f32_e32 v1, v6
	v_cvt_u32_f32_e32 v3, v4
	v_mul_f32_e32 v1, 0x4f7ffffe, v1
	s_waitcnt lgkmcnt(0)
	v_writelane_b32 v62, s0, 4
	v_cvt_u32_f32_e32 v1, v1
	v_writelane_b32 v62, s1, 5
	s_clause 0x1
	s_load_dword s48, s[4:5], 0xe8
	s_load_dwordx4 s[0:3], s[4:5], 0x6c
	s_waitcnt lgkmcnt(0)
	s_sub_i32 s3, 0, s15
	s_mul_i32 s3, s3, s7
	v_readfirstlane_b32 s20, v1
	s_mul_hi_u32 s3, s7, s3
	s_add_i32 s7, s7, s3
	s_mul_hi_u32 s3, s60, s7
	s_mul_i32 s7, s3, s15
	s_add_i32 s13, s3, 1
	s_sub_i32 s7, s60, s7
	s_sub_i32 s16, s7, s15
	s_cmp_ge_u32 s7, s15
	s_cselect_b32 s3, s13, s3
	s_cselect_b32 s7, s16, s7
	s_add_i32 s13, s3, 1
	s_cmp_ge_u32 s7, s15
	s_cselect_b32 s7, s13, s3
	s_sub_i32 s3, 0, s57
	v_readfirstlane_b32 s13, v2
	s_mul_i32 s3, s3, s17
	s_sub_i32 s16, 0, s14
	s_mul_hi_u32 s3, s17, s3
	v_cvt_u32_f32_e32 v2, v5
	s_add_i32 s17, s17, s3
	s_mul_i32 s16, s16, s13
	s_mul_hi_u32 s3, s60, s17
	s_mul_hi_u32 s16, s13, s16
	s_mul_i32 s17, s3, s57
	s_add_i32 s13, s13, s16
	s_sub_i32 s16, s60, s17
	s_add_i32 s17, s3, 1
	s_sub_i32 s18, s16, s57
	s_cmp_ge_u32 s16, s57
	v_readfirstlane_b32 s19, v2
	s_cselect_b32 s3, s17, s3
	s_cselect_b32 s16, s18, s16
	s_add_i32 s17, s3, 1
	s_cmp_ge_u32 s16, s57
	v_readfirstlane_b32 s16, v3
	s_cselect_b32 s62, s17, s3
	s_sub_i32 s3, 0, s55
	s_sub_i32 s17, 0, s56
	s_mul_i32 s3, s3, s19
	s_mul_i32 s17, s17, s16
	s_mul_hi_u32 s3, s19, s3
	s_mul_hi_u32 s17, s16, s17
	s_add_i32 s19, s19, s3
	s_add_i32 s16, s16, s17
	s_mul_hi_u32 s3, s60, s19
	s_mul_hi_u32 s13, s7, s13
	s_mul_i32 s18, s3, s55
	s_mul_hi_u32 s64, s62, s16
	s_sub_i32 s17, s60, s18
	s_add_i32 s18, s3, 1
	s_sub_i32 s19, s17, s55
	s_cmp_ge_u32 s17, s55
	s_cselect_b32 s3, s18, s3
	s_cselect_b32 s17, s19, s17
	s_add_i32 s18, s3, 1
	s_cmp_ge_u32 s17, s55
	s_cselect_b32 s61, s18, s3
	s_sub_i32 s3, 0, s54
	s_mul_i32 s3, s3, s20
	s_mul_hi_u32 s17, s20, s3
	v_cmp_eq_u32_e64 s3, 0, v0
	s_add_i32 s20, s20, s17
	s_mul_hi_u32 s63, s61, s20
	s_and_saveexec_b32 s16, s3
	s_cbranch_execz .LBB114_3
; %bb.2:
	v_mov_b32_e32 v1, 0
	v_mov_b32_e32 v2, s36
	;; [unrolled: 1-line block ×3, first 2 shown]
	ds_write_b96 v1, v[1:3] offset:4096
.LBB114_3:
	s_or_b32 exec_lo, exec_lo, s16
	s_mul_i32 s16, s13, s14
	s_mul_i32 s15, s7, s15
	s_sub_i32 s16, s7, s16
	s_sub_i32 s15, s60, s15
	s_add_i32 s17, s13, 1
	s_sub_i32 s18, s16, s14
	s_cmp_ge_u32 s16, s14
	s_waitcnt lgkmcnt(0)
	s_cselect_b32 s13, s17, s13
	s_cselect_b32 s16, s18, s16
	s_add_i32 s17, s13, 1
	s_cmp_ge_u32 s16, s14
	s_barrier
	buffer_gl0_inv
	s_load_dword s16, s[10:11], 0xc
	s_cselect_b32 s13, s17, s13
	s_mul_i32 s15, s15, s2
	s_mul_i32 s14, s13, s14
	;; [unrolled: 1-line block ×3, first 2 shown]
	s_sub_i32 s7, s7, s14
	v_mov_b32_e32 v8, 0
	s_mul_i32 s1, s7, s1
	v_mul_lo_u32 v9, s48, v0
	s_add_i32 s0, s1, s15
	v_mbcnt_lo_u32_b32 v18, -1, 0
	s_add_i32 s34, s0, s13
	v_mov_b32_e32 v10, v8
	s_lshl_b64 s[0:1], s[34:35], 1
	v_cmp_gt_u32_e32 vcc_lo, 32, v0
	s_add_u32 s43, s8, s0
	s_addc_u32 s47, s9, s1
	s_bitcmp1_b32 s38, 0
	v_lshlrev_b64 v[1:2], 1, v[9:10]
	s_cselect_b32 s2, -1, 0
	s_waitcnt lgkmcnt(0)
	s_and_b32 s58, s16, 0xffff
	v_cmp_gt_i32_e64 s0, 4, v18
	s_lshl_b32 s66, s58, 2
	s_bfe_u32 s1, s58, 0x80008
	v_cvt_f32_u32_e32 v3, s66
	s_xor_b32 s65, s2, -1
	s_and_b32 s68, vcc_lo, s0
	v_add_co_u32 v5, vcc_lo, s43, v1
	v_add_co_ci_u32_e64 v6, null, s47, v2, vcc_lo
	v_lshlrev_b64 v[1:2], v18, -1
	v_rcp_iflag_f32_e32 v2, v3
	s_lshl_b32 s67, s1, 3
	s_bfe_u32 s7, s16, 0xb0005
	s_cmpk_gt_u32 s36, 0x600
	v_add_nc_u32_e32 v3, 2, v0
	s_cselect_b32 s69, -1, 0
	s_cmp_gt_u32 s58, 31
	v_cvt_f32_u32_e32 v7, s58
	s_cselect_b32 s70, -1, 0
	s_add_i32 s71, s58, -1
	v_mul_f32_e32 v2, 0x4f7ffffe, v2
	s_add_i32 s13, s71, s36
	s_cmp_lt_u32 s6, s12
	v_max_u32_e32 v3, s36, v3
	s_cselect_b32 s6, 12, 18
	v_cvt_u32_f32_e32 v2, v2
	s_add_u32 s38, s10, s6
	s_addc_u32 s39, s11, 0
	s_add_i32 s7, s7, -1
	s_bfe_u32 s72, s58, 0x30005
	s_and_b32 s6, s7, 0xffff
	v_xad_u32 v3, v0, -1, v3
	s_cmp_gt_u32 s6, 6
	v_readfirstlane_b32 s6, v2
	s_cselect_b32 s73, -1, 0
	s_cmp_lg_u32 s72, 0
	v_not_b32_e32 v17, v1
	s_cselect_b32 s74, -1, 0
	s_sub_i32 s7, 0, s66
	v_lshrrev_b32_e32 v1, 1, v0
	s_mul_i32 s7, s7, s6
	v_add_nc_u32_e32 v4, -2, v3
	s_mul_hi_u32 s7, s6, s7
	v_rcp_iflag_f32_e32 v7, v7
	s_add_i32 s75, s6, s7
	s_movk_i32 s8, 0x1f0
	s_mul_hi_u32 s6, s36, s75
	v_lshrrev_b32_e32 v2, 1, v4
	s_mul_i32 s6, s6, s66
	v_and_or_b32 v22, v1, s8, 0xc00
	s_sub_i32 s6, s36, s6
	v_lshlrev_b32_e32 v19, 2, v0
	s_sub_i32 s8, s6, s66
	s_cmp_ge_u32 s6, s66
	v_add_nc_u32_e32 v1, 1, v2
	s_cselect_b32 s6, s8, s6
	v_mul_f32_e32 v2, 0x4f7ffffe, v7
	s_sub_i32 s8, s6, s66
	s_cmp_ge_u32 s6, s66
	v_and_b32_e32 v12, 7, v1
	s_cselect_b32 s6, s8, s6
	v_cvt_u32_f32_e32 v2, v2
	s_sub_i32 s76, s36, s6
	s_sub_i32 s8, 0, s58
	v_add_nc_u32_e32 v25, s76, v0
	v_and_b32_e32 v26, -8, v1
	v_readfirstlane_b32 s9, v2
	v_and_b32_e32 v23, -2, v3
	v_cmp_lt_u32_e64 s7, 31, v3
	v_mul_lo_u32 v7, v25, s48
	v_lshlrev_b32_e32 v20, 1, v0
	s_mul_i32 s8, s8, s9
	v_cmp_ne_u32_e64 s10, v3, v23
	s_mul_hi_u32 s8, s9, s8
	v_or_b32_e32 v3, 3, v19
	s_add_i32 s77, s9, s8
	s_mov_b32 s49, s48
	v_lshlrev_b64 v[1:2], 1, v[7:8]
	s_mul_hi_u32 s9, s13, s77
	v_lshlrev_b32_e32 v28, 2, v12
	s_mul_i32 s9, s9, s58
	v_mul_lo_u32 v30, s48, v3
	s_sub_i32 s11, s13, s9
	v_add_co_u32 v10, vcc_lo, s43, v1
	v_add3_u32 v1, s58, s36, v0
	s_sub_i32 s12, s11, s58
	s_cmp_ge_u32 s11, s58
	v_add_co_ci_u32_e64 v11, null, s47, v2, vcc_lo
	s_cselect_b32 s12, s12, s11
	v_or_b32_e32 v2, 2, v19
	v_subrev_nc_u32_e32 v1, s6, v1
	s_sub_i32 s14, s12, s58
	s_cmp_ge_u32 s12, s58
	v_cmp_ne_u32_e64 s9, 0, v12
	s_cselect_b32 s14, s14, s12
	v_mad_u64_u32 v[12:13], null, s48, v19, s[48:49]
	v_mul_lo_u32 v29, s48, v2
	v_mul_lo_u32 v32, s48, v1
	s_sub_i32 s78, s13, s14
	v_cmp_eq_u32_e64 s0, 0, v18
	v_cmp_gt_u32_e64 s1, s36, v0
	v_cmp_gt_u32_e64 s15, 2, v0
	v_add_nc_u32_e32 v21, 0xc00, v20
	v_add_nc_u32_e32 v24, v0, v23
	v_cmp_lt_u32_e64 s8, 13, v4
	v_cmp_gt_u32_e64 s11, s76, v19
	v_cmp_gt_u32_e64 s12, s36, v25
	;; [unrolled: 1-line block ×3, first 2 shown]
	v_lshlrev_b32_e32 v31, 2, v9
	v_lshlrev_b32_e32 v33, 3, v0
	v_lshl_or_b32 v34, v18, 2, 0xc00
	v_mov_b32_e32 v39, s37
	v_mov_b32_e32 v35, 0x8000
	v_mov_b32_e32 v36, -1
	v_mov_b32_e32 v38, 0
	v_mov_b32_e32 v27, 0
	v_mov_b32_e32 v37, 0
	s_mul_i32 s59, s48, s58
	s_lshl_b32 s80, s58, 3
	s_lshl_b32 s79, s59, 2
	s_lshl_b32 s81, s58, 1
	s_mov_b32 s88, 14
	s_movk_i32 s83, 0x3f80
	s_mov_b32 s84, 0
                                        ; implicit-def: $sgpr82
                                        ; implicit-def: $sgpr87
                                        ; implicit-def: $sgpr86
                                        ; implicit-def: $sgpr89
                                        ; implicit-def: $sgpr85
                                        ; implicit-def: $sgpr93
                                        ; implicit-def: $sgpr94
                                        ; implicit-def: $sgpr90
                                        ; implicit-def: $sgpr92
                                        ; implicit-def: $sgpr91
	s_branch .LBB114_6
.LBB114_4:                              ;   in Loop: Header=BB114_6 Depth=1
	s_or_b32 exec_lo, exec_lo, s17
	v_mov_b32_e32 v39, v4
	s_andn2_b32 s17, s91, exec_lo
	s_and_b32 s16, s16, exec_lo
	s_andn2_b32 s92, s92, exec_lo
	s_or_b32 s91, s17, s16
	s_andn2_b32 s90, s90, exec_lo
	s_andn2_b32 s94, s94, exec_lo
	;; [unrolled: 1-line block ×3, first 2 shown]
	s_orn2_b32 s17, s14, exec_lo
.LBB114_5:                              ;   in Loop: Header=BB114_6 Depth=1
	s_or_b32 exec_lo, exec_lo, s6
	s_and_b32 s6, exec_lo, s17
	s_or_b32 s35, s6, s35
	s_andn2_b32 s6, s85, exec_lo
	s_and_b32 s14, s91, exec_lo
	s_andn2_b32 s16, s89, exec_lo
	s_or_b32 s85, s6, s14
	s_and_b32 s6, s92, exec_lo
	s_andn2_b32 s14, s86, exec_lo
	s_and_b32 s17, s90, exec_lo
	s_or_b32 s89, s16, s6
	s_or_b32 s86, s14, s17
	s_andn2_b32 s6, s87, exec_lo
	s_and_b32 s14, s94, exec_lo
	s_andn2_b32 s16, s82, exec_lo
	s_and_b32 s17, s93, exec_lo
	s_or_b32 s87, s6, s14
	s_or_b32 s82, s16, s17
	s_andn2_b32 exec_lo, exec_lo, s35
	s_cbranch_execz .LBB114_406
.LBB114_6:                              ; =>This Loop Header: Depth=1
                                        ;     Child Loop BB114_11 Depth 2
                                        ;     Child Loop BB114_32 Depth 2
                                        ;     Child Loop BB114_36 Depth 2
                                        ;     Child Loop BB114_42 Depth 2
                                        ;     Child Loop BB114_74 Depth 2
                                        ;     Child Loop BB114_78 Depth 2
                                        ;     Child Loop BB114_63 Depth 2
                                        ;     Child Loop BB114_68 Depth 2
                                        ;     Child Loop BB114_59 Depth 2
                                        ;     Child Loop BB114_83 Depth 2
                                        ;     Child Loop BB114_94 Depth 2
                                        ;     Child Loop BB114_105 Depth 2
                                        ;     Child Loop BB114_131 Depth 2
                                        ;     Child Loop BB114_142 Depth 2
                                        ;     Child Loop BB114_168 Depth 2
                                        ;     Child Loop BB114_179 Depth 2
                                        ;     Child Loop BB114_205 Depth 2
                                        ;     Child Loop BB114_216 Depth 2
                                        ;     Child Loop BB114_252 Depth 2
                                        ;     Child Loop BB114_264 Depth 2
                                        ;     Child Loop BB114_290 Depth 2
                                        ;     Child Loop BB114_301 Depth 2
                                        ;     Child Loop BB114_327 Depth 2
                                        ;     Child Loop BB114_338 Depth 2
                                        ;     Child Loop BB114_364 Depth 2
                                        ;     Child Loop BB114_375 Depth 2
	ds_read_b64 v[1:2], v8 offset:4096
	s_waitcnt lgkmcnt(0)
	v_readfirstlane_b32 s95, v1
	s_cmp_lg_u32 s95, 0
	s_cbranch_scc1 .LBB114_51
; %bb.7:                                ;   in Loop: Header=BB114_6 Depth=1
	s_and_b32 vcc_lo, exec_lo, s69
	s_cbranch_vccz .LBB114_19
; %bb.8:                                ;   in Loop: Header=BB114_6 Depth=1
	v_cmp_gt_u32_e32 vcc_lo, 0x601, v2
	s_mov_b32 s16, 0
	s_mov_b32 s6, 0
	s_cbranch_vccz .LBB114_20
; %bb.9:                                ;   in Loop: Header=BB114_6 Depth=1
	global_load_ushort v1, v8, s[38:39]
	global_load_ushort v4, v[5:6], off
	v_mov_b32_e32 v3, v0
	s_mov_b32 s17, 0
	s_waitcnt vmcnt(1)
	v_add_nc_u32_e32 v2, v0, v1
	v_mul_lo_u32 v7, s48, v2
	v_mul_lo_u32 v2, s48, v1
	s_branch .LBB114_11
.LBB114_10:                             ;   in Loop: Header=BB114_11 Depth=2
	s_or_b32 exec_lo, exec_lo, s14
	v_add_nc_u32_e32 v7, v7, v2
	v_mov_b32_e32 v4, v13
	s_andn2_b32 exec_lo, exec_lo, s17
	s_cbranch_execz .LBB114_26
.LBB114_11:                             ;   Parent Loop BB114_6 Depth=1
                                        ; =>  This Inner Loop Header: Depth=2
	v_add_nc_u32_e32 v3, v3, v1
	s_waitcnt lgkmcnt(0)
	v_mov_b32_e32 v14, 0
	v_mov_b32_e32 v13, 0
	s_mov_b32 s14, exec_lo
	v_cmp_le_u32_e32 vcc_lo, s36, v3
	v_cmpx_gt_u32_e64 s36, v3
	s_cbranch_execz .LBB114_13
; %bb.12:                               ;   in Loop: Header=BB114_11 Depth=2
	v_lshlrev_b64 v[15:16], 1, v[7:8]
	v_add_co_u32 v15, s6, s43, v15
	v_add_co_ci_u32_e64 v16, null, s47, v16, s6
	global_load_ushort v13, v[15:16], off
.LBB114_13:                             ;   in Loop: Header=BB114_11 Depth=2
	s_or_b32 exec_lo, exec_lo, s14
	s_waitcnt vmcnt(0)
	v_cmp_lt_i16_e64 s6, -1, v4
	v_lshlrev_b32_e32 v16, 16, v4
	v_cndmask_b32_e64 v15, 0xffff, v35, s6
	v_cmp_o_f32_e64 s6, v16, v16
	v_xor_b32_sdwa v15, v15, v4 dst_sel:DWORD dst_unused:UNUSED_PAD src0_sel:DWORD src1_sel:WORD_0
	v_cndmask_b32_e64 v15, 0xffff, v15, s6
	v_and_b32_e32 v15, v15, v37
	v_cmp_eq_u32_e64 s6, v15, v27
	s_cmp_lg_u32 s6, 0
	s_cselect_b32 s14, -1, 0
	s_and_b32 s14, s0, s14
	s_and_saveexec_b32 s18, s14
	s_cbranch_execz .LBB114_17
; %bb.14:                               ;   in Loop: Header=BB114_11 Depth=2
	s_mov_b32 s21, exec_lo
	s_bcnt1_i32_b32 s19, s6
	v_mbcnt_lo_u32_b32 v14, s21, 0
	s_mov_b32 s20, exec_lo
                                        ; implicit-def: $vgpr15
	v_cmpx_eq_u32_e32 0, v14
; %bb.15:                               ;   in Loop: Header=BB114_11 Depth=2
	s_bcnt1_i32_b32 s14, s21
	s_mul_i32 s14, s19, s14
	v_mov_b32_e32 v15, s14
	ds_add_rtn_u32 v15, v8, v15 offset:4104
; %bb.16:                               ;   in Loop: Header=BB114_11 Depth=2
	s_or_b32 exec_lo, exec_lo, s20
	s_waitcnt lgkmcnt(0)
	v_readfirstlane_b32 s14, v15
	v_mad_u32_u24 v14, s19, v14, s14
.LBB114_17:                             ;   in Loop: Header=BB114_11 Depth=2
	s_or_b32 exec_lo, exec_lo, s18
	ds_bpermute_b32 v14, v8, v14
	s_and_b32 s14, exec_lo, vcc_lo
	s_or_b32 s17, s14, s17
	s_and_saveexec_b32 s14, s6
	s_cbranch_execz .LBB114_10
; %bb.18:                               ;   in Loop: Header=BB114_11 Depth=2
	v_and_b32_e32 v15, s6, v17
	v_bcnt_u32_b32 v15, v15, 0
	v_lshlrev_b32_e32 v15, 1, v15
	s_waitcnt lgkmcnt(0)
	v_lshl_add_u32 v14, v14, 1, v15
	ds_write_b16 v14, v4
	s_branch .LBB114_10
.LBB114_19:                             ;   in Loop: Header=BB114_6 Depth=1
	s_mov_b32 s16, -1
	s_mov_b32 s6, 0
.LBB114_20:                             ;   in Loop: Header=BB114_6 Depth=1
	s_and_b32 vcc_lo, exec_lo, s16
	s_cbranch_vccz .LBB114_49
.LBB114_21:                             ;   in Loop: Header=BB114_6 Depth=1
	s_and_saveexec_b32 s14, s1
	s_cbranch_execz .LBB114_46
; %bb.22:                               ;   in Loop: Header=BB114_6 Depth=1
	global_load_ushort v1, v8, s[38:39]
	global_load_ushort v40, v[5:6], off
	v_mov_b32_e32 v2, v0
	s_mov_b32 s16, exec_lo
	s_waitcnt vmcnt(1)
	v_add_nc_u32_e32 v13, v0, v1
	v_readfirstlane_b32 s17, v1
	v_cmpx_gt_u32_e64 s36, v13
	s_cbranch_execz .LBB114_45
; %bb.23:                               ;   in Loop: Header=BB114_6 Depth=1
	s_mov_b32 s6, 0
	s_mul_i32 s18, s48, s17
                                        ; implicit-def: $vgpr2
                                        ; implicit-def: $vgpr1
                                        ; implicit-def: $vgpr3
	s_and_saveexec_b32 s19, s7
	s_xor_b32 s19, exec_lo, s19
	s_cbranch_execnz .LBB114_29
; %bb.24:                               ;   in Loop: Header=BB114_6 Depth=1
	s_andn2_saveexec_b32 s19, s19
	s_cbranch_execnz .LBB114_40
.LBB114_25:                             ;   in Loop: Header=BB114_6 Depth=1
	s_or_b32 exec_lo, exec_lo, s19
	s_and_saveexec_b32 s18, s6
	s_cbranch_execnz .LBB114_41
	s_branch .LBB114_44
.LBB114_26:                             ;   in Loop: Header=BB114_6 Depth=1
	s_or_b32 exec_lo, exec_lo, s17
	s_waitcnt lgkmcnt(0)
	s_barrier
	buffer_gl0_inv
	s_and_saveexec_b32 s6, s3
	s_cbranch_execz .LBB114_28
; %bb.27:                               ;   in Loop: Header=BB114_6 Depth=1
	ds_read_b32 v1, v8 offset:4104
	s_waitcnt lgkmcnt(0)
	ds_write_b32 v8, v1 offset:4096
.LBB114_28:                             ;   in Loop: Header=BB114_6 Depth=1
	s_or_b32 exec_lo, exec_lo, s6
	s_waitcnt lgkmcnt(0)
	s_mov_b32 s6, -1
	s_barrier
	s_and_b32 vcc_lo, exec_lo, s16
	s_cbranch_vccnz .LBB114_21
	s_branch .LBB114_49
.LBB114_29:                             ;   in Loop: Header=BB114_6 Depth=1
	v_cvt_f32_u32_e32 v1, s17
	v_add_nc_u32_e32 v2, s17, v13
	s_sub_i32 s6, 0, s17
	s_not_b32 s20, s18
	v_rcp_iflag_f32_e32 v1, v1
	v_max_u32_e32 v2, s36, v2
	v_sub_nc_u32_e32 v2, v2, v0
	v_mul_f32_e32 v1, 0x4f7ffffe, v1
	v_cvt_u32_f32_e32 v1, v1
	v_mul_lo_u32 v3, s6, v1
	s_lshl_b32 s6, s17, 1
	v_cmp_ne_u32_e32 vcc_lo, s6, v2
	v_cndmask_b32_e64 v4, 0, 1, vcc_lo
	v_mul_hi_u32 v3, v1, v3
	v_or_b32_e32 v4, s6, v4
	v_add_nc_u32_e32 v1, v1, v3
	v_sub_nc_u32_e32 v2, v2, v4
	v_mul_hi_u32 v1, v2, v1
	v_mul_lo_u32 v3, v1, s17
	v_sub_nc_u32_e32 v2, v2, v3
	v_add_nc_u32_e32 v3, 1, v1
	v_subrev_nc_u32_e32 v4, s17, v2
	v_cmp_le_u32_e64 s6, s17, v2
	v_cndmask_b32_e64 v1, v1, v3, s6
	v_cndmask_b32_e64 v2, v2, v4, s6
	v_add_nc_u32_e32 v3, 1, v1
	v_cmp_le_u32_e64 s6, s17, v2
	v_mul_lo_u32 v2, s48, v13
	v_cndmask_b32_e64 v1, v1, v3, s6
	s_abs_i32 s6, s18
	v_add_co_ci_u32_e64 v1, null, 0, v1, vcc_lo
	v_mul_hi_u32 v3, s6, v1
	v_mul_lo_u32 v1, s6, v1
	s_ashr_i32 s6, s20, 31
	s_cmp_eq_u32 s17, 1
	v_xor_b32_e32 v2, s6, v2
	s_cselect_b32 s20, -1, 0
	v_cmp_eq_u32_e32 vcc_lo, 0, v3
	v_cmp_le_u32_e64 s6, v1, v2
	v_mov_b32_e32 v1, v0
                                        ; implicit-def: $vgpr2
	s_and_b32 s20, vcc_lo, s20
	s_and_b32 s21, s20, s6
	s_mov_b32 s20, -1
	s_and_saveexec_b32 s6, s21
	s_cbranch_execz .LBB114_39
; %bb.30:                               ;   in Loop: Header=BB114_6 Depth=1
	v_add_nc_u32_e32 v14, 1, v13
	s_waitcnt vmcnt(0)
	v_lshlrev_b32_e32 v1, 16, v40
	v_mov_b32_e32 v7, 0
                                        ; implicit-def: $vgpr40
	v_mov_b32_e32 v16, v14
	v_mov_b32_e32 v15, v13
	s_and_saveexec_b32 s20, s8
	s_cbranch_execz .LBB114_34
; %bb.31:                               ;   in Loop: Header=BB114_6 Depth=1
	v_mov_b32_e32 v16, v14
	v_mov_b32_e32 v41, v26
	;; [unrolled: 1-line block ×4, first 2 shown]
	s_mov_b32 s21, 0
	s_mov_b32 s22, 0
.LBB114_32:                             ;   Parent Loop BB114_6 Depth=1
                                        ; =>  This Inner Loop Header: Depth=2
	v_add_nc_u32_e32 v4, 2, v16
	v_mul_lo_u32 v7, v15, s48
	v_add_nc_u32_e32 v14, 4, v16
	v_mul_lo_u32 v2, v16, s49
	;; [unrolled: 2-line block ×3, first 2 shown]
	v_mov_b32_e32 v3, v8
	v_add_nc_u32_e32 v49, 8, v16
	v_mul_lo_u32 v45, v14, s49
	v_mov_b32_e32 v44, v8
	v_add_nc_u32_e32 v51, 10, v16
	v_mul_lo_u32 v47, v40, s49
	v_lshlrev_b64 v[53:54], 1, v[7:8]
	v_mov_b32_e32 v46, v8
	v_mul_lo_u32 v49, v49, s49
	v_lshlrev_b64 v[2:3], 1, v[2:3]
	v_mov_b32_e32 v48, v8
	;; [unrolled: 3-line block ×3, first 2 shown]
	v_lshlrev_b64 v[45:46], 1, v[45:46]
	v_add_co_u32 v53, vcc_lo, s43, v53
	v_mov_b32_e32 v52, v8
	v_lshlrev_b64 v[47:48], 1, v[47:48]
	v_add_co_ci_u32_e64 v54, null, s47, v54, vcc_lo
	v_add_co_u32 v2, vcc_lo, s43, v2
	v_lshlrev_b64 v[49:50], 1, v[49:50]
	v_add_co_ci_u32_e64 v3, null, s47, v3, vcc_lo
	v_add_co_u32 v43, vcc_lo, s43, v43
	;; [unrolled: 3-line block ×3, first 2 shown]
	v_add_co_ci_u32_e64 v46, null, s47, v46, vcc_lo
	v_add_co_u32 v47, vcc_lo, s43, v47
	v_lshrrev_b32_e32 v1, 16, v1
	v_add_co_ci_u32_e64 v48, null, s47, v48, vcc_lo
	v_add_co_u32 v49, vcc_lo, s43, v49
	v_add_co_ci_u32_e64 v50, null, s47, v50, vcc_lo
	v_add_co_u32 v51, vcc_lo, s43, v51
	v_add_co_ci_u32_e64 v52, null, s47, v52, vcc_lo
	s_clause 0x6
	global_load_short_d16_hi v1, v[53:54], off
	global_load_ushort v2, v[2:3], off
	global_load_ushort v3, v[43:44], off
	;; [unrolled: 1-line block ×6, first 2 shown]
	v_add_nc_u32_e32 v7, 2, v15
	v_add_nc_u32_e32 v46, 12, v16
	;; [unrolled: 1-line block ×4, first 2 shown]
	v_mov_b32_e32 v47, v8
	v_mul_lo_u32 v7, v7, s48
	v_mul_lo_u32 v46, v46, s49
	;; [unrolled: 1-line block ×3, first 2 shown]
	v_mov_b32_e32 v49, v8
	v_add_nc_u32_e32 v40, 6, v15
	v_add_nc_u32_e32 v54, 8, v15
	;; [unrolled: 1-line block ×4, first 2 shown]
	v_lshlrev_b64 v[50:51], 1, v[7:8]
	v_mul_lo_u32 v7, v14, s48
	v_lshlrev_b64 v[46:47], 1, v[46:47]
	v_lshlrev_b64 v[48:49], 1, v[48:49]
	v_add_nc_u32_e32 v60, 14, v15
	v_add_nc_u32_e32 v41, -8, v41
	s_add_i32 s22, s22, 16
	v_add_nc_u32_e32 v16, 16, v16
	v_add_co_u32 v46, vcc_lo, s43, v46
	v_lshlrev_b64 v[52:53], 1, v[7:8]
	v_mul_lo_u32 v7, v40, s48
	v_add_co_ci_u32_e64 v47, null, s47, v47, vcc_lo
	v_add_co_u32 v48, vcc_lo, s43, v48
	v_add_co_ci_u32_e64 v49, null, s47, v49, vcc_lo
	v_add_co_u32 v50, vcc_lo, s43, v50
	v_add_co_ci_u32_e64 v51, null, s47, v51, vcc_lo
	global_load_ushort v14, v[46:47], off
	v_add_co_u32 v46, vcc_lo, s43, v52
	v_add_co_ci_u32_e64 v47, null, s47, v53, vcc_lo
	v_lshlrev_b64 v[52:53], 1, v[7:8]
	v_mul_lo_u32 v7, v54, s48
	v_add_nc_u32_e32 v15, 16, v15
	v_add_co_u32 v52, vcc_lo, s43, v52
	v_add_co_ci_u32_e64 v53, null, s47, v53, vcc_lo
	v_lshlrev_b64 v[54:55], 1, v[7:8]
	v_mul_lo_u32 v7, v56, s48
	v_add_co_u32 v54, vcc_lo, s43, v54
	v_add_co_ci_u32_e64 v55, null, s47, v55, vcc_lo
	v_lshlrev_b64 v[56:57], 1, v[7:8]
	v_mul_lo_u32 v7, v58, s48
	;; [unrolled: 4-line block ×3, first 2 shown]
	v_add_co_u32 v58, vcc_lo, s43, v58
	v_add_co_ci_u32_e64 v59, null, s47, v59, vcc_lo
	v_lshlrev_b64 v[60:61], 1, v[7:8]
	v_mov_b32_e32 v7, s22
	v_add_co_u32 v60, vcc_lo, s43, v60
	v_add_co_ci_u32_e64 v61, null, s47, v61, vcc_lo
	v_cmp_eq_u32_e32 vcc_lo, 0, v41
	s_clause 0x7
	global_load_short_d16_hi v2, v[50:51], off
	global_load_short_d16_hi v3, v[46:47], off
	;; [unrolled: 1-line block ×3, first 2 shown]
	global_load_ushort v47, v[60:61], off
	global_load_short_d16_hi v43, v[54:55], off
	global_load_short_d16_hi v44, v[56:57], off
	;; [unrolled: 1-line block ×3, first 2 shown]
	global_load_ushort v40, v[48:49], off
	s_or_b32 s21, vcc_lo, s21
	s_waitcnt vmcnt(5)
	ds_write_b128 v42, v[1:4]
	s_waitcnt vmcnt(4)
	v_perm_b32 v46, v47, v14, 0x5040100
	s_waitcnt vmcnt(0)
	v_perm_b32 v1, v40, v47, 0x5040100
	ds_write_b128 v42, v[43:46] offset:16
	v_add_nc_u32_e32 v42, 32, v42
	s_andn2_b32 exec_lo, exec_lo, s21
	s_cbranch_execnz .LBB114_32
; %bb.33:                               ;   in Loop: Header=BB114_6 Depth=1
	s_or_b32 exec_lo, exec_lo, s21
.LBB114_34:                             ;   in Loop: Header=BB114_6 Depth=1
	s_or_b32 exec_lo, exec_lo, s20
	s_and_saveexec_b32 s20, s9
	s_cbranch_execz .LBB114_38
; %bb.35:                               ;   in Loop: Header=BB114_6 Depth=1
	v_lshl_add_u32 v2, v7, 1, v20
	v_mov_b32_e32 v3, v28
	s_mov_b32 s21, 0
	s_inst_prefetch 0x1
	.p2align	6
.LBB114_36:                             ;   Parent Loop BB114_6 Depth=1
                                        ; =>  This Inner Loop Header: Depth=2
	v_mul_lo_u32 v7, v15, s48
	v_mul_lo_u32 v40, v16, s49
	v_mov_b32_e32 v41, v8
	v_add_nc_u32_e32 v3, -4, v3
	v_add_nc_u32_e32 v16, 2, v16
	v_add_nc_u32_e32 v15, 2, v15
	v_lshlrev_b64 v[42:43], 1, v[7:8]
	v_lshlrev_b64 v[40:41], 1, v[40:41]
	v_add_co_u32 v42, vcc_lo, s43, v42
	v_add_co_ci_u32_e64 v43, null, s47, v43, vcc_lo
	v_add_co_u32 v40, vcc_lo, s43, v40
	v_add_co_ci_u32_e64 v41, null, s47, v41, vcc_lo
	s_clause 0x1
	global_load_ushort v4, v[42:43], off
	global_load_ushort v40, v[40:41], off
	v_cmp_eq_u32_e32 vcc_lo, 0, v3
	s_or_b32 s21, vcc_lo, s21
	s_waitcnt vmcnt(1)
	v_alignbit_b32 v1, v4, v1, 16
	s_waitcnt vmcnt(0)
	v_perm_b32 v4, v40, v4, 0x5040100
	ds_write_b32 v2, v1
	v_add_nc_u32_e32 v2, 4, v2
	v_mov_b32_e32 v1, v4
	s_andn2_b32 exec_lo, exec_lo, s21
	s_cbranch_execnz .LBB114_36
; %bb.37:                               ;   in Loop: Header=BB114_6 Depth=1
	s_inst_prefetch 0x2
	s_or_b32 exec_lo, exec_lo, s21
.LBB114_38:                             ;   in Loop: Header=BB114_6 Depth=1
	s_or_b32 exec_lo, exec_lo, s20
	v_add_nc_u32_e32 v13, v13, v23
	v_mov_b32_e32 v1, v24
	s_orn2_b32 s20, s10, exec_lo
	v_add_nc_u32_e32 v2, -1, v13
.LBB114_39:                             ;   in Loop: Header=BB114_6 Depth=1
	s_or_b32 exec_lo, exec_lo, s6
	v_mov_b32_e32 v3, s18
	s_and_b32 s6, s20, exec_lo
	s_andn2_saveexec_b32 s19, s19
	s_cbranch_execz .LBB114_25
.LBB114_40:                             ;   in Loop: Header=BB114_6 Depth=1
	v_mov_b32_e32 v3, s18
	v_mov_b32_e32 v1, v0
	s_or_b32 s6, s6, exec_lo
	s_or_b32 exec_lo, exec_lo, s19
	s_and_saveexec_b32 s18, s6
	s_cbranch_execz .LBB114_44
.LBB114_41:                             ;   in Loop: Header=BB114_6 Depth=1
	v_mul_lo_u32 v7, s48, v13
	s_mov_b32 s19, 0
	s_sub_i32 s6, 0, s17
	.p2align	6
.LBB114_42:                             ;   Parent Loop BB114_6 Depth=1
                                        ; =>  This Inner Loop Header: Depth=2
	v_lshlrev_b64 v[14:15], 1, v[7:8]
	s_waitcnt vmcnt(0)
	v_mov_b32_e32 v2, v40
	v_mov_b32_e32 v4, v13
	v_add_nc_u32_e32 v7, v7, v3
	v_add_co_u32 v14, vcc_lo, s43, v14
	v_add_co_ci_u32_e64 v15, null, s47, v15, vcc_lo
	v_add_nc_u32_e32 v13, s17, v4
	global_load_ushort v40, v[14:15], off
	v_lshlrev_b32_e32 v14, 1, v1
	v_cmp_le_u32_e32 vcc_lo, s36, v13
	v_mov_b32_e32 v1, v4
	ds_write_b16 v14, v2
	s_or_b32 s19, vcc_lo, s19
	s_andn2_b32 exec_lo, exec_lo, s19
	s_cbranch_execnz .LBB114_42
; %bb.43:                               ;   in Loop: Header=BB114_6 Depth=1
	s_or_b32 exec_lo, exec_lo, s19
	v_add_nc_u32_e32 v2, s6, v13
.LBB114_44:                             ;   in Loop: Header=BB114_6 Depth=1
	s_or_b32 exec_lo, exec_lo, s18
.LBB114_45:                             ;   in Loop: Header=BB114_6 Depth=1
	s_or_b32 exec_lo, exec_lo, s16
	v_lshlrev_b32_e32 v1, 1, v2
	s_waitcnt vmcnt(0)
	ds_write_b16 v1, v40
.LBB114_46:                             ;   in Loop: Header=BB114_6 Depth=1
	s_or_b32 exec_lo, exec_lo, s14
	s_waitcnt lgkmcnt(0)
	s_barrier
	buffer_gl0_inv
	s_and_saveexec_b32 s6, s3
; %bb.47:                               ;   in Loop: Header=BB114_6 Depth=1
	v_mov_b32_e32 v1, s36
	ds_write_b32 v8, v1 offset:4096
; %bb.48:                               ;   in Loop: Header=BB114_6 Depth=1
	s_or_b32 exec_lo, exec_lo, s6
	s_mov_b32 s6, -1
	s_waitcnt lgkmcnt(0)
	s_barrier
.LBB114_49:                             ;   in Loop: Header=BB114_6 Depth=1
	s_and_b32 vcc_lo, exec_lo, s6
	s_mov_b32 s95, 0
	s_cbranch_vccz .LBB114_51
; %bb.50:                               ;   in Loop: Header=BB114_6 Depth=1
	buffer_gl0_inv
	ds_read_b32 v1, v8 offset:4096
	s_waitcnt lgkmcnt(0)
	v_readfirstlane_b32 s95, v1
.LBB114_51:                             ;   in Loop: Header=BB114_6 Depth=1
	s_cmp_lt_i32 s95, 1
	s_mov_b32 s6, -1
                                        ; implicit-def: $vgpr1
	s_cbranch_scc1 .LBB114_61
; %bb.52:                               ;   in Loop: Header=BB114_6 Depth=1
	s_and_b32 vcc_lo, exec_lo, s6
	s_cbranch_vccnz .LBB114_72
.LBB114_53:                             ;   in Loop: Header=BB114_6 Depth=1
	s_lshl_b32 s6, s84, 7
	s_and_saveexec_b32 s14, s0
.LBB114_54:                             ;   in Loop: Header=BB114_6 Depth=1
	v_lshl_add_u32 v7, s6, 2, v22
	ds_write_b128 v7, v[1:4]
.LBB114_55:                             ;   in Loop: Header=BB114_6 Depth=1
	s_or_b32 exec_lo, exec_lo, s14
	s_waitcnt lgkmcnt(0)
	s_barrier
	buffer_gl0_inv
	s_and_saveexec_b32 s14, s68
	s_cbranch_execz .LBB114_85
; %bb.56:                               ;   in Loop: Header=BB114_6 Depth=1
	v_mov_b32_e32 v1, 0
	s_andn2_b32 vcc_lo, exec_lo, s70
	s_cbranch_vccnz .LBB114_84
; %bb.57:                               ;   in Loop: Header=BB114_6 Depth=1
	s_andn2_b32 vcc_lo, exec_lo, s73
	s_cbranch_vccnz .LBB114_81
; %bb.58:                               ;   in Loop: Header=BB114_6 Depth=1
	v_lshl_add_u32 v2, s84, 9, v34
	v_mov_b32_e32 v1, 0
	s_mov_b32 s16, 0
	.p2align	6
.LBB114_59:                             ;   Parent Loop BB114_6 Depth=1
                                        ; =>  This Inner Loop Header: Depth=2
	ds_read2_b32 v[3:4], v2 offset1:4
	ds_read2_b32 v[13:14], v2 offset0:8 offset1:12
	ds_read2_b32 v[15:16], v2 offset0:16 offset1:20
	;; [unrolled: 1-line block ×3, first 2 shown]
	v_add_nc_u32_e32 v2, 0x80, v2
	s_add_i32 s16, s16, 8
	s_cmp_eq_u32 s67, s16
	s_waitcnt lgkmcnt(3)
	v_add3_u32 v1, v3, v1, v4
	s_waitcnt lgkmcnt(2)
	v_add3_u32 v1, v13, v1, v14
	;; [unrolled: 2-line block ×4, first 2 shown]
	s_cbranch_scc0 .LBB114_59
; %bb.60:                               ;   in Loop: Header=BB114_6 Depth=1
	s_mov_b32 s16, s67
	s_andn2_b32 vcc_lo, exec_lo, s74
	s_cbranch_vccz .LBB114_82
	s_branch .LBB114_84
.LBB114_61:                             ;   in Loop: Header=BB114_6 Depth=1
	v_mov_b32_e32 v1, 0
	v_mov_b32_e32 v2, 0
	v_mov_b32_e32 v3, 0
	v_mov_b32_e32 v4, 0
	s_and_saveexec_b32 s25, s11
	s_cbranch_execz .LBB114_65
; %bb.62:                               ;   in Loop: Header=BB114_6 Depth=1
	v_mov_b32_e32 v13, v19
	s_mov_b32 s26, 0
	s_mov_b32 s27, 0
	;; [unrolled: 1-line block ×6, first 2 shown]
.LBB114_63:                             ;   Parent Loop BB114_6 Depth=1
                                        ; =>  This Inner Loop Header: Depth=2
	v_add_nc_u32_e32 v7, s27, v31
	v_add_nc_u32_e32 v13, s66, v13
	v_lshlrev_b64 v[1:2], 1, v[7:8]
	v_add_nc_u32_e32 v7, s27, v12
	v_lshlrev_b64 v[3:4], 1, v[7:8]
	v_add_nc_u32_e32 v7, s27, v29
	v_add_co_u32 v1, vcc_lo, s43, v1
	v_add_co_ci_u32_e64 v2, null, s47, v2, vcc_lo
	v_lshlrev_b64 v[14:15], 1, v[7:8]
	v_add_nc_u32_e32 v7, s27, v30
	s_add_i32 s27, s27, s79
	global_load_ushort v16, v[1:2], off
	v_add_co_u32 v1, vcc_lo, s43, v3
	v_add_co_ci_u32_e64 v2, null, s47, v4, vcc_lo
	v_add_co_u32 v14, vcc_lo, s43, v14
	v_add_co_ci_u32_e64 v15, null, s47, v15, vcc_lo
	v_lshlrev_b64 v[3:4], 1, v[7:8]
	s_clause 0x1
	global_load_ushort v7, v[1:2], off
	global_load_ushort v14, v[14:15], off
	v_add_co_u32 v1, vcc_lo, s43, v3
	v_add_co_ci_u32_e64 v2, null, s47, v4, vcc_lo
	v_cmp_le_u32_e32 vcc_lo, s76, v13
	global_load_ushort v1, v[1:2], off
	s_waitcnt vmcnt(3)
	v_cmp_lt_i16_e64 s6, -1, v16
	v_lshlrev_b32_e32 v3, 16, v16
	v_cndmask_b32_e64 v2, 0xffff, v35, s6
	s_waitcnt vmcnt(2)
	v_cmp_lt_i16_e64 s6, -1, v7
	v_xor_b32_sdwa v2, v2, v16 dst_sel:DWORD dst_unused:UNUSED_PAD src0_sel:DWORD src1_sel:WORD_0
	s_waitcnt vmcnt(1)
	v_cmp_lt_i16_e64 s14, -1, v14
	v_lshlrev_b32_e32 v15, 16, v14
	v_cndmask_b32_e64 v4, 0xffff, v35, s6
	v_cmp_o_f32_e64 s6, v3, v3
	v_lshlrev_b32_e32 v3, 16, v7
	v_xor_b32_sdwa v4, v4, v7 dst_sel:DWORD dst_unused:UNUSED_PAD src0_sel:DWORD src1_sel:WORD_0
	v_cndmask_b32_e64 v2, 0xffff, v2, s6
	v_cmp_o_f32_e64 s6, v3, v3
	v_cndmask_b32_e64 v7, 0xffff, v35, s14
	v_and_b32_e32 v16, v2, v37
	v_cndmask_b32_e64 v3, 0xffff, v4, s6
	s_waitcnt vmcnt(0)
	v_cmp_lt_i16_e64 s6, -1, v1
	v_xor_b32_sdwa v4, v7, v14 dst_sel:DWORD dst_unused:UNUSED_PAD src0_sel:DWORD src1_sel:WORD_0
	v_bfe_u32 v2, v2, s88, 2
	v_lshlrev_b32_e32 v14, 16, v1
	v_cndmask_b32_e64 v7, 0xffff, v35, s6
	v_cmp_o_f32_e64 s6, v15, v15
	v_cmp_eq_u32_e64 s14, 0, v2
	v_cmp_eq_u32_e64 s16, 1, v2
	v_cmp_o_f32_e64 s19, v14, v14
	v_xor_b32_sdwa v1, v7, v1 dst_sel:DWORD dst_unused:UNUSED_PAD src0_sel:DWORD src1_sel:WORD_0
	v_cndmask_b32_e64 v4, 0xffff, v4, s6
	v_cmp_eq_u32_e64 s6, v16, v27
	v_and_b32_e32 v7, v3, v37
	v_bfe_u32 v3, v3, s88, 2
	v_cmp_eq_u32_e64 s17, 2, v2
	v_cmp_eq_u32_e64 s18, 3, v2
	s_and_b32 s14, s6, s14
	v_cndmask_b32_e64 v1, 0xffff, v1, s19
	v_cmp_eq_u32_e64 s19, v7, v27
	v_cmp_eq_u32_e64 s20, 0, v3
	v_cndmask_b32_e64 v7, 0, 1, s14
	v_cmp_eq_u32_e64 s14, 1, v3
	s_and_b32 s16, s6, s16
	v_and_b32_e32 v2, v4, v37
	v_bfe_u32 v4, v4, s88, 2
	v_cndmask_b32_e64 v14, 0, 1, s16
	v_cmp_eq_u32_e64 s16, 2, v3
	s_and_b32 s17, s6, s17
	s_and_b32 s6, s6, s18
	v_cndmask_b32_e64 v15, 0, 1, s17
	s_and_b32 s20, s19, s20
	s_and_b32 s14, s19, s14
	v_cmp_eq_u32_e64 s17, 3, v3
	v_cndmask_b32_e64 v3, 0, 1, s6
	v_cmp_eq_u32_e64 s6, v2, v27
	v_cmp_eq_u32_e64 s18, 0, v4
	v_cmp_ne_u32_e64 s21, 0, v7
	v_cndmask_b32_e64 v7, 0, 1, s20
	v_cmp_eq_u32_e64 s20, 1, v4
	v_cmp_ne_u32_e64 s22, 0, v14
	v_cndmask_b32_e64 v14, 0, 1, s14
	v_cmp_eq_u32_e64 s14, 2, v4
	s_and_b32 s16, s19, s16
	v_and_b32_e32 v2, v1, v37
	v_bfe_u32 v1, v1, s88, 2
	v_cmp_ne_u32_e64 s23, 0, v15
	v_cndmask_b32_e64 v15, 0, 1, s16
	v_cmp_eq_u32_e64 s16, 3, v4
	s_and_b32 s17, s19, s17
	s_and_b32 s18, s6, s18
	;; [unrolled: 1-line block ×4, first 2 shown]
	v_cmp_ne_u32_e64 s24, 0, v3
	v_cndmask_b32_e64 v3, 0, 1, s17
	v_cmp_eq_u32_e64 s17, v2, v27
	v_cmp_eq_u32_e64 s19, 0, v1
	s_bcnt1_i32_b32 s33, s21
	v_cmp_ne_u32_e64 s21, 0, v7
	v_cndmask_b32_e64 v2, 0, 1, s18
	v_cmp_eq_u32_e64 s18, 1, v1
	v_cndmask_b32_e64 v4, 0, 1, s20
	v_cmp_eq_u32_e64 s20, 2, v1
	;; [unrolled: 2-line block ×3, first 2 shown]
	s_and_b32 s6, s6, s16
	s_bcnt1_i32_b32 s45, s24
	v_cndmask_b32_e64 v1, 0, 1, s6
	v_cmp_ne_u32_e64 s24, 0, v3
	s_and_b32 s16, s17, s19
	s_and_b32 s18, s17, s18
	s_and_b32 s19, s17, s20
	s_and_b32 s14, s17, s14
	v_cmp_ne_u32_e64 s6, 0, v2
	v_cndmask_b32_e64 v2, 0, 1, s16
	v_cmp_ne_u32_e64 s16, 0, v4
	v_cndmask_b32_e64 v3, 0, 1, s18
	v_cndmask_b32_e64 v4, 0, 1, s19
	v_cmp_ne_u32_e64 s19, 0, v1
	v_cndmask_b32_e64 v1, 0, 1, s14
	s_bcnt1_i32_b32 s34, s22
	v_cmp_ne_u32_e64 s22, 0, v14
	s_bcnt1_i32_b32 s44, s23
	v_cmp_ne_u32_e64 s23, 0, v15
	s_add_i32 s28, s45, s28
	v_cmp_ne_u32_e64 s18, 0, v7
	s_bcnt1_i32_b32 s20, s24
	s_bcnt1_i32_b32 s24, s6
	s_add_i32 s20, s28, s20
	v_cmp_ne_u32_e64 s6, 0, v2
	s_bcnt1_i32_b32 s28, s16
	v_cmp_ne_u32_e64 s14, 0, v3
	v_cmp_ne_u32_e64 s16, 0, v4
	;; [unrolled: 1-line block ×3, first 2 shown]
	s_add_i32 s31, s33, s31
	s_add_i32 s30, s34, s30
	;; [unrolled: 1-line block ×3, first 2 shown]
	s_bcnt1_i32_b32 s21, s21
	s_bcnt1_i32_b32 s22, s22
	s_bcnt1_i32_b32 s23, s23
	s_add_i32 s21, s31, s21
	s_add_i32 s22, s30, s22
	;; [unrolled: 1-line block ×3, first 2 shown]
	s_bcnt1_i32_b32 s18, s18
	s_bcnt1_i32_b32 s19, s19
	s_add_i32 s21, s21, s24
	s_add_i32 s22, s22, s28
	;; [unrolled: 1-line block ×4, first 2 shown]
	s_bcnt1_i32_b32 s6, s6
	s_bcnt1_i32_b32 s14, s14
	;; [unrolled: 1-line block ×4, first 2 shown]
	s_add_i32 s31, s21, s6
	s_add_i32 s30, s22, s14
	;; [unrolled: 1-line block ×4, first 2 shown]
	v_mov_b32_e32 v1, s31
	v_mov_b32_e32 v2, s30
	;; [unrolled: 1-line block ×4, first 2 shown]
	s_or_b32 s26, vcc_lo, s26
	s_andn2_b32 exec_lo, exec_lo, s26
	s_cbranch_execnz .LBB114_63
; %bb.64:                               ;   in Loop: Header=BB114_6 Depth=1
	s_or_b32 exec_lo, exec_lo, s26
.LBB114_65:                             ;   in Loop: Header=BB114_6 Depth=1
	s_or_b32 exec_lo, exec_lo, s25
	s_and_saveexec_b32 s18, s12
	s_cbranch_execz .LBB114_71
; %bb.66:                               ;   in Loop: Header=BB114_6 Depth=1
	global_load_ushort v15, v[10:11], off
	v_mov_b32_e32 v7, v32
	v_mov_b32_e32 v13, v25
	s_mov_b32 s19, 0
	s_branch .LBB114_68
.LBB114_67:                             ;   in Loop: Header=BB114_68 Depth=2
	s_or_b32 exec_lo, exec_lo, s14
	s_waitcnt vmcnt(0)
	v_cmp_lt_i16_e64 s6, -1, v15
	v_lshlrev_b32_e32 v40, 16, v15
	s_and_b32 s14, exec_lo, vcc_lo
	v_add_nc_u32_e32 v7, s59, v7
	s_or_b32 s19, s14, s19
	v_cndmask_b32_e64 v16, 0xffff, v35, s6
	v_cmp_o_f32_e64 s6, v40, v40
	v_xor_b32_sdwa v15, v16, v15 dst_sel:DWORD dst_unused:UNUSED_PAD src0_sel:DWORD src1_sel:WORD_0
	v_cndmask_b32_e64 v15, 0xffff, v15, s6
	v_and_b32_e32 v16, v15, v37
	v_bfe_u32 v15, v15, s88, 2
	v_cmp_eq_u32_e32 vcc_lo, v16, v27
	v_cmp_eq_u32_e64 s6, 0, v15
	v_cmp_eq_u32_e64 s14, 1, v15
	;; [unrolled: 1-line block ×4, first 2 shown]
	s_and_b32 s6, vcc_lo, s6
	v_cndmask_b32_e64 v15, 0, 1, s6
	s_and_b32 s6, vcc_lo, s14
	v_cndmask_b32_e64 v16, 0, 1, s6
	;; [unrolled: 2-line block ×3, first 2 shown]
	s_and_b32 s6, vcc_lo, s17
	v_cmp_ne_u32_e32 vcc_lo, 0, v15
	v_cndmask_b32_e64 v41, 0, 1, s6
	v_cmp_ne_u32_e64 s6, 0, v16
	v_cmp_ne_u32_e64 s14, 0, v40
	v_mov_b32_e32 v15, v14
	s_bcnt1_i32_b32 s17, vcc_lo
	v_cmp_ne_u32_e64 s16, 0, v41
	s_bcnt1_i32_b32 s6, s6
	s_bcnt1_i32_b32 s14, s14
	v_add_nc_u32_e32 v1, s17, v1
	v_add_nc_u32_e32 v2, s6, v2
	s_bcnt1_i32_b32 s16, s16
	v_add_nc_u32_e32 v3, s14, v3
	v_add_nc_u32_e32 v4, s16, v4
	s_andn2_b32 exec_lo, exec_lo, s19
	s_cbranch_execz .LBB114_70
.LBB114_68:                             ;   Parent Loop BB114_6 Depth=1
                                        ; =>  This Inner Loop Header: Depth=2
	v_add_nc_u32_e32 v13, s58, v13
	v_mov_b32_e32 v14, 0
	s_mov_b32 s14, exec_lo
	v_cmp_le_u32_e32 vcc_lo, s36, v13
	v_cmpx_gt_u32_e64 s36, v13
	s_cbranch_execz .LBB114_67
; %bb.69:                               ;   in Loop: Header=BB114_68 Depth=2
	v_lshlrev_b64 v[40:41], 1, v[7:8]
	v_add_co_u32 v40, s6, s43, v40
	v_add_co_ci_u32_e64 v41, null, s47, v41, s6
	global_load_ushort v14, v[40:41], off
	s_branch .LBB114_67
.LBB114_70:                             ;   in Loop: Header=BB114_6 Depth=1
	s_or_b32 exec_lo, exec_lo, s19
.LBB114_71:                             ;   in Loop: Header=BB114_6 Depth=1
	s_or_b32 exec_lo, exec_lo, s18
	s_branch .LBB114_53
.LBB114_72:                             ;   in Loop: Header=BB114_6 Depth=1
	s_mul_hi_u32 s6, s95, s75
	v_mov_b32_e32 v1, 0
	s_mul_i32 s6, s6, s66
	v_mov_b32_e32 v2, 0
	s_sub_i32 s6, s95, s6
	v_mov_b32_e32 v3, 0
	s_sub_i32 s14, s6, s66
	s_cmp_ge_u32 s6, s66
	v_mov_b32_e32 v4, 0
	s_cselect_b32 s6, s14, s6
	s_mov_b32 s97, exec_lo
	s_sub_i32 s14, s6, s66
	s_cmp_ge_u32 s6, s66
	s_cselect_b32 s6, s14, s6
	s_sub_i32 s96, s95, s6
	v_cmpx_gt_u32_e64 s96, v19
	s_cbranch_execz .LBB114_76
; %bb.73:                               ;   in Loop: Header=BB114_6 Depth=1
	v_mov_b32_e32 v7, v33
	v_mov_b32_e32 v13, v19
	s_mov_b32 s98, 0
	s_mov_b32 s99, 0
	;; [unrolled: 1-line block ×3, first 2 shown]
	s_mov_b32 vcc_hi, 0
	s_mov_b32 s44, 0
.LBB114_74:                             ;   Parent Loop BB114_6 Depth=1
                                        ; =>  This Inner Loop Header: Depth=2
	ds_read_b64 v[1:2], v7
	v_add_nc_u32_e32 v13, s66, v13
	v_add_nc_u32_e32 v7, s80, v7
	v_cmp_le_u32_e32 vcc_lo, s96, v13
	s_waitcnt lgkmcnt(0)
	v_cmp_lt_i16_e64 s6, -1, v1
	v_lshlrev_b32_e32 v4, 16, v1
	v_and_b32_e32 v15, 0xffff0000, v1
	v_lshlrev_b32_e32 v40, 16, v2
	v_and_b32_e32 v42, 0xffff0000, v2
	v_cndmask_b32_e64 v3, 0xffff, v35, s6
	v_cmp_gt_i16_sdwa s6, v1, v36 src0_sel:WORD_1 src1_sel:DWORD
	v_cmp_o_f32_e64 s17, v4, v4
	v_cmp_o_f32_e64 s14, v40, v40
	;; [unrolled: 1-line block ×3, first 2 shown]
	v_xor_b32_sdwa v3, v3, v1 dst_sel:DWORD dst_unused:UNUSED_PAD src0_sel:DWORD src1_sel:WORD_0
	v_cndmask_b32_e64 v14, 0xffff, v35, s6
	v_cmp_lt_i16_e64 s6, -1, v2
	v_cndmask_b32_e64 v3, 0xffff, v3, s17
	v_xor_b32_sdwa v1, v14, v1 dst_sel:DWORD dst_unused:UNUSED_PAD src0_sel:DWORD src1_sel:WORD_1
	v_cndmask_b32_e64 v16, 0xffff, v35, s6
	v_cmp_gt_i16_sdwa s6, v2, v36 src0_sel:WORD_1 src1_sel:DWORD
	v_xor_b32_sdwa v14, v16, v2 dst_sel:DWORD dst_unused:UNUSED_PAD src0_sel:DWORD src1_sel:WORD_0
	v_cndmask_b32_e64 v41, 0xffff, v35, s6
	v_cmp_o_f32_e64 s6, v15, v15
	v_cndmask_b32_e64 v4, 0xffff, v14, s14
	v_xor_b32_sdwa v2, v41, v2 dst_sel:DWORD dst_unused:UNUSED_PAD src0_sel:DWORD src1_sel:WORD_1
	v_cndmask_b32_e64 v1, 0xffff, v1, s6
	v_and_b32_e32 v14, v3, v37
	v_bfe_u32 v3, v3, s88, 2
	v_and_b32_e32 v16, v4, v37
	v_cndmask_b32_e64 v2, 0xffff, v2, s16
	v_and_b32_e32 v15, v1, v37
	v_bfe_u32 v1, v1, s88, 2
	v_bfe_u32 v4, v4, s88, 2
	v_cmp_eq_u32_e64 s6, v14, v27
	v_cmp_eq_u32_e64 s18, 0, v3
	v_and_b32_e32 v40, v2, v37
	v_bfe_u32 v2, v2, s88, 2
	v_cmp_eq_u32_e64 s14, v15, v27
	v_cmp_eq_u32_e64 s19, 0, v1
	;; [unrolled: 1-line block ×4, first 2 shown]
	s_and_b32 s18, s6, s18
	v_cmp_eq_u32_e64 s17, v40, v27
	v_cmp_eq_u32_e64 s21, 0, v2
	;; [unrolled: 1-line block ×5, first 2 shown]
	v_cndmask_b32_e64 v1, 0, 1, s18
	s_and_b32 s18, s14, s19
	v_cmp_eq_u32_e64 s22, 1, v3
	v_cmp_eq_u32_e64 s25, 1, v2
	;; [unrolled: 1-line block ×4, first 2 shown]
	v_cndmask_b32_e64 v2, 0, 1, s18
	s_and_b32 s18, s16, s20
	v_cmp_eq_u32_e64 s26, 2, v3
	v_cmp_eq_u32_e64 s30, 3, v3
	v_cndmask_b32_e64 v3, 0, 1, s18
	s_and_b32 s18, s17, s21
	v_cmp_eq_u32_e64 s24, 1, v4
	v_cmp_eq_u32_e64 s28, 2, v4
	v_cmp_eq_u32_e64 s33, 3, v4
	v_cndmask_b32_e64 v4, 0, 1, s18
	s_and_b32 s18, s6, s22
	v_cndmask_b32_e64 v14, 0, 1, s18
	s_and_b32 s18, s14, s23
	;; [unrolled: 2-line block ×4, first 2 shown]
	v_cmp_ne_u32_e64 s19, 0, v15
	v_cndmask_b32_e64 v40, 0, 1, s18
	s_and_b32 s18, s6, s26
	s_and_b32 s6, s6, s30
	v_cndmask_b32_e64 v41, 0, 1, s18
	s_and_b32 s18, s14, s27
	v_cndmask_b32_e64 v45, 0, 1, s6
	;; [unrolled: 2-line block ×7, first 2 shown]
	v_cndmask_b32_e64 v48, 0, 1, s6
	v_cmp_ne_u32_e64 s6, 0, v1
	v_cmp_ne_u32_e64 s18, 0, v14
	;; [unrolled: 1-line block ×11, first 2 shown]
	s_bcnt1_i32_b32 s6, s6
	s_bcnt1_i32_b32 s18, s18
	;; [unrolled: 1-line block ×4, first 2 shown]
	v_cmp_ne_u32_e64 s17, 0, v4
	v_cmp_ne_u32_e64 s21, 0, v40
	;; [unrolled: 1-line block ×4, first 2 shown]
	s_bcnt1_i32_b32 s14, s14
	s_bcnt1_i32_b32 s19, s19
	;; [unrolled: 1-line block ×4, first 2 shown]
	s_add_i32 s6, s6, s44
	s_add_i32 s18, s18, vcc_hi
	s_add_i32 s22, s22, s104
	s_add_i32 s26, s26, s99
	s_bcnt1_i32_b32 s16, s16
	s_bcnt1_i32_b32 s20, s20
	s_bcnt1_i32_b32 s24, s24
	s_bcnt1_i32_b32 s28, s28
	s_add_i32 s6, s6, s14
	s_add_i32 s14, s18, s19
	;; [unrolled: 1-line block ×4, first 2 shown]
	s_bcnt1_i32_b32 s17, s17
	s_bcnt1_i32_b32 s21, s21
	;; [unrolled: 1-line block ×4, first 2 shown]
	s_add_i32 s6, s6, s16
	s_add_i32 s14, s14, s20
	;; [unrolled: 1-line block ×5, first 2 shown]
	s_add_i32 vcc_hi, s14, s21
	s_add_i32 s104, s16, s25
	s_add_i32 s99, s18, s29
	v_mov_b32_e32 v1, s44
	v_mov_b32_e32 v2, vcc_hi
	v_mov_b32_e32 v3, s104
	v_mov_b32_e32 v4, s99
	s_or_b32 s98, vcc_lo, s98
	s_andn2_b32 exec_lo, exec_lo, s98
	s_cbranch_execnz .LBB114_74
; %bb.75:                               ;   in Loop: Header=BB114_6 Depth=1
	s_or_b32 exec_lo, exec_lo, s98
.LBB114_76:                             ;   in Loop: Header=BB114_6 Depth=1
	s_or_b32 exec_lo, exec_lo, s97
	v_add_nc_u32_e32 v7, s96, v0
	s_mov_b32 s19, exec_lo
	v_cmpx_gt_u32_e64 s95, v7
	s_cbranch_execz .LBB114_80
; %bb.77:                               ;   in Loop: Header=BB114_6 Depth=1
	v_lshlrev_b32_e32 v13, 1, v7
	s_mov_b32 s20, 0
.LBB114_78:                             ;   Parent Loop BB114_6 Depth=1
                                        ; =>  This Inner Loop Header: Depth=2
	ds_read_u16 v14, v13
	v_add_nc_u32_e32 v7, s58, v7
	v_add_nc_u32_e32 v13, s81, v13
	v_cmp_le_u32_e32 vcc_lo, s95, v7
	s_waitcnt lgkmcnt(0)
	v_cmp_lt_i16_e64 s6, -1, v14
	v_lshlrev_b32_e32 v16, 16, v14
	v_cndmask_b32_e64 v15, 0xffff, v35, s6
	v_cmp_o_f32_e64 s6, v16, v16
	v_xor_b32_sdwa v14, v15, v14 dst_sel:DWORD dst_unused:UNUSED_PAD src0_sel:DWORD src1_sel:WORD_0
	v_cndmask_b32_e64 v14, 0xffff, v14, s6
	v_and_b32_e32 v15, v14, v37
	v_bfe_u32 v14, v14, s88, 2
	v_cmp_eq_u32_e64 s6, v15, v27
	v_cmp_eq_u32_e64 s14, 0, v14
	;; [unrolled: 1-line block ×5, first 2 shown]
	s_and_b32 s14, s6, s14
	v_cndmask_b32_e64 v14, 0, 1, s14
	s_and_b32 s14, s6, s16
	v_cndmask_b32_e64 v15, 0, 1, s14
	s_and_b32 s14, s6, s17
	s_and_b32 s6, s6, s18
	v_cndmask_b32_e64 v16, 0, 1, s14
	v_cndmask_b32_e64 v40, 0, 1, s6
	v_cmp_ne_u32_e64 s6, 0, v14
	v_cmp_ne_u32_e64 s14, 0, v15
	v_cmp_ne_u32_e64 s16, 0, v16
	v_cmp_ne_u32_e64 s17, 0, v40
	s_bcnt1_i32_b32 s6, s6
	s_bcnt1_i32_b32 s14, s14
	v_add_nc_u32_e32 v1, s6, v1
	s_bcnt1_i32_b32 s16, s16
	s_bcnt1_i32_b32 s17, s17
	v_add_nc_u32_e32 v2, s14, v2
	v_add_nc_u32_e32 v3, s16, v3
	;; [unrolled: 1-line block ×3, first 2 shown]
	s_or_b32 s20, vcc_lo, s20
	s_andn2_b32 exec_lo, exec_lo, s20
	s_cbranch_execnz .LBB114_78
; %bb.79:                               ;   in Loop: Header=BB114_6 Depth=1
	s_or_b32 exec_lo, exec_lo, s20
.LBB114_80:                             ;   in Loop: Header=BB114_6 Depth=1
	s_or_b32 exec_lo, exec_lo, s19
	s_lshl_b32 s6, s84, 7
	s_and_saveexec_b32 s14, s0
	s_cbranch_execnz .LBB114_54
	s_branch .LBB114_55
.LBB114_81:                             ;   in Loop: Header=BB114_6 Depth=1
	v_mov_b32_e32 v1, 0
	s_mov_b32 s16, 0
	s_andn2_b32 vcc_lo, exec_lo, s74
	s_cbranch_vccnz .LBB114_84
.LBB114_82:                             ;   in Loop: Header=BB114_6 Depth=1
	s_lshl_b32 s17, s84, 9
	s_lshl_b32 s16, s16, 4
	v_add3_u32 v2, s17, s16, v34
	s_mov_b32 s16, s72
.LBB114_83:                             ;   Parent Loop BB114_6 Depth=1
                                        ; =>  This Inner Loop Header: Depth=2
	ds_read_b32 v3, v2
	v_add_nc_u32_e32 v2, 16, v2
	s_add_i32 s16, s16, -1
	s_cmp_lg_u32 s16, 0
	s_waitcnt lgkmcnt(0)
	v_add_nc_u32_e32 v1, v3, v1
	s_cbranch_scc1 .LBB114_83
.LBB114_84:                             ;   in Loop: Header=BB114_6 Depth=1
	v_add_lshl_u32 v2, s6, v18, 2
	ds_write_b32 v2, v1 offset:3072
.LBB114_85:                             ;   in Loop: Header=BB114_6 Depth=1
	s_or_b32 exec_lo, exec_lo, s14
	s_lshl_b32 s6, s6, 2
	s_waitcnt lgkmcnt(0)
	v_mov_b32_e32 v1, s6
	s_barrier
	buffer_gl0_inv
	v_cmp_eq_u32_e64 s14, 1, v39
	s_lshl_b32 s18, 3, s88
	ds_read_b128 v[1:4], v1 offset:3072
	s_mov_b32 s27, -1
	s_not_b32 s19, s18
	s_mov_b32 s16, 0
	s_andn2_b32 vcc_lo, exec_lo, s65
	s_mov_b32 s24, 0
	s_mov_b32 s23, 0
                                        ; implicit-def: $sgpr25
                                        ; implicit-def: $sgpr26
                                        ; implicit-def: $vgpr7
	s_waitcnt lgkmcnt(0)
	v_readfirstlane_b32 s17, v1
	v_readfirstlane_b32 s20, v2
	;; [unrolled: 1-line block ×4, first 2 shown]
                                        ; implicit-def: $vgpr4
                                        ; implicit-def: $vgpr1
                                        ; implicit-def: $vgpr2
                                        ; implicit-def: $vgpr3
	s_cbranch_vccnz .LBB114_243
; %bb.86:                               ;   in Loop: Header=BB114_6 Depth=1
	s_cmp_eq_u32 s17, 1
	v_mov_b32_e32 v2, v27
	v_mov_b32_e32 v3, v37
	;; [unrolled: 1-line block ×3, first 2 shown]
	s_cselect_b32 s6, -1, 0
	s_mov_b32 s29, -1
	s_and_b32 s6, s6, s14
                                        ; implicit-def: $sgpr26
                                        ; implicit-def: $sgpr25
	s_and_saveexec_b32 s23, s6
	s_cbranch_execz .LBB114_112
; %bb.87:                               ;   in Loop: Header=BB114_6 Depth=1
	ds_read_b32 v1, v8 offset:4096
	s_waitcnt lgkmcnt(0)
	s_barrier
	buffer_gl0_inv
	v_readfirstlane_b32 s27, v1
	s_and_saveexec_b32 s24, s15
; %bb.88:                               ;   in Loop: Header=BB114_6 Depth=1
	ds_write_b16 v21, v8
; %bb.89:                               ;   in Loop: Header=BB114_6 Depth=1
	s_or_b32 exec_lo, exec_lo, s24
	v_and_b32_e32 v2, s19, v27
	v_or_b32_e32 v3, s18, v37
	s_mov_b32 s25, -1
	s_mov_b32 s26, 0
	s_cmp_eq_u32 s27, 0
	s_mov_b32 s24, 0
	s_mov_b32 s28, -1
	s_waitcnt lgkmcnt(0)
	s_barrier
	buffer_gl0_inv
                                        ; implicit-def: $vgpr7
	s_cbranch_scc1 .LBB114_100
; %bb.90:                               ;   in Loop: Header=BB114_6 Depth=1
	s_add_i32 s24, s27, s71
                                        ; implicit-def: $vgpr7
	s_mul_hi_u32 s28, s24, s77
	s_mul_i32 s28, s28, s58
	s_sub_i32 s28, s24, s28
	s_sub_i32 s29, s28, s58
	s_cmp_ge_u32 s28, s58
	s_cselect_b32 s28, s29, s28
	s_sub_i32 s29, s28, s58
	s_cmp_ge_u32 s28, s58
	s_cselect_b32 s28, s29, s28
	s_mov_b32 s29, exec_lo
	s_sub_i32 s30, s24, s28
	s_mov_b32 s28, 0
	s_mov_b32 s24, 0
	v_cmpx_gt_u32_e64 s30, v0
	s_cbranch_execz .LBB114_99
; %bb.91:                               ;   in Loop: Header=BB114_6 Depth=1
	v_mov_b32_e32 v1, v20
	v_mov_b32_e32 v4, v0
                                        ; implicit-def: $sgpr31
	s_branch .LBB114_94
.LBB114_92:                             ;   in Loop: Header=BB114_94 Depth=2
	s_or_b32 exec_lo, exec_lo, s33
	s_waitcnt lgkmcnt(0)
	s_barrier
	buffer_gl0_inv
	ds_read_b32 v7, v8 offset:3072
	s_mov_b32 s33, -1
	s_mov_b32 s34, -1
	s_waitcnt lgkmcnt(0)
	s_barrier
	buffer_gl0_inv
	v_and_b32_e32 v13, 0x7fff, v7
	v_cmp_ne_u32_e32 vcc_lo, 0, v13
	s_cbranch_vccz .LBB114_97
.LBB114_93:                             ;   in Loop: Header=BB114_94 Depth=2
	s_and_b32 s33, exec_lo, s33
	s_or_b32 s24, s33, s24
	s_andn2_b32 s31, s31, exec_lo
	s_and_b32 s33, s34, exec_lo
	s_or_b32 s31, s31, s33
	s_andn2_b32 exec_lo, exec_lo, s24
	s_cbranch_execz .LBB114_98
.LBB114_94:                             ;   Parent Loop BB114_6 Depth=1
                                        ; =>  This Inner Loop Header: Depth=2
	s_mov_b32 s33, exec_lo
	v_cmpx_gt_u32_e64 s27, v4
	s_cbranch_execz .LBB114_92
; %bb.95:                               ;   in Loop: Header=BB114_94 Depth=2
	ds_read_u16 v7, v1
	s_waitcnt lgkmcnt(0)
	v_cmp_lt_i16_e32 vcc_lo, -1, v7
	v_lshlrev_b32_e32 v14, 16, v7
	v_cndmask_b32_e32 v13, 0xffff, v35, vcc_lo
	v_cmp_o_f32_e32 vcc_lo, v14, v14
	v_xor_b32_sdwa v13, v13, v7 dst_sel:DWORD dst_unused:UNUSED_PAD src0_sel:DWORD src1_sel:WORD_0
	v_cndmask_b32_e32 v13, 0xffff, v13, vcc_lo
	v_and_b32_e32 v13, v13, v3
	v_cmp_eq_u32_e32 vcc_lo, v13, v2
	s_and_b32 exec_lo, exec_lo, vcc_lo
	s_cbranch_execz .LBB114_92
; %bb.96:                               ;   in Loop: Header=BB114_94 Depth=2
	v_perm_b32 v7, v7, s83, 0x5040100
	ds_write_b32 v8, v7 offset:3072
	s_branch .LBB114_92
.LBB114_97:                             ;   in Loop: Header=BB114_94 Depth=2
	v_add_nc_u32_e32 v4, s58, v4
	v_add_nc_u32_e32 v1, s81, v1
	s_mov_b32 s34, 0
	v_cmp_le_u32_e32 vcc_lo, s30, v4
	s_orn2_b32 s33, vcc_lo, exec_lo
	s_branch .LBB114_93
.LBB114_98:                             ;   in Loop: Header=BB114_6 Depth=1
	s_or_b32 exec_lo, exec_lo, s24
	v_lshrrev_b32_e32 v7, 16, v7
	s_and_b32 s24, s31, exec_lo
.LBB114_99:                             ;   in Loop: Header=BB114_6 Depth=1
	s_or_b32 exec_lo, exec_lo, s29
.LBB114_100:                            ;   in Loop: Header=BB114_6 Depth=1
	s_and_b32 vcc_lo, exec_lo, s28
	s_cbranch_vccz .LBB114_111
; %bb.101:                              ;   in Loop: Header=BB114_6 Depth=1
                                        ; implicit-def: $vgpr7
	s_and_saveexec_b32 s25, s13
	s_cbranch_execz .LBB114_110
; %bb.102:                              ;   in Loop: Header=BB114_6 Depth=1
	v_mov_b32_e32 v7, v9
	v_mov_b32_e32 v1, v0
	s_mov_b32 s26, 0
                                        ; implicit-def: $sgpr27
	s_branch .LBB114_105
.LBB114_103:                            ;   in Loop: Header=BB114_105 Depth=2
	s_or_b32 exec_lo, exec_lo, s28
	s_waitcnt lgkmcnt(0)
	s_barrier
	buffer_gl0_inv
	ds_read_b32 v4, v8 offset:3072
	s_mov_b32 s28, -1
	s_mov_b32 s29, -1
	s_waitcnt lgkmcnt(0)
	s_barrier
	buffer_gl0_inv
	v_and_b32_e32 v13, 0x7fff, v4
	v_cmp_ne_u32_e32 vcc_lo, 0, v13
	s_cbranch_vccz .LBB114_108
.LBB114_104:                            ;   in Loop: Header=BB114_105 Depth=2
	s_and_b32 s28, exec_lo, s28
	s_or_b32 s26, s28, s26
	s_andn2_b32 s27, s27, exec_lo
	s_and_b32 s28, s29, exec_lo
	s_or_b32 s27, s27, s28
	s_andn2_b32 exec_lo, exec_lo, s26
	s_cbranch_execz .LBB114_109
.LBB114_105:                            ;   Parent Loop BB114_6 Depth=1
                                        ; =>  This Inner Loop Header: Depth=2
	s_mov_b32 s28, exec_lo
	v_cmpx_gt_u32_e64 s36, v1
	s_cbranch_execz .LBB114_103
; %bb.106:                              ;   in Loop: Header=BB114_105 Depth=2
	v_lshlrev_b64 v[13:14], 1, v[7:8]
	v_add_co_u32 v13, vcc_lo, s43, v13
	v_add_co_ci_u32_e64 v14, null, s47, v14, vcc_lo
	global_load_ushort v4, v[13:14], off
	s_waitcnt vmcnt(0)
	v_cmp_lt_i16_e32 vcc_lo, -1, v4
	v_lshlrev_b32_e32 v14, 16, v4
	v_cndmask_b32_e32 v13, 0xffff, v35, vcc_lo
	v_cmp_o_f32_e32 vcc_lo, v14, v14
	v_xor_b32_sdwa v13, v13, v4 dst_sel:DWORD dst_unused:UNUSED_PAD src0_sel:DWORD src1_sel:WORD_0
	v_cndmask_b32_e32 v13, 0xffff, v13, vcc_lo
	v_and_b32_e32 v13, v13, v3
	v_cmp_eq_u32_e32 vcc_lo, v13, v2
	s_and_b32 exec_lo, exec_lo, vcc_lo
	s_cbranch_execz .LBB114_103
; %bb.107:                              ;   in Loop: Header=BB114_105 Depth=2
	v_perm_b32 v4, v4, s83, 0x5040100
	ds_write_b32 v8, v4 offset:3072
	s_branch .LBB114_103
.LBB114_108:                            ;   in Loop: Header=BB114_105 Depth=2
	v_add_nc_u32_e32 v1, s58, v1
	v_add_nc_u32_e32 v7, s59, v7
	s_mov_b32 s29, 0
	v_cmp_le_u32_e32 vcc_lo, s78, v1
	s_orn2_b32 s28, vcc_lo, exec_lo
	s_branch .LBB114_104
.LBB114_109:                            ;   in Loop: Header=BB114_6 Depth=1
	s_or_b32 exec_lo, exec_lo, s26
	v_lshrrev_b32_e32 v7, 16, v4
	s_andn2_b32 s24, s24, exec_lo
	s_and_b32 s26, s27, exec_lo
	s_or_b32 s24, s24, s26
.LBB114_110:                            ;   in Loop: Header=BB114_6 Depth=1
	s_or_b32 exec_lo, exec_lo, s25
	s_mov_b32 s25, 0
	s_mov_b32 s26, -1
.LBB114_111:                            ;   in Loop: Header=BB114_6 Depth=1
	s_orn2_b32 s29, s24, exec_lo
.LBB114_112:                            ;   in Loop: Header=BB114_6 Depth=1
	s_or_b32 exec_lo, exec_lo, s23
	s_mov_b32 s27, 0
	s_mov_b32 s24, 0
	;; [unrolled: 1-line block ×3, first 2 shown]
                                        ; implicit-def: $vgpr4
                                        ; implicit-def: $vgpr1
	s_and_saveexec_b32 s28, s29
	s_cbranch_execz .LBB114_242
; %bb.113:                              ;   in Loop: Header=BB114_6 Depth=1
	v_mov_b32_e32 v4, 1
	v_mov_b32_e32 v1, 1
	s_xor_b32 s24, s6, -1
	s_and_saveexec_b32 s6, s24
	s_cbranch_execz .LBB114_122
; %bb.114:                              ;   in Loop: Header=BB114_6 Depth=1
	s_mov_b32 s23, exec_lo
	v_cmpx_ge_u32_e64 s17, v39
	s_xor_b32 s23, exec_lo, s23
	s_cbranch_execz .LBB114_119
; %bb.115:                              ;   in Loop: Header=BB114_6 Depth=1
	ds_read_b32 v1, v8 offset:4096
	v_and_b32_e32 v2, s19, v2
	v_or_b32_e32 v3, s18, v3
	s_waitcnt lgkmcnt(0)
	v_cmp_ne_u32_e32 vcc_lo, 0, v1
	s_cbranch_vccnz .LBB114_119
; %bb.116:                              ;   in Loop: Header=BB114_6 Depth=1
	s_and_saveexec_b32 s24, s3
; %bb.117:                              ;   in Loop: Header=BB114_6 Depth=1
	v_mov_b32_e32 v1, s17
	ds_write_b32 v8, v1 offset:4100
; %bb.118:                              ;   in Loop: Header=BB114_6 Depth=1
	s_or_b32 exec_lo, exec_lo, s24
	s_waitcnt lgkmcnt(0)
	s_barrier
	buffer_gl0_inv
.LBB114_119:                            ;   in Loop: Header=BB114_6 Depth=1
	s_or_saveexec_b32 s23, s23
	v_mov_b32_e32 v1, 8
	v_mov_b32_e32 v4, v39
	s_mov_b32 s24, 0
	s_xor_b32 exec_lo, exec_lo, s23
; %bb.120:                              ;   in Loop: Header=BB114_6 Depth=1
	v_subrev_nc_u32_e32 v4, s17, v39
	v_mov_b32_e32 v1, 0
	s_mov_b32 s24, exec_lo
; %bb.121:                              ;   in Loop: Header=BB114_6 Depth=1
	s_or_b32 exec_lo, exec_lo, s23
	s_and_b32 s23, s24, exec_lo
.LBB114_122:                            ;   in Loop: Header=BB114_6 Depth=1
	s_or_b32 exec_lo, exec_lo, s6
	s_mov_b32 s6, -1
                                        ; implicit-def: $sgpr24
                                        ; implicit-def: $sgpr29
	s_and_saveexec_b32 s30, s23
	s_xor_b32 s23, exec_lo, s30
	s_cbranch_execz .LBB114_239
; %bb.123:                              ;   in Loop: Header=BB114_6 Depth=1
	v_cmp_eq_u32_e32 vcc_lo, 1, v4
	s_cmp_eq_u32 s20, 1
	s_mov_b32 s31, -1
	s_cselect_b32 s6, -1, 0
                                        ; implicit-def: $sgpr29
                                        ; implicit-def: $sgpr24
	s_and_b32 s6, s6, vcc_lo
	s_and_saveexec_b32 s30, s6
	s_cbranch_execz .LBB114_149
; %bb.124:                              ;   in Loop: Header=BB114_6 Depth=1
	ds_read_b32 v7, v8 offset:4096
	s_waitcnt lgkmcnt(0)
	s_barrier
	buffer_gl0_inv
	v_readfirstlane_b32 s33, v7
	s_and_saveexec_b32 s24, s15
; %bb.125:                              ;   in Loop: Header=BB114_6 Depth=1
	ds_write_b16 v21, v8
; %bb.126:                              ;   in Loop: Header=BB114_6 Depth=1
	s_or_b32 exec_lo, exec_lo, s24
	s_lshl_b32 s24, 1, s88
	v_or_b32_e32 v3, s18, v3
	v_and_or_b32 v2, v2, s19, s24
	s_mov_b32 s24, -1
	s_mov_b32 s29, 0
	s_cmp_eq_u32 s33, 0
	s_mov_b32 s31, 0
	s_mov_b32 s34, -1
	s_waitcnt lgkmcnt(0)
	s_barrier
	buffer_gl0_inv
                                        ; implicit-def: $vgpr7
	s_cbranch_scc1 .LBB114_137
; %bb.127:                              ;   in Loop: Header=BB114_6 Depth=1
	s_add_i32 s31, s33, s71
                                        ; implicit-def: $vgpr7
	s_mul_hi_u32 s34, s31, s77
	s_mul_i32 s34, s34, s58
	s_sub_i32 s34, s31, s34
	s_sub_i32 s44, s34, s58
	s_cmp_ge_u32 s34, s58
	s_cselect_b32 s34, s44, s34
	s_sub_i32 s44, s34, s58
	s_cmp_ge_u32 s34, s58
	s_cselect_b32 s34, s44, s34
	s_mov_b32 s44, exec_lo
	s_sub_i32 s45, s31, s34
	s_mov_b32 s34, 0
	s_mov_b32 s31, 0
	v_cmpx_gt_u32_e64 s45, v0
	s_cbranch_execz .LBB114_136
; %bb.128:                              ;   in Loop: Header=BB114_6 Depth=1
	v_mov_b32_e32 v7, v20
	v_mov_b32_e32 v13, v0
                                        ; implicit-def: $sgpr46
	s_branch .LBB114_131
.LBB114_129:                            ;   in Loop: Header=BB114_131 Depth=2
	s_or_b32 exec_lo, exec_lo, s50
	s_waitcnt lgkmcnt(0)
	s_barrier
	buffer_gl0_inv
	ds_read_b32 v14, v8 offset:3072
	s_mov_b32 s50, -1
	s_mov_b32 s51, -1
	s_waitcnt lgkmcnt(0)
	s_barrier
	buffer_gl0_inv
	v_and_b32_e32 v15, 0x7fff, v14
	v_cmp_ne_u32_e32 vcc_lo, 0, v15
	s_cbranch_vccz .LBB114_134
.LBB114_130:                            ;   in Loop: Header=BB114_131 Depth=2
	s_and_b32 s50, exec_lo, s50
	s_or_b32 s31, s50, s31
	s_andn2_b32 s46, s46, exec_lo
	s_and_b32 s50, s51, exec_lo
	s_or_b32 s46, s46, s50
	s_andn2_b32 exec_lo, exec_lo, s31
	s_cbranch_execz .LBB114_135
.LBB114_131:                            ;   Parent Loop BB114_6 Depth=1
                                        ; =>  This Inner Loop Header: Depth=2
	s_mov_b32 s50, exec_lo
	v_cmpx_gt_u32_e64 s33, v13
	s_cbranch_execz .LBB114_129
; %bb.132:                              ;   in Loop: Header=BB114_131 Depth=2
	ds_read_u16 v14, v7
	s_waitcnt lgkmcnt(0)
	v_cmp_lt_i16_e32 vcc_lo, -1, v14
	v_lshlrev_b32_e32 v16, 16, v14
	v_cndmask_b32_e32 v15, 0xffff, v35, vcc_lo
	v_cmp_o_f32_e32 vcc_lo, v16, v16
	v_xor_b32_sdwa v15, v15, v14 dst_sel:DWORD dst_unused:UNUSED_PAD src0_sel:DWORD src1_sel:WORD_0
	v_cndmask_b32_e32 v15, 0xffff, v15, vcc_lo
	v_and_b32_e32 v15, v15, v3
	v_cmp_eq_u32_e32 vcc_lo, v15, v2
	s_and_b32 exec_lo, exec_lo, vcc_lo
	s_cbranch_execz .LBB114_129
; %bb.133:                              ;   in Loop: Header=BB114_131 Depth=2
	v_perm_b32 v14, v14, s83, 0x5040100
	ds_write_b32 v8, v14 offset:3072
	s_branch .LBB114_129
.LBB114_134:                            ;   in Loop: Header=BB114_131 Depth=2
	v_add_nc_u32_e32 v13, s58, v13
	v_add_nc_u32_e32 v7, s81, v7
	s_mov_b32 s51, 0
	v_cmp_le_u32_e32 vcc_lo, s45, v13
	s_orn2_b32 s50, vcc_lo, exec_lo
	s_branch .LBB114_130
.LBB114_135:                            ;   in Loop: Header=BB114_6 Depth=1
	s_or_b32 exec_lo, exec_lo, s31
	v_lshrrev_b32_e32 v7, 16, v14
	s_and_b32 s31, s46, exec_lo
.LBB114_136:                            ;   in Loop: Header=BB114_6 Depth=1
	s_or_b32 exec_lo, exec_lo, s44
.LBB114_137:                            ;   in Loop: Header=BB114_6 Depth=1
	s_and_b32 vcc_lo, exec_lo, s34
	s_cbranch_vccz .LBB114_148
; %bb.138:                              ;   in Loop: Header=BB114_6 Depth=1
                                        ; implicit-def: $vgpr7
	s_and_saveexec_b32 s24, s13
	s_cbranch_execz .LBB114_147
; %bb.139:                              ;   in Loop: Header=BB114_6 Depth=1
	v_mov_b32_e32 v7, v9
	v_mov_b32_e32 v13, v0
	s_mov_b32 s29, 0
                                        ; implicit-def: $sgpr33
	s_branch .LBB114_142
.LBB114_140:                            ;   in Loop: Header=BB114_142 Depth=2
	s_or_b32 exec_lo, exec_lo, s34
	s_waitcnt lgkmcnt(0)
	s_barrier
	buffer_gl0_inv
	ds_read_b32 v14, v8 offset:3072
	s_mov_b32 s34, -1
	s_mov_b32 s44, -1
	s_waitcnt lgkmcnt(0)
	s_barrier
	buffer_gl0_inv
	v_and_b32_e32 v15, 0x7fff, v14
	v_cmp_eq_u32_e32 vcc_lo, 0, v15
	s_cbranch_vccnz .LBB114_145
.LBB114_141:                            ;   in Loop: Header=BB114_142 Depth=2
	s_and_b32 s34, exec_lo, s34
	s_or_b32 s29, s34, s29
	s_andn2_b32 s33, s33, exec_lo
	s_and_b32 s34, s44, exec_lo
	s_or_b32 s33, s33, s34
	s_andn2_b32 exec_lo, exec_lo, s29
	s_cbranch_execz .LBB114_146
.LBB114_142:                            ;   Parent Loop BB114_6 Depth=1
                                        ; =>  This Inner Loop Header: Depth=2
	s_mov_b32 s34, exec_lo
	v_cmpx_gt_u32_e64 s36, v13
	s_cbranch_execz .LBB114_140
; %bb.143:                              ;   in Loop: Header=BB114_142 Depth=2
	v_lshlrev_b64 v[14:15], 1, v[7:8]
	v_add_co_u32 v14, vcc_lo, s43, v14
	v_add_co_ci_u32_e64 v15, null, s47, v15, vcc_lo
	global_load_ushort v14, v[14:15], off
	s_waitcnt vmcnt(0)
	v_cmp_lt_i16_e32 vcc_lo, -1, v14
	v_lshlrev_b32_e32 v16, 16, v14
	v_cndmask_b32_e32 v15, 0xffff, v35, vcc_lo
	v_cmp_o_f32_e32 vcc_lo, v16, v16
	v_xor_b32_sdwa v15, v15, v14 dst_sel:DWORD dst_unused:UNUSED_PAD src0_sel:DWORD src1_sel:WORD_0
	v_cndmask_b32_e32 v15, 0xffff, v15, vcc_lo
	v_and_b32_e32 v15, v15, v3
	v_cmp_eq_u32_e32 vcc_lo, v15, v2
	s_and_b32 exec_lo, exec_lo, vcc_lo
	s_cbranch_execz .LBB114_140
; %bb.144:                              ;   in Loop: Header=BB114_142 Depth=2
	v_perm_b32 v14, v14, s83, 0x5040100
	ds_write_b32 v8, v14 offset:3072
	s_branch .LBB114_140
.LBB114_145:                            ;   in Loop: Header=BB114_142 Depth=2
	v_add_nc_u32_e32 v13, s58, v13
	v_add_nc_u32_e32 v7, s59, v7
	s_mov_b32 s44, 0
	v_cmp_le_u32_e32 vcc_lo, s78, v13
	s_orn2_b32 s34, vcc_lo, exec_lo
	s_branch .LBB114_141
.LBB114_146:                            ;   in Loop: Header=BB114_6 Depth=1
	s_or_b32 exec_lo, exec_lo, s29
	v_lshrrev_b32_e32 v7, 16, v14
	s_andn2_b32 s29, s31, exec_lo
	s_and_b32 s31, s33, exec_lo
	s_or_b32 s31, s29, s31
.LBB114_147:                            ;   in Loop: Header=BB114_6 Depth=1
	s_or_b32 exec_lo, exec_lo, s24
	s_mov_b32 s24, 0
	s_mov_b32 s29, -1
.LBB114_148:                            ;   in Loop: Header=BB114_6 Depth=1
	s_orn2_b32 s31, s31, exec_lo
.LBB114_149:                            ;   in Loop: Header=BB114_6 Depth=1
	s_or_b32 exec_lo, exec_lo, s30
	s_mov_b32 s33, 0
	s_and_saveexec_b32 s30, s31
	s_cbranch_execz .LBB114_238
; %bb.150:                              ;   in Loop: Header=BB114_6 Depth=1
	v_mov_b32_e32 v13, 1
	v_mov_b32_e32 v1, 1
	s_xor_b32 s31, s6, -1
	s_mov_b32 s44, 0
	s_and_saveexec_b32 s6, s31
	s_cbranch_execz .LBB114_159
; %bb.151:                              ;   in Loop: Header=BB114_6 Depth=1
	s_mov_b32 s31, exec_lo
	v_cmpx_ge_u32_e64 s20, v4
	s_xor_b32 s31, exec_lo, s31
	s_cbranch_execz .LBB114_156
; %bb.152:                              ;   in Loop: Header=BB114_6 Depth=1
	ds_read_b32 v1, v8 offset:4096
	s_lshl_b32 s33, 1, s88
	v_or_b32_e32 v3, s18, v3
	v_and_or_b32 v2, v2, s19, s33
	s_waitcnt lgkmcnt(0)
	v_cmp_ne_u32_e32 vcc_lo, 0, v1
	s_cbranch_vccnz .LBB114_156
; %bb.153:                              ;   in Loop: Header=BB114_6 Depth=1
	s_and_saveexec_b32 s33, s3
; %bb.154:                              ;   in Loop: Header=BB114_6 Depth=1
	v_mov_b32_e32 v1, s20
	ds_write_b32 v8, v1 offset:4100
; %bb.155:                              ;   in Loop: Header=BB114_6 Depth=1
	s_or_b32 exec_lo, exec_lo, s33
	s_waitcnt lgkmcnt(0)
	s_barrier
	buffer_gl0_inv
.LBB114_156:                            ;   in Loop: Header=BB114_6 Depth=1
	s_or_saveexec_b32 s31, s31
	v_mov_b32_e32 v1, 8
	s_mov_b32 s33, 0
	s_xor_b32 exec_lo, exec_lo, s31
; %bb.157:                              ;   in Loop: Header=BB114_6 Depth=1
	v_subrev_nc_u32_e32 v4, s20, v4
	v_mov_b32_e32 v1, 0
	s_mov_b32 s33, exec_lo
; %bb.158:                              ;   in Loop: Header=BB114_6 Depth=1
	s_or_b32 exec_lo, exec_lo, s31
	v_mov_b32_e32 v13, v4
	s_and_b32 s44, s33, exec_lo
.LBB114_159:                            ;   in Loop: Header=BB114_6 Depth=1
	s_or_b32 exec_lo, exec_lo, s6
	s_mov_b32 s6, -1
                                        ; implicit-def: $sgpr33
                                        ; implicit-def: $sgpr34
	s_and_saveexec_b32 s31, s44
	s_cbranch_execz .LBB114_237
; %bb.160:                              ;   in Loop: Header=BB114_6 Depth=1
	v_cmp_eq_u32_e32 vcc_lo, 1, v13
	s_cmp_eq_u32 s21, 1
	s_mov_b32 s44, -1
	s_cselect_b32 s6, -1, 0
                                        ; implicit-def: $sgpr34
                                        ; implicit-def: $sgpr33
	s_and_b32 s6, s6, vcc_lo
	s_and_saveexec_b32 s95, s6
	s_cbranch_execz .LBB114_186
; %bb.161:                              ;   in Loop: Header=BB114_6 Depth=1
	ds_read_b32 v4, v8 offset:4096
	s_waitcnt lgkmcnt(0)
	s_barrier
	buffer_gl0_inv
	v_readfirstlane_b32 s45, v4
	s_and_saveexec_b32 s33, s15
; %bb.162:                              ;   in Loop: Header=BB114_6 Depth=1
	ds_write_b16 v21, v8
; %bb.163:                              ;   in Loop: Header=BB114_6 Depth=1
	s_or_b32 exec_lo, exec_lo, s33
	s_lshl_b32 s33, 2, s88
	v_or_b32_e32 v3, s18, v3
	v_and_or_b32 v2, v2, s19, s33
	s_mov_b32 s33, -1
	s_mov_b32 s34, 0
	s_cmp_eq_u32 s45, 0
	s_mov_b32 s44, 0
	s_mov_b32 s46, -1
	s_waitcnt lgkmcnt(0)
	s_barrier
	buffer_gl0_inv
                                        ; implicit-def: $vgpr7
	s_cbranch_scc1 .LBB114_174
; %bb.164:                              ;   in Loop: Header=BB114_6 Depth=1
	s_add_i32 s44, s45, s71
	s_mov_b32 s96, exec_lo
	s_mul_hi_u32 s46, s44, s77
                                        ; implicit-def: $vgpr7
	s_mul_i32 s46, s46, s58
	s_sub_i32 s46, s44, s46
	s_sub_i32 s50, s46, s58
	s_cmp_ge_u32 s46, s58
	s_cselect_b32 s46, s50, s46
	s_sub_i32 s50, s46, s58
	s_cmp_ge_u32 s46, s58
	s_cselect_b32 s46, s50, s46
	s_sub_i32 s97, s44, s46
	s_mov_b32 s46, 0
	s_mov_b32 s44, 0
	v_cmpx_gt_u32_e64 s97, v0
	s_cbranch_execz .LBB114_173
; %bb.165:                              ;   in Loop: Header=BB114_6 Depth=1
	v_mov_b32_e32 v4, v20
	v_mov_b32_e32 v7, v0
                                        ; implicit-def: $sgpr50
	s_branch .LBB114_168
.LBB114_166:                            ;   in Loop: Header=BB114_168 Depth=2
	s_or_b32 exec_lo, exec_lo, s51
	s_waitcnt lgkmcnt(0)
	s_barrier
	buffer_gl0_inv
	ds_read_b32 v14, v8 offset:3072
	s_mov_b32 s51, -1
	s_mov_b32 s52, -1
	s_waitcnt lgkmcnt(0)
	s_barrier
	buffer_gl0_inv
	v_and_b32_e32 v15, 0x7fff, v14
	v_cmp_ne_u32_e32 vcc_lo, 0, v15
	s_cbranch_vccz .LBB114_171
.LBB114_167:                            ;   in Loop: Header=BB114_168 Depth=2
	s_and_b32 s51, exec_lo, s51
	s_or_b32 s44, s51, s44
	s_andn2_b32 s50, s50, exec_lo
	s_and_b32 s51, s52, exec_lo
	s_or_b32 s50, s50, s51
	s_andn2_b32 exec_lo, exec_lo, s44
	s_cbranch_execz .LBB114_172
.LBB114_168:                            ;   Parent Loop BB114_6 Depth=1
                                        ; =>  This Inner Loop Header: Depth=2
	s_mov_b32 s51, exec_lo
	v_cmpx_gt_u32_e64 s45, v7
	s_cbranch_execz .LBB114_166
; %bb.169:                              ;   in Loop: Header=BB114_168 Depth=2
	ds_read_u16 v14, v4
	s_waitcnt lgkmcnt(0)
	v_cmp_lt_i16_e32 vcc_lo, -1, v14
	v_lshlrev_b32_e32 v16, 16, v14
	v_cndmask_b32_e32 v15, 0xffff, v35, vcc_lo
	v_cmp_o_f32_e32 vcc_lo, v16, v16
	v_xor_b32_sdwa v15, v15, v14 dst_sel:DWORD dst_unused:UNUSED_PAD src0_sel:DWORD src1_sel:WORD_0
	v_cndmask_b32_e32 v15, 0xffff, v15, vcc_lo
	v_and_b32_e32 v15, v15, v3
	v_cmp_eq_u32_e32 vcc_lo, v15, v2
	s_and_b32 exec_lo, exec_lo, vcc_lo
	s_cbranch_execz .LBB114_166
; %bb.170:                              ;   in Loop: Header=BB114_168 Depth=2
	v_perm_b32 v14, v14, s83, 0x5040100
	ds_write_b32 v8, v14 offset:3072
	s_branch .LBB114_166
.LBB114_171:                            ;   in Loop: Header=BB114_168 Depth=2
	v_add_nc_u32_e32 v7, s58, v7
	v_add_nc_u32_e32 v4, s81, v4
	s_mov_b32 s52, 0
	v_cmp_le_u32_e32 vcc_lo, s97, v7
	s_orn2_b32 s51, vcc_lo, exec_lo
	s_branch .LBB114_167
.LBB114_172:                            ;   in Loop: Header=BB114_6 Depth=1
	s_or_b32 exec_lo, exec_lo, s44
	v_lshrrev_b32_e32 v7, 16, v14
	s_and_b32 s44, s50, exec_lo
.LBB114_173:                            ;   in Loop: Header=BB114_6 Depth=1
	s_or_b32 exec_lo, exec_lo, s96
.LBB114_174:                            ;   in Loop: Header=BB114_6 Depth=1
	s_and_b32 vcc_lo, exec_lo, s46
	s_cbranch_vccz .LBB114_185
; %bb.175:                              ;   in Loop: Header=BB114_6 Depth=1
                                        ; implicit-def: $vgpr7
	s_and_saveexec_b32 s33, s13
	s_cbranch_execz .LBB114_184
; %bb.176:                              ;   in Loop: Header=BB114_6 Depth=1
	v_mov_b32_e32 v7, v9
	v_mov_b32_e32 v4, v0
	s_mov_b32 s34, 0
                                        ; implicit-def: $sgpr45
	s_branch .LBB114_179
.LBB114_177:                            ;   in Loop: Header=BB114_179 Depth=2
	s_or_b32 exec_lo, exec_lo, s46
	s_waitcnt lgkmcnt(0)
	s_barrier
	buffer_gl0_inv
	ds_read_b32 v14, v8 offset:3072
	s_mov_b32 s46, -1
	s_mov_b32 s50, -1
	s_waitcnt lgkmcnt(0)
	s_barrier
	buffer_gl0_inv
	v_and_b32_e32 v15, 0x7fff, v14
	v_cmp_eq_u32_e32 vcc_lo, 0, v15
	s_cbranch_vccnz .LBB114_182
.LBB114_178:                            ;   in Loop: Header=BB114_179 Depth=2
	s_and_b32 s46, exec_lo, s46
	s_or_b32 s34, s46, s34
	s_andn2_b32 s45, s45, exec_lo
	s_and_b32 s46, s50, exec_lo
	s_or_b32 s45, s45, s46
	s_andn2_b32 exec_lo, exec_lo, s34
	s_cbranch_execz .LBB114_183
.LBB114_179:                            ;   Parent Loop BB114_6 Depth=1
                                        ; =>  This Inner Loop Header: Depth=2
	s_mov_b32 s46, exec_lo
	v_cmpx_gt_u32_e64 s36, v4
	s_cbranch_execz .LBB114_177
; %bb.180:                              ;   in Loop: Header=BB114_179 Depth=2
	v_lshlrev_b64 v[14:15], 1, v[7:8]
	v_add_co_u32 v14, vcc_lo, s43, v14
	v_add_co_ci_u32_e64 v15, null, s47, v15, vcc_lo
	global_load_ushort v14, v[14:15], off
	s_waitcnt vmcnt(0)
	v_cmp_lt_i16_e32 vcc_lo, -1, v14
	v_lshlrev_b32_e32 v16, 16, v14
	v_cndmask_b32_e32 v15, 0xffff, v35, vcc_lo
	v_cmp_o_f32_e32 vcc_lo, v16, v16
	v_xor_b32_sdwa v15, v15, v14 dst_sel:DWORD dst_unused:UNUSED_PAD src0_sel:DWORD src1_sel:WORD_0
	v_cndmask_b32_e32 v15, 0xffff, v15, vcc_lo
	v_and_b32_e32 v15, v15, v3
	v_cmp_eq_u32_e32 vcc_lo, v15, v2
	s_and_b32 exec_lo, exec_lo, vcc_lo
	s_cbranch_execz .LBB114_177
; %bb.181:                              ;   in Loop: Header=BB114_179 Depth=2
	v_perm_b32 v14, v14, s83, 0x5040100
	ds_write_b32 v8, v14 offset:3072
	s_branch .LBB114_177
.LBB114_182:                            ;   in Loop: Header=BB114_179 Depth=2
	v_add_nc_u32_e32 v4, s58, v4
	v_add_nc_u32_e32 v7, s59, v7
	s_mov_b32 s50, 0
	v_cmp_le_u32_e32 vcc_lo, s78, v4
	s_orn2_b32 s46, vcc_lo, exec_lo
	s_branch .LBB114_178
.LBB114_183:                            ;   in Loop: Header=BB114_6 Depth=1
	s_or_b32 exec_lo, exec_lo, s34
	v_lshrrev_b32_e32 v7, 16, v14
	s_andn2_b32 s34, s44, exec_lo
	s_and_b32 s44, s45, exec_lo
	s_or_b32 s44, s34, s44
.LBB114_184:                            ;   in Loop: Header=BB114_6 Depth=1
	s_or_b32 exec_lo, exec_lo, s33
	s_mov_b32 s33, 0
	s_mov_b32 s34, -1
.LBB114_185:                            ;   in Loop: Header=BB114_6 Depth=1
	s_orn2_b32 s44, s44, exec_lo
.LBB114_186:                            ;   in Loop: Header=BB114_6 Depth=1
	s_or_b32 exec_lo, exec_lo, s95
	s_mov_b32 s45, 0
	s_and_saveexec_b32 s95, s44
	s_cbranch_execz .LBB114_236
; %bb.187:                              ;   in Loop: Header=BB114_6 Depth=1
	v_mov_b32_e32 v4, 1
	v_mov_b32_e32 v1, 1
	s_xor_b32 s45, s6, -1
	s_mov_b32 s44, 0
	s_and_saveexec_b32 s6, s45
	s_cbranch_execz .LBB114_196
; %bb.188:                              ;   in Loop: Header=BB114_6 Depth=1
	s_mov_b32 s44, exec_lo
	v_cmpx_ge_u32_e64 s21, v13
	s_xor_b32 s44, exec_lo, s44
	s_cbranch_execz .LBB114_193
; %bb.189:                              ;   in Loop: Header=BB114_6 Depth=1
	ds_read_b32 v1, v8 offset:4096
	s_lshl_b32 s45, 2, s88
	v_or_b32_e32 v3, s18, v3
	v_and_or_b32 v2, v2, s19, s45
	s_waitcnt lgkmcnt(0)
	v_cmp_ne_u32_e32 vcc_lo, 0, v1
	s_cbranch_vccnz .LBB114_193
; %bb.190:                              ;   in Loop: Header=BB114_6 Depth=1
	s_and_saveexec_b32 s45, s3
; %bb.191:                              ;   in Loop: Header=BB114_6 Depth=1
	v_mov_b32_e32 v1, s21
	ds_write_b32 v8, v1 offset:4100
; %bb.192:                              ;   in Loop: Header=BB114_6 Depth=1
	s_or_b32 exec_lo, exec_lo, s45
	s_waitcnt lgkmcnt(0)
	s_barrier
	buffer_gl0_inv
.LBB114_193:                            ;   in Loop: Header=BB114_6 Depth=1
	s_or_saveexec_b32 s44, s44
	v_mov_b32_e32 v1, 8
	s_mov_b32 s45, 0
	s_xor_b32 exec_lo, exec_lo, s44
; %bb.194:                              ;   in Loop: Header=BB114_6 Depth=1
	v_subrev_nc_u32_e32 v13, s21, v13
	v_mov_b32_e32 v1, 0
	s_mov_b32 s45, exec_lo
; %bb.195:                              ;   in Loop: Header=BB114_6 Depth=1
	s_or_b32 exec_lo, exec_lo, s44
	v_mov_b32_e32 v4, v13
	s_and_b32 s44, s45, exec_lo
.LBB114_196:                            ;   in Loop: Header=BB114_6 Depth=1
	s_or_b32 exec_lo, exec_lo, s6
	s_mov_b32 s6, -1
                                        ; implicit-def: $sgpr99
                                        ; implicit-def: $sgpr98
	s_and_saveexec_b32 s96, s44
	s_cbranch_execz .LBB114_235
; %bb.197:                              ;   in Loop: Header=BB114_6 Depth=1
	v_cmp_eq_u32_e32 vcc_lo, 1, v4
	s_cmp_eq_u32 s22, 1
	s_mov_b32 s44, -1
	s_cselect_b32 s6, -1, 0
                                        ; implicit-def: $sgpr99
                                        ; implicit-def: $sgpr98
	s_and_b32 s97, s6, vcc_lo
	s_and_saveexec_b32 s104, s97
	s_cbranch_execz .LBB114_223
; %bb.198:                              ;   in Loop: Header=BB114_6 Depth=1
	ds_read_b32 v7, v8 offset:4096
	s_waitcnt lgkmcnt(0)
	s_barrier
	buffer_gl0_inv
	v_readfirstlane_b32 s44, v7
	s_and_saveexec_b32 s6, s15
; %bb.199:                              ;   in Loop: Header=BB114_6 Depth=1
	ds_write_b16 v21, v8
; %bb.200:                              ;   in Loop: Header=BB114_6 Depth=1
	s_or_b32 exec_lo, exec_lo, s6
	v_or_b32_e32 v2, s18, v2
	v_or_b32_e32 v3, s18, v3
	s_mov_b32 s98, -1
	s_mov_b32 s99, 0
	s_cmp_eq_u32 s44, 0
	s_mov_b32 s6, 0
	s_mov_b32 s45, -1
	s_waitcnt lgkmcnt(0)
	s_barrier
	buffer_gl0_inv
                                        ; implicit-def: $vgpr7
	s_cbranch_scc1 .LBB114_211
; %bb.201:                              ;   in Loop: Header=BB114_6 Depth=1
	s_add_i32 s6, s44, s71
                                        ; implicit-def: $vgpr7
	s_mul_hi_u32 s45, s6, s77
	s_mul_i32 s45, s45, s58
	s_sub_i32 s45, s6, s45
	s_sub_i32 s46, s45, s58
	s_cmp_ge_u32 s45, s58
	s_cselect_b32 s45, s46, s45
	s_sub_i32 s46, s45, s58
	s_cmp_ge_u32 s45, s58
	s_cselect_b32 s45, s46, s45
	s_mov_b32 s46, exec_lo
	s_sub_i32 vcc_hi, s6, s45
	s_mov_b32 s45, 0
	s_mov_b32 s6, 0
	v_cmpx_gt_u32_e64 vcc_hi, v0
	s_cbranch_execz .LBB114_210
; %bb.202:                              ;   in Loop: Header=BB114_6 Depth=1
	v_mov_b32_e32 v7, v20
	v_mov_b32_e32 v13, v0
	s_mov_b32 s50, 0
                                        ; implicit-def: $sgpr51
	s_branch .LBB114_205
.LBB114_203:                            ;   in Loop: Header=BB114_205 Depth=2
	s_or_b32 exec_lo, exec_lo, s52
	s_waitcnt lgkmcnt(0)
	s_barrier
	buffer_gl0_inv
	ds_read_b32 v14, v8 offset:3072
	s_mov_b32 s6, -1
	s_mov_b32 s52, -1
	s_waitcnt lgkmcnt(0)
	s_barrier
	buffer_gl0_inv
	v_and_b32_e32 v15, 0x7fff, v14
	v_cmp_ne_u32_e32 vcc_lo, 0, v15
	s_cbranch_vccz .LBB114_208
.LBB114_204:                            ;   in Loop: Header=BB114_205 Depth=2
	s_and_b32 s6, exec_lo, s6
	s_or_b32 s50, s6, s50
	s_andn2_b32 s6, s51, exec_lo
	s_and_b32 s51, s52, exec_lo
	s_or_b32 s51, s6, s51
	s_andn2_b32 exec_lo, exec_lo, s50
	s_cbranch_execz .LBB114_209
.LBB114_205:                            ;   Parent Loop BB114_6 Depth=1
                                        ; =>  This Inner Loop Header: Depth=2
	s_mov_b32 s52, exec_lo
	v_cmpx_gt_u32_e64 s44, v13
	s_cbranch_execz .LBB114_203
; %bb.206:                              ;   in Loop: Header=BB114_205 Depth=2
	ds_read_u16 v14, v7
	s_waitcnt lgkmcnt(0)
	v_lshlrev_b32_e32 v15, 16, v14
	v_cmp_lt_i16_e64 s6, -1, v14
	v_cmp_o_f32_e32 vcc_lo, v15, v15
	v_cndmask_b32_e64 v15, 0xffff, v35, s6
	v_xor_b32_sdwa v15, v15, v14 dst_sel:DWORD dst_unused:UNUSED_PAD src0_sel:DWORD src1_sel:WORD_0
	v_cndmask_b32_e32 v15, 0xffff, v15, vcc_lo
	v_and_b32_e32 v15, v15, v3
	v_cmp_eq_u32_e32 vcc_lo, v15, v2
	s_and_b32 exec_lo, exec_lo, vcc_lo
	s_cbranch_execz .LBB114_203
; %bb.207:                              ;   in Loop: Header=BB114_205 Depth=2
	v_perm_b32 v14, v14, s83, 0x5040100
	ds_write_b32 v8, v14 offset:3072
	s_branch .LBB114_203
.LBB114_208:                            ;   in Loop: Header=BB114_205 Depth=2
	v_add_nc_u32_e32 v13, s58, v13
	v_add_nc_u32_e32 v7, s81, v7
	s_mov_b32 s52, 0
	v_cmp_le_u32_e32 vcc_lo, vcc_hi, v13
	s_orn2_b32 s6, vcc_lo, exec_lo
	s_branch .LBB114_204
.LBB114_209:                            ;   in Loop: Header=BB114_6 Depth=1
	s_or_b32 exec_lo, exec_lo, s50
	v_lshrrev_b32_e32 v7, 16, v14
	s_and_b32 s6, s51, exec_lo
.LBB114_210:                            ;   in Loop: Header=BB114_6 Depth=1
	s_or_b32 exec_lo, exec_lo, s46
.LBB114_211:                            ;   in Loop: Header=BB114_6 Depth=1
	s_and_b32 vcc_lo, exec_lo, s45
	s_cbranch_vccz .LBB114_222
; %bb.212:                              ;   in Loop: Header=BB114_6 Depth=1
                                        ; implicit-def: $vgpr7
	s_and_saveexec_b32 s44, s13
	s_cbranch_execz .LBB114_221
; %bb.213:                              ;   in Loop: Header=BB114_6 Depth=1
	v_mov_b32_e32 v7, v9
	v_mov_b32_e32 v13, v0
	s_mov_b32 s45, 0
                                        ; implicit-def: $sgpr46
	s_branch .LBB114_216
.LBB114_214:                            ;   in Loop: Header=BB114_216 Depth=2
	s_or_b32 exec_lo, exec_lo, s50
	s_waitcnt lgkmcnt(0)
	s_barrier
	buffer_gl0_inv
	ds_read_b32 v14, v8 offset:3072
	s_mov_b32 s50, -1
	s_mov_b32 s51, -1
	s_waitcnt lgkmcnt(0)
	s_barrier
	buffer_gl0_inv
	v_and_b32_e32 v15, 0x7fff, v14
	v_cmp_eq_u32_e32 vcc_lo, 0, v15
	s_cbranch_vccnz .LBB114_219
.LBB114_215:                            ;   in Loop: Header=BB114_216 Depth=2
	s_and_b32 s50, exec_lo, s50
	s_or_b32 s45, s50, s45
	s_andn2_b32 s46, s46, exec_lo
	s_and_b32 s50, s51, exec_lo
	s_or_b32 s46, s46, s50
	s_andn2_b32 exec_lo, exec_lo, s45
	s_cbranch_execz .LBB114_220
.LBB114_216:                            ;   Parent Loop BB114_6 Depth=1
                                        ; =>  This Inner Loop Header: Depth=2
	s_mov_b32 s50, exec_lo
	v_cmpx_gt_u32_e64 s36, v13
	s_cbranch_execz .LBB114_214
; %bb.217:                              ;   in Loop: Header=BB114_216 Depth=2
	v_lshlrev_b64 v[14:15], 1, v[7:8]
	v_add_co_u32 v14, vcc_lo, s43, v14
	v_add_co_ci_u32_e64 v15, null, s47, v15, vcc_lo
	global_load_ushort v14, v[14:15], off
	s_waitcnt vmcnt(0)
	v_cmp_lt_i16_e32 vcc_lo, -1, v14
	v_lshlrev_b32_e32 v16, 16, v14
	v_cndmask_b32_e32 v15, 0xffff, v35, vcc_lo
	v_cmp_o_f32_e32 vcc_lo, v16, v16
	v_xor_b32_sdwa v15, v15, v14 dst_sel:DWORD dst_unused:UNUSED_PAD src0_sel:DWORD src1_sel:WORD_0
	v_cndmask_b32_e32 v15, 0xffff, v15, vcc_lo
	v_and_b32_e32 v15, v15, v3
	v_cmp_eq_u32_e32 vcc_lo, v15, v2
	s_and_b32 exec_lo, exec_lo, vcc_lo
	s_cbranch_execz .LBB114_214
; %bb.218:                              ;   in Loop: Header=BB114_216 Depth=2
	v_perm_b32 v14, v14, s83, 0x5040100
	ds_write_b32 v8, v14 offset:3072
	s_branch .LBB114_214
.LBB114_219:                            ;   in Loop: Header=BB114_216 Depth=2
	v_add_nc_u32_e32 v13, s58, v13
	v_add_nc_u32_e32 v7, s59, v7
	s_mov_b32 s51, 0
	v_cmp_le_u32_e32 vcc_lo, s78, v13
	s_orn2_b32 s50, vcc_lo, exec_lo
	s_branch .LBB114_215
.LBB114_220:                            ;   in Loop: Header=BB114_6 Depth=1
	s_or_b32 exec_lo, exec_lo, s45
	v_lshrrev_b32_e32 v7, 16, v14
	s_andn2_b32 s6, s6, exec_lo
	s_and_b32 s45, s46, exec_lo
	s_or_b32 s6, s6, s45
.LBB114_221:                            ;   in Loop: Header=BB114_6 Depth=1
	s_or_b32 exec_lo, exec_lo, s44
	s_mov_b32 s98, 0
	s_mov_b32 s99, -1
.LBB114_222:                            ;   in Loop: Header=BB114_6 Depth=1
	s_orn2_b32 s44, s6, exec_lo
.LBB114_223:                            ;   in Loop: Header=BB114_6 Depth=1
	s_or_b32 exec_lo, exec_lo, s104
	s_mov_b32 s45, 0
	s_and_saveexec_b32 s6, s44
	s_cbranch_execz .LBB114_234
; %bb.224:                              ;   in Loop: Header=BB114_6 Depth=1
	v_mov_b32_e32 v1, 1
	v_mov_b32_e32 v13, 1
	s_xor_b32 s45, s97, -1
	s_and_saveexec_b32 s44, s45
	s_cbranch_execz .LBB114_233
; %bb.225:                              ;   in Loop: Header=BB114_6 Depth=1
	s_mov_b32 s45, exec_lo
	v_cmpx_ge_u32_e64 s22, v4
	s_xor_b32 s45, exec_lo, s45
	s_cbranch_execz .LBB114_230
; %bb.226:                              ;   in Loop: Header=BB114_6 Depth=1
	ds_read_b32 v1, v8 offset:4096
	v_or_b32_e32 v2, s18, v2
	v_or_b32_e32 v3, s18, v3
	s_waitcnt lgkmcnt(0)
	v_cmp_ne_u32_e32 vcc_lo, 0, v1
	s_cbranch_vccnz .LBB114_230
; %bb.227:                              ;   in Loop: Header=BB114_6 Depth=1
	s_and_saveexec_b32 s46, s3
; %bb.228:                              ;   in Loop: Header=BB114_6 Depth=1
	v_mov_b32_e32 v1, s22
	ds_write_b32 v8, v1 offset:4100
; %bb.229:                              ;   in Loop: Header=BB114_6 Depth=1
	s_or_b32 exec_lo, exec_lo, s46
	s_waitcnt lgkmcnt(0)
	s_barrier
	buffer_gl0_inv
.LBB114_230:                            ;   in Loop: Header=BB114_6 Depth=1
	s_andn2_saveexec_b32 s45, s45
; %bb.231:                              ;   in Loop: Header=BB114_6 Depth=1
	v_subrev_nc_u32_e32 v4, s22, v4
; %bb.232:                              ;   in Loop: Header=BB114_6 Depth=1
	s_or_b32 exec_lo, exec_lo, s45
	v_mov_b32_e32 v1, 8
	v_mov_b32_e32 v13, v4
.LBB114_233:                            ;   in Loop: Header=BB114_6 Depth=1
	s_or_b32 exec_lo, exec_lo, s44
	v_mov_b32_e32 v4, v13
	s_mov_b32 s45, exec_lo
.LBB114_234:                            ;   in Loop: Header=BB114_6 Depth=1
	s_or_b32 exec_lo, exec_lo, s6
	s_orn2_b32 s6, s45, exec_lo
.LBB114_235:                            ;   in Loop: Header=BB114_6 Depth=1
	s_or_b32 exec_lo, exec_lo, s96
	v_mov_b32_e32 v13, v4
	s_andn2_b32 s34, s34, exec_lo
	s_and_b32 s44, s99, exec_lo
	s_andn2_b32 s33, s33, exec_lo
	s_and_b32 s45, s98, exec_lo
	s_or_b32 s34, s34, s44
	s_or_b32 s33, s33, s45
	s_and_b32 s45, s6, exec_lo
.LBB114_236:                            ;   in Loop: Header=BB114_6 Depth=1
	s_or_b32 exec_lo, exec_lo, s95
	s_orn2_b32 s6, s45, exec_lo
.LBB114_237:                            ;   in Loop: Header=BB114_6 Depth=1
	s_or_b32 exec_lo, exec_lo, s31
	v_mov_b32_e32 v4, v13
	s_andn2_b32 s29, s29, exec_lo
	s_and_b32 s31, s34, exec_lo
	s_andn2_b32 s24, s24, exec_lo
	s_and_b32 s33, s33, exec_lo
	s_or_b32 s29, s29, s31
	s_or_b32 s24, s24, s33
	s_and_b32 s33, s6, exec_lo
.LBB114_238:                            ;   in Loop: Header=BB114_6 Depth=1
	s_or_b32 exec_lo, exec_lo, s30
	s_orn2_b32 s6, s33, exec_lo
.LBB114_239:                            ;   in Loop: Header=BB114_6 Depth=1
	s_or_b32 exec_lo, exec_lo, s23
	s_mov_b32 s30, 0
	s_mov_b32 s23, 0
	s_and_saveexec_b32 s31, s6
	s_xor_b32 s31, exec_lo, s31
; %bb.240:                              ;   in Loop: Header=BB114_6 Depth=1
	v_cmp_ne_u32_e32 vcc_lo, 8, v1
	v_cmp_eq_u32_e64 s6, 8, v1
	s_and_b32 s23, vcc_lo, exec_lo
	s_and_b32 s30, s6, exec_lo
; %bb.241:                              ;   in Loop: Header=BB114_6 Depth=1
	s_or_b32 exec_lo, exec_lo, s31
	s_andn2_b32 s6, s26, exec_lo
	s_and_b32 s26, s29, exec_lo
	s_andn2_b32 s25, s25, exec_lo
	s_and_b32 s24, s24, exec_lo
	s_or_b32 s26, s6, s26
	s_or_b32 s25, s25, s24
	s_and_b32 s23, s23, exec_lo
	s_and_b32 s24, s30, exec_lo
.LBB114_242:                            ;   in Loop: Header=BB114_6 Depth=1
	s_or_b32 exec_lo, exec_lo, s28
.LBB114_243:                            ;   in Loop: Header=BB114_6 Depth=1
	s_and_b32 vcc_lo, exec_lo, s27
	s_cbranch_vccz .LBB114_256
; %bb.244:                              ;   in Loop: Header=BB114_6 Depth=1
	s_cmp_eq_u32 s22, 1
	s_mov_b32 s26, -1
	s_cselect_b32 s6, -1, 0
                                        ; implicit-def: $sgpr16
	s_and_b32 s6, s6, s14
                                        ; implicit-def: $sgpr14
	s_and_saveexec_b32 s25, s6
	s_cbranch_execz .LBB114_271
; %bb.245:                              ;   in Loop: Header=BB114_6 Depth=1
	ds_read_b32 v1, v8 offset:4096
	s_waitcnt lgkmcnt(0)
	s_barrier
	buffer_gl0_inv
	v_readfirstlane_b32 s27, v1
	s_and_saveexec_b32 s14, s15
; %bb.246:                              ;   in Loop: Header=BB114_6 Depth=1
	ds_write_b16 v21, v8
; %bb.247:                              ;   in Loop: Header=BB114_6 Depth=1
	s_or_b32 exec_lo, exec_lo, s14
	v_or_b32_e32 v27, s18, v27
	v_or_b32_e32 v37, s18, v37
	s_mov_b32 s16, -1
	s_mov_b32 s14, 0
	s_cmp_eq_u32 s27, 0
	s_mov_b32 s26, 0
	s_mov_b32 s28, -1
	s_waitcnt lgkmcnt(0)
	s_barrier
	buffer_gl0_inv
                                        ; implicit-def: $vgpr38
	s_cbranch_scc1 .LBB114_259
; %bb.248:                              ;   in Loop: Header=BB114_6 Depth=1
	s_add_i32 s26, s27, s71
                                        ; implicit-def: $vgpr38
	s_mul_hi_u32 s28, s26, s77
	s_mul_i32 s28, s28, s58
	s_sub_i32 s28, s26, s28
	s_sub_i32 s29, s28, s58
	s_cmp_ge_u32 s28, s58
	s_cselect_b32 s28, s29, s28
	s_sub_i32 s29, s28, s58
	s_cmp_ge_u32 s28, s58
	s_cselect_b32 s28, s29, s28
	s_mov_b32 s29, exec_lo
	s_sub_i32 s30, s26, s28
	s_mov_b32 s28, 0
	s_mov_b32 s26, 0
	v_cmpx_gt_u32_e64 s30, v0
	s_cbranch_execz .LBB114_258
; %bb.249:                              ;   in Loop: Header=BB114_6 Depth=1
	v_mov_b32_e32 v1, v20
	v_mov_b32_e32 v2, v0
                                        ; implicit-def: $sgpr31
	s_branch .LBB114_252
.LBB114_250:                            ;   in Loop: Header=BB114_252 Depth=2
	s_or_b32 exec_lo, exec_lo, s33
	s_waitcnt lgkmcnt(0)
	s_barrier
	buffer_gl0_inv
	ds_read_b32 v3, v8 offset:3072
	s_mov_b32 s33, -1
	s_mov_b32 s34, -1
	s_waitcnt lgkmcnt(0)
	s_barrier
	buffer_gl0_inv
	v_and_b32_e32 v4, 0x7fff, v3
	v_cmp_ne_u32_e32 vcc_lo, 0, v4
	s_cbranch_vccz .LBB114_255
.LBB114_251:                            ;   in Loop: Header=BB114_252 Depth=2
	s_and_b32 s33, exec_lo, s33
	s_or_b32 s26, s33, s26
	s_andn2_b32 s31, s31, exec_lo
	s_and_b32 s33, s34, exec_lo
	s_or_b32 s31, s31, s33
	s_andn2_b32 exec_lo, exec_lo, s26
	s_cbranch_execz .LBB114_257
.LBB114_252:                            ;   Parent Loop BB114_6 Depth=1
                                        ; =>  This Inner Loop Header: Depth=2
	s_mov_b32 s33, exec_lo
	v_cmpx_gt_u32_e64 s27, v2
	s_cbranch_execz .LBB114_250
; %bb.253:                              ;   in Loop: Header=BB114_252 Depth=2
	ds_read_u16 v3, v1
	s_waitcnt lgkmcnt(0)
	v_cmp_lt_i16_e32 vcc_lo, -1, v3
	v_lshlrev_b32_e32 v7, 16, v3
	v_cndmask_b32_e32 v4, 0xffff, v35, vcc_lo
	v_cmp_o_f32_e32 vcc_lo, v7, v7
	v_xor_b32_sdwa v4, v4, v3 dst_sel:DWORD dst_unused:UNUSED_PAD src0_sel:DWORD src1_sel:WORD_0
	v_cndmask_b32_e32 v4, 0xffff, v4, vcc_lo
	v_and_b32_e32 v4, v4, v37
	v_cmp_eq_u32_e32 vcc_lo, v4, v27
	s_and_b32 exec_lo, exec_lo, vcc_lo
	s_cbranch_execz .LBB114_250
; %bb.254:                              ;   in Loop: Header=BB114_252 Depth=2
	v_perm_b32 v3, v3, s83, 0x5040100
	ds_write_b32 v8, v3 offset:3072
	s_branch .LBB114_250
.LBB114_255:                            ;   in Loop: Header=BB114_252 Depth=2
	v_add_nc_u32_e32 v2, s58, v2
	v_add_nc_u32_e32 v1, s81, v1
	s_mov_b32 s34, 0
	v_cmp_le_u32_e32 vcc_lo, s30, v2
	s_orn2_b32 s33, vcc_lo, exec_lo
	s_branch .LBB114_251
.LBB114_256:                            ;   in Loop: Header=BB114_6 Depth=1
	v_mov_b32_e32 v27, v2
	v_mov_b32_e32 v37, v3
	v_mov_b32_e32 v38, v7
	s_mov_b32 s14, 0
	s_and_saveexec_b32 s6, s24
	s_cbranch_execnz .LBB114_402
	s_branch .LBB114_403
.LBB114_257:                            ;   in Loop: Header=BB114_6 Depth=1
	s_or_b32 exec_lo, exec_lo, s26
	v_lshrrev_b32_e32 v38, 16, v3
	s_and_b32 s26, s31, exec_lo
.LBB114_258:                            ;   in Loop: Header=BB114_6 Depth=1
	s_or_b32 exec_lo, exec_lo, s29
.LBB114_259:                            ;   in Loop: Header=BB114_6 Depth=1
	s_and_b32 vcc_lo, exec_lo, s28
	s_cbranch_vccz .LBB114_270
; %bb.260:                              ;   in Loop: Header=BB114_6 Depth=1
                                        ; implicit-def: $vgpr38
	s_and_saveexec_b32 s14, s13
	s_cbranch_execz .LBB114_269
; %bb.261:                              ;   in Loop: Header=BB114_6 Depth=1
	v_mov_b32_e32 v7, v9
	v_mov_b32_e32 v1, v0
	s_mov_b32 s16, 0
                                        ; implicit-def: $sgpr27
	s_branch .LBB114_264
.LBB114_262:                            ;   in Loop: Header=BB114_264 Depth=2
	s_or_b32 exec_lo, exec_lo, s28
	s_waitcnt lgkmcnt(0)
	s_barrier
	buffer_gl0_inv
	ds_read_b32 v2, v8 offset:3072
	s_mov_b32 s28, -1
	s_mov_b32 s29, -1
	s_waitcnt lgkmcnt(0)
	s_barrier
	buffer_gl0_inv
	v_and_b32_e32 v3, 0x7fff, v2
	v_cmp_ne_u32_e32 vcc_lo, 0, v3
	s_cbranch_vccz .LBB114_267
.LBB114_263:                            ;   in Loop: Header=BB114_264 Depth=2
	s_and_b32 s28, exec_lo, s28
	s_or_b32 s16, s28, s16
	s_andn2_b32 s27, s27, exec_lo
	s_and_b32 s28, s29, exec_lo
	s_or_b32 s27, s27, s28
	s_andn2_b32 exec_lo, exec_lo, s16
	s_cbranch_execz .LBB114_268
.LBB114_264:                            ;   Parent Loop BB114_6 Depth=1
                                        ; =>  This Inner Loop Header: Depth=2
	s_mov_b32 s28, exec_lo
	v_cmpx_gt_u32_e64 s36, v1
	s_cbranch_execz .LBB114_262
; %bb.265:                              ;   in Loop: Header=BB114_264 Depth=2
	v_lshlrev_b64 v[2:3], 1, v[7:8]
	v_add_co_u32 v2, vcc_lo, s43, v2
	v_add_co_ci_u32_e64 v3, null, s47, v3, vcc_lo
	global_load_ushort v2, v[2:3], off
	s_waitcnt vmcnt(0)
	v_cmp_lt_i16_e32 vcc_lo, -1, v2
	v_lshlrev_b32_e32 v4, 16, v2
	v_cndmask_b32_e32 v3, 0xffff, v35, vcc_lo
	v_cmp_o_f32_e32 vcc_lo, v4, v4
	v_xor_b32_sdwa v3, v3, v2 dst_sel:DWORD dst_unused:UNUSED_PAD src0_sel:DWORD src1_sel:WORD_0
	v_cndmask_b32_e32 v3, 0xffff, v3, vcc_lo
	v_and_b32_e32 v3, v3, v37
	v_cmp_eq_u32_e32 vcc_lo, v3, v27
	s_and_b32 exec_lo, exec_lo, vcc_lo
	s_cbranch_execz .LBB114_262
; %bb.266:                              ;   in Loop: Header=BB114_264 Depth=2
	v_perm_b32 v2, v2, s83, 0x5040100
	ds_write_b32 v8, v2 offset:3072
	s_branch .LBB114_262
.LBB114_267:                            ;   in Loop: Header=BB114_264 Depth=2
	v_add_nc_u32_e32 v1, s58, v1
	v_add_nc_u32_e32 v7, s59, v7
	s_mov_b32 s29, 0
	v_cmp_le_u32_e32 vcc_lo, s78, v1
	s_orn2_b32 s28, vcc_lo, exec_lo
	s_branch .LBB114_263
.LBB114_268:                            ;   in Loop: Header=BB114_6 Depth=1
	s_or_b32 exec_lo, exec_lo, s16
	v_lshrrev_b32_e32 v38, 16, v2
	s_andn2_b32 s16, s26, exec_lo
	s_and_b32 s26, s27, exec_lo
	s_or_b32 s26, s16, s26
.LBB114_269:                            ;   in Loop: Header=BB114_6 Depth=1
	s_or_b32 exec_lo, exec_lo, s14
	s_mov_b32 s16, 0
	s_mov_b32 s14, -1
.LBB114_270:                            ;   in Loop: Header=BB114_6 Depth=1
	s_orn2_b32 s26, s26, exec_lo
.LBB114_271:                            ;   in Loop: Header=BB114_6 Depth=1
	s_or_b32 exec_lo, exec_lo, s25
                                        ; implicit-def: $vgpr4
                                        ; implicit-def: $vgpr1
	s_and_saveexec_b32 s25, s26
	s_cbranch_execz .LBB114_401
; %bb.272:                              ;   in Loop: Header=BB114_6 Depth=1
	v_mov_b32_e32 v4, 1
	v_mov_b32_e32 v1, 1
	s_xor_b32 s26, s6, -1
	s_mov_b32 s28, 0
	s_and_saveexec_b32 s6, s26
	s_cbranch_execz .LBB114_281
; %bb.273:                              ;   in Loop: Header=BB114_6 Depth=1
	s_mov_b32 s26, exec_lo
	v_cmpx_ge_u32_e64 s22, v39
	s_xor_b32 s26, exec_lo, s26
	s_cbranch_execz .LBB114_278
; %bb.274:                              ;   in Loop: Header=BB114_6 Depth=1
	ds_read_b32 v1, v8 offset:4096
	v_or_b32_e32 v27, s18, v27
	v_or_b32_e32 v37, s18, v37
	s_waitcnt lgkmcnt(0)
	v_cmp_ne_u32_e32 vcc_lo, 0, v1
	s_cbranch_vccnz .LBB114_278
; %bb.275:                              ;   in Loop: Header=BB114_6 Depth=1
	s_and_saveexec_b32 s27, s3
; %bb.276:                              ;   in Loop: Header=BB114_6 Depth=1
	v_mov_b32_e32 v1, s22
	ds_write_b32 v8, v1 offset:4100
; %bb.277:                              ;   in Loop: Header=BB114_6 Depth=1
	s_or_b32 exec_lo, exec_lo, s27
	s_waitcnt lgkmcnt(0)
	s_barrier
	buffer_gl0_inv
.LBB114_278:                            ;   in Loop: Header=BB114_6 Depth=1
	s_or_saveexec_b32 s26, s26
	v_mov_b32_e32 v1, 5
	s_mov_b32 s27, 0
	s_xor_b32 exec_lo, exec_lo, s26
; %bb.279:                              ;   in Loop: Header=BB114_6 Depth=1
	v_subrev_nc_u32_e32 v39, s22, v39
	v_mov_b32_e32 v1, 0
	s_mov_b32 s27, exec_lo
; %bb.280:                              ;   in Loop: Header=BB114_6 Depth=1
	s_or_b32 exec_lo, exec_lo, s26
	v_mov_b32_e32 v4, v39
	s_and_b32 s28, s27, exec_lo
.LBB114_281:                            ;   in Loop: Header=BB114_6 Depth=1
	s_or_b32 exec_lo, exec_lo, s6
	s_mov_b32 s27, -1
                                        ; implicit-def: $sgpr22
                                        ; implicit-def: $sgpr26
	s_and_saveexec_b32 s6, s28
	s_xor_b32 s6, exec_lo, s6
	s_cbranch_execz .LBB114_398
; %bb.282:                              ;   in Loop: Header=BB114_6 Depth=1
	v_cmp_eq_u32_e32 vcc_lo, 1, v4
	s_cmp_eq_u32 s21, 1
	s_mov_b32 s29, -1
	s_cselect_b32 s22, -1, 0
                                        ; implicit-def: $sgpr26
	s_and_b32 s28, s22, vcc_lo
                                        ; implicit-def: $sgpr22
	s_and_saveexec_b32 s27, s28
	s_cbranch_execz .LBB114_308
; %bb.283:                              ;   in Loop: Header=BB114_6 Depth=1
	ds_read_b32 v2, v8 offset:4096
	s_waitcnt lgkmcnt(0)
	s_barrier
	buffer_gl0_inv
	v_readfirstlane_b32 s30, v2
	s_and_saveexec_b32 s22, s15
; %bb.284:                              ;   in Loop: Header=BB114_6 Depth=1
	ds_write_b16 v21, v8
; %bb.285:                              ;   in Loop: Header=BB114_6 Depth=1
	s_or_b32 exec_lo, exec_lo, s22
	s_lshl_b32 s22, 2, s88
	v_or_b32_e32 v37, s18, v37
	v_and_or_b32 v27, v27, s19, s22
	s_mov_b32 s22, -1
	s_mov_b32 s26, 0
	s_cmp_eq_u32 s30, 0
	s_mov_b32 s29, 0
	s_mov_b32 s31, -1
	s_waitcnt lgkmcnt(0)
	s_barrier
	buffer_gl0_inv
                                        ; implicit-def: $vgpr38
	s_cbranch_scc1 .LBB114_296
; %bb.286:                              ;   in Loop: Header=BB114_6 Depth=1
	s_add_i32 s29, s30, s71
                                        ; implicit-def: $vgpr38
	s_mul_hi_u32 s31, s29, s77
	s_mul_i32 s31, s31, s58
	s_sub_i32 s31, s29, s31
	s_sub_i32 s33, s31, s58
	s_cmp_ge_u32 s31, s58
	s_cselect_b32 s31, s33, s31
	s_sub_i32 s33, s31, s58
	s_cmp_ge_u32 s31, s58
	s_cselect_b32 s31, s33, s31
	s_mov_b32 s33, exec_lo
	s_sub_i32 s34, s29, s31
	s_mov_b32 s31, 0
	s_mov_b32 s29, 0
	v_cmpx_gt_u32_e64 s34, v0
	s_cbranch_execz .LBB114_295
; %bb.287:                              ;   in Loop: Header=BB114_6 Depth=1
	v_mov_b32_e32 v2, v20
	v_mov_b32_e32 v3, v0
                                        ; implicit-def: $sgpr44
	s_branch .LBB114_290
.LBB114_288:                            ;   in Loop: Header=BB114_290 Depth=2
	s_or_b32 exec_lo, exec_lo, s45
	s_waitcnt lgkmcnt(0)
	s_barrier
	buffer_gl0_inv
	ds_read_b32 v7, v8 offset:3072
	s_mov_b32 s45, -1
	s_mov_b32 s46, -1
	s_waitcnt lgkmcnt(0)
	s_barrier
	buffer_gl0_inv
	v_and_b32_e32 v13, 0x7fff, v7
	v_cmp_ne_u32_e32 vcc_lo, 0, v13
	s_cbranch_vccz .LBB114_293
.LBB114_289:                            ;   in Loop: Header=BB114_290 Depth=2
	s_and_b32 s45, exec_lo, s45
	s_or_b32 s29, s45, s29
	s_andn2_b32 s44, s44, exec_lo
	s_and_b32 s45, s46, exec_lo
	s_or_b32 s44, s44, s45
	s_andn2_b32 exec_lo, exec_lo, s29
	s_cbranch_execz .LBB114_294
.LBB114_290:                            ;   Parent Loop BB114_6 Depth=1
                                        ; =>  This Inner Loop Header: Depth=2
	s_mov_b32 s45, exec_lo
	v_cmpx_gt_u32_e64 s30, v3
	s_cbranch_execz .LBB114_288
; %bb.291:                              ;   in Loop: Header=BB114_290 Depth=2
	ds_read_u16 v7, v2
	s_waitcnt lgkmcnt(0)
	v_cmp_lt_i16_e32 vcc_lo, -1, v7
	v_lshlrev_b32_e32 v14, 16, v7
	v_cndmask_b32_e32 v13, 0xffff, v35, vcc_lo
	v_cmp_o_f32_e32 vcc_lo, v14, v14
	v_xor_b32_sdwa v13, v13, v7 dst_sel:DWORD dst_unused:UNUSED_PAD src0_sel:DWORD src1_sel:WORD_0
	v_cndmask_b32_e32 v13, 0xffff, v13, vcc_lo
	v_and_b32_e32 v13, v13, v37
	v_cmp_eq_u32_e32 vcc_lo, v13, v27
	s_and_b32 exec_lo, exec_lo, vcc_lo
	s_cbranch_execz .LBB114_288
; %bb.292:                              ;   in Loop: Header=BB114_290 Depth=2
	v_perm_b32 v7, v7, s83, 0x5040100
	ds_write_b32 v8, v7 offset:3072
	s_branch .LBB114_288
.LBB114_293:                            ;   in Loop: Header=BB114_290 Depth=2
	v_add_nc_u32_e32 v3, s58, v3
	v_add_nc_u32_e32 v2, s81, v2
	s_mov_b32 s46, 0
	v_cmp_le_u32_e32 vcc_lo, s34, v3
	s_orn2_b32 s45, vcc_lo, exec_lo
	s_branch .LBB114_289
.LBB114_294:                            ;   in Loop: Header=BB114_6 Depth=1
	s_or_b32 exec_lo, exec_lo, s29
	v_lshrrev_b32_e32 v38, 16, v7
	s_and_b32 s29, s44, exec_lo
.LBB114_295:                            ;   in Loop: Header=BB114_6 Depth=1
	s_or_b32 exec_lo, exec_lo, s33
.LBB114_296:                            ;   in Loop: Header=BB114_6 Depth=1
	s_and_b32 vcc_lo, exec_lo, s31
	s_cbranch_vccz .LBB114_307
; %bb.297:                              ;   in Loop: Header=BB114_6 Depth=1
                                        ; implicit-def: $vgpr38
	s_and_saveexec_b32 s22, s13
	s_cbranch_execz .LBB114_306
; %bb.298:                              ;   in Loop: Header=BB114_6 Depth=1
	v_mov_b32_e32 v7, v9
	v_mov_b32_e32 v2, v0
	s_mov_b32 s26, 0
                                        ; implicit-def: $sgpr30
	s_branch .LBB114_301
.LBB114_299:                            ;   in Loop: Header=BB114_301 Depth=2
	s_or_b32 exec_lo, exec_lo, s31
	s_waitcnt lgkmcnt(0)
	s_barrier
	buffer_gl0_inv
	ds_read_b32 v3, v8 offset:3072
	s_mov_b32 s31, -1
	s_mov_b32 s33, -1
	s_waitcnt lgkmcnt(0)
	s_barrier
	buffer_gl0_inv
	v_and_b32_e32 v13, 0x7fff, v3
	v_cmp_eq_u32_e32 vcc_lo, 0, v13
	s_cbranch_vccnz .LBB114_304
.LBB114_300:                            ;   in Loop: Header=BB114_301 Depth=2
	s_and_b32 s31, exec_lo, s31
	s_or_b32 s26, s31, s26
	s_andn2_b32 s30, s30, exec_lo
	s_and_b32 s31, s33, exec_lo
	s_or_b32 s30, s30, s31
	s_andn2_b32 exec_lo, exec_lo, s26
	s_cbranch_execz .LBB114_305
.LBB114_301:                            ;   Parent Loop BB114_6 Depth=1
                                        ; =>  This Inner Loop Header: Depth=2
	s_mov_b32 s31, exec_lo
	v_cmpx_gt_u32_e64 s36, v2
	s_cbranch_execz .LBB114_299
; %bb.302:                              ;   in Loop: Header=BB114_301 Depth=2
	v_lshlrev_b64 v[13:14], 1, v[7:8]
	v_add_co_u32 v13, vcc_lo, s43, v13
	v_add_co_ci_u32_e64 v14, null, s47, v14, vcc_lo
	global_load_ushort v3, v[13:14], off
	s_waitcnt vmcnt(0)
	v_cmp_lt_i16_e32 vcc_lo, -1, v3
	v_lshlrev_b32_e32 v14, 16, v3
	v_cndmask_b32_e32 v13, 0xffff, v35, vcc_lo
	v_cmp_o_f32_e32 vcc_lo, v14, v14
	v_xor_b32_sdwa v13, v13, v3 dst_sel:DWORD dst_unused:UNUSED_PAD src0_sel:DWORD src1_sel:WORD_0
	v_cndmask_b32_e32 v13, 0xffff, v13, vcc_lo
	v_and_b32_e32 v13, v13, v37
	v_cmp_eq_u32_e32 vcc_lo, v13, v27
	s_and_b32 exec_lo, exec_lo, vcc_lo
	s_cbranch_execz .LBB114_299
; %bb.303:                              ;   in Loop: Header=BB114_301 Depth=2
	v_perm_b32 v3, v3, s83, 0x5040100
	ds_write_b32 v8, v3 offset:3072
	s_branch .LBB114_299
.LBB114_304:                            ;   in Loop: Header=BB114_301 Depth=2
	v_add_nc_u32_e32 v2, s58, v2
	v_add_nc_u32_e32 v7, s59, v7
	s_mov_b32 s33, 0
	v_cmp_le_u32_e32 vcc_lo, s78, v2
	s_orn2_b32 s31, vcc_lo, exec_lo
	s_branch .LBB114_300
.LBB114_305:                            ;   in Loop: Header=BB114_6 Depth=1
	s_or_b32 exec_lo, exec_lo, s26
	v_lshrrev_b32_e32 v38, 16, v3
	s_andn2_b32 s26, s29, exec_lo
	s_and_b32 s29, s30, exec_lo
	s_or_b32 s29, s26, s29
.LBB114_306:                            ;   in Loop: Header=BB114_6 Depth=1
	s_or_b32 exec_lo, exec_lo, s22
	s_mov_b32 s22, 0
	s_mov_b32 s26, -1
.LBB114_307:                            ;   in Loop: Header=BB114_6 Depth=1
	s_orn2_b32 s29, s29, exec_lo
.LBB114_308:                            ;   in Loop: Header=BB114_6 Depth=1
	s_or_b32 exec_lo, exec_lo, s27
	s_mov_b32 s30, 0
	s_and_saveexec_b32 s27, s29
	s_cbranch_execz .LBB114_397
; %bb.309:                              ;   in Loop: Header=BB114_6 Depth=1
	v_mov_b32_e32 v2, 1
	v_mov_b32_e32 v1, 1
	s_xor_b32 s29, s28, -1
	s_mov_b32 s31, 0
	s_and_saveexec_b32 s28, s29
	s_cbranch_execz .LBB114_318
; %bb.310:                              ;   in Loop: Header=BB114_6 Depth=1
	s_mov_b32 s29, exec_lo
	v_cmpx_ge_u32_e64 s21, v4
	s_xor_b32 s29, exec_lo, s29
	s_cbranch_execz .LBB114_315
; %bb.311:                              ;   in Loop: Header=BB114_6 Depth=1
	ds_read_b32 v1, v8 offset:4096
	s_lshl_b32 s30, 2, s88
	v_or_b32_e32 v37, s18, v37
	v_and_or_b32 v27, v27, s19, s30
	s_waitcnt lgkmcnt(0)
	v_cmp_ne_u32_e32 vcc_lo, 0, v1
	s_cbranch_vccnz .LBB114_315
; %bb.312:                              ;   in Loop: Header=BB114_6 Depth=1
	s_and_saveexec_b32 s30, s3
; %bb.313:                              ;   in Loop: Header=BB114_6 Depth=1
	v_mov_b32_e32 v1, s21
	ds_write_b32 v8, v1 offset:4100
; %bb.314:                              ;   in Loop: Header=BB114_6 Depth=1
	s_or_b32 exec_lo, exec_lo, s30
	s_waitcnt lgkmcnt(0)
	s_barrier
	buffer_gl0_inv
.LBB114_315:                            ;   in Loop: Header=BB114_6 Depth=1
	s_or_saveexec_b32 s29, s29
	v_mov_b32_e32 v1, 5
	s_mov_b32 s30, 0
	s_xor_b32 exec_lo, exec_lo, s29
; %bb.316:                              ;   in Loop: Header=BB114_6 Depth=1
	v_subrev_nc_u32_e32 v4, s21, v4
	v_mov_b32_e32 v1, 0
	s_mov_b32 s30, exec_lo
; %bb.317:                              ;   in Loop: Header=BB114_6 Depth=1
	s_or_b32 exec_lo, exec_lo, s29
	v_mov_b32_e32 v2, v4
	s_and_b32 s31, s30, exec_lo
.LBB114_318:                            ;   in Loop: Header=BB114_6 Depth=1
	s_or_b32 exec_lo, exec_lo, s28
	s_mov_b32 s30, -1
                                        ; implicit-def: $sgpr28
                                        ; implicit-def: $sgpr29
	s_and_saveexec_b32 s21, s31
	s_cbranch_execz .LBB114_396
; %bb.319:                              ;   in Loop: Header=BB114_6 Depth=1
	v_cmp_eq_u32_e32 vcc_lo, 1, v2
	s_cmp_eq_u32 s20, 1
	s_mov_b32 s33, -1
	s_cselect_b32 s28, -1, 0
                                        ; implicit-def: $sgpr29
	s_and_b32 s31, s28, vcc_lo
                                        ; implicit-def: $sgpr28
	s_and_saveexec_b32 s30, s31
	s_cbranch_execz .LBB114_345
; %bb.320:                              ;   in Loop: Header=BB114_6 Depth=1
	ds_read_b32 v3, v8 offset:4096
	s_waitcnt lgkmcnt(0)
	s_barrier
	buffer_gl0_inv
	v_readfirstlane_b32 s34, v3
	s_and_saveexec_b32 s28, s15
; %bb.321:                              ;   in Loop: Header=BB114_6 Depth=1
	ds_write_b16 v21, v8
; %bb.322:                              ;   in Loop: Header=BB114_6 Depth=1
	s_or_b32 exec_lo, exec_lo, s28
	s_lshl_b32 s28, 1, s88
	v_or_b32_e32 v37, s18, v37
	v_and_or_b32 v27, v27, s19, s28
	s_mov_b32 s28, -1
	s_mov_b32 s29, 0
	s_cmp_eq_u32 s34, 0
	s_mov_b32 s33, 0
	s_mov_b32 s44, -1
	s_waitcnt lgkmcnt(0)
	s_barrier
	buffer_gl0_inv
                                        ; implicit-def: $vgpr38
	s_cbranch_scc1 .LBB114_333
; %bb.323:                              ;   in Loop: Header=BB114_6 Depth=1
	s_add_i32 s33, s34, s71
                                        ; implicit-def: $vgpr38
	s_mul_hi_u32 s44, s33, s77
	s_mul_i32 s44, s44, s58
	s_sub_i32 s44, s33, s44
	s_sub_i32 s45, s44, s58
	s_cmp_ge_u32 s44, s58
	s_cselect_b32 s44, s45, s44
	s_sub_i32 s45, s44, s58
	s_cmp_ge_u32 s44, s58
	s_cselect_b32 s44, s45, s44
	s_mov_b32 s45, exec_lo
	s_sub_i32 s46, s33, s44
	s_mov_b32 s44, 0
	s_mov_b32 s33, 0
	v_cmpx_gt_u32_e64 s46, v0
	s_cbranch_execz .LBB114_332
; %bb.324:                              ;   in Loop: Header=BB114_6 Depth=1
	v_mov_b32_e32 v3, v20
	v_mov_b32_e32 v4, v0
                                        ; implicit-def: $sgpr50
	s_branch .LBB114_327
.LBB114_325:                            ;   in Loop: Header=BB114_327 Depth=2
	s_or_b32 exec_lo, exec_lo, s51
	s_waitcnt lgkmcnt(0)
	s_barrier
	buffer_gl0_inv
	ds_read_b32 v7, v8 offset:3072
	s_mov_b32 s51, -1
	s_mov_b32 s52, -1
	s_waitcnt lgkmcnt(0)
	s_barrier
	buffer_gl0_inv
	v_and_b32_e32 v13, 0x7fff, v7
	v_cmp_ne_u32_e32 vcc_lo, 0, v13
	s_cbranch_vccz .LBB114_330
.LBB114_326:                            ;   in Loop: Header=BB114_327 Depth=2
	s_and_b32 s51, exec_lo, s51
	s_or_b32 s33, s51, s33
	s_andn2_b32 s50, s50, exec_lo
	s_and_b32 s51, s52, exec_lo
	s_or_b32 s50, s50, s51
	s_andn2_b32 exec_lo, exec_lo, s33
	s_cbranch_execz .LBB114_331
.LBB114_327:                            ;   Parent Loop BB114_6 Depth=1
                                        ; =>  This Inner Loop Header: Depth=2
	s_mov_b32 s51, exec_lo
	v_cmpx_gt_u32_e64 s34, v4
	s_cbranch_execz .LBB114_325
; %bb.328:                              ;   in Loop: Header=BB114_327 Depth=2
	ds_read_u16 v7, v3
	s_waitcnt lgkmcnt(0)
	v_cmp_lt_i16_e32 vcc_lo, -1, v7
	v_lshlrev_b32_e32 v14, 16, v7
	v_cndmask_b32_e32 v13, 0xffff, v35, vcc_lo
	v_cmp_o_f32_e32 vcc_lo, v14, v14
	v_xor_b32_sdwa v13, v13, v7 dst_sel:DWORD dst_unused:UNUSED_PAD src0_sel:DWORD src1_sel:WORD_0
	v_cndmask_b32_e32 v13, 0xffff, v13, vcc_lo
	v_and_b32_e32 v13, v13, v37
	v_cmp_eq_u32_e32 vcc_lo, v13, v27
	s_and_b32 exec_lo, exec_lo, vcc_lo
	s_cbranch_execz .LBB114_325
; %bb.329:                              ;   in Loop: Header=BB114_327 Depth=2
	v_perm_b32 v7, v7, s83, 0x5040100
	ds_write_b32 v8, v7 offset:3072
	s_branch .LBB114_325
.LBB114_330:                            ;   in Loop: Header=BB114_327 Depth=2
	v_add_nc_u32_e32 v4, s58, v4
	v_add_nc_u32_e32 v3, s81, v3
	s_mov_b32 s52, 0
	v_cmp_le_u32_e32 vcc_lo, s46, v4
	s_orn2_b32 s51, vcc_lo, exec_lo
	s_branch .LBB114_326
.LBB114_331:                            ;   in Loop: Header=BB114_6 Depth=1
	s_or_b32 exec_lo, exec_lo, s33
	v_lshrrev_b32_e32 v38, 16, v7
	s_and_b32 s33, s50, exec_lo
.LBB114_332:                            ;   in Loop: Header=BB114_6 Depth=1
	s_or_b32 exec_lo, exec_lo, s45
.LBB114_333:                            ;   in Loop: Header=BB114_6 Depth=1
	s_and_b32 vcc_lo, exec_lo, s44
	s_cbranch_vccz .LBB114_344
; %bb.334:                              ;   in Loop: Header=BB114_6 Depth=1
                                        ; implicit-def: $vgpr38
	s_and_saveexec_b32 s28, s13
	s_cbranch_execz .LBB114_343
; %bb.335:                              ;   in Loop: Header=BB114_6 Depth=1
	v_mov_b32_e32 v7, v9
	v_mov_b32_e32 v3, v0
	s_mov_b32 s29, 0
                                        ; implicit-def: $sgpr34
	s_branch .LBB114_338
.LBB114_336:                            ;   in Loop: Header=BB114_338 Depth=2
	s_or_b32 exec_lo, exec_lo, s44
	s_waitcnt lgkmcnt(0)
	s_barrier
	buffer_gl0_inv
	ds_read_b32 v4, v8 offset:3072
	s_mov_b32 s44, -1
	s_mov_b32 s45, -1
	s_waitcnt lgkmcnt(0)
	s_barrier
	buffer_gl0_inv
	v_and_b32_e32 v13, 0x7fff, v4
	v_cmp_eq_u32_e32 vcc_lo, 0, v13
	s_cbranch_vccnz .LBB114_341
.LBB114_337:                            ;   in Loop: Header=BB114_338 Depth=2
	s_and_b32 s44, exec_lo, s44
	s_or_b32 s29, s44, s29
	s_andn2_b32 s34, s34, exec_lo
	s_and_b32 s44, s45, exec_lo
	s_or_b32 s34, s34, s44
	s_andn2_b32 exec_lo, exec_lo, s29
	s_cbranch_execz .LBB114_342
.LBB114_338:                            ;   Parent Loop BB114_6 Depth=1
                                        ; =>  This Inner Loop Header: Depth=2
	s_mov_b32 s44, exec_lo
	v_cmpx_gt_u32_e64 s36, v3
	s_cbranch_execz .LBB114_336
; %bb.339:                              ;   in Loop: Header=BB114_338 Depth=2
	v_lshlrev_b64 v[13:14], 1, v[7:8]
	v_add_co_u32 v13, vcc_lo, s43, v13
	v_add_co_ci_u32_e64 v14, null, s47, v14, vcc_lo
	global_load_ushort v4, v[13:14], off
	s_waitcnt vmcnt(0)
	v_cmp_lt_i16_e32 vcc_lo, -1, v4
	v_lshlrev_b32_e32 v14, 16, v4
	v_cndmask_b32_e32 v13, 0xffff, v35, vcc_lo
	v_cmp_o_f32_e32 vcc_lo, v14, v14
	v_xor_b32_sdwa v13, v13, v4 dst_sel:DWORD dst_unused:UNUSED_PAD src0_sel:DWORD src1_sel:WORD_0
	v_cndmask_b32_e32 v13, 0xffff, v13, vcc_lo
	v_and_b32_e32 v13, v13, v37
	v_cmp_eq_u32_e32 vcc_lo, v13, v27
	s_and_b32 exec_lo, exec_lo, vcc_lo
	s_cbranch_execz .LBB114_336
; %bb.340:                              ;   in Loop: Header=BB114_338 Depth=2
	v_perm_b32 v4, v4, s83, 0x5040100
	ds_write_b32 v8, v4 offset:3072
	s_branch .LBB114_336
.LBB114_341:                            ;   in Loop: Header=BB114_338 Depth=2
	v_add_nc_u32_e32 v3, s58, v3
	v_add_nc_u32_e32 v7, s59, v7
	s_mov_b32 s45, 0
	v_cmp_le_u32_e32 vcc_lo, s78, v3
	s_orn2_b32 s44, vcc_lo, exec_lo
	s_branch .LBB114_337
.LBB114_342:                            ;   in Loop: Header=BB114_6 Depth=1
	s_or_b32 exec_lo, exec_lo, s29
	v_lshrrev_b32_e32 v38, 16, v4
	s_andn2_b32 s29, s33, exec_lo
	s_and_b32 s33, s34, exec_lo
	s_or_b32 s33, s29, s33
.LBB114_343:                            ;   in Loop: Header=BB114_6 Depth=1
	s_or_b32 exec_lo, exec_lo, s28
	s_mov_b32 s28, 0
	s_mov_b32 s29, -1
.LBB114_344:                            ;   in Loop: Header=BB114_6 Depth=1
	s_orn2_b32 s33, s33, exec_lo
.LBB114_345:                            ;   in Loop: Header=BB114_6 Depth=1
	s_or_b32 exec_lo, exec_lo, s30
	s_mov_b32 s34, 0
	s_and_saveexec_b32 s30, s33
	s_cbranch_execz .LBB114_395
; %bb.346:                              ;   in Loop: Header=BB114_6 Depth=1
	v_mov_b32_e32 v3, 1
	v_mov_b32_e32 v1, 1
	s_xor_b32 s33, s31, -1
	s_mov_b32 s44, 0
	s_and_saveexec_b32 s31, s33
	s_cbranch_execz .LBB114_355
; %bb.347:                              ;   in Loop: Header=BB114_6 Depth=1
	s_mov_b32 s33, exec_lo
	v_cmpx_ge_u32_e64 s20, v2
	s_xor_b32 s33, exec_lo, s33
	s_cbranch_execz .LBB114_352
; %bb.348:                              ;   in Loop: Header=BB114_6 Depth=1
	ds_read_b32 v1, v8 offset:4096
	s_lshl_b32 s34, 1, s88
	v_or_b32_e32 v37, s18, v37
	v_and_or_b32 v27, v27, s19, s34
	s_waitcnt lgkmcnt(0)
	v_cmp_ne_u32_e32 vcc_lo, 0, v1
	s_cbranch_vccnz .LBB114_352
; %bb.349:                              ;   in Loop: Header=BB114_6 Depth=1
	s_and_saveexec_b32 s34, s3
; %bb.350:                              ;   in Loop: Header=BB114_6 Depth=1
	v_mov_b32_e32 v1, s20
	ds_write_b32 v8, v1 offset:4100
; %bb.351:                              ;   in Loop: Header=BB114_6 Depth=1
	s_or_b32 exec_lo, exec_lo, s34
	s_waitcnt lgkmcnt(0)
	s_barrier
	buffer_gl0_inv
.LBB114_352:                            ;   in Loop: Header=BB114_6 Depth=1
	s_or_saveexec_b32 s33, s33
	v_mov_b32_e32 v1, 5
	s_mov_b32 s34, 0
	s_xor_b32 exec_lo, exec_lo, s33
; %bb.353:                              ;   in Loop: Header=BB114_6 Depth=1
	v_subrev_nc_u32_e32 v2, s20, v2
	v_mov_b32_e32 v1, 0
	s_mov_b32 s34, exec_lo
; %bb.354:                              ;   in Loop: Header=BB114_6 Depth=1
	s_or_b32 exec_lo, exec_lo, s33
	v_mov_b32_e32 v3, v2
	s_and_b32 s44, s34, exec_lo
.LBB114_355:                            ;   in Loop: Header=BB114_6 Depth=1
	s_or_b32 exec_lo, exec_lo, s31
	s_mov_b32 s31, -1
                                        ; implicit-def: $sgpr34
                                        ; implicit-def: $sgpr33
	s_and_saveexec_b32 s20, s44
	s_cbranch_execz .LBB114_394
; %bb.356:                              ;   in Loop: Header=BB114_6 Depth=1
	v_cmp_eq_u32_e32 vcc_lo, 1, v3
	s_cmp_eq_u32 s17, 1
	s_mov_b32 s45, -1
	s_cselect_b32 s31, -1, 0
                                        ; implicit-def: $sgpr34
                                        ; implicit-def: $sgpr33
	s_and_b32 s31, s31, vcc_lo
	s_and_saveexec_b32 s95, s31
	s_cbranch_execz .LBB114_382
; %bb.357:                              ;   in Loop: Header=BB114_6 Depth=1
	ds_read_b32 v2, v8 offset:4096
	s_waitcnt lgkmcnt(0)
	s_barrier
	buffer_gl0_inv
	v_readfirstlane_b32 s45, v2
	s_and_saveexec_b32 s33, s15
; %bb.358:                              ;   in Loop: Header=BB114_6 Depth=1
	ds_write_b16 v21, v8
; %bb.359:                              ;   in Loop: Header=BB114_6 Depth=1
	s_or_b32 exec_lo, exec_lo, s33
	v_and_b32_e32 v27, s19, v27
	v_or_b32_e32 v37, s18, v37
	s_mov_b32 s33, -1
	s_mov_b32 s34, 0
	s_cmp_eq_u32 s45, 0
	s_mov_b32 s44, 0
	s_mov_b32 s46, -1
	s_waitcnt lgkmcnt(0)
	s_barrier
	buffer_gl0_inv
                                        ; implicit-def: $vgpr38
	s_cbranch_scc1 .LBB114_370
; %bb.360:                              ;   in Loop: Header=BB114_6 Depth=1
	s_add_i32 s44, s45, s71
	s_mov_b32 s96, exec_lo
	s_mul_hi_u32 s46, s44, s77
                                        ; implicit-def: $vgpr38
	s_mul_i32 s46, s46, s58
	s_sub_i32 s46, s44, s46
	s_sub_i32 s50, s46, s58
	s_cmp_ge_u32 s46, s58
	s_cselect_b32 s46, s50, s46
	s_sub_i32 s50, s46, s58
	s_cmp_ge_u32 s46, s58
	s_cselect_b32 s46, s50, s46
	s_sub_i32 s97, s44, s46
	s_mov_b32 s46, 0
	s_mov_b32 s44, 0
	v_cmpx_gt_u32_e64 s97, v0
	s_cbranch_execz .LBB114_369
; %bb.361:                              ;   in Loop: Header=BB114_6 Depth=1
	v_mov_b32_e32 v2, v20
	v_mov_b32_e32 v4, v0
                                        ; implicit-def: $sgpr50
	s_branch .LBB114_364
.LBB114_362:                            ;   in Loop: Header=BB114_364 Depth=2
	s_or_b32 exec_lo, exec_lo, s51
	s_waitcnt lgkmcnt(0)
	s_barrier
	buffer_gl0_inv
	ds_read_b32 v7, v8 offset:3072
	s_mov_b32 s51, -1
	s_mov_b32 s52, -1
	s_waitcnt lgkmcnt(0)
	s_barrier
	buffer_gl0_inv
	v_and_b32_e32 v13, 0x7fff, v7
	v_cmp_ne_u32_e32 vcc_lo, 0, v13
	s_cbranch_vccz .LBB114_367
.LBB114_363:                            ;   in Loop: Header=BB114_364 Depth=2
	s_and_b32 s51, exec_lo, s51
	s_or_b32 s44, s51, s44
	s_andn2_b32 s50, s50, exec_lo
	s_and_b32 s51, s52, exec_lo
	s_or_b32 s50, s50, s51
	s_andn2_b32 exec_lo, exec_lo, s44
	s_cbranch_execz .LBB114_368
.LBB114_364:                            ;   Parent Loop BB114_6 Depth=1
                                        ; =>  This Inner Loop Header: Depth=2
	s_mov_b32 s51, exec_lo
	v_cmpx_gt_u32_e64 s45, v4
	s_cbranch_execz .LBB114_362
; %bb.365:                              ;   in Loop: Header=BB114_364 Depth=2
	ds_read_u16 v7, v2
	s_waitcnt lgkmcnt(0)
	v_cmp_lt_i16_e32 vcc_lo, -1, v7
	v_lshlrev_b32_e32 v14, 16, v7
	v_cndmask_b32_e32 v13, 0xffff, v35, vcc_lo
	v_cmp_o_f32_e32 vcc_lo, v14, v14
	v_xor_b32_sdwa v13, v13, v7 dst_sel:DWORD dst_unused:UNUSED_PAD src0_sel:DWORD src1_sel:WORD_0
	v_cndmask_b32_e32 v13, 0xffff, v13, vcc_lo
	v_and_b32_e32 v13, v13, v37
	v_cmp_eq_u32_e32 vcc_lo, v13, v27
	s_and_b32 exec_lo, exec_lo, vcc_lo
	s_cbranch_execz .LBB114_362
; %bb.366:                              ;   in Loop: Header=BB114_364 Depth=2
	v_perm_b32 v7, v7, s83, 0x5040100
	ds_write_b32 v8, v7 offset:3072
	s_branch .LBB114_362
.LBB114_367:                            ;   in Loop: Header=BB114_364 Depth=2
	v_add_nc_u32_e32 v4, s58, v4
	v_add_nc_u32_e32 v2, s81, v2
	s_mov_b32 s52, 0
	v_cmp_le_u32_e32 vcc_lo, s97, v4
	s_orn2_b32 s51, vcc_lo, exec_lo
	s_branch .LBB114_363
.LBB114_368:                            ;   in Loop: Header=BB114_6 Depth=1
	s_or_b32 exec_lo, exec_lo, s44
	v_lshrrev_b32_e32 v38, 16, v7
	s_and_b32 s44, s50, exec_lo
.LBB114_369:                            ;   in Loop: Header=BB114_6 Depth=1
	s_or_b32 exec_lo, exec_lo, s96
.LBB114_370:                            ;   in Loop: Header=BB114_6 Depth=1
	s_and_b32 vcc_lo, exec_lo, s46
	s_cbranch_vccz .LBB114_381
; %bb.371:                              ;   in Loop: Header=BB114_6 Depth=1
                                        ; implicit-def: $vgpr38
	s_and_saveexec_b32 s33, s13
	s_cbranch_execz .LBB114_380
; %bb.372:                              ;   in Loop: Header=BB114_6 Depth=1
	v_mov_b32_e32 v7, v9
	v_mov_b32_e32 v2, v0
	s_mov_b32 s34, 0
                                        ; implicit-def: $sgpr45
	s_branch .LBB114_375
.LBB114_373:                            ;   in Loop: Header=BB114_375 Depth=2
	s_or_b32 exec_lo, exec_lo, s46
	s_waitcnt lgkmcnt(0)
	s_barrier
	buffer_gl0_inv
	ds_read_b32 v4, v8 offset:3072
	s_mov_b32 s46, -1
	s_mov_b32 s50, -1
	s_waitcnt lgkmcnt(0)
	s_barrier
	buffer_gl0_inv
	v_and_b32_e32 v13, 0x7fff, v4
	v_cmp_eq_u32_e32 vcc_lo, 0, v13
	s_cbranch_vccnz .LBB114_378
.LBB114_374:                            ;   in Loop: Header=BB114_375 Depth=2
	s_and_b32 s46, exec_lo, s46
	s_or_b32 s34, s46, s34
	s_andn2_b32 s45, s45, exec_lo
	s_and_b32 s46, s50, exec_lo
	s_or_b32 s45, s45, s46
	s_andn2_b32 exec_lo, exec_lo, s34
	s_cbranch_execz .LBB114_379
.LBB114_375:                            ;   Parent Loop BB114_6 Depth=1
                                        ; =>  This Inner Loop Header: Depth=2
	s_mov_b32 s46, exec_lo
	v_cmpx_gt_u32_e64 s36, v2
	s_cbranch_execz .LBB114_373
; %bb.376:                              ;   in Loop: Header=BB114_375 Depth=2
	v_lshlrev_b64 v[13:14], 1, v[7:8]
	v_add_co_u32 v13, vcc_lo, s43, v13
	v_add_co_ci_u32_e64 v14, null, s47, v14, vcc_lo
	global_load_ushort v4, v[13:14], off
	s_waitcnt vmcnt(0)
	v_cmp_lt_i16_e32 vcc_lo, -1, v4
	v_lshlrev_b32_e32 v14, 16, v4
	v_cndmask_b32_e32 v13, 0xffff, v35, vcc_lo
	v_cmp_o_f32_e32 vcc_lo, v14, v14
	v_xor_b32_sdwa v13, v13, v4 dst_sel:DWORD dst_unused:UNUSED_PAD src0_sel:DWORD src1_sel:WORD_0
	v_cndmask_b32_e32 v13, 0xffff, v13, vcc_lo
	v_and_b32_e32 v13, v13, v37
	v_cmp_eq_u32_e32 vcc_lo, v13, v27
	s_and_b32 exec_lo, exec_lo, vcc_lo
	s_cbranch_execz .LBB114_373
; %bb.377:                              ;   in Loop: Header=BB114_375 Depth=2
	v_perm_b32 v4, v4, s83, 0x5040100
	ds_write_b32 v8, v4 offset:3072
	s_branch .LBB114_373
.LBB114_378:                            ;   in Loop: Header=BB114_375 Depth=2
	v_add_nc_u32_e32 v2, s58, v2
	v_add_nc_u32_e32 v7, s59, v7
	s_mov_b32 s50, 0
	v_cmp_le_u32_e32 vcc_lo, s78, v2
	s_orn2_b32 s46, vcc_lo, exec_lo
	s_branch .LBB114_374
.LBB114_379:                            ;   in Loop: Header=BB114_6 Depth=1
	s_or_b32 exec_lo, exec_lo, s34
	v_lshrrev_b32_e32 v38, 16, v4
	s_andn2_b32 s34, s44, exec_lo
	s_and_b32 s44, s45, exec_lo
	s_or_b32 s44, s34, s44
.LBB114_380:                            ;   in Loop: Header=BB114_6 Depth=1
	s_or_b32 exec_lo, exec_lo, s33
	s_mov_b32 s33, 0
	s_mov_b32 s34, -1
.LBB114_381:                            ;   in Loop: Header=BB114_6 Depth=1
	s_orn2_b32 s45, s44, exec_lo
.LBB114_382:                            ;   in Loop: Header=BB114_6 Depth=1
	s_or_b32 exec_lo, exec_lo, s95
	s_mov_b32 s46, 0
	s_and_saveexec_b32 s44, s45
	s_cbranch_execz .LBB114_393
; %bb.383:                              ;   in Loop: Header=BB114_6 Depth=1
	v_mov_b32_e32 v1, 1
	v_mov_b32_e32 v2, 1
	s_xor_b32 s45, s31, -1
	s_and_saveexec_b32 s31, s45
	s_cbranch_execz .LBB114_392
; %bb.384:                              ;   in Loop: Header=BB114_6 Depth=1
	s_mov_b32 s45, exec_lo
	v_cmpx_ge_u32_e64 s17, v3
	s_xor_b32 s45, exec_lo, s45
	s_cbranch_execz .LBB114_389
; %bb.385:                              ;   in Loop: Header=BB114_6 Depth=1
	ds_read_b32 v1, v8 offset:4096
	v_and_b32_e32 v27, s19, v27
	v_or_b32_e32 v37, s18, v37
	s_waitcnt lgkmcnt(0)
	v_cmp_ne_u32_e32 vcc_lo, 0, v1
	s_cbranch_vccnz .LBB114_389
; %bb.386:                              ;   in Loop: Header=BB114_6 Depth=1
	s_and_saveexec_b32 s18, s3
; %bb.387:                              ;   in Loop: Header=BB114_6 Depth=1
	v_mov_b32_e32 v1, s17
	ds_write_b32 v8, v1 offset:4100
; %bb.388:                              ;   in Loop: Header=BB114_6 Depth=1
	s_or_b32 exec_lo, exec_lo, s18
	s_waitcnt lgkmcnt(0)
	s_barrier
	buffer_gl0_inv
.LBB114_389:                            ;   in Loop: Header=BB114_6 Depth=1
	s_andn2_saveexec_b32 s18, s45
; %bb.390:                              ;   in Loop: Header=BB114_6 Depth=1
	v_subrev_nc_u32_e32 v3, s17, v3
; %bb.391:                              ;   in Loop: Header=BB114_6 Depth=1
	s_or_b32 exec_lo, exec_lo, s18
	v_mov_b32_e32 v1, 5
	v_mov_b32_e32 v2, v3
.LBB114_392:                            ;   in Loop: Header=BB114_6 Depth=1
	s_or_b32 exec_lo, exec_lo, s31
	v_mov_b32_e32 v3, v2
	s_mov_b32 s46, exec_lo
.LBB114_393:                            ;   in Loop: Header=BB114_6 Depth=1
	s_or_b32 exec_lo, exec_lo, s44
	s_orn2_b32 s31, s46, exec_lo
.LBB114_394:                            ;   in Loop: Header=BB114_6 Depth=1
	s_or_b32 exec_lo, exec_lo, s20
	v_mov_b32_e32 v2, v3
	s_andn2_b32 s17, s29, exec_lo
	s_and_b32 s18, s34, exec_lo
	s_andn2_b32 s19, s28, exec_lo
	s_and_b32 s20, s33, exec_lo
	s_or_b32 s29, s17, s18
	s_or_b32 s28, s19, s20
	s_and_b32 s34, s31, exec_lo
.LBB114_395:                            ;   in Loop: Header=BB114_6 Depth=1
	s_or_b32 exec_lo, exec_lo, s30
	s_orn2_b32 s30, s34, exec_lo
.LBB114_396:                            ;   in Loop: Header=BB114_6 Depth=1
	s_or_b32 exec_lo, exec_lo, s21
	v_mov_b32_e32 v4, v2
	s_andn2_b32 s17, s26, exec_lo
	s_and_b32 s18, s29, exec_lo
	s_andn2_b32 s19, s22, exec_lo
	s_and_b32 s20, s28, exec_lo
	s_or_b32 s26, s17, s18
	s_or_b32 s22, s19, s20
	s_and_b32 s30, s30, exec_lo
.LBB114_397:                            ;   in Loop: Header=BB114_6 Depth=1
	s_or_b32 exec_lo, exec_lo, s27
	s_orn2_b32 s27, s30, exec_lo
.LBB114_398:                            ;   in Loop: Header=BB114_6 Depth=1
	s_or_b32 exec_lo, exec_lo, s6
	s_mov_b32 s6, s24
	s_mov_b32 s17, s23
	s_and_saveexec_b32 s18, s27
; %bb.399:                              ;   in Loop: Header=BB114_6 Depth=1
	v_cmp_ne_u32_e32 vcc_lo, 5, v1
	v_cmp_eq_u32_e64 s6, 5, v1
	s_andn2_b32 s17, s23, exec_lo
	s_andn2_b32 s19, s24, exec_lo
	s_and_b32 s20, vcc_lo, exec_lo
	s_and_b32 s6, s6, exec_lo
	s_or_b32 s17, s17, s20
	s_or_b32 s6, s19, s6
; %bb.400:                              ;   in Loop: Header=BB114_6 Depth=1
	s_or_b32 exec_lo, exec_lo, s18
	s_andn2_b32 s14, s14, exec_lo
	s_and_b32 s18, s26, exec_lo
	s_andn2_b32 s16, s16, exec_lo
	s_and_b32 s19, s22, exec_lo
	s_or_b32 s14, s14, s18
	s_or_b32 s16, s16, s19
	s_andn2_b32 s18, s23, exec_lo
	s_and_b32 s17, s17, exec_lo
	s_andn2_b32 s19, s24, exec_lo
	s_and_b32 s6, s6, exec_lo
	s_or_b32 s23, s18, s17
	s_or_b32 s24, s19, s6
.LBB114_401:                            ;   in Loop: Header=BB114_6 Depth=1
	s_or_b32 exec_lo, exec_lo, s25
	s_mov_b32 s25, 0
	s_mov_b32 s26, 0
	s_and_saveexec_b32 s6, s24
.LBB114_402:                            ;   in Loop: Header=BB114_6 Depth=1
	v_mov_b32_e32 v1, 0
	s_or_b32 s23, s23, exec_lo
.LBB114_403:                            ;   in Loop: Header=BB114_6 Depth=1
	s_or_b32 exec_lo, exec_lo, s6
	s_andn2_b32 s6, s92, exec_lo
	s_and_b32 s14, s14, exec_lo
	s_andn2_b32 s18, s90, exec_lo
	s_and_b32 s16, s16, exec_lo
	v_mov_b32_e32 v39, v4
	s_or_b32 s92, s6, s14
	s_or_b32 s90, s18, s16
	s_andn2_b32 s6, s94, exec_lo
	s_and_b32 s14, s26, exec_lo
	s_andn2_b32 s16, s93, exec_lo
	s_and_b32 s18, s25, exec_lo
	s_mov_b32 s17, -1
	s_andn2_b32 s91, s91, exec_lo
	s_or_b32 s94, s6, s14
	s_or_b32 s93, s16, s18
	s_and_saveexec_b32 s6, s23
	s_xor_b32 s6, exec_lo, s6
	s_cbranch_execz .LBB114_5
; %bb.404:                              ;   in Loop: Header=BB114_6 Depth=1
	s_mov_b32 s14, -1
	s_mov_b32 s16, -1
	s_mov_b32 s17, exec_lo
	v_cmpx_eq_u32_e32 0, v1
	s_cbranch_execz .LBB114_4
; %bb.405:                              ;   in Loop: Header=BB114_6 Depth=1
	s_xor_b32 s84, s84, 1
	s_add_i32 s18, s88, -2
	s_cmp_eq_u32 s88, 0
	s_mov_b32 s88, s18
	s_cselect_b32 s14, -1, 0
	s_xor_b32 s16, exec_lo, -1
	s_orn2_b32 s14, s14, exec_lo
	s_branch .LBB114_4
.LBB114_406:
	s_or_b32 exec_lo, exec_lo, s35
	s_xor_b32 s7, s89, -1
	s_xor_b32 s12, s86, -1
	;; [unrolled: 1-line block ×5, first 2 shown]
	s_mov_b32 s9, 0
	s_and_saveexec_b32 s10, s8
	s_xor_b32 s8, exec_lo, s10
	s_cbranch_execnz .LBB114_411
; %bb.407:
	s_andn2_saveexec_b32 s0, s8
	s_cbranch_execnz .LBB114_430
.LBB114_408:
	s_or_b32 exec_lo, exec_lo, s0
	s_and_saveexec_b32 s0, s9
.LBB114_409:
	; divergent unreachable
.LBB114_410:
	s_endpgm
.LBB114_411:
	s_mov_b32 s10, 0
	s_and_saveexec_b32 s9, s11
	s_xor_b32 s9, exec_lo, s9
	s_cbranch_execz .LBB114_428
; %bb.412:
	s_mov_b32 s11, 0
	s_and_saveexec_b32 s10, s12
	s_xor_b32 s10, exec_lo, s10
	s_cbranch_execz .LBB114_426
; %bb.413:
	;; [unrolled: 5-line block ×3, first 2 shown]
	s_and_saveexec_b32 s7, s6
	s_xor_b32 s6, exec_lo, s7
; %bb.415:
	v_and_b32_e32 v1, 0x8000, v27
	v_mov_b32_e32 v2, 0xffff
	v_cmp_eq_u32_e32 vcc_lo, 0, v1
	v_cndmask_b32_e32 v1, 0x8000, v2, vcc_lo
	v_xor_b32_e32 v38, v1, v27
; %bb.416:
	s_or_b32 exec_lo, exec_lo, s6
	s_and_saveexec_b32 s6, s3
; %bb.417:
	v_mov_b32_e32 v1, 0
	ds_write_b32 v1, v1 offset:4108
; %bb.418:
	s_or_b32 exec_lo, exec_lo, s6
	v_mov_b32_e32 v9, 0
	s_waitcnt lgkmcnt(0)
	s_barrier
	buffer_gl0_inv
	s_and_saveexec_b32 s3, s1
	s_cbranch_execz .LBB114_420
; %bb.419:
	global_load_ushort v9, v[5:6], off
.LBB114_420:
	s_or_b32 exec_lo, exec_lo, s3
	s_load_dwordx4 s[20:23], s[4:5], 0x15c
	s_mul_i32 s6, s64, s56
	s_add_i32 s12, s36, 31
	s_mul_i32 s3, s62, s57
	s_sub_i32 s6, s62, s6
	s_andn2_b32 s12, s12, 31
	s_sub_i32 s3, s60, s3
	s_add_i32 s7, s64, 1
	s_sub_i32 s13, s6, s56
	s_cmp_ge_u32 s6, s56
	v_mov_b32_e32 v8, 0x8000
	s_cselect_b32 s7, s7, s64
	s_cselect_b32 s6, s13, s6
	s_add_i32 s13, s7, 1
	s_cmp_ge_u32 s6, s56
	v_cmp_lt_i16_e32 vcc_lo, -1, v38
	s_cselect_b32 s6, s13, s7
	s_add_i32 s13, s63, 1
	s_mul_i32 s7, s6, s56
	v_lshlrev_b32_e32 v2, 16, v38
	s_sub_i32 s7, s62, s7
	s_waitcnt lgkmcnt(0)
	s_mul_i32 s3, s3, s22
	s_mul_i32 s7, s7, s21
	;; [unrolled: 1-line block ×3, first 2 shown]
	s_add_i32 s3, s7, s3
	s_mul_i32 s7, s63, s54
	s_add_i32 s6, s3, s6
	s_mul_i32 s3, s61, s55
	s_sub_i32 s7, s61, s7
	s_sub_i32 s3, s60, s3
	;; [unrolled: 1-line block ×3, first 2 shown]
	s_cmp_ge_u32 s7, s54
	v_readlane_b32 s20, v62, 0
	s_cselect_b32 s13, s13, s63
	s_cselect_b32 s7, s14, s7
	s_add_i32 s14, s13, 1
	s_cmp_ge_u32 s7, s54
	v_readlane_b32 s21, v62, 1
	s_cselect_b32 s14, s14, s13
	s_clause 0x1
	s_load_dword s13, s[4:5], 0x1c8
	s_load_dword s5, s[4:5], 0x2a8
	v_readlane_b32 s22, v62, 2
	s_mul_i32 s7, s14, s54
	v_cndmask_b32_e32 v1, 0xffff, v8, vcc_lo
	s_sub_i32 s4, s61, s7
	v_cmp_o_f32_e32 vcc_lo, v2, v2
	s_mul_i32 s3, s3, s22
	s_mul_i32 s4, s4, s21
	v_xor_b32_sdwa v1, v1, v38 dst_sel:DWORD dst_unused:UNUSED_PAD src0_sel:DWORD src1_sel:WORD_0
	s_add_i32 s3, s4, s3
	s_mul_i32 s4, s14, s20
	v_readlane_b32 s20, v62, 4
	s_mov_b32 s7, 0
	v_readlane_b32 s21, v62, 5
	s_lshl_b64 s[14:15], s[6:7], 1
	s_add_i32 s16, s3, s4
	s_mov_b32 s17, s7
	s_add_u32 s6, s20, s14
	v_cndmask_b32_e32 v7, 0xffff, v1, vcc_lo
	s_addc_u32 s14, s21, s15
	s_lshl_b64 s[16:17], s[16:17], 3
	v_cmp_gt_u32_e32 vcc_lo, s12, v0
	s_add_u32 s15, s40, s16
	s_mov_b32 s18, -1
	s_addc_u32 s16, s41, s17
	s_mov_b32 s3, 0
	v_readlane_b32 s23, v62, 3
	s_and_saveexec_b32 s17, vcc_lo
	s_cbranch_execnz .LBB114_431
; %bb.421:
	s_or_b32 exec_lo, exec_lo, s17
	s_and_saveexec_b32 s2, s18
	s_cbranch_execnz .LBB114_448
.LBB114_422:
	s_or_b32 exec_lo, exec_lo, s2
	s_and_saveexec_b32 s0, s3
	s_xor_b32 s0, exec_lo, s0
	s_cbranch_execnz .LBB114_473
.LBB114_423:
	s_or_b32 exec_lo, exec_lo, s0
	s_and_b32 s12, s7, exec_lo
.LBB114_424:
	s_andn2_saveexec_b32 s0, s11
	s_cbranch_execnz .LBB114_475
.LBB114_425:
	s_or_b32 exec_lo, exec_lo, s0
	s_and_b32 s11, s12, exec_lo
.LBB114_426:
	s_andn2_saveexec_b32 s0, s10
	s_cbranch_execnz .LBB114_474
.LBB114_427:
	s_or_b32 exec_lo, exec_lo, s0
	s_and_b32 s10, s11, exec_lo
.LBB114_428:
	s_andn2_saveexec_b32 s0, s9
	s_cbranch_execnz .LBB114_469
.LBB114_429:
	s_or_b32 exec_lo, exec_lo, s0
	s_and_b32 s9, s10, exec_lo
	s_andn2_saveexec_b32 s0, s8
	s_cbranch_execz .LBB114_408
.LBB114_430:
	s_or_b32 s9, s9, exec_lo
	s_trap 2
	s_or_b32 exec_lo, exec_lo, s0
	s_and_saveexec_b32 s0, s9
	s_cbranch_execnz .LBB114_409
	s_branch .LBB114_410
.LBB114_431:
	v_add_nc_u32_e32 v1, s58, v0
	v_mov_b32_e32 v2, 0
	v_mov_b32_e32 v3, v0
	s_mov_b32 s18, 0
                                        ; implicit-def: $sgpr19
                                        ; implicit-def: $vgpr11
	v_mul_lo_u32 v1, s48, v1
	s_branch .LBB114_433
.LBB114_432:                            ;   in Loop: Header=BB114_433 Depth=1
	s_or_b32 exec_lo, exec_lo, s21
	s_xor_b32 s3, s20, -1
	s_and_b32 s4, exec_lo, s4
	v_mov_b32_e32 v3, v10
	s_or_b32 s18, s4, s18
	s_waitcnt vmcnt(0)
	v_mov_b32_e32 v9, v12
	s_andn2_b32 s4, s19, exec_lo
	s_and_b32 s3, s3, exec_lo
	s_or_b32 s19, s4, s3
	s_andn2_b32 exec_lo, exec_lo, s18
	s_cbranch_execz .LBB114_447
.LBB114_433:                            ; =>This Inner Loop Header: Depth=1
	v_add_nc_u32_e32 v10, s58, v3
	v_mov_b32_e32 v12, 0
	s_mov_b32 s4, exec_lo
	v_cmpx_gt_u32_e64 s36, v10
	s_cbranch_execz .LBB114_435
; %bb.434:                              ;   in Loop: Header=BB114_433 Depth=1
	v_lshlrev_b64 v[12:13], 1, v[1:2]
	v_add_co_u32 v12, s3, s43, v12
	v_add_co_ci_u32_e64 v13, null, s47, v13, s3
	global_load_ushort v12, v[12:13], off
.LBB114_435:                            ;   in Loop: Header=BB114_433 Depth=1
	s_or_b32 exec_lo, exec_lo, s4
	s_mov_b32 s20, 0
	s_mov_b32 s4, exec_lo
	v_cmpx_gt_u32_e64 s36, v3
	s_cbranch_execz .LBB114_437
; %bb.436:                              ;   in Loop: Header=BB114_433 Depth=1
	s_waitcnt vmcnt(0)
	v_cmp_lt_i16_e64 s3, -1, v9
	v_lshlrev_b32_e32 v13, 16, v9
	v_cndmask_b32_e64 v4, 0xffff, v8, s3
	v_cmp_o_f32_e64 s3, v13, v13
	v_xor_b32_sdwa v4, v4, v9 dst_sel:DWORD dst_unused:UNUSED_PAD src0_sel:DWORD src1_sel:WORD_0
	v_cndmask_b32_e64 v4, 0xffff, v4, s3
	v_cmp_gt_u32_e64 s3, v4, v7
	v_cndmask_b32_e64 v13, 0, 1, s3
	v_cmp_lt_u32_e64 s3, v4, v7
	v_cndmask_b32_e64 v4, 0, 1, s3
	v_cndmask_b32_e64 v4, v4, v13, s2
	v_and_b32_e32 v4, 1, v4
	v_cmp_eq_u32_e64 s3, 1, v4
	s_and_b32 s20, s3, exec_lo
.LBB114_437:                            ;   in Loop: Header=BB114_433 Depth=1
	s_or_b32 exec_lo, exec_lo, s4
	v_cndmask_b32_e64 v4, 0, 1, s20
	v_cmp_ne_u32_e64 s3, 0, v4
	s_cmp_lg_u32 s3, 0
	s_cselect_b32 s4, -1, 0
	s_and_b32 s4, s0, s4
	s_and_saveexec_b32 s21, s4
	s_cbranch_execz .LBB114_441
; %bb.438:                              ;   in Loop: Header=BB114_433 Depth=1
	s_mov_b32 s24, exec_lo
	s_bcnt1_i32_b32 s22, s3
	v_mbcnt_lo_u32_b32 v4, s24, 0
	s_mov_b32 s23, exec_lo
                                        ; implicit-def: $vgpr11
	v_cmpx_eq_u32_e32 0, v4
	s_cbranch_execz .LBB114_440
; %bb.439:                              ;   in Loop: Header=BB114_433 Depth=1
	s_bcnt1_i32_b32 s4, s24
	s_mul_i32 s4, s22, s4
	s_waitcnt lgkmcnt(0)
	v_mov_b32_e32 v11, s4
	ds_add_rtn_u32 v11, v2, v11 offset:4108
.LBB114_440:                            ;   in Loop: Header=BB114_433 Depth=1
	s_or_b32 exec_lo, exec_lo, s23
	s_waitcnt lgkmcnt(0)
	v_readfirstlane_b32 s4, v11
	v_mad_u32_u24 v11, s22, v4, s4
.LBB114_441:                            ;   in Loop: Header=BB114_433 Depth=1
	s_or_b32 exec_lo, exec_lo, s21
	s_waitcnt lgkmcnt(0)
	ds_bpermute_b32 v11, v2, v11
	s_mov_b32 s4, -1
	s_mov_b32 s22, -1
	s_and_saveexec_b32 s21, s20
	s_cbranch_execz .LBB114_445
; %bb.442:                              ;   in Loop: Header=BB114_433 Depth=1
	v_and_b32_e32 v4, s3, v17
	s_mov_b32 s20, 0
	s_mov_b32 s22, exec_lo
	s_waitcnt lgkmcnt(0)
	v_bcnt_u32_b32 v4, v4, v11
	v_cmpx_gt_u32_e64 s37, v4
	s_cbranch_execz .LBB114_444
; %bb.443:                              ;   in Loop: Header=BB114_433 Depth=1
	v_mul_lo_u32 v13, v4, s13
	v_mul_lo_u32 v15, v4, s5
	v_mov_b32_e32 v14, v2
	v_mov_b32_e32 v16, v2
	;; [unrolled: 1-line block ×3, first 2 shown]
	s_mov_b32 s20, exec_lo
	v_lshlrev_b64 v[13:14], 1, v[13:14]
	v_lshlrev_b64 v[15:16], 3, v[15:16]
	v_add_co_u32 v13, s3, s6, v13
	v_add_co_ci_u32_e64 v14, null, s14, v14, s3
	v_add_co_u32 v15, s3, s15, v15
	v_add_co_ci_u32_e64 v16, null, s16, v16, s3
	s_waitcnt vmcnt(0)
	global_store_short v[13:14], v9, off
	global_store_dwordx2 v[15:16], v[3:4], off
.LBB114_444:                            ;   in Loop: Header=BB114_433 Depth=1
	s_or_b32 exec_lo, exec_lo, s22
	s_orn2_b32 s22, s20, exec_lo
.LBB114_445:                            ;   in Loop: Header=BB114_433 Depth=1
	s_or_b32 exec_lo, exec_lo, s21
	s_mov_b32 s20, -1
	s_and_saveexec_b32 s21, s22
	s_cbranch_execz .LBB114_432
; %bb.446:                              ;   in Loop: Header=BB114_433 Depth=1
	v_cmp_le_u32_e64 s3, s12, v10
	v_add_nc_u32_e32 v1, s59, v1
	s_xor_b32 s20, exec_lo, -1
	s_orn2_b32 s4, s3, exec_lo
	s_branch .LBB114_432
.LBB114_447:
	s_or_b32 exec_lo, exec_lo, s18
	s_mov_b32 s3, exec_lo
	s_orn2_b32 s18, s19, exec_lo
	s_or_b32 exec_lo, exec_lo, s17
	s_and_saveexec_b32 s2, s18
	s_cbranch_execz .LBB114_422
.LBB114_448:
	s_waitcnt vmcnt(0)
	v_mov_b32_e32 v9, 0
	s_waitcnt lgkmcnt(0)
	s_waitcnt_vscnt null, 0x0
	s_barrier
	buffer_gl0_inv
	s_and_saveexec_b32 s4, s1
	s_cbranch_execz .LBB114_450
; %bb.449:
	global_load_ushort v9, v[5:6], off
.LBB114_450:
	s_or_b32 exec_lo, exec_lo, s4
	s_mov_b32 s1, 0
	s_and_saveexec_b32 s4, vcc_lo
	s_cbranch_execz .LBB114_472
; %bb.451:
	v_add_nc_u32_e32 v1, s58, v0
	v_mov_b32_e32 v3, 0
	v_mov_b32_e32 v4, 0x8000
	s_mov_b32 s7, 0
                                        ; implicit-def: $sgpr17
                                        ; implicit-def: $vgpr6
	v_mul_lo_u32 v2, s48, v1
	s_branch .LBB114_454
.LBB114_452:                            ;   in Loop: Header=BB114_454 Depth=1
	s_or_b32 exec_lo, exec_lo, s18
	s_orn2_b32 s20, s21, exec_lo
	s_orn2_b32 s19, s19, exec_lo
.LBB114_453:                            ;   in Loop: Header=BB114_454 Depth=1
	s_or_b32 exec_lo, exec_lo, s1
	s_xor_b32 s1, s20, -1
	s_and_b32 s18, exec_lo, s19
	v_mov_b32_e32 v0, v5
	s_or_b32 s7, s18, s7
	s_waitcnt vmcnt(0)
	v_mov_b32_e32 v9, v8
	s_andn2_b32 s17, s17, exec_lo
	s_and_b32 s1, s1, exec_lo
	s_or_b32 s17, s17, s1
	s_andn2_b32 exec_lo, exec_lo, s7
	s_cbranch_execz .LBB114_470
.LBB114_454:                            ; =>This Inner Loop Header: Depth=1
	v_add_nc_u32_e32 v5, s58, v0
	v_mov_b32_e32 v8, 0
	s_mov_b32 s1, exec_lo
	v_cmpx_gt_u32_e64 s36, v5
	s_cbranch_execz .LBB114_456
; %bb.455:                              ;   in Loop: Header=BB114_454 Depth=1
	v_lshlrev_b64 v[10:11], 1, v[2:3]
	v_add_co_u32 v10, vcc_lo, s43, v10
	v_add_co_ci_u32_e64 v11, null, s47, v11, vcc_lo
	global_load_ushort v8, v[10:11], off
.LBB114_456:                            ;   in Loop: Header=BB114_454 Depth=1
	s_or_b32 exec_lo, exec_lo, s1
	s_mov_b32 s18, 0
	s_mov_b32 s1, exec_lo
	v_cmpx_gt_u32_e64 s36, v0
	s_cbranch_execz .LBB114_458
; %bb.457:                              ;   in Loop: Header=BB114_454 Depth=1
	s_waitcnt vmcnt(0)
	v_cmp_lt_i16_e32 vcc_lo, -1, v9
	v_lshlrev_b32_e32 v10, 16, v9
	v_cndmask_b32_e32 v1, 0xffff, v4, vcc_lo
	v_cmp_o_f32_e32 vcc_lo, v10, v10
	v_xor_b32_sdwa v1, v1, v9 dst_sel:DWORD dst_unused:UNUSED_PAD src0_sel:DWORD src1_sel:WORD_0
	v_cndmask_b32_e32 v1, 0xffff, v1, vcc_lo
	v_cmp_eq_u32_e32 vcc_lo, v1, v7
	s_and_b32 s18, vcc_lo, exec_lo
.LBB114_458:                            ;   in Loop: Header=BB114_454 Depth=1
	s_or_b32 exec_lo, exec_lo, s1
	v_cndmask_b32_e64 v1, 0, 1, s18
	v_cmp_ne_u32_e32 vcc_lo, 0, v1
	s_cmp_lg_u32 vcc_lo, 0
	s_cselect_b32 s1, -1, 0
	s_and_b32 s1, s0, s1
	s_and_saveexec_b32 s19, s1
	s_cbranch_execz .LBB114_462
; %bb.459:                              ;   in Loop: Header=BB114_454 Depth=1
	s_mov_b32 s22, exec_lo
	s_bcnt1_i32_b32 s20, vcc_lo
	v_mbcnt_lo_u32_b32 v1, s22, 0
	s_mov_b32 s21, exec_lo
                                        ; implicit-def: $vgpr6
	v_cmpx_eq_u32_e32 0, v1
; %bb.460:                              ;   in Loop: Header=BB114_454 Depth=1
	s_bcnt1_i32_b32 s1, s22
	s_mul_i32 s1, s20, s1
	v_mov_b32_e32 v6, s1
	ds_add_rtn_u32 v6, v3, v6 offset:4108
; %bb.461:                              ;   in Loop: Header=BB114_454 Depth=1
	s_or_b32 exec_lo, exec_lo, s21
	s_waitcnt lgkmcnt(0)
	v_readfirstlane_b32 s1, v6
	v_mad_u32_u24 v6, s20, v1, s1
.LBB114_462:                            ;   in Loop: Header=BB114_454 Depth=1
	s_or_b32 exec_lo, exec_lo, s19
	ds_bpermute_b32 v6, v3, v6
	s_cmp_eq_u32 vcc_lo, 0
	s_mov_b32 s19, -1
	s_cselect_b32 s20, -1, 0
	s_waitcnt lgkmcnt(0)
	v_cmp_gt_u32_e64 s1, s37, v6
	s_or_b32 s21, s20, s1
	s_mov_b32 s20, -1
	s_and_saveexec_b32 s1, s21
	s_cbranch_execz .LBB114_453
; %bb.463:                              ;   in Loop: Header=BB114_454 Depth=1
	v_and_b32_e32 v1, vcc_lo, v17
	v_sub_nc_u32_e32 v10, s37, v6
	s_mov_b32 s21, -1
	v_bcnt_u32_b32 v1, v1, 0
	v_bcnt_u32_b32 v1, 0, v1
	v_cmp_gt_u32_e32 vcc_lo, v10, v1
	s_and_b32 s22, s18, vcc_lo
	s_and_saveexec_b32 s18, s22
	s_cbranch_execz .LBB114_467
; %bb.464:                              ;   in Loop: Header=BB114_454 Depth=1
	v_add_nc_u32_e32 v1, v6, v1
	s_mov_b32 s20, 0
	s_mov_b32 s21, exec_lo
	v_cmpx_gt_u32_e64 s37, v1
	s_cbranch_execz .LBB114_466
; %bb.465:                              ;   in Loop: Header=BB114_454 Depth=1
	v_mul_lo_u32 v10, v1, s13
	v_mul_lo_u32 v12, v1, s5
	v_mov_b32_e32 v11, v3
	v_mov_b32_e32 v13, v3
	;; [unrolled: 1-line block ×3, first 2 shown]
	s_mov_b32 s20, exec_lo
	v_lshlrev_b64 v[10:11], 1, v[10:11]
	v_lshlrev_b64 v[12:13], 3, v[12:13]
	v_add_co_u32 v10, vcc_lo, s6, v10
	v_add_co_ci_u32_e64 v11, null, s14, v11, vcc_lo
	v_add_co_u32 v12, vcc_lo, s15, v12
	v_add_co_ci_u32_e64 v13, null, s16, v13, vcc_lo
	s_waitcnt vmcnt(0)
	global_store_short v[10:11], v9, off
	global_store_dwordx2 v[12:13], v[0:1], off
.LBB114_466:                            ;   in Loop: Header=BB114_454 Depth=1
	s_or_b32 exec_lo, exec_lo, s21
	s_xor_b32 s21, exec_lo, -1
	s_orn2_b32 s20, s20, exec_lo
.LBB114_467:                            ;   in Loop: Header=BB114_454 Depth=1
	s_or_b32 exec_lo, exec_lo, s18
	s_and_saveexec_b32 s18, s20
	s_cbranch_execz .LBB114_452
; %bb.468:                              ;   in Loop: Header=BB114_454 Depth=1
	v_cmp_le_u32_e32 vcc_lo, s12, v5
	v_add_nc_u32_e32 v2, s59, v2
	s_or_b32 s21, s21, exec_lo
	s_orn2_b32 s19, vcc_lo, exec_lo
	s_branch .LBB114_452
.LBB114_469:
	s_or_b32 s10, s10, exec_lo
	s_trap 2
	s_branch .LBB114_429
.LBB114_470:
	s_or_b32 exec_lo, exec_lo, s7
	s_mov_b32 s0, 0
	s_and_saveexec_b32 s1, s17
	s_xor_b32 s1, exec_lo, s1
	s_cbranch_execnz .LBB114_476
.LBB114_471:
	s_or_b32 exec_lo, exec_lo, s1
	s_and_b32 s1, s0, exec_lo
.LBB114_472:
	s_or_b32 exec_lo, exec_lo, s4
	s_and_b32 s7, s1, exec_lo
	s_andn2_b32 s3, s3, exec_lo
	s_or_b32 exec_lo, exec_lo, s2
	s_and_saveexec_b32 s0, s3
	s_xor_b32 s0, exec_lo, s0
	s_cbranch_execz .LBB114_423
.LBB114_473:
	s_or_b32 s7, s7, exec_lo
	s_trap 2
	s_branch .LBB114_423
.LBB114_474:
	s_or_b32 s11, s11, exec_lo
	s_trap 2
	s_branch .LBB114_427
.LBB114_475:
	s_or_b32 s12, s12, exec_lo
	s_trap 2
	s_branch .LBB114_425
.LBB114_476:
	s_mov_b32 s0, exec_lo
	s_trap 2
	s_branch .LBB114_471
	.section	.rodata,"a",@progbits
	.p2align	6, 0x0
	.amdhsa_kernel _ZN2at6native6sbtopk10gatherTopKIN3c108BFloat16EjLi3ELb0EEEvNS_4cuda6detail10TensorInfoIKT_T0_EESA_SA_bSA_SA_NS7_IS8_SA_EESA_NS7_IlSA_EESA_PS8_
		.amdhsa_group_segment_fixed_size 4112
		.amdhsa_private_segment_fixed_size 0
		.amdhsa_kernarg_size 952
		.amdhsa_user_sgpr_count 6
		.amdhsa_user_sgpr_private_segment_buffer 1
		.amdhsa_user_sgpr_dispatch_ptr 0
		.amdhsa_user_sgpr_queue_ptr 0
		.amdhsa_user_sgpr_kernarg_segment_ptr 1
		.amdhsa_user_sgpr_dispatch_id 0
		.amdhsa_user_sgpr_flat_scratch_init 0
		.amdhsa_user_sgpr_private_segment_size 0
		.amdhsa_wavefront_size32 1
		.amdhsa_uses_dynamic_stack 0
		.amdhsa_system_sgpr_private_segment_wavefront_offset 0
		.amdhsa_system_sgpr_workgroup_id_x 1
		.amdhsa_system_sgpr_workgroup_id_y 1
		.amdhsa_system_sgpr_workgroup_id_z 1
		.amdhsa_system_sgpr_workgroup_info 0
		.amdhsa_system_vgpr_workitem_id 0
		.amdhsa_next_free_vgpr 63
		.amdhsa_next_free_sgpr 105
		.amdhsa_reserve_vcc 1
		.amdhsa_reserve_flat_scratch 0
		.amdhsa_float_round_mode_32 0
		.amdhsa_float_round_mode_16_64 0
		.amdhsa_float_denorm_mode_32 3
		.amdhsa_float_denorm_mode_16_64 3
		.amdhsa_dx10_clamp 1
		.amdhsa_ieee_mode 1
		.amdhsa_fp16_overflow 0
		.amdhsa_workgroup_processor_mode 1
		.amdhsa_memory_ordered 1
		.amdhsa_forward_progress 1
		.amdhsa_shared_vgpr_count 0
		.amdhsa_exception_fp_ieee_invalid_op 0
		.amdhsa_exception_fp_denorm_src 0
		.amdhsa_exception_fp_ieee_div_zero 0
		.amdhsa_exception_fp_ieee_overflow 0
		.amdhsa_exception_fp_ieee_underflow 0
		.amdhsa_exception_fp_ieee_inexact 0
		.amdhsa_exception_int_div_zero 0
	.end_amdhsa_kernel
	.section	.text._ZN2at6native6sbtopk10gatherTopKIN3c108BFloat16EjLi3ELb0EEEvNS_4cuda6detail10TensorInfoIKT_T0_EESA_SA_bSA_SA_NS7_IS8_SA_EESA_NS7_IlSA_EESA_PS8_,"axG",@progbits,_ZN2at6native6sbtopk10gatherTopKIN3c108BFloat16EjLi3ELb0EEEvNS_4cuda6detail10TensorInfoIKT_T0_EESA_SA_bSA_SA_NS7_IS8_SA_EESA_NS7_IlSA_EESA_PS8_,comdat
.Lfunc_end114:
	.size	_ZN2at6native6sbtopk10gatherTopKIN3c108BFloat16EjLi3ELb0EEEvNS_4cuda6detail10TensorInfoIKT_T0_EESA_SA_bSA_SA_NS7_IS8_SA_EESA_NS7_IlSA_EESA_PS8_, .Lfunc_end114-_ZN2at6native6sbtopk10gatherTopKIN3c108BFloat16EjLi3ELb0EEEvNS_4cuda6detail10TensorInfoIKT_T0_EESA_SA_bSA_SA_NS7_IS8_SA_EESA_NS7_IlSA_EESA_PS8_
                                        ; -- End function
	.set _ZN2at6native6sbtopk10gatherTopKIN3c108BFloat16EjLi3ELb0EEEvNS_4cuda6detail10TensorInfoIKT_T0_EESA_SA_bSA_SA_NS7_IS8_SA_EESA_NS7_IlSA_EESA_PS8_.num_vgpr, 63
	.set _ZN2at6native6sbtopk10gatherTopKIN3c108BFloat16EjLi3ELb0EEEvNS_4cuda6detail10TensorInfoIKT_T0_EESA_SA_bSA_SA_NS7_IS8_SA_EESA_NS7_IlSA_EESA_PS8_.num_agpr, 0
	.set _ZN2at6native6sbtopk10gatherTopKIN3c108BFloat16EjLi3ELb0EEEvNS_4cuda6detail10TensorInfoIKT_T0_EESA_SA_bSA_SA_NS7_IS8_SA_EESA_NS7_IlSA_EESA_PS8_.numbered_sgpr, 105
	.set _ZN2at6native6sbtopk10gatherTopKIN3c108BFloat16EjLi3ELb0EEEvNS_4cuda6detail10TensorInfoIKT_T0_EESA_SA_bSA_SA_NS7_IS8_SA_EESA_NS7_IlSA_EESA_PS8_.num_named_barrier, 0
	.set _ZN2at6native6sbtopk10gatherTopKIN3c108BFloat16EjLi3ELb0EEEvNS_4cuda6detail10TensorInfoIKT_T0_EESA_SA_bSA_SA_NS7_IS8_SA_EESA_NS7_IlSA_EESA_PS8_.private_seg_size, 0
	.set _ZN2at6native6sbtopk10gatherTopKIN3c108BFloat16EjLi3ELb0EEEvNS_4cuda6detail10TensorInfoIKT_T0_EESA_SA_bSA_SA_NS7_IS8_SA_EESA_NS7_IlSA_EESA_PS8_.uses_vcc, 1
	.set _ZN2at6native6sbtopk10gatherTopKIN3c108BFloat16EjLi3ELb0EEEvNS_4cuda6detail10TensorInfoIKT_T0_EESA_SA_bSA_SA_NS7_IS8_SA_EESA_NS7_IlSA_EESA_PS8_.uses_flat_scratch, 0
	.set _ZN2at6native6sbtopk10gatherTopKIN3c108BFloat16EjLi3ELb0EEEvNS_4cuda6detail10TensorInfoIKT_T0_EESA_SA_bSA_SA_NS7_IS8_SA_EESA_NS7_IlSA_EESA_PS8_.has_dyn_sized_stack, 0
	.set _ZN2at6native6sbtopk10gatherTopKIN3c108BFloat16EjLi3ELb0EEEvNS_4cuda6detail10TensorInfoIKT_T0_EESA_SA_bSA_SA_NS7_IS8_SA_EESA_NS7_IlSA_EESA_PS8_.has_recursion, 0
	.set _ZN2at6native6sbtopk10gatherTopKIN3c108BFloat16EjLi3ELb0EEEvNS_4cuda6detail10TensorInfoIKT_T0_EESA_SA_bSA_SA_NS7_IS8_SA_EESA_NS7_IlSA_EESA_PS8_.has_indirect_call, 0
	.section	.AMDGPU.csdata,"",@progbits
; Kernel info:
; codeLenInByte = 17204
; TotalNumSgprs: 107
; NumVgprs: 63
; ScratchSize: 0
; MemoryBound: 0
; FloatMode: 240
; IeeeMode: 1
; LDSByteSize: 4112 bytes/workgroup (compile time only)
; SGPRBlocks: 0
; VGPRBlocks: 7
; NumSGPRsForWavesPerEU: 107
; NumVGPRsForWavesPerEU: 63
; Occupancy: 16
; WaveLimiterHint : 1
; COMPUTE_PGM_RSRC2:SCRATCH_EN: 0
; COMPUTE_PGM_RSRC2:USER_SGPR: 6
; COMPUTE_PGM_RSRC2:TRAP_HANDLER: 0
; COMPUTE_PGM_RSRC2:TGID_X_EN: 1
; COMPUTE_PGM_RSRC2:TGID_Y_EN: 1
; COMPUTE_PGM_RSRC2:TGID_Z_EN: 1
; COMPUTE_PGM_RSRC2:TIDIG_COMP_CNT: 0
	.section	.text._ZN2at6native6mbtopk23computeBlockDigitCountsIN3c108BFloat16EjjLin1EEEvNS_4cuda6detail10TensorInfoIKT_T0_EEjPjjSA_iijT1_PSD_Ps,"axG",@progbits,_ZN2at6native6mbtopk23computeBlockDigitCountsIN3c108BFloat16EjjLin1EEEvNS_4cuda6detail10TensorInfoIKT_T0_EEjPjjSA_iijT1_PSD_Ps,comdat
	.protected	_ZN2at6native6mbtopk23computeBlockDigitCountsIN3c108BFloat16EjjLin1EEEvNS_4cuda6detail10TensorInfoIKT_T0_EEjPjjSA_iijT1_PSD_Ps ; -- Begin function _ZN2at6native6mbtopk23computeBlockDigitCountsIN3c108BFloat16EjjLin1EEEvNS_4cuda6detail10TensorInfoIKT_T0_EEjPjjSA_iijT1_PSD_Ps
	.globl	_ZN2at6native6mbtopk23computeBlockDigitCountsIN3c108BFloat16EjjLin1EEEvNS_4cuda6detail10TensorInfoIKT_T0_EEjPjjSA_iijT1_PSD_Ps
	.p2align	8
	.type	_ZN2at6native6mbtopk23computeBlockDigitCountsIN3c108BFloat16EjjLin1EEEvNS_4cuda6detail10TensorInfoIKT_T0_EEjPjjSA_iijT1_PSD_Ps,@function
_ZN2at6native6mbtopk23computeBlockDigitCountsIN3c108BFloat16EjjLin1EEEvNS_4cuda6detail10TensorInfoIKT_T0_EEjPjjSA_iijT1_PSD_Ps: ; @_ZN2at6native6mbtopk23computeBlockDigitCountsIN3c108BFloat16EjjLin1EEEvNS_4cuda6detail10TensorInfoIKT_T0_EEjPjjSA_iijT1_PSD_Ps
; %bb.0:
	s_clause 0x2
	s_load_dwordx2 s[10:11], s[4:5], 0xf8
	s_load_dwordx4 s[12:15], s[4:5], 0xe8
	s_load_dwordx2 s[0:1], s[4:5], 0x110
	s_waitcnt lgkmcnt(0)
	v_cvt_f32_u32_e32 v1, s10
	s_sub_i32 s3, 0, s10
	s_mul_i32 s1, s1, s8
	s_add_i32 s1, s1, s7
	v_rcp_iflag_f32_e32 v1, v1
	s_mul_i32 s16, s1, s0
	s_mov_b32 s7, 0
	s_add_i32 s16, s16, s6
	v_mul_f32_e32 v1, 0x4f7ffffe, v1
	v_cvt_u32_f32_e32 v1, v1
	v_readfirstlane_b32 s2, v1
	s_mul_i32 s3, s3, s2
	s_mul_hi_u32 s0, s2, s3
	s_add_i32 s2, s2, s0
	s_mul_hi_u32 s0, s16, s2
	s_mul_i32 s1, s0, s10
	s_add_i32 s2, s0, 1
	s_sub_i32 s1, s16, s1
	s_sub_i32 s3, s1, s10
	s_cmp_ge_u32 s1, s10
	s_cselect_b32 s0, s2, s0
	s_cselect_b32 s1, s3, s1
	s_add_i32 s2, s0, 1
	s_cmp_ge_u32 s1, s10
	s_cselect_b32 s6, s2, s0
	s_cmp_ge_u32 s6, s12
	s_cbranch_scc1 .LBB115_30
; %bb.1:
	s_clause 0x1
	s_load_dwordx4 s[0:3], s[4:5], 0x100
	s_load_dword s8, s[4:5], 0xd0
	s_lshl_b64 s[18:19], s[6:7], 2
	s_mov_b32 s17, s6
	s_waitcnt lgkmcnt(0)
	s_add_u32 s0, s0, s18
	s_addc_u32 s1, s1, s19
	s_cmp_lt_i32 s8, 2
	s_cbranch_scc1 .LBB115_4
; %bb.2:
	s_add_i32 s18, s8, -1
	s_mov_b32 s19, 0
	s_add_i32 s12, s8, 1
	s_lshl_b64 s[20:21], s[18:19], 2
	s_mov_b32 s17, s6
	s_add_u32 s7, s4, s20
	s_addc_u32 s9, s5, s21
	s_add_u32 s8, s7, 8
	s_addc_u32 s9, s9, 0
	s_mov_b32 s7, s19
	s_inst_prefetch 0x1
	.p2align	6
.LBB115_3:                              ; =>This Inner Loop Header: Depth=1
	s_clause 0x1
	s_load_dword s18, s[8:9], 0x0
	s_load_dword s19, s[8:9], 0x64
	s_mov_b32 s22, s17
	s_waitcnt lgkmcnt(0)
	v_cvt_f32_u32_e32 v1, s18
	s_sub_i32 s21, 0, s18
	v_rcp_iflag_f32_e32 v1, v1
	v_mul_f32_e32 v1, 0x4f7ffffe, v1
	v_cvt_u32_f32_e32 v1, v1
	v_readfirstlane_b32 s20, v1
	s_mul_i32 s21, s21, s20
	s_mul_hi_u32 s21, s20, s21
	s_add_i32 s20, s20, s21
	s_mul_hi_u32 s17, s17, s20
	s_mul_i32 s20, s17, s18
	s_add_i32 s21, s17, 1
	s_sub_i32 s20, s22, s20
	s_sub_i32 s23, s20, s18
	s_cmp_ge_u32 s20, s18
	s_cselect_b32 s17, s21, s17
	s_cselect_b32 s20, s23, s20
	s_add_i32 s21, s17, 1
	s_cmp_ge_u32 s20, s18
	s_cselect_b32 s17, s21, s17
	s_add_i32 s12, s12, -1
	s_mul_i32 s18, s17, s18
	s_sub_i32 s18, s22, s18
	s_mul_i32 s18, s19, s18
	s_add_i32 s7, s18, s7
	s_add_u32 s8, s8, -4
	s_addc_u32 s9, s9, -1
	s_cmp_gt_u32 s12, 2
	s_cbranch_scc1 .LBB115_3
.LBB115_4:
	s_inst_prefetch 0x2
	s_load_dword s8, s[0:1], 0x0
	v_cmp_gt_u32_e32 vcc_lo, 0x100, v0
	v_lshlrev_b32_e32 v3, 2, v0
	s_and_saveexec_b32 s0, vcc_lo
; %bb.5:
	v_mov_b32_e32 v1, 0
	ds_write_b32 v3, v1
; %bb.6:
	s_or_b32 exec_lo, exec_lo, s0
	s_load_dword s9, s[4:5], 0xd8
	s_mul_i32 s0, s6, s10
	s_waitcnt lgkmcnt(0)
	s_sub_i32 s0, s16, s0
	s_barrier
	s_mul_i32 s1, s15, s0
	s_add_i32 s6, s0, 1
	s_lshl_b32 s12, s1, 8
	buffer_gl0_inv
	s_sub_i32 s1, s9, s12
	s_add_u32 s0, s1, 0xff
	s_addc_u32 s1, 0, 0
	s_lshr_b64 s[0:1], s[0:1], 8
	s_cmp_lt_u32 s6, s10
	s_mov_b32 s1, 0
	s_cselect_b32 s10, s15, s0
	s_cmp_lt_i32 s10, 1
	s_cbranch_scc1 .LBB115_28
; %bb.7:
	s_clause 0x1
	s_load_dword s0, s[4:5], 0x6c
	s_load_dwordx2 s[4:5], s[4:5], 0x0
	s_waitcnt lgkmcnt(0)
	s_mul_i32 s0, s0, s17
	s_add_i32 s0, s0, s7
	s_lshl_b64 s[6:7], s[0:1], 1
	s_add_u32 s4, s4, s6
	s_addc_u32 s5, s5, s7
	s_and_b32 s6, s14, 0xff
	s_cmp_lt_u32 s10, 4
	s_cbranch_scc1 .LBB115_22
; %bb.8:
	v_add_nc_u32_e32 v1, s12, v0
	v_mov_b32_e32 v9, 1
	v_mov_b32_e32 v10, 0x8000
	s_and_b32 s1, s10, 0x7ffffffc
	s_lshl_b32 s7, s13, 10
	v_add_nc_u32_e32 v4, 0x300, v1
	v_add_nc_u32_e32 v2, 0x200, v1
	;; [unrolled: 1-line block ×3, first 2 shown]
	v_mul_lo_u32 v8, s13, v1
	s_mov_b32 s14, 0
	v_mul_lo_u32 v5, s13, v4
	v_mul_lo_u32 v6, s13, v2
	;; [unrolled: 1-line block ×3, first 2 shown]
	v_mov_b32_e32 v2, 0
	s_mov_b32 s15, 0
	s_branch .LBB115_10
.LBB115_9:                              ;   in Loop: Header=BB115_10 Depth=1
	s_or_b32 exec_lo, exec_lo, s17
	v_add_nc_u32_e32 v4, 0x400, v4
	s_add_i32 s15, s15, 4
	s_add_i32 s14, s14, s7
	s_cmp_eq_u32 s1, s15
	s_cbranch_scc1 .LBB115_22
.LBB115_10:                             ; =>This Inner Loop Header: Depth=1
	v_add_nc_u32_e32 v1, 0xfffffd00, v4
	s_mov_b32 s17, exec_lo
	v_cmpx_gt_u32_e64 s9, v1
	s_cbranch_execz .LBB115_13
; %bb.11:                               ;   in Loop: Header=BB115_10 Depth=1
	v_add_nc_u32_e32 v1, s14, v8
	v_lshlrev_b64 v[11:12], 1, v[1:2]
	v_add_co_u32 v11, s0, s4, v11
	v_add_co_ci_u32_e64 v12, null, s5, v12, s0
	global_load_ushort v1, v[11:12], off
	s_waitcnt vmcnt(0)
	v_cmp_lt_i16_e64 s0, -1, v1
	v_lshlrev_b32_e32 v12, 16, v1
	v_cndmask_b32_e64 v11, 0xffff, v10, s0
	v_cmp_o_f32_e64 s0, v12, v12
	v_xor_b32_sdwa v1, v11, v1 dst_sel:DWORD dst_unused:UNUSED_PAD src0_sel:DWORD src1_sel:WORD_0
	v_cndmask_b32_e64 v1, 0xffff, v1, s0
	v_xor_b32_e32 v11, s8, v1
	v_and_b32_e32 v11, s11, v11
	v_cmp_eq_u32_e64 s0, 0, v11
	s_and_b32 exec_lo, exec_lo, s0
; %bb.12:                               ;   in Loop: Header=BB115_10 Depth=1
	v_bfe_u32 v1, v1, s6, 8
	v_lshlrev_b32_e32 v1, 2, v1
	ds_add_u32 v1, v9
.LBB115_13:                             ;   in Loop: Header=BB115_10 Depth=1
	s_or_b32 exec_lo, exec_lo, s17
	v_add_nc_u32_e32 v1, 0xfffffe00, v4
	s_mov_b32 s17, exec_lo
	v_cmpx_gt_u32_e64 s9, v1
	s_cbranch_execz .LBB115_16
; %bb.14:                               ;   in Loop: Header=BB115_10 Depth=1
	v_add_nc_u32_e32 v1, s14, v7
	v_lshlrev_b64 v[11:12], 1, v[1:2]
	v_add_co_u32 v11, s0, s4, v11
	v_add_co_ci_u32_e64 v12, null, s5, v12, s0
	global_load_ushort v1, v[11:12], off
	s_waitcnt vmcnt(0)
	v_cmp_lt_i16_e64 s0, -1, v1
	v_lshlrev_b32_e32 v12, 16, v1
	v_cndmask_b32_e64 v11, 0xffff, v10, s0
	v_cmp_o_f32_e64 s0, v12, v12
	v_xor_b32_sdwa v1, v11, v1 dst_sel:DWORD dst_unused:UNUSED_PAD src0_sel:DWORD src1_sel:WORD_0
	v_cndmask_b32_e64 v1, 0xffff, v1, s0
	v_xor_b32_e32 v11, s8, v1
	v_and_b32_e32 v11, s11, v11
	v_cmp_eq_u32_e64 s0, 0, v11
	s_and_b32 exec_lo, exec_lo, s0
; %bb.15:                               ;   in Loop: Header=BB115_10 Depth=1
	v_bfe_u32 v1, v1, s6, 8
	v_lshlrev_b32_e32 v1, 2, v1
	ds_add_u32 v1, v9
.LBB115_16:                             ;   in Loop: Header=BB115_10 Depth=1
	s_or_b32 exec_lo, exec_lo, s17
	;; [unrolled: 27-line block ×3, first 2 shown]
	s_mov_b32 s17, exec_lo
	v_cmpx_gt_u32_e64 s9, v4
	s_cbranch_execz .LBB115_9
; %bb.20:                               ;   in Loop: Header=BB115_10 Depth=1
	v_add_nc_u32_e32 v1, s14, v5
	v_lshlrev_b64 v[11:12], 1, v[1:2]
	v_add_co_u32 v11, s0, s4, v11
	v_add_co_ci_u32_e64 v12, null, s5, v12, s0
	global_load_ushort v1, v[11:12], off
	s_waitcnt vmcnt(0)
	v_cmp_lt_i16_e64 s0, -1, v1
	v_lshlrev_b32_e32 v12, 16, v1
	v_cndmask_b32_e64 v11, 0xffff, v10, s0
	v_cmp_o_f32_e64 s0, v12, v12
	v_xor_b32_sdwa v1, v11, v1 dst_sel:DWORD dst_unused:UNUSED_PAD src0_sel:DWORD src1_sel:WORD_0
	v_cndmask_b32_e64 v1, 0xffff, v1, s0
	v_xor_b32_e32 v11, s8, v1
	v_and_b32_e32 v11, s11, v11
	v_cmp_eq_u32_e64 s0, 0, v11
	s_and_b32 exec_lo, exec_lo, s0
	s_cbranch_execz .LBB115_9
; %bb.21:                               ;   in Loop: Header=BB115_10 Depth=1
	v_bfe_u32 v1, v1, s6, 8
	v_lshlrev_b32_e32 v1, 2, v1
	ds_add_u32 v1, v9
	s_branch .LBB115_9
.LBB115_22:
	s_and_b32 s7, s10, 3
	s_cmp_eq_u32 s7, 0
	s_cbranch_scc1 .LBB115_28
; %bb.23:
	s_lshl_b32 s0, s1, 8
	v_mov_b32_e32 v2, 0
	v_add3_u32 v4, s0, s12, v0
	v_mov_b32_e32 v5, 1
	v_mov_b32_e32 v6, 0x8000
	s_lshl_b32 s1, s13, 8
	v_mul_lo_u32 v1, s13, v4
	s_inst_prefetch 0x1
	s_branch .LBB115_25
	.p2align	6
.LBB115_24:                             ;   in Loop: Header=BB115_25 Depth=1
	s_or_b32 exec_lo, exec_lo, s10
	v_add_nc_u32_e32 v1, s1, v1
	v_add_nc_u32_e32 v4, 0x100, v4
	s_add_i32 s7, s7, -1
	s_cmp_lg_u32 s7, 0
	s_cbranch_scc0 .LBB115_28
.LBB115_25:                             ; =>This Inner Loop Header: Depth=1
	s_mov_b32 s10, exec_lo
	v_cmpx_gt_u32_e64 s9, v4
	s_cbranch_execz .LBB115_24
; %bb.26:                               ;   in Loop: Header=BB115_25 Depth=1
	v_lshlrev_b64 v[7:8], 1, v[1:2]
	v_add_co_u32 v7, s0, s4, v7
	v_add_co_ci_u32_e64 v8, null, s5, v8, s0
	global_load_ushort v7, v[7:8], off
	s_waitcnt vmcnt(0)
	v_cmp_lt_i16_e64 s0, -1, v7
	v_lshlrev_b32_e32 v9, 16, v7
	v_cndmask_b32_e64 v8, 0xffff, v6, s0
	v_cmp_o_f32_e64 s0, v9, v9
	v_xor_b32_sdwa v7, v8, v7 dst_sel:DWORD dst_unused:UNUSED_PAD src0_sel:DWORD src1_sel:WORD_0
	v_cndmask_b32_e64 v7, 0xffff, v7, s0
	v_xor_b32_e32 v8, s8, v7
	v_and_b32_e32 v8, s11, v8
	v_cmp_eq_u32_e64 s0, 0, v8
	s_and_b32 exec_lo, exec_lo, s0
	s_cbranch_execz .LBB115_24
; %bb.27:                               ;   in Loop: Header=BB115_25 Depth=1
	v_bfe_u32 v7, v7, s6, 8
	v_lshlrev_b32_e32 v7, 2, v7
	ds_add_u32 v7, v5
	s_branch .LBB115_24
.LBB115_28:
	s_inst_prefetch 0x2
	s_waitcnt lgkmcnt(0)
	s_barrier
	buffer_gl0_inv
	s_and_saveexec_b32 s0, vcc_lo
	s_cbranch_execz .LBB115_30
; %bb.29:
	ds_read_b32 v2, v3
	v_lshl_or_b32 v0, s16, 8, v0
	v_mov_b32_e32 v1, 0
	v_lshlrev_b64 v[0:1], 1, v[0:1]
	v_add_co_u32 v0, vcc_lo, s2, v0
	v_add_co_ci_u32_e64 v1, null, s3, v1, vcc_lo
	s_waitcnt lgkmcnt(0)
	global_store_short v[0:1], v2, off
.LBB115_30:
	s_endpgm
	.section	.rodata,"a",@progbits
	.p2align	6, 0x0
	.amdhsa_kernel _ZN2at6native6mbtopk23computeBlockDigitCountsIN3c108BFloat16EjjLin1EEEvNS_4cuda6detail10TensorInfoIKT_T0_EEjPjjSA_iijT1_PSD_Ps
		.amdhsa_group_segment_fixed_size 1024
		.amdhsa_private_segment_fixed_size 0
		.amdhsa_kernarg_size 528
		.amdhsa_user_sgpr_count 6
		.amdhsa_user_sgpr_private_segment_buffer 1
		.amdhsa_user_sgpr_dispatch_ptr 0
		.amdhsa_user_sgpr_queue_ptr 0
		.amdhsa_user_sgpr_kernarg_segment_ptr 1
		.amdhsa_user_sgpr_dispatch_id 0
		.amdhsa_user_sgpr_flat_scratch_init 0
		.amdhsa_user_sgpr_private_segment_size 0
		.amdhsa_wavefront_size32 1
		.amdhsa_uses_dynamic_stack 0
		.amdhsa_system_sgpr_private_segment_wavefront_offset 0
		.amdhsa_system_sgpr_workgroup_id_x 1
		.amdhsa_system_sgpr_workgroup_id_y 1
		.amdhsa_system_sgpr_workgroup_id_z 1
		.amdhsa_system_sgpr_workgroup_info 0
		.amdhsa_system_vgpr_workitem_id 0
		.amdhsa_next_free_vgpr 13
		.amdhsa_next_free_sgpr 24
		.amdhsa_reserve_vcc 1
		.amdhsa_reserve_flat_scratch 0
		.amdhsa_float_round_mode_32 0
		.amdhsa_float_round_mode_16_64 0
		.amdhsa_float_denorm_mode_32 3
		.amdhsa_float_denorm_mode_16_64 3
		.amdhsa_dx10_clamp 1
		.amdhsa_ieee_mode 1
		.amdhsa_fp16_overflow 0
		.amdhsa_workgroup_processor_mode 1
		.amdhsa_memory_ordered 1
		.amdhsa_forward_progress 1
		.amdhsa_shared_vgpr_count 0
		.amdhsa_exception_fp_ieee_invalid_op 0
		.amdhsa_exception_fp_denorm_src 0
		.amdhsa_exception_fp_ieee_div_zero 0
		.amdhsa_exception_fp_ieee_overflow 0
		.amdhsa_exception_fp_ieee_underflow 0
		.amdhsa_exception_fp_ieee_inexact 0
		.amdhsa_exception_int_div_zero 0
	.end_amdhsa_kernel
	.section	.text._ZN2at6native6mbtopk23computeBlockDigitCountsIN3c108BFloat16EjjLin1EEEvNS_4cuda6detail10TensorInfoIKT_T0_EEjPjjSA_iijT1_PSD_Ps,"axG",@progbits,_ZN2at6native6mbtopk23computeBlockDigitCountsIN3c108BFloat16EjjLin1EEEvNS_4cuda6detail10TensorInfoIKT_T0_EEjPjjSA_iijT1_PSD_Ps,comdat
.Lfunc_end115:
	.size	_ZN2at6native6mbtopk23computeBlockDigitCountsIN3c108BFloat16EjjLin1EEEvNS_4cuda6detail10TensorInfoIKT_T0_EEjPjjSA_iijT1_PSD_Ps, .Lfunc_end115-_ZN2at6native6mbtopk23computeBlockDigitCountsIN3c108BFloat16EjjLin1EEEvNS_4cuda6detail10TensorInfoIKT_T0_EEjPjjSA_iijT1_PSD_Ps
                                        ; -- End function
	.set _ZN2at6native6mbtopk23computeBlockDigitCountsIN3c108BFloat16EjjLin1EEEvNS_4cuda6detail10TensorInfoIKT_T0_EEjPjjSA_iijT1_PSD_Ps.num_vgpr, 13
	.set _ZN2at6native6mbtopk23computeBlockDigitCountsIN3c108BFloat16EjjLin1EEEvNS_4cuda6detail10TensorInfoIKT_T0_EEjPjjSA_iijT1_PSD_Ps.num_agpr, 0
	.set _ZN2at6native6mbtopk23computeBlockDigitCountsIN3c108BFloat16EjjLin1EEEvNS_4cuda6detail10TensorInfoIKT_T0_EEjPjjSA_iijT1_PSD_Ps.numbered_sgpr, 24
	.set _ZN2at6native6mbtopk23computeBlockDigitCountsIN3c108BFloat16EjjLin1EEEvNS_4cuda6detail10TensorInfoIKT_T0_EEjPjjSA_iijT1_PSD_Ps.num_named_barrier, 0
	.set _ZN2at6native6mbtopk23computeBlockDigitCountsIN3c108BFloat16EjjLin1EEEvNS_4cuda6detail10TensorInfoIKT_T0_EEjPjjSA_iijT1_PSD_Ps.private_seg_size, 0
	.set _ZN2at6native6mbtopk23computeBlockDigitCountsIN3c108BFloat16EjjLin1EEEvNS_4cuda6detail10TensorInfoIKT_T0_EEjPjjSA_iijT1_PSD_Ps.uses_vcc, 1
	.set _ZN2at6native6mbtopk23computeBlockDigitCountsIN3c108BFloat16EjjLin1EEEvNS_4cuda6detail10TensorInfoIKT_T0_EEjPjjSA_iijT1_PSD_Ps.uses_flat_scratch, 0
	.set _ZN2at6native6mbtopk23computeBlockDigitCountsIN3c108BFloat16EjjLin1EEEvNS_4cuda6detail10TensorInfoIKT_T0_EEjPjjSA_iijT1_PSD_Ps.has_dyn_sized_stack, 0
	.set _ZN2at6native6mbtopk23computeBlockDigitCountsIN3c108BFloat16EjjLin1EEEvNS_4cuda6detail10TensorInfoIKT_T0_EEjPjjSA_iijT1_PSD_Ps.has_recursion, 0
	.set _ZN2at6native6mbtopk23computeBlockDigitCountsIN3c108BFloat16EjjLin1EEEvNS_4cuda6detail10TensorInfoIKT_T0_EEjPjjSA_iijT1_PSD_Ps.has_indirect_call, 0
	.section	.AMDGPU.csdata,"",@progbits
; Kernel info:
; codeLenInByte = 1740
; TotalNumSgprs: 26
; NumVgprs: 13
; ScratchSize: 0
; MemoryBound: 0
; FloatMode: 240
; IeeeMode: 1
; LDSByteSize: 1024 bytes/workgroup (compile time only)
; SGPRBlocks: 0
; VGPRBlocks: 1
; NumSGPRsForWavesPerEU: 26
; NumVGPRsForWavesPerEU: 13
; Occupancy: 16
; WaveLimiterHint : 1
; COMPUTE_PGM_RSRC2:SCRATCH_EN: 0
; COMPUTE_PGM_RSRC2:USER_SGPR: 6
; COMPUTE_PGM_RSRC2:TRAP_HANDLER: 0
; COMPUTE_PGM_RSRC2:TGID_X_EN: 1
; COMPUTE_PGM_RSRC2:TGID_Y_EN: 1
; COMPUTE_PGM_RSRC2:TGID_Z_EN: 1
; COMPUTE_PGM_RSRC2:TIDIG_COMP_CNT: 0
	.section	.text._ZN2at6native6mbtopk10gatherTopKIN3c108BFloat16EjLin1EEEvNS_4cuda6detail10TensorInfoIKT_T0_EESA_SA_bjSA_NS7_IS8_SA_EESA_NS7_IlSA_EESA_jjPS8_PjSF_j,"axG",@progbits,_ZN2at6native6mbtopk10gatherTopKIN3c108BFloat16EjLin1EEEvNS_4cuda6detail10TensorInfoIKT_T0_EESA_SA_bjSA_NS7_IS8_SA_EESA_NS7_IlSA_EESA_jjPS8_PjSF_j,comdat
	.protected	_ZN2at6native6mbtopk10gatherTopKIN3c108BFloat16EjLin1EEEvNS_4cuda6detail10TensorInfoIKT_T0_EESA_SA_bjSA_NS7_IS8_SA_EESA_NS7_IlSA_EESA_jjPS8_PjSF_j ; -- Begin function _ZN2at6native6mbtopk10gatherTopKIN3c108BFloat16EjLin1EEEvNS_4cuda6detail10TensorInfoIKT_T0_EESA_SA_bjSA_NS7_IS8_SA_EESA_NS7_IlSA_EESA_jjPS8_PjSF_j
	.globl	_ZN2at6native6mbtopk10gatherTopKIN3c108BFloat16EjLin1EEEvNS_4cuda6detail10TensorInfoIKT_T0_EESA_SA_bjSA_NS7_IS8_SA_EESA_NS7_IlSA_EESA_jjPS8_PjSF_j
	.p2align	8
	.type	_ZN2at6native6mbtopk10gatherTopKIN3c108BFloat16EjLin1EEEvNS_4cuda6detail10TensorInfoIKT_T0_EESA_SA_bjSA_NS7_IS8_SA_EESA_NS7_IlSA_EESA_jjPS8_PjSF_j,@function
_ZN2at6native6mbtopk10gatherTopKIN3c108BFloat16EjLin1EEEvNS_4cuda6detail10TensorInfoIKT_T0_EESA_SA_bjSA_NS7_IS8_SA_EESA_NS7_IlSA_EESA_jjPS8_PjSF_j: ; @_ZN2at6native6mbtopk10gatherTopKIN3c108BFloat16EjLin1EEEvNS_4cuda6detail10TensorInfoIKT_T0_EESA_SA_bjSA_NS7_IS8_SA_EESA_NS7_IlSA_EESA_jjPS8_PjSF_j
; %bb.0:
	s_clause 0x1
	s_load_dwordx2 s[0:1], s[4:5], 0x2d8
	s_load_dword s2, s[4:5], 0x2d0
	s_waitcnt lgkmcnt(0)
	s_mul_i32 s1, s1, s8
	s_add_i32 s1, s1, s7
	s_mul_i32 s13, s1, s0
	s_add_i32 s13, s13, s6
	s_cmp_ge_u32 s13, s2
	s_cbranch_scc1 .LBB116_49
; %bb.1:
	s_clause 0x1
	s_load_dwordx4 s[8:11], s[4:5], 0x2a8
	s_load_dword s0, s[4:5], 0xd0
	s_mov_b32 s7, 0
	s_waitcnt lgkmcnt(0)
	v_cvt_f32_u32_e32 v1, s10
	s_sub_i32 s2, 0, s10
	v_rcp_iflag_f32_e32 v1, v1
	v_mul_f32_e32 v1, 0x4f7ffffe, v1
	v_cvt_u32_f32_e32 v1, v1
	v_readfirstlane_b32 s1, v1
	s_mul_i32 s2, s2, s1
	s_mul_hi_u32 s2, s1, s2
	s_add_i32 s1, s1, s2
	s_mul_hi_u32 s1, s13, s1
	s_mul_i32 s2, s1, s10
	s_add_i32 s3, s1, 1
	s_sub_i32 s2, s13, s2
	s_sub_i32 s6, s2, s10
	s_cmp_ge_u32 s2, s10
	s_cselect_b32 s1, s3, s1
	s_cselect_b32 s2, s6, s2
	s_add_i32 s3, s1, 1
	s_cmp_ge_u32 s2, s10
	s_cselect_b32 s16, s3, s1
	s_cmp_lt_i32 s0, 2
	s_mov_b32 s6, s16
	s_cbranch_scc1 .LBB116_4
; %bb.2:
	s_add_i32 s6, s0, -1
	s_add_i32 s2, s0, 1
	s_lshl_b64 s[14:15], s[6:7], 2
	s_mov_b32 s6, s16
	s_add_u32 s0, s4, s14
	s_addc_u32 s1, s5, s15
	s_add_u32 s0, s0, 8
	s_addc_u32 s1, s1, 0
	s_inst_prefetch 0x1
	.p2align	6
.LBB116_3:                              ; =>This Inner Loop Header: Depth=1
	s_clause 0x1
	s_load_dword s3, s[0:1], 0x0
	s_load_dword s11, s[0:1], 0x64
	s_mov_b32 s15, s6
	s_waitcnt lgkmcnt(0)
	v_cvt_f32_u32_e32 v1, s3
	s_sub_i32 s14, 0, s3
	v_rcp_iflag_f32_e32 v1, v1
	v_mul_f32_e32 v1, 0x4f7ffffe, v1
	v_cvt_u32_f32_e32 v1, v1
	v_readfirstlane_b32 s12, v1
	s_mul_i32 s14, s14, s12
	s_mul_hi_u32 s14, s12, s14
	s_add_i32 s12, s12, s14
	s_mul_hi_u32 s6, s6, s12
	s_mul_i32 s12, s6, s3
	s_add_i32 s14, s6, 1
	s_sub_i32 s12, s15, s12
	s_sub_i32 s17, s12, s3
	s_cmp_ge_u32 s12, s3
	s_cselect_b32 s6, s14, s6
	s_cselect_b32 s12, s17, s12
	s_add_i32 s14, s6, 1
	s_cmp_ge_u32 s12, s3
	s_cselect_b32 s6, s14, s6
	s_add_i32 s2, s2, -1
	s_mul_i32 s3, s6, s3
	s_sub_i32 s3, s15, s3
	s_mul_i32 s3, s11, s3
	s_add_i32 s7, s3, s7
	s_add_u32 s0, s0, -4
	s_addc_u32 s1, s1, -1
	s_cmp_gt_u32 s2, 2
	s_cbranch_scc1 .LBB116_3
.LBB116_4:
	s_inst_prefetch 0x2
	s_load_dword s2, s[4:5], 0x1c0
	s_add_u32 s0, s4, 0xf0
	s_addc_u32 s1, s5, 0
	s_mov_b32 s19, 0
	s_mov_b32 s11, s16
	s_waitcnt lgkmcnt(0)
	s_cmp_lt_i32 s2, 2
	s_cbranch_scc1 .LBB116_7
; %bb.5:
	s_add_i32 s18, s2, -1
	s_add_i32 s12, s2, 1
	s_lshl_b64 s[14:15], s[18:19], 2
	s_mov_b32 s11, s16
	s_add_u32 s2, s0, s14
	s_addc_u32 s3, s1, s15
	s_add_u32 s2, s2, 8
	s_addc_u32 s3, s3, 0
	s_inst_prefetch 0x1
	.p2align	6
.LBB116_6:                              ; =>This Inner Loop Header: Depth=1
	s_clause 0x1
	s_load_dword s14, s[2:3], 0x0
	s_load_dword s15, s[2:3], 0x64
	s_mov_b32 s20, s11
	s_waitcnt lgkmcnt(0)
	v_cvt_f32_u32_e32 v1, s14
	s_sub_i32 s18, 0, s14
	v_rcp_iflag_f32_e32 v1, v1
	v_mul_f32_e32 v1, 0x4f7ffffe, v1
	v_cvt_u32_f32_e32 v1, v1
	v_readfirstlane_b32 s17, v1
	s_mul_i32 s18, s18, s17
	s_mul_hi_u32 s18, s17, s18
	s_add_i32 s17, s17, s18
	s_mul_hi_u32 s11, s11, s17
	s_mul_i32 s17, s11, s14
	s_add_i32 s18, s11, 1
	s_sub_i32 s17, s20, s17
	s_sub_i32 s21, s17, s14
	s_cmp_ge_u32 s17, s14
	s_cselect_b32 s11, s18, s11
	s_cselect_b32 s17, s21, s17
	s_add_i32 s18, s11, 1
	s_cmp_ge_u32 s17, s14
	s_cselect_b32 s11, s18, s11
	s_add_i32 s12, s12, -1
	s_mul_i32 s14, s11, s14
	s_sub_i32 s14, s20, s14
	s_mul_i32 s14, s15, s14
	s_add_i32 s19, s14, s19
	s_add_u32 s2, s2, -4
	s_addc_u32 s3, s3, -1
	s_cmp_gt_u32 s12, 2
	s_cbranch_scc1 .LBB116_6
.LBB116_7:
	s_inst_prefetch 0x2
	s_clause 0x1
	s_load_dword s18, s[4:5], 0x6c
	s_load_dword s2, s[4:5], 0x2a0
	s_add_u32 s3, s4, 0x1d0
	s_addc_u32 s14, s5, 0
	s_mov_b32 s21, 0
	s_mov_b32 s20, s16
	s_waitcnt lgkmcnt(0)
	s_cmp_lt_i32 s2, 2
	s_cbranch_scc1 .LBB116_10
; %bb.8:
	s_add_i32 s20, s2, -1
	s_add_i32 s12, s2, 1
	s_lshl_b64 s[22:23], s[20:21], 2
	s_mov_b32 s20, s16
	s_add_u32 s2, s3, s22
	s_addc_u32 s3, s14, s23
	s_add_u32 s2, s2, 8
	s_addc_u32 s3, s3, 0
	s_inst_prefetch 0x1
	.p2align	6
.LBB116_9:                              ; =>This Inner Loop Header: Depth=1
	s_clause 0x1
	s_load_dword s14, s[2:3], 0x0
	s_load_dword s15, s[2:3], 0x64
	s_mov_b32 s23, s20
	s_waitcnt lgkmcnt(0)
	v_cvt_f32_u32_e32 v1, s14
	s_sub_i32 s22, 0, s14
	v_rcp_iflag_f32_e32 v1, v1
	v_mul_f32_e32 v1, 0x4f7ffffe, v1
	v_cvt_u32_f32_e32 v1, v1
	v_readfirstlane_b32 s17, v1
	s_mul_i32 s22, s22, s17
	s_mul_hi_u32 s22, s17, s22
	s_add_i32 s17, s17, s22
	s_mul_hi_u32 s17, s20, s17
	s_mul_i32 s20, s17, s14
	s_add_i32 s22, s17, 1
	s_sub_i32 s20, s23, s20
	s_sub_i32 s24, s20, s14
	s_cmp_ge_u32 s20, s14
	s_cselect_b32 s17, s22, s17
	s_cselect_b32 s20, s24, s20
	s_add_i32 s22, s17, 1
	s_cmp_ge_u32 s20, s14
	s_cselect_b32 s20, s22, s17
	s_add_i32 s12, s12, -1
	s_mul_i32 s14, s20, s14
	s_sub_i32 s14, s23, s14
	s_mul_i32 s14, s15, s14
	s_add_i32 s21, s14, s21
	s_add_u32 s2, s2, -4
	s_addc_u32 s3, s3, -1
	s_cmp_gt_u32 s12, 2
	s_cbranch_scc1 .LBB116_9
.LBB116_10:
	s_inst_prefetch 0x2
	s_clause 0x1
	s_load_dword s36, s[0:1], 0x6c
	s_load_dwordx4 s[0:3], s[4:5], 0x2b8
	s_mov_b32 s17, 0
	s_mul_i32 s12, s16, s10
	v_mov_b32_e32 v1, 0
	s_lshl_b64 s[14:15], s[16:17], 1
	s_sub_i32 s16, s13, s12
	s_waitcnt lgkmcnt(0)
	s_add_u32 s0, s0, s14
	s_addc_u32 s1, s1, s15
	global_load_ushort v1, v1, s[0:1]
	s_clause 0x2
	s_load_dwordx2 s[26:27], s[4:5], 0x0
	s_load_dwordx2 s[24:25], s[4:5], 0xf0
	;; [unrolled: 1-line block ×3, first 2 shown]
	v_cmp_ne_u32_e64 s0, 0, v0
	v_cmp_eq_u32_e64 s1, 0, v0
	s_waitcnt vmcnt(0)
	v_readfirstlane_b32 s33, v1
	s_and_saveexec_b32 s37, s1
	s_cbranch_execz .LBB116_26
; %bb.11:
	s_load_dwordx2 s[28:29], s[4:5], 0x2c8
	s_mov_b32 s13, s17
	s_mov_b32 s38, 0
	s_lshl_b64 s[30:31], s[12:13], 2
	s_mov_b32 s39, 0
	s_add_u32 s12, s2, s30
	s_addc_u32 s13, s3, s31
	s_waitcnt lgkmcnt(0)
	s_add_u32 s14, s28, s30
	s_addc_u32 s15, s29, s31
	s_cmp_lt_u32 s10, 4
	s_cbranch_scc1 .LBB116_23
; %bb.12:
	s_mov_b32 s40, 0
.LBB116_13:                             ; =>This Inner Loop Header: Depth=1
	s_add_u32 s12, s2, s30
	s_addc_u32 s13, s3, s31
	s_add_u32 s34, s28, s30
	s_load_dwordx4 s[12:15], s[12:13], 0x0
	s_addc_u32 s35, s29, s31
	s_cmp_ge_u32 s40, s16
	s_cbranch_scc0 .LBB116_20
; %bb.14:                               ;   in Loop: Header=BB116_13 Depth=1
	s_add_i32 s41, s40, 1
	s_cmp_ge_u32 s41, s16
	s_cbranch_scc0 .LBB116_21
.LBB116_15:                             ;   in Loop: Header=BB116_13 Depth=1
	s_add_i32 s41, s41, 1
	s_cmp_ge_u32 s41, s16
	s_cbranch_scc0 .LBB116_22
.LBB116_16:                             ;   in Loop: Header=BB116_13 Depth=1
	s_add_i32 s41, s41, 1
	s_cmp_ge_u32 s41, s16
	s_cbranch_scc1 .LBB116_18
.LBB116_17:                             ;   in Loop: Header=BB116_13 Depth=1
	s_load_dword s34, s[34:35], 0xc
	s_waitcnt lgkmcnt(0)
	s_add_i32 s17, s17, s15
	s_add_i32 s38, s34, s38
.LBB116_18:                             ;   in Loop: Header=BB116_13 Depth=1
	s_waitcnt lgkmcnt(0)
	s_add_i32 s12, s12, s39
	s_add_i32 s12, s12, s13
	;; [unrolled: 1-line block ×4, first 2 shown]
	s_add_u32 s2, s2, 16
	s_addc_u32 s3, s3, 0
	s_add_u32 s28, s28, 16
	s_addc_u32 s29, s29, 0
	s_add_i32 s35, s41, 4
	s_add_u32 s14, s28, s30
	s_addc_u32 s15, s29, s31
	s_add_u32 s12, s2, s30
	s_addc_u32 s13, s3, s31
	s_add_i32 s34, s41, 1
	s_cmp_ge_u32 s35, s10
	s_cbranch_scc1 .LBB116_24
; %bb.19:                               ;   in Loop: Header=BB116_13 Depth=1
	s_mov_b32 s40, s34
	s_branch .LBB116_13
.LBB116_20:                             ;   in Loop: Header=BB116_13 Depth=1
	s_load_dword s41, s[34:35], 0x0
	s_waitcnt lgkmcnt(0)
	s_add_i32 s17, s12, s17
	s_add_i32 s38, s41, s38
	;; [unrolled: 1-line block ×3, first 2 shown]
	s_cmp_ge_u32 s41, s16
	s_cbranch_scc1 .LBB116_15
.LBB116_21:                             ;   in Loop: Header=BB116_13 Depth=1
	s_load_dword s42, s[34:35], 0x4
	s_waitcnt lgkmcnt(0)
	s_add_i32 s17, s17, s13
	s_add_i32 s38, s42, s38
	;; [unrolled: 1-line block ×3, first 2 shown]
	s_cmp_ge_u32 s41, s16
	s_cbranch_scc1 .LBB116_16
.LBB116_22:                             ;   in Loop: Header=BB116_13 Depth=1
	s_load_dword s42, s[34:35], 0x8
	s_waitcnt lgkmcnt(0)
	s_add_i32 s17, s17, s14
	s_add_i32 s38, s42, s38
	;; [unrolled: 1-line block ×3, first 2 shown]
	s_cmp_ge_u32 s41, s16
	s_cbranch_scc0 .LBB116_17
	s_branch .LBB116_18
.LBB116_23:
	s_mov_b32 s2, 0
	s_cmp_ge_u32 s2, s10
	s_cbranch_scc0 .LBB116_47
	s_branch .LBB116_25
.LBB116_24:
	s_add_i32 s2, s40, 4
	s_cmp_ge_u32 s2, s10
	s_cbranch_scc0 .LBB116_47
.LBB116_25:
	v_mov_b32_e32 v1, s38
	v_mov_b32_e32 v2, s39
	;; [unrolled: 1-line block ×4, first 2 shown]
	ds_write_b96 v4, v[1:3] offset:1056
.LBB116_26:
	s_or_b32 exec_lo, exec_lo, s37
	s_clause 0x1
	s_load_dword s17, s[4:5], 0x23c
	s_load_dwordx4 s[12:15], s[4:5], 0xd8
	s_mul_i32 s2, s9, s16
	s_add_i32 s16, s16, 1
	s_lshl_b32 s28, s2, 8
	s_waitcnt lgkmcnt(0)
	s_barrier
	buffer_gl0_inv
	s_sub_i32 s2, s12, s28
	s_add_u32 s2, s2, 0xff
	s_addc_u32 s3, 0, 0
	s_lshr_b64 s[2:3], s[2:3], 8
	s_cmp_lt_u32 s16, s10
	s_mov_b32 s3, 0
	s_cselect_b32 s9, s9, s2
	s_cmp_eq_u32 s9, 0
	s_cbranch_scc1 .LBB116_49
; %bb.27:
	v_mov_b32_e32 v5, 0
	s_mul_i32 s2, s36, s11
	s_mul_i32 s6, s18, s6
	s_add_i32 s10, s2, s19
	s_add_i32 s2, s6, s7
	ds_read_b96 v[1:3], v5 offset:1056
	s_mul_i32 s11, s17, s20
	s_lshl_b64 s[6:7], s[2:3], 1
	s_load_dword s18, s[4:5], 0xe8
	s_add_i32 s2, s11, s21
	s_mov_b32 s11, s3
	s_add_u32 s6, s26, s6
	s_addc_u32 s7, s27, s7
	s_lshl_b64 s[10:11], s[10:11], 1
	v_lshrrev_b32_e32 v4, 3, v0
	s_add_u32 s10, s24, s10
	v_add_nc_u32_e32 v9, -1, v0
	s_addc_u32 s11, s25, s11
	s_lshl_b64 s[2:3], s[2:3], 3
	s_load_dword s4, s[4:5], 0x1c8
	s_add_u32 s15, s22, s2
	s_sext_i32_i16 s2, s33
	s_addc_u32 s16, s23, s3
	s_and_b32 s3, 0xffff, s33
	s_cmp_gt_i32 s2, -1
	s_mov_b32 s2, 0x8000
	v_and_b32_e32 v4, 28, v4
	v_lshrrev_b32_e32 v8, 3, v9
	s_cselect_b32 s2, s2, 0xffff
	s_lshl_b32 s17, s33, 16
	s_waitcnt lgkmcnt(0)
	v_add_nc_u32_e32 v6, v1, v2
	v_cmp_o_f32_e64 s17, s17, s17
	v_lshl_add_u32 v7, v0, 2, v4
	v_and_b32_e32 v4, 0x1ffffffc, v8
	v_add_nc_u32_e32 v1, s28, v0
	s_xor_b32 s2, s2, s3
	v_and_b32_e32 v2, 0xfc, v0
	v_lshlrev_b32_e32 v10, 5, v0
	v_mbcnt_lo_u32_b32 v8, -1, 0
	s_and_b32 s3, s17, exec_lo
	s_cselect_b32 s17, s2, 0xffff
	v_cmp_gt_u32_e64 s2, 32, v0
	v_lshl_add_u32 v0, v9, 2, v4
	v_mul_lo_u32 v4, s18, v1
	v_add_nc_u32_e32 v9, v2, v10
	v_and_b32_e32 v10, 15, v8
	v_bfe_i32 v11, v8, 4, 1
	v_add_nc_u32_e32 v12, -1, v8
	v_mov_b32_e32 v13, 0x8000
	s_bitcmp1_b32 s14, 0
                                        ; implicit-def: $vgpr14
	s_cselect_b32 s3, -1, 0
	s_lshl_b32 s5, s18, 8
	s_branch .LBB116_30
.LBB116_28:                             ;   in Loop: Header=BB116_30 Depth=1
	s_or_b32 exec_lo, exec_lo, s14
	v_add_nc_u32_e32 v6, v17, v6
.LBB116_29:                             ;   in Loop: Header=BB116_30 Depth=1
	v_add_nc_u32_e32 v3, v16, v3
	v_add_nc_u32_e32 v4, s5, v4
	;; [unrolled: 1-line block ×3, first 2 shown]
	s_add_i32 s9, s9, -1
	s_cmp_lg_u32 s9, 0
	s_cbranch_scc0 .LBB116_49
.LBB116_30:                             ; =>This Inner Loop Header: Depth=1
	v_mov_b32_e32 v2, 0
	v_mov_b32_e32 v15, 0
	s_mov_b32 s14, exec_lo
	v_cmpx_gt_u32_e64 s12, v1
	s_cbranch_execz .LBB116_32
; %bb.31:                               ;   in Loop: Header=BB116_30 Depth=1
	v_lshlrev_b64 v[14:15], 1, v[4:5]
	v_add_co_u32 v14, vcc_lo, s6, v14
	v_add_co_ci_u32_e64 v15, null, s7, v15, vcc_lo
	global_load_ushort v14, v[14:15], off
	s_waitcnt vmcnt(0)
	v_cmp_lt_i16_e32 vcc_lo, -1, v14
	v_lshlrev_b32_e32 v15, 16, v14
	v_cndmask_b32_e32 v2, 0xffff, v13, vcc_lo
	v_cmp_o_f32_e32 vcc_lo, v15, v15
	v_xor_b32_sdwa v2, v2, v14 dst_sel:DWORD dst_unused:UNUSED_PAD src0_sel:DWORD src1_sel:WORD_0
	v_cndmask_b32_e32 v15, 0xffff, v2, vcc_lo
	v_cmp_lt_u32_e32 vcc_lo, s17, v15
	v_cndmask_b32_e64 v2, 0, 1, vcc_lo
	v_cmp_gt_u32_e32 vcc_lo, s17, v15
	v_cndmask_b32_e64 v16, 0, 1, vcc_lo
	v_cmp_eq_u32_e32 vcc_lo, s17, v15
	v_cndmask_b32_e64 v2, v16, v2, s3
	v_cndmask_b32_e64 v15, 0, 1, vcc_lo
	v_and_b32_e32 v2, 1, v2
.LBB116_32:                             ;   in Loop: Header=BB116_30 Depth=1
	s_or_b32 exec_lo, exec_lo, s14
	ds_write_b32 v7, v2
	s_waitcnt lgkmcnt(0)
	s_barrier
	buffer_gl0_inv
	s_and_saveexec_b32 s14, s2
	s_cbranch_execz .LBB116_34
; %bb.33:                               ;   in Loop: Header=BB116_30 Depth=1
	ds_read2_b32 v[16:17], v9 offset1:1
	ds_read2_b32 v[18:19], v9 offset0:2 offset1:3
	ds_read2_b32 v[20:21], v9 offset0:4 offset1:5
	;; [unrolled: 1-line block ×3, first 2 shown]
	v_cmp_ne_u32_e32 vcc_lo, 0, v10
	; wave barrier
	s_waitcnt lgkmcnt(3)
	v_add_nc_u32_e32 v17, v17, v16
	s_waitcnt lgkmcnt(2)
	v_add3_u32 v17, v17, v18, v19
	s_waitcnt lgkmcnt(1)
	v_add3_u32 v17, v17, v20, v21
	;; [unrolled: 2-line block ×3, first 2 shown]
	v_mov_b32_dpp v18, v17 row_shr:1 row_mask:0xf bank_mask:0xf
	v_cndmask_b32_e32 v18, 0, v18, vcc_lo
	v_cmp_lt_u32_e32 vcc_lo, 1, v10
	v_add_nc_u32_e32 v17, v18, v17
	v_mov_b32_dpp v18, v17 row_shr:2 row_mask:0xf bank_mask:0xf
	v_cndmask_b32_e32 v18, 0, v18, vcc_lo
	v_cmp_lt_u32_e32 vcc_lo, 3, v10
	v_add_nc_u32_e32 v17, v17, v18
	v_mov_b32_dpp v18, v17 row_shr:4 row_mask:0xf bank_mask:0xf
	v_cndmask_b32_e32 v18, 0, v18, vcc_lo
	v_cmp_lt_u32_e32 vcc_lo, 7, v10
	v_add_nc_u32_e32 v17, v17, v18
	v_mov_b32_dpp v18, v17 row_shr:8 row_mask:0xf bank_mask:0xf
	v_cndmask_b32_e32 v18, 0, v18, vcc_lo
	v_cmp_gt_i32_e32 vcc_lo, 0, v12
	v_add_nc_u32_e32 v17, v17, v18
	v_cndmask_b32_e32 v19, v12, v8, vcc_lo
	ds_swizzle_b32 v18, v17 offset:swizzle(BROADCAST,32,15)
	v_lshlrev_b32_e32 v19, 2, v19
	s_waitcnt lgkmcnt(0)
	v_and_b32_e32 v18, v11, v18
	v_add_nc_u32_e32 v17, v17, v18
	ds_bpermute_b32 v17, v19, v17
	s_waitcnt lgkmcnt(0)
	v_add_nc_u32_e32 v16, v17, v16
	v_cndmask_b32_e64 v22, v16, v2, s1
	ds_write_b32 v9, v22
	; wave barrier
	ds_read2_b32 v[16:17], v9 offset0:1 offset1:2
	ds_read2_b32 v[18:19], v9 offset0:3 offset1:4
	;; [unrolled: 1-line block ×3, first 2 shown]
	ds_read_b32 v23, v9 offset:28
	s_waitcnt lgkmcnt(3)
	v_add_nc_u32_e32 v16, v16, v22
	v_add_nc_u32_e32 v17, v17, v16
	s_waitcnt lgkmcnt(2)
	v_add_nc_u32_e32 v18, v18, v17
	v_add_nc_u32_e32 v19, v19, v18
	;; [unrolled: 3-line block ×3, first 2 shown]
	s_waitcnt lgkmcnt(0)
	v_add_nc_u32_e32 v22, v23, v21
	ds_write2_b32 v9, v16, v17 offset0:1 offset1:2
	ds_write2_b32 v9, v18, v19 offset0:3 offset1:4
	;; [unrolled: 1-line block ×3, first 2 shown]
	ds_write_b32 v9, v22 offset:28
.LBB116_34:                             ;   in Loop: Header=BB116_30 Depth=1
	s_or_b32 exec_lo, exec_lo, s14
	v_mov_b32_e32 v17, 0
	s_waitcnt lgkmcnt(0)
	s_barrier
	buffer_gl0_inv
	s_and_saveexec_b32 s14, s0
; %bb.35:                               ;   in Loop: Header=BB116_30 Depth=1
	ds_read_b32 v17, v0
; %bb.36:                               ;   in Loop: Header=BB116_30 Depth=1
	s_or_b32 exec_lo, exec_lo, s14
	ds_read_b32 v16, v5 offset:1048
	s_mov_b32 s14, exec_lo
	s_waitcnt lgkmcnt(0)
	s_barrier
	buffer_gl0_inv
	v_cmpx_ne_u32_e32 0, v2
	s_cbranch_execz .LBB116_38
; %bb.37:                               ;   in Loop: Header=BB116_30 Depth=1
	v_add_nc_u32_e32 v2, v17, v3
	v_mov_b32_e32 v18, v5
	v_mov_b32_e32 v20, v5
	v_mul_lo_u32 v17, v2, s4
	v_mul_lo_u32 v19, v2, s8
	v_mov_b32_e32 v2, v5
	v_lshlrev_b64 v[17:18], 1, v[17:18]
	v_lshlrev_b64 v[19:20], 3, v[19:20]
	v_add_co_u32 v17, vcc_lo, s10, v17
	v_add_co_ci_u32_e64 v18, null, s11, v18, vcc_lo
	v_add_co_u32 v19, vcc_lo, s15, v19
	v_add_co_ci_u32_e64 v20, null, s16, v20, vcc_lo
	global_store_short v[17:18], v14, off
	global_store_dwordx2 v[19:20], v[1:2], off
.LBB116_38:                             ;   in Loop: Header=BB116_30 Depth=1
	s_or_b32 exec_lo, exec_lo, s14
	v_cmp_le_u32_e32 vcc_lo, s13, v6
	s_cbranch_vccnz .LBB116_29
; %bb.39:                               ;   in Loop: Header=BB116_30 Depth=1
	ds_write_b32 v7, v15
	s_waitcnt lgkmcnt(0)
	s_waitcnt_vscnt null, 0x0
	s_barrier
	buffer_gl0_inv
	s_and_saveexec_b32 s14, s2
	s_cbranch_execz .LBB116_41
; %bb.40:                               ;   in Loop: Header=BB116_30 Depth=1
	ds_read2_b32 v[17:18], v9 offset1:1
	ds_read2_b32 v[19:20], v9 offset0:2 offset1:3
	ds_read2_b32 v[21:22], v9 offset0:4 offset1:5
	;; [unrolled: 1-line block ×3, first 2 shown]
	v_cmp_ne_u32_e32 vcc_lo, 0, v10
	; wave barrier
	s_waitcnt lgkmcnt(3)
	v_add_nc_u32_e32 v2, v18, v17
	s_waitcnt lgkmcnt(2)
	v_add3_u32 v2, v2, v19, v20
	s_waitcnt lgkmcnt(1)
	v_add3_u32 v2, v2, v21, v22
	;; [unrolled: 2-line block ×3, first 2 shown]
	v_mov_b32_dpp v18, v2 row_shr:1 row_mask:0xf bank_mask:0xf
	v_cndmask_b32_e32 v18, 0, v18, vcc_lo
	v_cmp_lt_u32_e32 vcc_lo, 1, v10
	v_add_nc_u32_e32 v2, v18, v2
	v_mov_b32_dpp v18, v2 row_shr:2 row_mask:0xf bank_mask:0xf
	v_cndmask_b32_e32 v18, 0, v18, vcc_lo
	v_cmp_lt_u32_e32 vcc_lo, 3, v10
	v_add_nc_u32_e32 v2, v2, v18
	;; [unrolled: 4-line block ×3, first 2 shown]
	v_mov_b32_dpp v18, v2 row_shr:8 row_mask:0xf bank_mask:0xf
	v_cndmask_b32_e32 v18, 0, v18, vcc_lo
	v_cmp_gt_i32_e32 vcc_lo, 0, v12
	v_add_nc_u32_e32 v2, v2, v18
	v_cndmask_b32_e32 v19, v12, v8, vcc_lo
	ds_swizzle_b32 v18, v2 offset:swizzle(BROADCAST,32,15)
	v_lshlrev_b32_e32 v19, 2, v19
	s_waitcnt lgkmcnt(0)
	v_and_b32_e32 v18, v11, v18
	v_add_nc_u32_e32 v2, v2, v18
	ds_bpermute_b32 v2, v19, v2
	s_waitcnt lgkmcnt(0)
	v_add_nc_u32_e32 v2, v2, v17
	v_cndmask_b32_e64 v2, v2, v15, s1
	ds_write_b32 v9, v2
	; wave barrier
	ds_read2_b32 v[17:18], v9 offset0:1 offset1:2
	ds_read2_b32 v[19:20], v9 offset0:3 offset1:4
	;; [unrolled: 1-line block ×3, first 2 shown]
	ds_read_b32 v23, v9 offset:28
	s_waitcnt lgkmcnt(3)
	v_add_nc_u32_e32 v2, v17, v2
	v_add_nc_u32_e32 v17, v18, v2
	s_waitcnt lgkmcnt(2)
	v_add_nc_u32_e32 v18, v19, v17
	v_add_nc_u32_e32 v19, v20, v18
	;; [unrolled: 3-line block ×3, first 2 shown]
	s_waitcnt lgkmcnt(0)
	v_add_nc_u32_e32 v22, v23, v21
	ds_write2_b32 v9, v2, v17 offset0:1 offset1:2
	ds_write2_b32 v9, v18, v19 offset0:3 offset1:4
	;; [unrolled: 1-line block ×3, first 2 shown]
	ds_write_b32 v9, v22 offset:28
.LBB116_41:                             ;   in Loop: Header=BB116_30 Depth=1
	s_or_b32 exec_lo, exec_lo, s14
	v_mov_b32_e32 v2, 0
	s_waitcnt lgkmcnt(0)
	s_barrier
	buffer_gl0_inv
	s_and_saveexec_b32 s14, s0
; %bb.42:                               ;   in Loop: Header=BB116_30 Depth=1
	ds_read_b32 v2, v0
; %bb.43:                               ;   in Loop: Header=BB116_30 Depth=1
	s_or_b32 exec_lo, exec_lo, s14
	ds_read_b32 v17, v5 offset:1048
	s_mov_b32 s14, exec_lo
	s_waitcnt lgkmcnt(0)
	s_barrier
	buffer_gl0_inv
	v_cmpx_ne_u32_e32 0, v15
	s_cbranch_execz .LBB116_28
; %bb.44:                               ;   in Loop: Header=BB116_30 Depth=1
	v_add_nc_u32_e32 v2, v2, v6
	v_cmp_gt_u32_e32 vcc_lo, s13, v2
	s_and_b32 exec_lo, exec_lo, vcc_lo
	s_cbranch_execz .LBB116_28
; %bb.45:                               ;   in Loop: Header=BB116_30 Depth=1
	v_mul_lo_u32 v18, v2, s4
	v_mul_lo_u32 v20, v2, s8
	v_mov_b32_e32 v19, v5
	v_mov_b32_e32 v21, v5
	;; [unrolled: 1-line block ×3, first 2 shown]
	v_lshlrev_b64 v[18:19], 1, v[18:19]
	v_lshlrev_b64 v[20:21], 3, v[20:21]
	v_add_co_u32 v18, vcc_lo, s10, v18
	v_add_co_ci_u32_e64 v19, null, s11, v19, vcc_lo
	v_add_co_u32 v20, vcc_lo, s15, v20
	v_add_co_ci_u32_e64 v21, null, s16, v21, vcc_lo
	global_store_short v[18:19], v14, off
	global_store_dwordx2 v[20:21], v[1:2], off
	s_branch .LBB116_28
	.p2align	6
.LBB116_46:                             ;   in Loop: Header=BB116_47 Depth=1
	s_add_u32 s12, s12, 4
	s_addc_u32 s13, s13, 0
	s_waitcnt lgkmcnt(0)
	s_add_i32 s39, s3, s39
	s_add_u32 s14, s14, 4
	s_addc_u32 s15, s15, 0
	s_add_i32 s2, s2, 1
	s_cmp_lt_u32 s2, s10
	s_cbranch_scc0 .LBB116_25
.LBB116_47:                             ; =>This Inner Loop Header: Depth=1
	s_load_dword s3, s[12:13], 0x0
	s_cmp_ge_u32 s2, s16
	s_cbranch_scc1 .LBB116_46
; %bb.48:                               ;   in Loop: Header=BB116_47 Depth=1
	s_load_dword s28, s[14:15], 0x0
	s_waitcnt lgkmcnt(0)
	s_add_i32 s17, s3, s17
	s_add_i32 s38, s28, s38
	s_branch .LBB116_46
.LBB116_49:
	s_endpgm
	.section	.rodata,"a",@progbits
	.p2align	6, 0x0
	.amdhsa_kernel _ZN2at6native6mbtopk10gatherTopKIN3c108BFloat16EjLin1EEEvNS_4cuda6detail10TensorInfoIKT_T0_EESA_SA_bjSA_NS7_IS8_SA_EESA_NS7_IlSA_EESA_jjPS8_PjSF_j
		.amdhsa_group_segment_fixed_size 1068
		.amdhsa_private_segment_fixed_size 0
		.amdhsa_kernarg_size 984
		.amdhsa_user_sgpr_count 6
		.amdhsa_user_sgpr_private_segment_buffer 1
		.amdhsa_user_sgpr_dispatch_ptr 0
		.amdhsa_user_sgpr_queue_ptr 0
		.amdhsa_user_sgpr_kernarg_segment_ptr 1
		.amdhsa_user_sgpr_dispatch_id 0
		.amdhsa_user_sgpr_flat_scratch_init 0
		.amdhsa_user_sgpr_private_segment_size 0
		.amdhsa_wavefront_size32 1
		.amdhsa_uses_dynamic_stack 0
		.amdhsa_system_sgpr_private_segment_wavefront_offset 0
		.amdhsa_system_sgpr_workgroup_id_x 1
		.amdhsa_system_sgpr_workgroup_id_y 1
		.amdhsa_system_sgpr_workgroup_id_z 1
		.amdhsa_system_sgpr_workgroup_info 0
		.amdhsa_system_vgpr_workitem_id 0
		.amdhsa_next_free_vgpr 25
		.amdhsa_next_free_sgpr 43
		.amdhsa_reserve_vcc 1
		.amdhsa_reserve_flat_scratch 0
		.amdhsa_float_round_mode_32 0
		.amdhsa_float_round_mode_16_64 0
		.amdhsa_float_denorm_mode_32 3
		.amdhsa_float_denorm_mode_16_64 3
		.amdhsa_dx10_clamp 1
		.amdhsa_ieee_mode 1
		.amdhsa_fp16_overflow 0
		.amdhsa_workgroup_processor_mode 1
		.amdhsa_memory_ordered 1
		.amdhsa_forward_progress 1
		.amdhsa_shared_vgpr_count 0
		.amdhsa_exception_fp_ieee_invalid_op 0
		.amdhsa_exception_fp_denorm_src 0
		.amdhsa_exception_fp_ieee_div_zero 0
		.amdhsa_exception_fp_ieee_overflow 0
		.amdhsa_exception_fp_ieee_underflow 0
		.amdhsa_exception_fp_ieee_inexact 0
		.amdhsa_exception_int_div_zero 0
	.end_amdhsa_kernel
	.section	.text._ZN2at6native6mbtopk10gatherTopKIN3c108BFloat16EjLin1EEEvNS_4cuda6detail10TensorInfoIKT_T0_EESA_SA_bjSA_NS7_IS8_SA_EESA_NS7_IlSA_EESA_jjPS8_PjSF_j,"axG",@progbits,_ZN2at6native6mbtopk10gatherTopKIN3c108BFloat16EjLin1EEEvNS_4cuda6detail10TensorInfoIKT_T0_EESA_SA_bjSA_NS7_IS8_SA_EESA_NS7_IlSA_EESA_jjPS8_PjSF_j,comdat
.Lfunc_end116:
	.size	_ZN2at6native6mbtopk10gatherTopKIN3c108BFloat16EjLin1EEEvNS_4cuda6detail10TensorInfoIKT_T0_EESA_SA_bjSA_NS7_IS8_SA_EESA_NS7_IlSA_EESA_jjPS8_PjSF_j, .Lfunc_end116-_ZN2at6native6mbtopk10gatherTopKIN3c108BFloat16EjLin1EEEvNS_4cuda6detail10TensorInfoIKT_T0_EESA_SA_bjSA_NS7_IS8_SA_EESA_NS7_IlSA_EESA_jjPS8_PjSF_j
                                        ; -- End function
	.set _ZN2at6native6mbtopk10gatherTopKIN3c108BFloat16EjLin1EEEvNS_4cuda6detail10TensorInfoIKT_T0_EESA_SA_bjSA_NS7_IS8_SA_EESA_NS7_IlSA_EESA_jjPS8_PjSF_j.num_vgpr, 25
	.set _ZN2at6native6mbtopk10gatherTopKIN3c108BFloat16EjLin1EEEvNS_4cuda6detail10TensorInfoIKT_T0_EESA_SA_bjSA_NS7_IS8_SA_EESA_NS7_IlSA_EESA_jjPS8_PjSF_j.num_agpr, 0
	.set _ZN2at6native6mbtopk10gatherTopKIN3c108BFloat16EjLin1EEEvNS_4cuda6detail10TensorInfoIKT_T0_EESA_SA_bjSA_NS7_IS8_SA_EESA_NS7_IlSA_EESA_jjPS8_PjSF_j.numbered_sgpr, 43
	.set _ZN2at6native6mbtopk10gatherTopKIN3c108BFloat16EjLin1EEEvNS_4cuda6detail10TensorInfoIKT_T0_EESA_SA_bjSA_NS7_IS8_SA_EESA_NS7_IlSA_EESA_jjPS8_PjSF_j.num_named_barrier, 0
	.set _ZN2at6native6mbtopk10gatherTopKIN3c108BFloat16EjLin1EEEvNS_4cuda6detail10TensorInfoIKT_T0_EESA_SA_bjSA_NS7_IS8_SA_EESA_NS7_IlSA_EESA_jjPS8_PjSF_j.private_seg_size, 0
	.set _ZN2at6native6mbtopk10gatherTopKIN3c108BFloat16EjLin1EEEvNS_4cuda6detail10TensorInfoIKT_T0_EESA_SA_bjSA_NS7_IS8_SA_EESA_NS7_IlSA_EESA_jjPS8_PjSF_j.uses_vcc, 1
	.set _ZN2at6native6mbtopk10gatherTopKIN3c108BFloat16EjLin1EEEvNS_4cuda6detail10TensorInfoIKT_T0_EESA_SA_bjSA_NS7_IS8_SA_EESA_NS7_IlSA_EESA_jjPS8_PjSF_j.uses_flat_scratch, 0
	.set _ZN2at6native6mbtopk10gatherTopKIN3c108BFloat16EjLin1EEEvNS_4cuda6detail10TensorInfoIKT_T0_EESA_SA_bjSA_NS7_IS8_SA_EESA_NS7_IlSA_EESA_jjPS8_PjSF_j.has_dyn_sized_stack, 0
	.set _ZN2at6native6mbtopk10gatherTopKIN3c108BFloat16EjLin1EEEvNS_4cuda6detail10TensorInfoIKT_T0_EESA_SA_bjSA_NS7_IS8_SA_EESA_NS7_IlSA_EESA_jjPS8_PjSF_j.has_recursion, 0
	.set _ZN2at6native6mbtopk10gatherTopKIN3c108BFloat16EjLin1EEEvNS_4cuda6detail10TensorInfoIKT_T0_EESA_SA_bjSA_NS7_IS8_SA_EESA_NS7_IlSA_EESA_jjPS8_PjSF_j.has_indirect_call, 0
	.section	.AMDGPU.csdata,"",@progbits
; Kernel info:
; codeLenInByte = 3152
; TotalNumSgprs: 45
; NumVgprs: 25
; ScratchSize: 0
; MemoryBound: 0
; FloatMode: 240
; IeeeMode: 1
; LDSByteSize: 1068 bytes/workgroup (compile time only)
; SGPRBlocks: 0
; VGPRBlocks: 3
; NumSGPRsForWavesPerEU: 45
; NumVGPRsForWavesPerEU: 25
; Occupancy: 16
; WaveLimiterHint : 1
; COMPUTE_PGM_RSRC2:SCRATCH_EN: 0
; COMPUTE_PGM_RSRC2:USER_SGPR: 6
; COMPUTE_PGM_RSRC2:TRAP_HANDLER: 0
; COMPUTE_PGM_RSRC2:TGID_X_EN: 1
; COMPUTE_PGM_RSRC2:TGID_Y_EN: 1
; COMPUTE_PGM_RSRC2:TGID_Z_EN: 1
; COMPUTE_PGM_RSRC2:TIDIG_COMP_CNT: 0
	.section	.text._ZN2at6native6sbtopk10gatherTopKIN3c108BFloat16EjLin1ELb0EEEvNS_4cuda6detail10TensorInfoIKT_T0_EESA_SA_bSA_SA_NS7_IS8_SA_EESA_NS7_IlSA_EESA_PS8_,"axG",@progbits,_ZN2at6native6sbtopk10gatherTopKIN3c108BFloat16EjLin1ELb0EEEvNS_4cuda6detail10TensorInfoIKT_T0_EESA_SA_bSA_SA_NS7_IS8_SA_EESA_NS7_IlSA_EESA_PS8_,comdat
	.protected	_ZN2at6native6sbtopk10gatherTopKIN3c108BFloat16EjLin1ELb0EEEvNS_4cuda6detail10TensorInfoIKT_T0_EESA_SA_bSA_SA_NS7_IS8_SA_EESA_NS7_IlSA_EESA_PS8_ ; -- Begin function _ZN2at6native6sbtopk10gatherTopKIN3c108BFloat16EjLin1ELb0EEEvNS_4cuda6detail10TensorInfoIKT_T0_EESA_SA_bSA_SA_NS7_IS8_SA_EESA_NS7_IlSA_EESA_PS8_
	.globl	_ZN2at6native6sbtopk10gatherTopKIN3c108BFloat16EjLin1ELb0EEEvNS_4cuda6detail10TensorInfoIKT_T0_EESA_SA_bSA_SA_NS7_IS8_SA_EESA_NS7_IlSA_EESA_PS8_
	.p2align	8
	.type	_ZN2at6native6sbtopk10gatherTopKIN3c108BFloat16EjLin1ELb0EEEvNS_4cuda6detail10TensorInfoIKT_T0_EESA_SA_bSA_SA_NS7_IS8_SA_EESA_NS7_IlSA_EESA_PS8_,@function
_ZN2at6native6sbtopk10gatherTopKIN3c108BFloat16EjLin1ELb0EEEvNS_4cuda6detail10TensorInfoIKT_T0_EESA_SA_bSA_SA_NS7_IS8_SA_EESA_NS7_IlSA_EESA_PS8_: ; @_ZN2at6native6sbtopk10gatherTopKIN3c108BFloat16EjLin1ELb0EEEvNS_4cuda6detail10TensorInfoIKT_T0_EESA_SA_bSA_SA_NS7_IS8_SA_EESA_NS7_IlSA_EESA_PS8_
; %bb.0:
	s_clause 0x1
	s_load_dwordx2 s[12:13], s[4:5], 0x2b8
	s_load_dwordx4 s[36:39], s[4:5], 0xd8
	s_add_u32 s10, s4, 0x2b8
	s_addc_u32 s11, s5, 0
	s_waitcnt lgkmcnt(0)
	s_mul_i32 s0, s13, s8
	s_add_i32 s0, s0, s7
	s_mul_i32 s0, s0, s12
	s_add_i32 s51, s0, s6
	s_cmp_ge_u32 s51, s39
	s_cbranch_scc1 .LBB117_419
; %bb.1:
	s_clause 0x1
	s_load_dword s2, s[4:5], 0xd0
	s_load_dword s40, s[4:5], 0xe8
	s_mov_b32 s1, 0
	s_mov_b32 s0, s51
	s_waitcnt lgkmcnt(0)
	s_cmp_lt_i32 s2, 2
	s_cbranch_scc1 .LBB117_4
; %bb.2:
	s_add_i32 s0, s2, -1
	s_add_i32 s7, s2, 1
	s_lshl_b64 s[8:9], s[0:1], 2
	s_add_u32 s0, s4, s8
	s_addc_u32 s3, s5, s9
	s_add_u32 s2, s0, 8
	s_addc_u32 s3, s3, 0
	s_mov_b32 s0, s51
	s_inst_prefetch 0x1
	.p2align	6
.LBB117_3:                              ; =>This Inner Loop Header: Depth=1
	s_clause 0x1
	s_load_dword s8, s[2:3], 0x0
	s_load_dword s9, s[2:3], 0x64
	s_mov_b32 s15, s0
	s_waitcnt lgkmcnt(0)
	v_cvt_f32_u32_e32 v1, s8
	s_sub_i32 s14, 0, s8
	v_rcp_iflag_f32_e32 v1, v1
	v_mul_f32_e32 v1, 0x4f7ffffe, v1
	v_cvt_u32_f32_e32 v1, v1
	v_readfirstlane_b32 s13, v1
	s_mul_i32 s14, s14, s13
	s_mul_hi_u32 s14, s13, s14
	s_add_i32 s13, s13, s14
	s_mul_hi_u32 s0, s0, s13
	s_mul_i32 s13, s0, s8
	s_add_i32 s14, s0, 1
	s_sub_i32 s13, s15, s13
	s_sub_i32 s16, s13, s8
	s_cmp_ge_u32 s13, s8
	s_cselect_b32 s0, s14, s0
	s_cselect_b32 s13, s16, s13
	s_add_i32 s14, s0, 1
	s_cmp_ge_u32 s13, s8
	s_cselect_b32 s0, s14, s0
	s_add_i32 s7, s7, -1
	s_mul_i32 s8, s0, s8
	s_sub_i32 s8, s15, s8
	s_mul_i32 s8, s9, s8
	s_add_i32 s1, s8, s1
	s_add_u32 s2, s2, -4
	s_addc_u32 s3, s3, -1
	s_cmp_gt_u32 s7, 2
	s_cbranch_scc1 .LBB117_3
.LBB117_4:
	s_inst_prefetch 0x2
	s_load_dword s7, s[4:5], 0x1c0
	s_add_u32 s2, s4, 0xf0
	s_addc_u32 s3, s5, 0
	s_mov_b32 s35, 0
	s_mov_b32 s53, s51
	s_waitcnt lgkmcnt(0)
	s_cmp_lt_i32 s7, 2
	s_cbranch_scc1 .LBB117_7
; %bb.5:
	s_add_i32 s34, s7, -1
	s_add_i32 s7, s7, 1
	s_lshl_b64 s[8:9], s[34:35], 2
	s_mov_b32 s53, s51
	s_add_u32 s8, s2, s8
	s_addc_u32 s9, s3, s9
	s_add_u32 s8, s8, 8
	s_addc_u32 s9, s9, 0
	s_inst_prefetch 0x1
	.p2align	6
.LBB117_6:                              ; =>This Inner Loop Header: Depth=1
	s_clause 0x1
	s_load_dword s13, s[8:9], 0x0
	s_load_dword s14, s[8:9], 0x64
	s_mov_b32 s17, s53
	s_waitcnt lgkmcnt(0)
	v_cvt_f32_u32_e32 v1, s13
	s_sub_i32 s16, 0, s13
	v_rcp_iflag_f32_e32 v1, v1
	v_mul_f32_e32 v1, 0x4f7ffffe, v1
	v_cvt_u32_f32_e32 v1, v1
	v_readfirstlane_b32 s15, v1
	s_mul_i32 s16, s16, s15
	s_mul_hi_u32 s16, s15, s16
	s_add_i32 s15, s15, s16
	s_mul_hi_u32 s15, s53, s15
	s_mul_i32 s16, s15, s13
	s_add_i32 s18, s15, 1
	s_sub_i32 s16, s53, s16
	s_sub_i32 s19, s16, s13
	s_cmp_ge_u32 s16, s13
	s_cselect_b32 s15, s18, s15
	s_cselect_b32 s16, s19, s16
	s_add_i32 s18, s15, 1
	s_cmp_ge_u32 s16, s13
	s_cselect_b32 s53, s18, s15
	s_add_i32 s7, s7, -1
	s_mul_i32 s13, s53, s13
	s_sub_i32 s13, s17, s13
	s_mul_i32 s13, s14, s13
	s_add_i32 s35, s13, s35
	s_add_u32 s8, s8, -4
	s_addc_u32 s9, s9, -1
	s_cmp_gt_u32 s7, 2
	s_cbranch_scc1 .LBB117_6
.LBB117_7:
	s_inst_prefetch 0x2
	s_clause 0x1
	s_load_dword s7, s[4:5], 0x6c
	s_load_dword s8, s[4:5], 0x2a0
	s_add_u32 s9, s4, 0x1d0
	s_addc_u32 s14, s5, 0
	s_mov_b32 s43, 0
	s_waitcnt lgkmcnt(0)
	s_cmp_lt_i32 s8, 2
	s_cbranch_scc1 .LBB117_10
; %bb.8:
	s_add_i32 s42, s8, -1
	s_add_i32 s13, s8, 1
	s_lshl_b64 s[16:17], s[42:43], 2
	s_add_u32 s8, s9, s16
	s_addc_u32 s9, s14, s17
	s_add_u32 s8, s8, 8
	s_addc_u32 s9, s9, 0
	s_inst_prefetch 0x1
	.p2align	6
.LBB117_9:                              ; =>This Inner Loop Header: Depth=1
	s_clause 0x1
	s_load_dword s14, s[8:9], 0x0
	s_load_dword s15, s[8:9], 0x64
	s_mov_b32 s18, s51
	s_waitcnt lgkmcnt(0)
	v_cvt_f32_u32_e32 v1, s14
	s_sub_i32 s17, 0, s14
	v_rcp_iflag_f32_e32 v1, v1
	v_mul_f32_e32 v1, 0x4f7ffffe, v1
	v_cvt_u32_f32_e32 v1, v1
	v_readfirstlane_b32 s16, v1
	s_mul_i32 s17, s17, s16
	s_mul_hi_u32 s17, s16, s17
	s_add_i32 s16, s16, s17
	s_mul_hi_u32 s16, s51, s16
	s_mul_i32 s17, s16, s14
	s_add_i32 s19, s16, 1
	s_sub_i32 s17, s51, s17
	s_sub_i32 s20, s17, s14
	s_cmp_ge_u32 s17, s14
	s_cselect_b32 s16, s19, s16
	s_cselect_b32 s17, s20, s17
	s_add_i32 s19, s16, 1
	s_cmp_ge_u32 s17, s14
	s_cselect_b32 s51, s19, s16
	s_add_i32 s13, s13, -1
	s_mul_i32 s14, s51, s14
	s_sub_i32 s14, s18, s14
	s_mul_i32 s14, s15, s14
	s_add_i32 s43, s14, s43
	s_add_u32 s8, s8, -4
	s_addc_u32 s9, s9, -1
	s_cmp_gt_u32 s13, 2
	s_cbranch_scc1 .LBB117_9
.LBB117_10:
	s_inst_prefetch 0x2
	s_clause 0x3
	s_load_dword s54, s[2:3], 0x6c
	s_load_dwordx2 s[8:9], s[4:5], 0x0
	s_load_dwordx2 s[46:47], s[4:5], 0xf0
	;; [unrolled: 1-line block ×3, first 2 shown]
	v_cmp_eq_u32_e64 s3, 0, v0
	s_mov_b32 s49, 0
	s_and_saveexec_b32 s2, s3
	s_cbranch_execz .LBB117_12
; %bb.11:
	v_mov_b32_e32 v1, 0
	v_mov_b32_e32 v2, s36
	;; [unrolled: 1-line block ×3, first 2 shown]
	ds_write_b96 v1, v[1:3] offset:4096
.LBB117_12:
	s_or_b32 exec_lo, exec_lo, s2
	s_waitcnt lgkmcnt(0)
	s_barrier
	buffer_gl0_inv
	s_load_dword s13, s[10:11], 0xc
	s_load_dword s55, s[4:5], 0x23c
	s_mul_i32 s0, s7, s0
	v_mov_b32_e32 v9, 0
	s_add_i32 s48, s0, s1
	v_mul_lo_u32 v7, s40, v0
	s_lshl_b64 s[0:1], s[48:49], 1
	v_mbcnt_lo_u32_b32 v19, -1, 0
	v_mov_b32_e32 v8, v9
	s_add_u32 s42, s8, s0
	s_addc_u32 s48, s9, s1
	s_bitcmp1_b32 s38, 0
	v_cmp_gt_u32_e32 vcc_lo, 32, v0
	s_cselect_b32 s2, -1, 0
	v_lshlrev_b64 v[1:2], 1, v[7:8]
	v_cmp_gt_i32_e64 s0, 4, v19
	s_xor_b32 s56, s2, -1
	s_movk_i32 s8, 0x1f0
	v_lshlrev_b32_e32 v18, 2, v0
	v_lshlrev_b32_e32 v20, 1, v0
	s_waitcnt lgkmcnt(0)
	s_and_b32 s50, s13, 0xffff
	s_and_b32 s59, vcc_lo, s0
	s_lshl_b32 s57, s50, 2
	v_add_co_u32 v5, vcc_lo, s42, v1
	v_cvt_f32_u32_e32 v3, s57
	v_add_co_ci_u32_e64 v6, null, s48, v2, vcc_lo
	v_lshlrev_b64 v[1:2], v19, -1
	s_bfe_u32 s1, s50, 0x80008
	v_rcp_iflag_f32_e32 v2, v3
	s_bfe_u32 s7, s13, 0xb0005
	s_lshl_b32 s58, s1, 3
	s_cmpk_gt_u32 s36, 0x600
	v_add_nc_u32_e32 v3, 2, v0
	s_cselect_b32 s60, -1, 0
	s_cmp_gt_u32 s50, 31
	v_cvt_f32_u32_e32 v8, s50
	s_cselect_b32 s61, -1, 0
	s_add_i32 s62, s50, -1
	v_mul_f32_e32 v2, 0x4f7ffffe, v2
	s_add_i32 s13, s62, s36
	s_cmp_lt_u32 s6, s12
	v_max_u32_e32 v3, s36, v3
	s_cselect_b32 s6, 12, 18
	v_cvt_u32_f32_e32 v2, v2
	s_add_u32 s38, s10, s6
	s_addc_u32 s39, s11, 0
	s_add_i32 s7, s7, -1
	s_bfe_u32 s63, s50, 0x30005
	s_and_b32 s6, s7, 0xffff
	v_xad_u32 v3, v0, -1, v3
	s_cmp_gt_u32 s6, 6
	v_readfirstlane_b32 s6, v2
	s_cselect_b32 s64, -1, 0
	s_cmp_lg_u32 s63, 0
	v_not_b32_e32 v17, v1
	s_cselect_b32 s65, -1, 0
	s_sub_i32 s7, 0, s57
	v_lshrrev_b32_e32 v1, 1, v0
	s_mul_i32 s7, s7, s6
	v_add_nc_u32_e32 v4, -2, v3
	s_mul_hi_u32 s7, s6, s7
	v_rcp_iflag_f32_e32 v8, v8
	s_add_i32 s66, s6, s7
	v_and_or_b32 v22, v1, s8, 0xc00
	s_mul_hi_u32 s6, s36, s66
	v_lshrrev_b32_e32 v2, 1, v4
	s_mul_i32 s6, s6, s57
	v_and_b32_e32 v23, -2, v3
	s_sub_i32 s6, s36, s6
	v_cmp_lt_u32_e64 s7, 31, v3
	s_sub_i32 s8, s6, s57
	s_cmp_ge_u32 s6, s57
	v_add_nc_u32_e32 v1, 1, v2
	s_cselect_b32 s6, s8, s6
	v_mul_f32_e32 v2, 0x4f7ffffe, v8
	s_sub_i32 s8, s6, s57
	s_cmp_ge_u32 s6, s57
	v_and_b32_e32 v12, 7, v1
	s_cselect_b32 s6, s8, s6
	v_cvt_u32_f32_e32 v2, v2
	s_sub_i32 s67, s36, s6
	s_sub_i32 s8, 0, s50
	v_add_nc_u32_e32 v25, s67, v0
	v_and_b32_e32 v26, -8, v1
	v_readfirstlane_b32 s9, v2
	v_cmp_ne_u32_e64 s10, v3, v23
	v_or_b32_e32 v3, 3, v18
	v_mul_lo_u32 v8, v25, s40
	s_mov_b32 s41, s40
	s_mul_i32 s8, s8, s9
	v_lshlrev_b32_e32 v28, 2, v12
	s_mul_hi_u32 s8, s9, s8
	v_mul_lo_u32 v30, s40, v3
	s_add_i32 s68, s9, s8
	v_cmp_eq_u32_e64 s0, 0, v19
	v_lshlrev_b64 v[1:2], 1, v[8:9]
	s_mul_hi_u32 s9, s13, s68
	v_cmp_gt_u32_e64 s1, s36, v0
	s_mul_i32 s9, s9, s50
	v_cmp_gt_u32_e64 s15, 2, v0
	s_sub_i32 s11, s13, s9
	v_add_co_u32 v10, vcc_lo, s42, v1
	v_add3_u32 v1, s50, s36, v0
	s_sub_i32 s12, s11, s50
	s_cmp_ge_u32 s11, s50
	v_add_co_ci_u32_e64 v11, null, s48, v2, vcc_lo
	s_cselect_b32 s12, s12, s11
	v_or_b32_e32 v2, 2, v18
	v_subrev_nc_u32_e32 v1, s6, v1
	s_sub_i32 s14, s12, s50
	s_cmp_ge_u32 s12, s50
	v_cmp_ne_u32_e64 s9, 0, v12
	s_cselect_b32 s14, s14, s12
	v_mad_u64_u32 v[12:13], null, s40, v18, s[40:41]
	v_mul_lo_u32 v29, s40, v2
	v_mul_lo_u32 v32, s40, v1
	s_sub_i32 s69, s13, s14
	v_add_nc_u32_e32 v21, 0xc00, v20
	v_add_nc_u32_e32 v24, v0, v23
	v_cmp_lt_u32_e64 s8, 13, v4
	v_cmp_gt_u32_e64 s11, s67, v18
	v_cmp_gt_u32_e64 s12, s36, v25
	;; [unrolled: 1-line block ×3, first 2 shown]
	v_lshlrev_b32_e32 v31, 2, v7
	v_lshlrev_b32_e32 v33, 3, v0
	v_lshl_or_b32 v34, v19, 2, 0xc00
	v_mov_b32_e32 v39, s37
	v_mov_b32_e32 v35, 0x8000
	v_mov_b32_e32 v36, -1
	v_mov_b32_e32 v38, 0
	v_mov_b32_e32 v27, 0
	;; [unrolled: 1-line block ×3, first 2 shown]
	s_mul_i32 s52, s40, s50
	s_lshl_b32 s71, s50, 3
	s_lshl_b32 s70, s52, 2
	;; [unrolled: 1-line block ×3, first 2 shown]
	s_mov_b32 s79, 14
	s_movk_i32 s74, 0x3f80
	s_mov_b32 s75, 0
                                        ; implicit-def: $sgpr73
                                        ; implicit-def: $sgpr78
                                        ; implicit-def: $sgpr77
                                        ; implicit-def: $sgpr80
                                        ; implicit-def: $sgpr76
                                        ; implicit-def: $sgpr84
                                        ; implicit-def: $sgpr85
                                        ; implicit-def: $sgpr81
                                        ; implicit-def: $sgpr83
                                        ; implicit-def: $sgpr82
	s_branch .LBB117_15
.LBB117_13:                             ;   in Loop: Header=BB117_15 Depth=1
	s_or_b32 exec_lo, exec_lo, s17
	v_mov_b32_e32 v39, v4
	s_andn2_b32 s17, s82, exec_lo
	s_and_b32 s16, s16, exec_lo
	s_andn2_b32 s83, s83, exec_lo
	s_or_b32 s82, s17, s16
	s_andn2_b32 s81, s81, exec_lo
	s_andn2_b32 s85, s85, exec_lo
	;; [unrolled: 1-line block ×3, first 2 shown]
	s_orn2_b32 s17, s14, exec_lo
.LBB117_14:                             ;   in Loop: Header=BB117_15 Depth=1
	s_or_b32 exec_lo, exec_lo, s6
	s_and_b32 s6, exec_lo, s17
	s_or_b32 s49, s6, s49
	s_andn2_b32 s6, s76, exec_lo
	s_and_b32 s14, s82, exec_lo
	s_andn2_b32 s16, s80, exec_lo
	s_or_b32 s76, s6, s14
	s_and_b32 s6, s83, exec_lo
	s_andn2_b32 s14, s77, exec_lo
	s_and_b32 s17, s81, exec_lo
	s_or_b32 s80, s16, s6
	s_or_b32 s77, s14, s17
	s_andn2_b32 s6, s78, exec_lo
	s_and_b32 s14, s85, exec_lo
	s_andn2_b32 s16, s73, exec_lo
	s_and_b32 s17, s84, exec_lo
	s_or_b32 s78, s6, s14
	s_or_b32 s73, s16, s17
	s_andn2_b32 exec_lo, exec_lo, s49
	s_cbranch_execz .LBB117_415
.LBB117_15:                             ; =>This Loop Header: Depth=1
                                        ;     Child Loop BB117_20 Depth 2
                                        ;     Child Loop BB117_41 Depth 2
	;; [unrolled: 1-line block ×26, first 2 shown]
	ds_read_b64 v[1:2], v9 offset:4096
	s_waitcnt lgkmcnt(0)
	v_readfirstlane_b32 s86, v1
	s_cmp_lg_u32 s86, 0
	s_cbranch_scc1 .LBB117_60
; %bb.16:                               ;   in Loop: Header=BB117_15 Depth=1
	s_and_b32 vcc_lo, exec_lo, s60
	s_cbranch_vccz .LBB117_28
; %bb.17:                               ;   in Loop: Header=BB117_15 Depth=1
	v_cmp_gt_u32_e32 vcc_lo, 0x601, v2
	s_mov_b32 s16, 0
	s_mov_b32 s6, 0
	s_cbranch_vccz .LBB117_29
; %bb.18:                               ;   in Loop: Header=BB117_15 Depth=1
	global_load_ushort v1, v9, s[38:39]
	global_load_ushort v4, v[5:6], off
	v_mov_b32_e32 v3, v0
	s_mov_b32 s17, 0
	s_waitcnt vmcnt(1)
	v_add_nc_u32_e32 v2, v0, v1
	v_mul_lo_u32 v8, s40, v2
	v_mul_lo_u32 v2, s40, v1
	s_branch .LBB117_20
.LBB117_19:                             ;   in Loop: Header=BB117_20 Depth=2
	s_or_b32 exec_lo, exec_lo, s14
	v_add_nc_u32_e32 v8, v8, v2
	v_mov_b32_e32 v4, v13
	s_andn2_b32 exec_lo, exec_lo, s17
	s_cbranch_execz .LBB117_35
.LBB117_20:                             ;   Parent Loop BB117_15 Depth=1
                                        ; =>  This Inner Loop Header: Depth=2
	v_add_nc_u32_e32 v3, v3, v1
	s_waitcnt lgkmcnt(0)
	v_mov_b32_e32 v14, 0
	v_mov_b32_e32 v13, 0
	s_mov_b32 s14, exec_lo
	v_cmp_le_u32_e32 vcc_lo, s36, v3
	v_cmpx_gt_u32_e64 s36, v3
	s_cbranch_execz .LBB117_22
; %bb.21:                               ;   in Loop: Header=BB117_20 Depth=2
	v_lshlrev_b64 v[15:16], 1, v[8:9]
	v_add_co_u32 v15, s6, s42, v15
	v_add_co_ci_u32_e64 v16, null, s48, v16, s6
	global_load_ushort v13, v[15:16], off
.LBB117_22:                             ;   in Loop: Header=BB117_20 Depth=2
	s_or_b32 exec_lo, exec_lo, s14
	s_waitcnt vmcnt(0)
	v_cmp_lt_i16_e64 s6, -1, v4
	v_lshlrev_b32_e32 v16, 16, v4
	v_cndmask_b32_e64 v15, 0xffff, v35, s6
	v_cmp_o_f32_e64 s6, v16, v16
	v_xor_b32_sdwa v15, v15, v4 dst_sel:DWORD dst_unused:UNUSED_PAD src0_sel:DWORD src1_sel:WORD_0
	v_cndmask_b32_e64 v15, 0xffff, v15, s6
	v_and_b32_e32 v15, v15, v37
	v_cmp_eq_u32_e64 s6, v15, v27
	s_cmp_lg_u32 s6, 0
	s_cselect_b32 s14, -1, 0
	s_and_b32 s14, s0, s14
	s_and_saveexec_b32 s18, s14
	s_cbranch_execz .LBB117_26
; %bb.23:                               ;   in Loop: Header=BB117_20 Depth=2
	s_mov_b32 s21, exec_lo
	s_bcnt1_i32_b32 s19, s6
	v_mbcnt_lo_u32_b32 v14, s21, 0
	s_mov_b32 s20, exec_lo
                                        ; implicit-def: $vgpr15
	v_cmpx_eq_u32_e32 0, v14
; %bb.24:                               ;   in Loop: Header=BB117_20 Depth=2
	s_bcnt1_i32_b32 s14, s21
	s_mul_i32 s14, s19, s14
	v_mov_b32_e32 v15, s14
	ds_add_rtn_u32 v15, v9, v15 offset:4104
; %bb.25:                               ;   in Loop: Header=BB117_20 Depth=2
	s_or_b32 exec_lo, exec_lo, s20
	s_waitcnt lgkmcnt(0)
	v_readfirstlane_b32 s14, v15
	v_mad_u32_u24 v14, s19, v14, s14
.LBB117_26:                             ;   in Loop: Header=BB117_20 Depth=2
	s_or_b32 exec_lo, exec_lo, s18
	ds_bpermute_b32 v14, v9, v14
	s_and_b32 s14, exec_lo, vcc_lo
	s_or_b32 s17, s14, s17
	s_and_saveexec_b32 s14, s6
	s_cbranch_execz .LBB117_19
; %bb.27:                               ;   in Loop: Header=BB117_20 Depth=2
	v_and_b32_e32 v15, s6, v17
	v_bcnt_u32_b32 v15, v15, 0
	v_lshlrev_b32_e32 v15, 1, v15
	s_waitcnt lgkmcnt(0)
	v_lshl_add_u32 v14, v14, 1, v15
	ds_write_b16 v14, v4
	s_branch .LBB117_19
.LBB117_28:                             ;   in Loop: Header=BB117_15 Depth=1
	s_mov_b32 s16, -1
	s_mov_b32 s6, 0
.LBB117_29:                             ;   in Loop: Header=BB117_15 Depth=1
	s_and_b32 vcc_lo, exec_lo, s16
	s_cbranch_vccz .LBB117_58
.LBB117_30:                             ;   in Loop: Header=BB117_15 Depth=1
	s_and_saveexec_b32 s14, s1
	s_cbranch_execz .LBB117_55
; %bb.31:                               ;   in Loop: Header=BB117_15 Depth=1
	global_load_ushort v1, v9, s[38:39]
	global_load_ushort v40, v[5:6], off
	v_mov_b32_e32 v2, v0
	s_mov_b32 s16, exec_lo
	s_waitcnt vmcnt(1)
	v_add_nc_u32_e32 v13, v0, v1
	v_readfirstlane_b32 s17, v1
	v_cmpx_gt_u32_e64 s36, v13
	s_cbranch_execz .LBB117_54
; %bb.32:                               ;   in Loop: Header=BB117_15 Depth=1
	s_mov_b32 s6, 0
	s_mul_i32 s18, s40, s17
                                        ; implicit-def: $vgpr2
                                        ; implicit-def: $vgpr1
                                        ; implicit-def: $vgpr3
	s_and_saveexec_b32 s19, s7
	s_xor_b32 s19, exec_lo, s19
	s_cbranch_execnz .LBB117_38
; %bb.33:                               ;   in Loop: Header=BB117_15 Depth=1
	s_andn2_saveexec_b32 s19, s19
	s_cbranch_execnz .LBB117_49
.LBB117_34:                             ;   in Loop: Header=BB117_15 Depth=1
	s_or_b32 exec_lo, exec_lo, s19
	s_and_saveexec_b32 s18, s6
	s_cbranch_execnz .LBB117_50
	s_branch .LBB117_53
.LBB117_35:                             ;   in Loop: Header=BB117_15 Depth=1
	s_or_b32 exec_lo, exec_lo, s17
	s_waitcnt lgkmcnt(0)
	s_barrier
	buffer_gl0_inv
	s_and_saveexec_b32 s6, s3
	s_cbranch_execz .LBB117_37
; %bb.36:                               ;   in Loop: Header=BB117_15 Depth=1
	ds_read_b32 v1, v9 offset:4104
	s_waitcnt lgkmcnt(0)
	ds_write_b32 v9, v1 offset:4096
.LBB117_37:                             ;   in Loop: Header=BB117_15 Depth=1
	s_or_b32 exec_lo, exec_lo, s6
	s_waitcnt lgkmcnt(0)
	s_mov_b32 s6, -1
	s_barrier
	s_and_b32 vcc_lo, exec_lo, s16
	s_cbranch_vccnz .LBB117_30
	s_branch .LBB117_58
.LBB117_38:                             ;   in Loop: Header=BB117_15 Depth=1
	v_cvt_f32_u32_e32 v1, s17
	v_add_nc_u32_e32 v2, s17, v13
	s_sub_i32 s6, 0, s17
	s_not_b32 s20, s18
	v_rcp_iflag_f32_e32 v1, v1
	v_max_u32_e32 v2, s36, v2
	v_sub_nc_u32_e32 v2, v2, v0
	v_mul_f32_e32 v1, 0x4f7ffffe, v1
	v_cvt_u32_f32_e32 v1, v1
	v_mul_lo_u32 v3, s6, v1
	s_lshl_b32 s6, s17, 1
	v_cmp_ne_u32_e32 vcc_lo, s6, v2
	v_cndmask_b32_e64 v4, 0, 1, vcc_lo
	v_mul_hi_u32 v3, v1, v3
	v_or_b32_e32 v4, s6, v4
	v_add_nc_u32_e32 v1, v1, v3
	v_sub_nc_u32_e32 v2, v2, v4
	v_mul_hi_u32 v1, v2, v1
	v_mul_lo_u32 v3, v1, s17
	v_sub_nc_u32_e32 v2, v2, v3
	v_add_nc_u32_e32 v3, 1, v1
	v_subrev_nc_u32_e32 v4, s17, v2
	v_cmp_le_u32_e64 s6, s17, v2
	v_cndmask_b32_e64 v1, v1, v3, s6
	v_cndmask_b32_e64 v2, v2, v4, s6
	v_add_nc_u32_e32 v3, 1, v1
	v_cmp_le_u32_e64 s6, s17, v2
	v_mul_lo_u32 v2, s40, v13
	v_cndmask_b32_e64 v1, v1, v3, s6
	s_abs_i32 s6, s18
	v_add_co_ci_u32_e64 v1, null, 0, v1, vcc_lo
	v_mul_hi_u32 v3, s6, v1
	v_mul_lo_u32 v1, s6, v1
	s_ashr_i32 s6, s20, 31
	s_cmp_eq_u32 s17, 1
	v_xor_b32_e32 v2, s6, v2
	s_cselect_b32 s20, -1, 0
	v_cmp_eq_u32_e32 vcc_lo, 0, v3
	v_cmp_le_u32_e64 s6, v1, v2
	v_mov_b32_e32 v1, v0
                                        ; implicit-def: $vgpr2
	s_and_b32 s20, vcc_lo, s20
	s_and_b32 s21, s20, s6
	s_mov_b32 s20, -1
	s_and_saveexec_b32 s6, s21
	s_cbranch_execz .LBB117_48
; %bb.39:                               ;   in Loop: Header=BB117_15 Depth=1
	v_add_nc_u32_e32 v14, 1, v13
	s_waitcnt vmcnt(0)
	v_lshlrev_b32_e32 v1, 16, v40
	v_mov_b32_e32 v8, 0
                                        ; implicit-def: $vgpr40
	v_mov_b32_e32 v16, v14
	v_mov_b32_e32 v15, v13
	s_and_saveexec_b32 s20, s8
	s_cbranch_execz .LBB117_43
; %bb.40:                               ;   in Loop: Header=BB117_15 Depth=1
	v_mov_b32_e32 v16, v14
	v_mov_b32_e32 v41, v26
	;; [unrolled: 1-line block ×4, first 2 shown]
	s_mov_b32 s21, 0
	s_mov_b32 s22, 0
.LBB117_41:                             ;   Parent Loop BB117_15 Depth=1
                                        ; =>  This Inner Loop Header: Depth=2
	v_add_nc_u32_e32 v4, 2, v16
	v_mul_lo_u32 v8, v15, s40
	v_add_nc_u32_e32 v14, 4, v16
	v_mul_lo_u32 v2, v16, s41
	;; [unrolled: 2-line block ×3, first 2 shown]
	v_mov_b32_e32 v3, v9
	v_add_nc_u32_e32 v49, 8, v16
	v_mul_lo_u32 v45, v14, s41
	v_mov_b32_e32 v44, v9
	v_add_nc_u32_e32 v51, 10, v16
	v_mul_lo_u32 v47, v40, s41
	v_lshlrev_b64 v[53:54], 1, v[8:9]
	v_mov_b32_e32 v46, v9
	v_mul_lo_u32 v49, v49, s41
	v_lshlrev_b64 v[2:3], 1, v[2:3]
	v_mov_b32_e32 v48, v9
	;; [unrolled: 3-line block ×3, first 2 shown]
	v_lshlrev_b64 v[45:46], 1, v[45:46]
	v_add_co_u32 v53, vcc_lo, s42, v53
	v_mov_b32_e32 v52, v9
	v_lshlrev_b64 v[47:48], 1, v[47:48]
	v_add_co_ci_u32_e64 v54, null, s48, v54, vcc_lo
	v_add_co_u32 v2, vcc_lo, s42, v2
	v_lshlrev_b64 v[49:50], 1, v[49:50]
	v_add_co_ci_u32_e64 v3, null, s48, v3, vcc_lo
	v_add_co_u32 v43, vcc_lo, s42, v43
	;; [unrolled: 3-line block ×3, first 2 shown]
	v_add_co_ci_u32_e64 v46, null, s48, v46, vcc_lo
	v_add_co_u32 v47, vcc_lo, s42, v47
	v_lshrrev_b32_e32 v1, 16, v1
	v_add_co_ci_u32_e64 v48, null, s48, v48, vcc_lo
	v_add_co_u32 v49, vcc_lo, s42, v49
	v_add_co_ci_u32_e64 v50, null, s48, v50, vcc_lo
	v_add_co_u32 v51, vcc_lo, s42, v51
	v_add_co_ci_u32_e64 v52, null, s48, v52, vcc_lo
	s_clause 0x6
	global_load_short_d16_hi v1, v[53:54], off
	global_load_ushort v2, v[2:3], off
	global_load_ushort v3, v[43:44], off
	;; [unrolled: 1-line block ×6, first 2 shown]
	v_add_nc_u32_e32 v8, 2, v15
	v_add_nc_u32_e32 v46, 12, v16
	;; [unrolled: 1-line block ×4, first 2 shown]
	v_mov_b32_e32 v47, v9
	v_mul_lo_u32 v8, v8, s40
	v_mul_lo_u32 v46, v46, s41
	;; [unrolled: 1-line block ×3, first 2 shown]
	v_mov_b32_e32 v49, v9
	v_add_nc_u32_e32 v40, 6, v15
	v_add_nc_u32_e32 v54, 8, v15
	;; [unrolled: 1-line block ×4, first 2 shown]
	v_lshlrev_b64 v[50:51], 1, v[8:9]
	v_mul_lo_u32 v8, v14, s40
	v_lshlrev_b64 v[46:47], 1, v[46:47]
	v_lshlrev_b64 v[48:49], 1, v[48:49]
	v_add_nc_u32_e32 v60, 14, v15
	v_add_nc_u32_e32 v41, -8, v41
	s_add_i32 s22, s22, 16
	v_add_nc_u32_e32 v16, 16, v16
	v_add_co_u32 v46, vcc_lo, s42, v46
	v_lshlrev_b64 v[52:53], 1, v[8:9]
	v_mul_lo_u32 v8, v40, s40
	v_add_co_ci_u32_e64 v47, null, s48, v47, vcc_lo
	v_add_co_u32 v48, vcc_lo, s42, v48
	v_add_co_ci_u32_e64 v49, null, s48, v49, vcc_lo
	v_add_co_u32 v50, vcc_lo, s42, v50
	v_add_co_ci_u32_e64 v51, null, s48, v51, vcc_lo
	global_load_ushort v14, v[46:47], off
	v_add_co_u32 v46, vcc_lo, s42, v52
	v_add_co_ci_u32_e64 v47, null, s48, v53, vcc_lo
	v_lshlrev_b64 v[52:53], 1, v[8:9]
	v_mul_lo_u32 v8, v54, s40
	v_add_nc_u32_e32 v15, 16, v15
	v_add_co_u32 v52, vcc_lo, s42, v52
	v_add_co_ci_u32_e64 v53, null, s48, v53, vcc_lo
	v_lshlrev_b64 v[54:55], 1, v[8:9]
	v_mul_lo_u32 v8, v56, s40
	v_add_co_u32 v54, vcc_lo, s42, v54
	v_add_co_ci_u32_e64 v55, null, s48, v55, vcc_lo
	v_lshlrev_b64 v[56:57], 1, v[8:9]
	v_mul_lo_u32 v8, v58, s40
	;; [unrolled: 4-line block ×3, first 2 shown]
	v_add_co_u32 v58, vcc_lo, s42, v58
	v_add_co_ci_u32_e64 v59, null, s48, v59, vcc_lo
	v_lshlrev_b64 v[60:61], 1, v[8:9]
	v_mov_b32_e32 v8, s22
	v_add_co_u32 v60, vcc_lo, s42, v60
	v_add_co_ci_u32_e64 v61, null, s48, v61, vcc_lo
	v_cmp_eq_u32_e32 vcc_lo, 0, v41
	s_clause 0x7
	global_load_short_d16_hi v2, v[50:51], off
	global_load_short_d16_hi v3, v[46:47], off
	;; [unrolled: 1-line block ×3, first 2 shown]
	global_load_ushort v47, v[60:61], off
	global_load_short_d16_hi v43, v[54:55], off
	global_load_short_d16_hi v44, v[56:57], off
	;; [unrolled: 1-line block ×3, first 2 shown]
	global_load_ushort v40, v[48:49], off
	s_or_b32 s21, vcc_lo, s21
	s_waitcnt vmcnt(5)
	ds_write_b128 v42, v[1:4]
	s_waitcnt vmcnt(4)
	v_perm_b32 v46, v47, v14, 0x5040100
	s_waitcnt vmcnt(0)
	v_perm_b32 v1, v40, v47, 0x5040100
	ds_write_b128 v42, v[43:46] offset:16
	v_add_nc_u32_e32 v42, 32, v42
	s_andn2_b32 exec_lo, exec_lo, s21
	s_cbranch_execnz .LBB117_41
; %bb.42:                               ;   in Loop: Header=BB117_15 Depth=1
	s_or_b32 exec_lo, exec_lo, s21
.LBB117_43:                             ;   in Loop: Header=BB117_15 Depth=1
	s_or_b32 exec_lo, exec_lo, s20
	s_and_saveexec_b32 s20, s9
	s_cbranch_execz .LBB117_47
; %bb.44:                               ;   in Loop: Header=BB117_15 Depth=1
	v_lshl_add_u32 v2, v8, 1, v20
	v_mov_b32_e32 v3, v28
	s_mov_b32 s21, 0
	s_inst_prefetch 0x1
	.p2align	6
.LBB117_45:                             ;   Parent Loop BB117_15 Depth=1
                                        ; =>  This Inner Loop Header: Depth=2
	v_mul_lo_u32 v8, v15, s40
	v_mul_lo_u32 v40, v16, s41
	v_mov_b32_e32 v41, v9
	v_add_nc_u32_e32 v3, -4, v3
	v_add_nc_u32_e32 v16, 2, v16
	v_add_nc_u32_e32 v15, 2, v15
	v_lshlrev_b64 v[42:43], 1, v[8:9]
	v_lshlrev_b64 v[40:41], 1, v[40:41]
	v_add_co_u32 v42, vcc_lo, s42, v42
	v_add_co_ci_u32_e64 v43, null, s48, v43, vcc_lo
	v_add_co_u32 v40, vcc_lo, s42, v40
	v_add_co_ci_u32_e64 v41, null, s48, v41, vcc_lo
	s_clause 0x1
	global_load_ushort v4, v[42:43], off
	global_load_ushort v40, v[40:41], off
	v_cmp_eq_u32_e32 vcc_lo, 0, v3
	s_or_b32 s21, vcc_lo, s21
	s_waitcnt vmcnt(1)
	v_alignbit_b32 v1, v4, v1, 16
	s_waitcnt vmcnt(0)
	v_perm_b32 v4, v40, v4, 0x5040100
	ds_write_b32 v2, v1
	v_add_nc_u32_e32 v2, 4, v2
	v_mov_b32_e32 v1, v4
	s_andn2_b32 exec_lo, exec_lo, s21
	s_cbranch_execnz .LBB117_45
; %bb.46:                               ;   in Loop: Header=BB117_15 Depth=1
	s_inst_prefetch 0x2
	s_or_b32 exec_lo, exec_lo, s21
.LBB117_47:                             ;   in Loop: Header=BB117_15 Depth=1
	s_or_b32 exec_lo, exec_lo, s20
	v_add_nc_u32_e32 v13, v13, v23
	v_mov_b32_e32 v1, v24
	s_orn2_b32 s20, s10, exec_lo
	v_add_nc_u32_e32 v2, -1, v13
.LBB117_48:                             ;   in Loop: Header=BB117_15 Depth=1
	s_or_b32 exec_lo, exec_lo, s6
	v_mov_b32_e32 v3, s18
	s_and_b32 s6, s20, exec_lo
	s_andn2_saveexec_b32 s19, s19
	s_cbranch_execz .LBB117_34
.LBB117_49:                             ;   in Loop: Header=BB117_15 Depth=1
	v_mov_b32_e32 v3, s18
	v_mov_b32_e32 v1, v0
	s_or_b32 s6, s6, exec_lo
	s_or_b32 exec_lo, exec_lo, s19
	s_and_saveexec_b32 s18, s6
	s_cbranch_execz .LBB117_53
.LBB117_50:                             ;   in Loop: Header=BB117_15 Depth=1
	v_mul_lo_u32 v8, s40, v13
	s_mov_b32 s19, 0
	s_sub_i32 s6, 0, s17
	.p2align	6
.LBB117_51:                             ;   Parent Loop BB117_15 Depth=1
                                        ; =>  This Inner Loop Header: Depth=2
	v_lshlrev_b64 v[14:15], 1, v[8:9]
	s_waitcnt vmcnt(0)
	v_mov_b32_e32 v2, v40
	v_mov_b32_e32 v4, v13
	v_add_nc_u32_e32 v8, v8, v3
	v_add_co_u32 v14, vcc_lo, s42, v14
	v_add_co_ci_u32_e64 v15, null, s48, v15, vcc_lo
	v_add_nc_u32_e32 v13, s17, v4
	global_load_ushort v40, v[14:15], off
	v_lshlrev_b32_e32 v14, 1, v1
	v_cmp_le_u32_e32 vcc_lo, s36, v13
	v_mov_b32_e32 v1, v4
	ds_write_b16 v14, v2
	s_or_b32 s19, vcc_lo, s19
	s_andn2_b32 exec_lo, exec_lo, s19
	s_cbranch_execnz .LBB117_51
; %bb.52:                               ;   in Loop: Header=BB117_15 Depth=1
	s_or_b32 exec_lo, exec_lo, s19
	v_add_nc_u32_e32 v2, s6, v13
.LBB117_53:                             ;   in Loop: Header=BB117_15 Depth=1
	s_or_b32 exec_lo, exec_lo, s18
.LBB117_54:                             ;   in Loop: Header=BB117_15 Depth=1
	s_or_b32 exec_lo, exec_lo, s16
	v_lshlrev_b32_e32 v1, 1, v2
	s_waitcnt vmcnt(0)
	ds_write_b16 v1, v40
.LBB117_55:                             ;   in Loop: Header=BB117_15 Depth=1
	s_or_b32 exec_lo, exec_lo, s14
	s_waitcnt lgkmcnt(0)
	s_barrier
	buffer_gl0_inv
	s_and_saveexec_b32 s6, s3
; %bb.56:                               ;   in Loop: Header=BB117_15 Depth=1
	v_mov_b32_e32 v1, s36
	ds_write_b32 v9, v1 offset:4096
; %bb.57:                               ;   in Loop: Header=BB117_15 Depth=1
	s_or_b32 exec_lo, exec_lo, s6
	s_mov_b32 s6, -1
	s_waitcnt lgkmcnt(0)
	s_barrier
.LBB117_58:                             ;   in Loop: Header=BB117_15 Depth=1
	s_and_b32 vcc_lo, exec_lo, s6
	s_mov_b32 s86, 0
	s_cbranch_vccz .LBB117_60
; %bb.59:                               ;   in Loop: Header=BB117_15 Depth=1
	buffer_gl0_inv
	ds_read_b32 v1, v9 offset:4096
	s_waitcnt lgkmcnt(0)
	v_readfirstlane_b32 s86, v1
.LBB117_60:                             ;   in Loop: Header=BB117_15 Depth=1
	s_cmp_lt_i32 s86, 1
	s_mov_b32 s6, -1
                                        ; implicit-def: $vgpr1
	s_cbranch_scc1 .LBB117_70
; %bb.61:                               ;   in Loop: Header=BB117_15 Depth=1
	s_and_b32 vcc_lo, exec_lo, s6
	s_cbranch_vccnz .LBB117_81
.LBB117_62:                             ;   in Loop: Header=BB117_15 Depth=1
	s_lshl_b32 s6, s75, 7
	s_and_saveexec_b32 s14, s0
.LBB117_63:                             ;   in Loop: Header=BB117_15 Depth=1
	v_lshl_add_u32 v8, s6, 2, v22
	ds_write_b128 v8, v[1:4]
.LBB117_64:                             ;   in Loop: Header=BB117_15 Depth=1
	s_or_b32 exec_lo, exec_lo, s14
	s_waitcnt lgkmcnt(0)
	s_barrier
	buffer_gl0_inv
	s_and_saveexec_b32 s14, s59
	s_cbranch_execz .LBB117_94
; %bb.65:                               ;   in Loop: Header=BB117_15 Depth=1
	v_mov_b32_e32 v1, 0
	s_andn2_b32 vcc_lo, exec_lo, s61
	s_cbranch_vccnz .LBB117_93
; %bb.66:                               ;   in Loop: Header=BB117_15 Depth=1
	s_andn2_b32 vcc_lo, exec_lo, s64
	s_cbranch_vccnz .LBB117_90
; %bb.67:                               ;   in Loop: Header=BB117_15 Depth=1
	v_lshl_add_u32 v2, s75, 9, v34
	v_mov_b32_e32 v1, 0
	s_mov_b32 s16, 0
	.p2align	6
.LBB117_68:                             ;   Parent Loop BB117_15 Depth=1
                                        ; =>  This Inner Loop Header: Depth=2
	ds_read2_b32 v[3:4], v2 offset1:4
	ds_read2_b32 v[13:14], v2 offset0:8 offset1:12
	ds_read2_b32 v[15:16], v2 offset0:16 offset1:20
	;; [unrolled: 1-line block ×3, first 2 shown]
	v_add_nc_u32_e32 v2, 0x80, v2
	s_add_i32 s16, s16, 8
	s_cmp_eq_u32 s58, s16
	s_waitcnt lgkmcnt(3)
	v_add3_u32 v1, v3, v1, v4
	s_waitcnt lgkmcnt(2)
	v_add3_u32 v1, v13, v1, v14
	;; [unrolled: 2-line block ×4, first 2 shown]
	s_cbranch_scc0 .LBB117_68
; %bb.69:                               ;   in Loop: Header=BB117_15 Depth=1
	s_mov_b32 s16, s58
	s_andn2_b32 vcc_lo, exec_lo, s65
	s_cbranch_vccz .LBB117_91
	s_branch .LBB117_93
.LBB117_70:                             ;   in Loop: Header=BB117_15 Depth=1
	v_mov_b32_e32 v1, 0
	v_mov_b32_e32 v2, 0
	v_mov_b32_e32 v3, 0
	v_mov_b32_e32 v4, 0
	s_and_saveexec_b32 s25, s11
	s_cbranch_execz .LBB117_74
; %bb.71:                               ;   in Loop: Header=BB117_15 Depth=1
	v_mov_b32_e32 v13, v18
	s_mov_b32 s26, 0
	s_mov_b32 s27, 0
	s_mov_b32 s28, 0
	s_mov_b32 s29, 0
	s_mov_b32 s30, 0
	s_mov_b32 s31, 0
.LBB117_72:                             ;   Parent Loop BB117_15 Depth=1
                                        ; =>  This Inner Loop Header: Depth=2
	v_add_nc_u32_e32 v8, s27, v31
	v_add_nc_u32_e32 v13, s57, v13
	v_lshlrev_b64 v[1:2], 1, v[8:9]
	v_add_nc_u32_e32 v8, s27, v12
	v_lshlrev_b64 v[3:4], 1, v[8:9]
	v_add_nc_u32_e32 v8, s27, v29
	v_add_co_u32 v1, vcc_lo, s42, v1
	v_add_co_ci_u32_e64 v2, null, s48, v2, vcc_lo
	v_lshlrev_b64 v[14:15], 1, v[8:9]
	v_add_nc_u32_e32 v8, s27, v30
	s_add_i32 s27, s27, s70
	global_load_ushort v16, v[1:2], off
	v_add_co_u32 v1, vcc_lo, s42, v3
	v_add_co_ci_u32_e64 v2, null, s48, v4, vcc_lo
	v_add_co_u32 v14, vcc_lo, s42, v14
	v_add_co_ci_u32_e64 v15, null, s48, v15, vcc_lo
	v_lshlrev_b64 v[3:4], 1, v[8:9]
	s_clause 0x1
	global_load_ushort v8, v[1:2], off
	global_load_ushort v14, v[14:15], off
	v_add_co_u32 v1, vcc_lo, s42, v3
	v_add_co_ci_u32_e64 v2, null, s48, v4, vcc_lo
	v_cmp_le_u32_e32 vcc_lo, s67, v13
	global_load_ushort v1, v[1:2], off
	s_waitcnt vmcnt(3)
	v_cmp_lt_i16_e64 s6, -1, v16
	v_lshlrev_b32_e32 v3, 16, v16
	v_cndmask_b32_e64 v2, 0xffff, v35, s6
	s_waitcnt vmcnt(2)
	v_cmp_lt_i16_e64 s6, -1, v8
	v_xor_b32_sdwa v2, v2, v16 dst_sel:DWORD dst_unused:UNUSED_PAD src0_sel:DWORD src1_sel:WORD_0
	s_waitcnt vmcnt(1)
	v_cmp_lt_i16_e64 s14, -1, v14
	v_lshlrev_b32_e32 v15, 16, v14
	v_cndmask_b32_e64 v4, 0xffff, v35, s6
	v_cmp_o_f32_e64 s6, v3, v3
	v_lshlrev_b32_e32 v3, 16, v8
	v_xor_b32_sdwa v4, v4, v8 dst_sel:DWORD dst_unused:UNUSED_PAD src0_sel:DWORD src1_sel:WORD_0
	v_cndmask_b32_e64 v2, 0xffff, v2, s6
	v_cmp_o_f32_e64 s6, v3, v3
	v_cndmask_b32_e64 v8, 0xffff, v35, s14
	v_and_b32_e32 v16, v2, v37
	v_cndmask_b32_e64 v3, 0xffff, v4, s6
	s_waitcnt vmcnt(0)
	v_cmp_lt_i16_e64 s6, -1, v1
	v_xor_b32_sdwa v4, v8, v14 dst_sel:DWORD dst_unused:UNUSED_PAD src0_sel:DWORD src1_sel:WORD_0
	v_bfe_u32 v2, v2, s79, 2
	v_lshlrev_b32_e32 v14, 16, v1
	v_cndmask_b32_e64 v8, 0xffff, v35, s6
	v_cmp_o_f32_e64 s6, v15, v15
	v_cmp_eq_u32_e64 s14, 0, v2
	v_cmp_eq_u32_e64 s16, 1, v2
	v_cmp_o_f32_e64 s19, v14, v14
	v_xor_b32_sdwa v1, v8, v1 dst_sel:DWORD dst_unused:UNUSED_PAD src0_sel:DWORD src1_sel:WORD_0
	v_cndmask_b32_e64 v4, 0xffff, v4, s6
	v_cmp_eq_u32_e64 s6, v16, v27
	v_and_b32_e32 v8, v3, v37
	v_bfe_u32 v3, v3, s79, 2
	v_cmp_eq_u32_e64 s17, 2, v2
	v_cmp_eq_u32_e64 s18, 3, v2
	s_and_b32 s14, s6, s14
	v_cndmask_b32_e64 v1, 0xffff, v1, s19
	v_cmp_eq_u32_e64 s19, v8, v27
	v_cmp_eq_u32_e64 s20, 0, v3
	v_cndmask_b32_e64 v8, 0, 1, s14
	v_cmp_eq_u32_e64 s14, 1, v3
	s_and_b32 s16, s6, s16
	v_and_b32_e32 v2, v4, v37
	v_bfe_u32 v4, v4, s79, 2
	v_cndmask_b32_e64 v14, 0, 1, s16
	v_cmp_eq_u32_e64 s16, 2, v3
	s_and_b32 s17, s6, s17
	s_and_b32 s6, s6, s18
	v_cndmask_b32_e64 v15, 0, 1, s17
	s_and_b32 s20, s19, s20
	s_and_b32 s14, s19, s14
	v_cmp_eq_u32_e64 s17, 3, v3
	v_cndmask_b32_e64 v3, 0, 1, s6
	v_cmp_eq_u32_e64 s6, v2, v27
	v_cmp_eq_u32_e64 s18, 0, v4
	v_cmp_ne_u32_e64 s21, 0, v8
	v_cndmask_b32_e64 v8, 0, 1, s20
	v_cmp_eq_u32_e64 s20, 1, v4
	v_cmp_ne_u32_e64 s22, 0, v14
	v_cndmask_b32_e64 v14, 0, 1, s14
	v_cmp_eq_u32_e64 s14, 2, v4
	s_and_b32 s16, s19, s16
	v_and_b32_e32 v2, v1, v37
	v_bfe_u32 v1, v1, s79, 2
	v_cmp_ne_u32_e64 s23, 0, v15
	v_cndmask_b32_e64 v15, 0, 1, s16
	v_cmp_eq_u32_e64 s16, 3, v4
	s_and_b32 s17, s19, s17
	s_and_b32 s18, s6, s18
	s_and_b32 s20, s6, s20
	s_and_b32 s14, s6, s14
	v_cmp_ne_u32_e64 s24, 0, v3
	v_cndmask_b32_e64 v3, 0, 1, s17
	v_cmp_eq_u32_e64 s17, v2, v27
	v_cmp_eq_u32_e64 s19, 0, v1
	s_bcnt1_i32_b32 s33, s21
	v_cmp_ne_u32_e64 s21, 0, v8
	v_cndmask_b32_e64 v2, 0, 1, s18
	v_cmp_eq_u32_e64 s18, 1, v1
	v_cndmask_b32_e64 v4, 0, 1, s20
	v_cmp_eq_u32_e64 s20, 2, v1
	;; [unrolled: 2-line block ×3, first 2 shown]
	s_and_b32 s6, s6, s16
	s_bcnt1_i32_b32 s88, s24
	v_cndmask_b32_e64 v1, 0, 1, s6
	v_cmp_ne_u32_e64 s24, 0, v3
	s_and_b32 s16, s17, s19
	s_and_b32 s18, s17, s18
	;; [unrolled: 1-line block ×4, first 2 shown]
	v_cmp_ne_u32_e64 s6, 0, v2
	v_cndmask_b32_e64 v2, 0, 1, s16
	v_cmp_ne_u32_e64 s16, 0, v4
	v_cndmask_b32_e64 v3, 0, 1, s18
	v_cndmask_b32_e64 v4, 0, 1, s19
	v_cmp_ne_u32_e64 s19, 0, v1
	v_cndmask_b32_e64 v1, 0, 1, s14
	s_bcnt1_i32_b32 s34, s22
	v_cmp_ne_u32_e64 s22, 0, v14
	s_bcnt1_i32_b32 s87, s23
	v_cmp_ne_u32_e64 s23, 0, v15
	s_add_i32 s28, s88, s28
	v_cmp_ne_u32_e64 s18, 0, v8
	s_bcnt1_i32_b32 s20, s24
	s_bcnt1_i32_b32 s24, s6
	s_add_i32 s20, s28, s20
	v_cmp_ne_u32_e64 s6, 0, v2
	s_bcnt1_i32_b32 s28, s16
	v_cmp_ne_u32_e64 s14, 0, v3
	v_cmp_ne_u32_e64 s16, 0, v4
	;; [unrolled: 1-line block ×3, first 2 shown]
	s_add_i32 s31, s33, s31
	s_add_i32 s30, s34, s30
	s_add_i32 s29, s87, s29
	s_bcnt1_i32_b32 s21, s21
	s_bcnt1_i32_b32 s22, s22
	;; [unrolled: 1-line block ×3, first 2 shown]
	s_add_i32 s21, s31, s21
	s_add_i32 s22, s30, s22
	;; [unrolled: 1-line block ×3, first 2 shown]
	s_bcnt1_i32_b32 s18, s18
	s_bcnt1_i32_b32 s19, s19
	s_add_i32 s21, s21, s24
	s_add_i32 s22, s22, s28
	s_add_i32 s18, s23, s18
	s_add_i32 s19, s20, s19
	s_bcnt1_i32_b32 s6, s6
	s_bcnt1_i32_b32 s14, s14
	;; [unrolled: 1-line block ×4, first 2 shown]
	s_add_i32 s31, s21, s6
	s_add_i32 s30, s22, s14
	;; [unrolled: 1-line block ×4, first 2 shown]
	v_mov_b32_e32 v1, s31
	v_mov_b32_e32 v2, s30
	;; [unrolled: 1-line block ×4, first 2 shown]
	s_or_b32 s26, vcc_lo, s26
	s_andn2_b32 exec_lo, exec_lo, s26
	s_cbranch_execnz .LBB117_72
; %bb.73:                               ;   in Loop: Header=BB117_15 Depth=1
	s_or_b32 exec_lo, exec_lo, s26
.LBB117_74:                             ;   in Loop: Header=BB117_15 Depth=1
	s_or_b32 exec_lo, exec_lo, s25
	s_and_saveexec_b32 s18, s12
	s_cbranch_execz .LBB117_80
; %bb.75:                               ;   in Loop: Header=BB117_15 Depth=1
	global_load_ushort v15, v[10:11], off
	v_mov_b32_e32 v8, v32
	v_mov_b32_e32 v13, v25
	s_mov_b32 s19, 0
	s_branch .LBB117_77
.LBB117_76:                             ;   in Loop: Header=BB117_77 Depth=2
	s_or_b32 exec_lo, exec_lo, s14
	s_waitcnt vmcnt(0)
	v_cmp_lt_i16_e64 s6, -1, v15
	v_lshlrev_b32_e32 v40, 16, v15
	s_and_b32 s14, exec_lo, vcc_lo
	v_add_nc_u32_e32 v8, s52, v8
	s_or_b32 s19, s14, s19
	v_cndmask_b32_e64 v16, 0xffff, v35, s6
	v_cmp_o_f32_e64 s6, v40, v40
	v_xor_b32_sdwa v15, v16, v15 dst_sel:DWORD dst_unused:UNUSED_PAD src0_sel:DWORD src1_sel:WORD_0
	v_cndmask_b32_e64 v15, 0xffff, v15, s6
	v_and_b32_e32 v16, v15, v37
	v_bfe_u32 v15, v15, s79, 2
	v_cmp_eq_u32_e32 vcc_lo, v16, v27
	v_cmp_eq_u32_e64 s6, 0, v15
	v_cmp_eq_u32_e64 s14, 1, v15
	;; [unrolled: 1-line block ×4, first 2 shown]
	s_and_b32 s6, vcc_lo, s6
	v_cndmask_b32_e64 v15, 0, 1, s6
	s_and_b32 s6, vcc_lo, s14
	v_cndmask_b32_e64 v16, 0, 1, s6
	;; [unrolled: 2-line block ×3, first 2 shown]
	s_and_b32 s6, vcc_lo, s17
	v_cmp_ne_u32_e32 vcc_lo, 0, v15
	v_cndmask_b32_e64 v41, 0, 1, s6
	v_cmp_ne_u32_e64 s6, 0, v16
	v_cmp_ne_u32_e64 s14, 0, v40
	v_mov_b32_e32 v15, v14
	s_bcnt1_i32_b32 s17, vcc_lo
	v_cmp_ne_u32_e64 s16, 0, v41
	s_bcnt1_i32_b32 s6, s6
	s_bcnt1_i32_b32 s14, s14
	v_add_nc_u32_e32 v1, s17, v1
	v_add_nc_u32_e32 v2, s6, v2
	s_bcnt1_i32_b32 s16, s16
	v_add_nc_u32_e32 v3, s14, v3
	v_add_nc_u32_e32 v4, s16, v4
	s_andn2_b32 exec_lo, exec_lo, s19
	s_cbranch_execz .LBB117_79
.LBB117_77:                             ;   Parent Loop BB117_15 Depth=1
                                        ; =>  This Inner Loop Header: Depth=2
	v_add_nc_u32_e32 v13, s50, v13
	v_mov_b32_e32 v14, 0
	s_mov_b32 s14, exec_lo
	v_cmp_le_u32_e32 vcc_lo, s36, v13
	v_cmpx_gt_u32_e64 s36, v13
	s_cbranch_execz .LBB117_76
; %bb.78:                               ;   in Loop: Header=BB117_77 Depth=2
	v_lshlrev_b64 v[40:41], 1, v[8:9]
	v_add_co_u32 v40, s6, s42, v40
	v_add_co_ci_u32_e64 v41, null, s48, v41, s6
	global_load_ushort v14, v[40:41], off
	s_branch .LBB117_76
.LBB117_79:                             ;   in Loop: Header=BB117_15 Depth=1
	s_or_b32 exec_lo, exec_lo, s19
.LBB117_80:                             ;   in Loop: Header=BB117_15 Depth=1
	s_or_b32 exec_lo, exec_lo, s18
	s_branch .LBB117_62
.LBB117_81:                             ;   in Loop: Header=BB117_15 Depth=1
	s_mul_hi_u32 s6, s86, s66
	v_mov_b32_e32 v1, 0
	s_mul_i32 s6, s6, s57
	v_mov_b32_e32 v2, 0
	s_sub_i32 s6, s86, s6
	v_mov_b32_e32 v3, 0
	s_sub_i32 s14, s6, s57
	s_cmp_ge_u32 s6, s57
	v_mov_b32_e32 v4, 0
	s_cselect_b32 s6, s14, s6
	s_mov_b32 s88, exec_lo
	s_sub_i32 s14, s6, s57
	s_cmp_ge_u32 s6, s57
	s_cselect_b32 s6, s14, s6
	s_sub_i32 s87, s86, s6
	v_cmpx_gt_u32_e64 s87, v18
	s_cbranch_execz .LBB117_85
; %bb.82:                               ;   in Loop: Header=BB117_15 Depth=1
	v_mov_b32_e32 v8, v33
	v_mov_b32_e32 v13, v18
	s_mov_b32 s89, 0
	s_mov_b32 s90, 0
	;; [unrolled: 1-line block ×5, first 2 shown]
.LBB117_83:                             ;   Parent Loop BB117_15 Depth=1
                                        ; =>  This Inner Loop Header: Depth=2
	ds_read_b64 v[1:2], v8
	v_add_nc_u32_e32 v13, s57, v13
	v_add_nc_u32_e32 v8, s71, v8
	v_cmp_le_u32_e32 vcc_lo, s87, v13
	s_waitcnt lgkmcnt(0)
	v_cmp_lt_i16_e64 s6, -1, v1
	v_lshlrev_b32_e32 v4, 16, v1
	v_and_b32_e32 v15, 0xffff0000, v1
	v_lshlrev_b32_e32 v40, 16, v2
	v_and_b32_e32 v42, 0xffff0000, v2
	v_cndmask_b32_e64 v3, 0xffff, v35, s6
	v_cmp_gt_i16_sdwa s6, v1, v36 src0_sel:WORD_1 src1_sel:DWORD
	v_cmp_o_f32_e64 s17, v4, v4
	v_cmp_o_f32_e64 s14, v40, v40
	v_cmp_o_f32_e64 s16, v42, v42
	v_xor_b32_sdwa v3, v3, v1 dst_sel:DWORD dst_unused:UNUSED_PAD src0_sel:DWORD src1_sel:WORD_0
	v_cndmask_b32_e64 v14, 0xffff, v35, s6
	v_cmp_lt_i16_e64 s6, -1, v2
	v_cndmask_b32_e64 v3, 0xffff, v3, s17
	v_xor_b32_sdwa v1, v14, v1 dst_sel:DWORD dst_unused:UNUSED_PAD src0_sel:DWORD src1_sel:WORD_1
	v_cndmask_b32_e64 v16, 0xffff, v35, s6
	v_cmp_gt_i16_sdwa s6, v2, v36 src0_sel:WORD_1 src1_sel:DWORD
	v_xor_b32_sdwa v14, v16, v2 dst_sel:DWORD dst_unused:UNUSED_PAD src0_sel:DWORD src1_sel:WORD_0
	v_cndmask_b32_e64 v41, 0xffff, v35, s6
	v_cmp_o_f32_e64 s6, v15, v15
	v_cndmask_b32_e64 v4, 0xffff, v14, s14
	v_xor_b32_sdwa v2, v41, v2 dst_sel:DWORD dst_unused:UNUSED_PAD src0_sel:DWORD src1_sel:WORD_1
	v_cndmask_b32_e64 v1, 0xffff, v1, s6
	v_and_b32_e32 v14, v3, v37
	v_bfe_u32 v3, v3, s79, 2
	v_and_b32_e32 v16, v4, v37
	v_cndmask_b32_e64 v2, 0xffff, v2, s16
	v_and_b32_e32 v15, v1, v37
	v_bfe_u32 v1, v1, s79, 2
	v_bfe_u32 v4, v4, s79, 2
	v_cmp_eq_u32_e64 s6, v14, v27
	v_cmp_eq_u32_e64 s18, 0, v3
	v_and_b32_e32 v40, v2, v37
	v_bfe_u32 v2, v2, s79, 2
	v_cmp_eq_u32_e64 s14, v15, v27
	v_cmp_eq_u32_e64 s19, 0, v1
	;; [unrolled: 1-line block ×4, first 2 shown]
	s_and_b32 s18, s6, s18
	v_cmp_eq_u32_e64 s17, v40, v27
	v_cmp_eq_u32_e64 s21, 0, v2
	;; [unrolled: 1-line block ×5, first 2 shown]
	v_cndmask_b32_e64 v1, 0, 1, s18
	s_and_b32 s18, s14, s19
	v_cmp_eq_u32_e64 s22, 1, v3
	v_cmp_eq_u32_e64 s25, 1, v2
	;; [unrolled: 1-line block ×4, first 2 shown]
	v_cndmask_b32_e64 v2, 0, 1, s18
	s_and_b32 s18, s16, s20
	v_cmp_eq_u32_e64 s26, 2, v3
	v_cmp_eq_u32_e64 s30, 3, v3
	v_cndmask_b32_e64 v3, 0, 1, s18
	s_and_b32 s18, s17, s21
	v_cmp_eq_u32_e64 s24, 1, v4
	v_cmp_eq_u32_e64 s28, 2, v4
	;; [unrolled: 1-line block ×3, first 2 shown]
	v_cndmask_b32_e64 v4, 0, 1, s18
	s_and_b32 s18, s6, s22
	v_cndmask_b32_e64 v14, 0, 1, s18
	s_and_b32 s18, s14, s23
	v_cndmask_b32_e64 v15, 0, 1, s18
	s_and_b32 s18, s16, s24
	v_cndmask_b32_e64 v16, 0, 1, s18
	s_and_b32 s18, s17, s25
	v_cmp_ne_u32_e64 s19, 0, v15
	v_cndmask_b32_e64 v40, 0, 1, s18
	s_and_b32 s18, s6, s26
	s_and_b32 s6, s6, s30
	v_cndmask_b32_e64 v41, 0, 1, s18
	s_and_b32 s18, s14, s27
	v_cndmask_b32_e64 v45, 0, 1, s6
	;; [unrolled: 2-line block ×7, first 2 shown]
	v_cndmask_b32_e64 v48, 0, 1, s6
	v_cmp_ne_u32_e64 s6, 0, v1
	v_cmp_ne_u32_e64 s18, 0, v14
	;; [unrolled: 1-line block ×11, first 2 shown]
	s_bcnt1_i32_b32 s6, s6
	s_bcnt1_i32_b32 s18, s18
	s_bcnt1_i32_b32 s22, s22
	s_bcnt1_i32_b32 s26, s26
	v_cmp_ne_u32_e64 s17, 0, v4
	v_cmp_ne_u32_e64 s21, 0, v40
	;; [unrolled: 1-line block ×4, first 2 shown]
	s_bcnt1_i32_b32 s14, s14
	s_bcnt1_i32_b32 s19, s19
	s_bcnt1_i32_b32 s23, s23
	s_bcnt1_i32_b32 s27, s27
	s_add_i32 s6, s6, s93
	s_add_i32 s18, s18, s92
	s_add_i32 s22, s22, s91
	s_add_i32 s26, s26, s90
	s_bcnt1_i32_b32 s16, s16
	s_bcnt1_i32_b32 s20, s20
	s_bcnt1_i32_b32 s24, s24
	s_bcnt1_i32_b32 s28, s28
	s_add_i32 s6, s6, s14
	s_add_i32 s14, s18, s19
	s_add_i32 s18, s22, s23
	s_add_i32 s19, s26, s27
	;; [unrolled: 8-line block ×3, first 2 shown]
	s_add_i32 s93, s6, s17
	s_add_i32 s92, s14, s21
	;; [unrolled: 1-line block ×4, first 2 shown]
	v_mov_b32_e32 v1, s93
	v_mov_b32_e32 v2, s92
	;; [unrolled: 1-line block ×4, first 2 shown]
	s_or_b32 s89, vcc_lo, s89
	s_andn2_b32 exec_lo, exec_lo, s89
	s_cbranch_execnz .LBB117_83
; %bb.84:                               ;   in Loop: Header=BB117_15 Depth=1
	s_or_b32 exec_lo, exec_lo, s89
.LBB117_85:                             ;   in Loop: Header=BB117_15 Depth=1
	s_or_b32 exec_lo, exec_lo, s88
	v_add_nc_u32_e32 v8, s87, v0
	s_mov_b32 s19, exec_lo
	v_cmpx_gt_u32_e64 s86, v8
	s_cbranch_execz .LBB117_89
; %bb.86:                               ;   in Loop: Header=BB117_15 Depth=1
	v_lshlrev_b32_e32 v13, 1, v8
	s_mov_b32 s20, 0
.LBB117_87:                             ;   Parent Loop BB117_15 Depth=1
                                        ; =>  This Inner Loop Header: Depth=2
	ds_read_u16 v14, v13
	v_add_nc_u32_e32 v8, s50, v8
	v_add_nc_u32_e32 v13, s72, v13
	v_cmp_le_u32_e32 vcc_lo, s86, v8
	s_waitcnt lgkmcnt(0)
	v_cmp_lt_i16_e64 s6, -1, v14
	v_lshlrev_b32_e32 v16, 16, v14
	v_cndmask_b32_e64 v15, 0xffff, v35, s6
	v_cmp_o_f32_e64 s6, v16, v16
	v_xor_b32_sdwa v14, v15, v14 dst_sel:DWORD dst_unused:UNUSED_PAD src0_sel:DWORD src1_sel:WORD_0
	v_cndmask_b32_e64 v14, 0xffff, v14, s6
	v_and_b32_e32 v15, v14, v37
	v_bfe_u32 v14, v14, s79, 2
	v_cmp_eq_u32_e64 s6, v15, v27
	v_cmp_eq_u32_e64 s14, 0, v14
	;; [unrolled: 1-line block ×5, first 2 shown]
	s_and_b32 s14, s6, s14
	v_cndmask_b32_e64 v14, 0, 1, s14
	s_and_b32 s14, s6, s16
	v_cndmask_b32_e64 v15, 0, 1, s14
	s_and_b32 s14, s6, s17
	s_and_b32 s6, s6, s18
	v_cndmask_b32_e64 v16, 0, 1, s14
	v_cndmask_b32_e64 v40, 0, 1, s6
	v_cmp_ne_u32_e64 s6, 0, v14
	v_cmp_ne_u32_e64 s14, 0, v15
	v_cmp_ne_u32_e64 s16, 0, v16
	v_cmp_ne_u32_e64 s17, 0, v40
	s_bcnt1_i32_b32 s6, s6
	s_bcnt1_i32_b32 s14, s14
	v_add_nc_u32_e32 v1, s6, v1
	s_bcnt1_i32_b32 s16, s16
	s_bcnt1_i32_b32 s17, s17
	v_add_nc_u32_e32 v2, s14, v2
	v_add_nc_u32_e32 v3, s16, v3
	;; [unrolled: 1-line block ×3, first 2 shown]
	s_or_b32 s20, vcc_lo, s20
	s_andn2_b32 exec_lo, exec_lo, s20
	s_cbranch_execnz .LBB117_87
; %bb.88:                               ;   in Loop: Header=BB117_15 Depth=1
	s_or_b32 exec_lo, exec_lo, s20
.LBB117_89:                             ;   in Loop: Header=BB117_15 Depth=1
	s_or_b32 exec_lo, exec_lo, s19
	s_lshl_b32 s6, s75, 7
	s_and_saveexec_b32 s14, s0
	s_cbranch_execnz .LBB117_63
	s_branch .LBB117_64
.LBB117_90:                             ;   in Loop: Header=BB117_15 Depth=1
	v_mov_b32_e32 v1, 0
	s_mov_b32 s16, 0
	s_andn2_b32 vcc_lo, exec_lo, s65
	s_cbranch_vccnz .LBB117_93
.LBB117_91:                             ;   in Loop: Header=BB117_15 Depth=1
	s_lshl_b32 s17, s75, 9
	s_lshl_b32 s16, s16, 4
	v_add3_u32 v2, s17, s16, v34
	s_mov_b32 s16, s63
.LBB117_92:                             ;   Parent Loop BB117_15 Depth=1
                                        ; =>  This Inner Loop Header: Depth=2
	ds_read_b32 v3, v2
	v_add_nc_u32_e32 v2, 16, v2
	s_add_i32 s16, s16, -1
	s_cmp_lg_u32 s16, 0
	s_waitcnt lgkmcnt(0)
	v_add_nc_u32_e32 v1, v3, v1
	s_cbranch_scc1 .LBB117_92
.LBB117_93:                             ;   in Loop: Header=BB117_15 Depth=1
	v_add_lshl_u32 v2, s6, v19, 2
	ds_write_b32 v2, v1 offset:3072
.LBB117_94:                             ;   in Loop: Header=BB117_15 Depth=1
	s_or_b32 exec_lo, exec_lo, s14
	s_lshl_b32 s6, s6, 2
	s_waitcnt lgkmcnt(0)
	v_mov_b32_e32 v1, s6
	s_barrier
	buffer_gl0_inv
	v_cmp_eq_u32_e64 s14, 1, v39
	s_lshl_b32 s18, 3, s79
	ds_read_b128 v[1:4], v1 offset:3072
	s_mov_b32 s27, -1
	s_not_b32 s19, s18
	s_mov_b32 s16, 0
	s_andn2_b32 vcc_lo, exec_lo, s56
	s_mov_b32 s24, 0
	s_mov_b32 s23, 0
                                        ; implicit-def: $sgpr25
                                        ; implicit-def: $sgpr26
                                        ; implicit-def: $vgpr8
	s_waitcnt lgkmcnt(0)
	v_readfirstlane_b32 s17, v1
	v_readfirstlane_b32 s20, v2
	;; [unrolled: 1-line block ×4, first 2 shown]
                                        ; implicit-def: $vgpr4
                                        ; implicit-def: $vgpr1
                                        ; implicit-def: $vgpr2
                                        ; implicit-def: $vgpr3
	s_cbranch_vccnz .LBB117_252
; %bb.95:                               ;   in Loop: Header=BB117_15 Depth=1
	s_cmp_eq_u32 s17, 1
	v_mov_b32_e32 v2, v27
	v_mov_b32_e32 v3, v37
	;; [unrolled: 1-line block ×3, first 2 shown]
	s_cselect_b32 s6, -1, 0
	s_mov_b32 s29, -1
	s_and_b32 s6, s6, s14
                                        ; implicit-def: $sgpr26
                                        ; implicit-def: $sgpr25
	s_and_saveexec_b32 s23, s6
	s_cbranch_execz .LBB117_121
; %bb.96:                               ;   in Loop: Header=BB117_15 Depth=1
	ds_read_b32 v1, v9 offset:4096
	s_waitcnt lgkmcnt(0)
	s_barrier
	buffer_gl0_inv
	v_readfirstlane_b32 s27, v1
	s_and_saveexec_b32 s24, s15
; %bb.97:                               ;   in Loop: Header=BB117_15 Depth=1
	ds_write_b16 v21, v9
; %bb.98:                               ;   in Loop: Header=BB117_15 Depth=1
	s_or_b32 exec_lo, exec_lo, s24
	v_and_b32_e32 v2, s19, v27
	v_or_b32_e32 v3, s18, v37
	s_mov_b32 s25, -1
	s_mov_b32 s26, 0
	s_cmp_eq_u32 s27, 0
	s_mov_b32 s24, 0
	s_mov_b32 s28, -1
	s_waitcnt lgkmcnt(0)
	s_barrier
	buffer_gl0_inv
                                        ; implicit-def: $vgpr8
	s_cbranch_scc1 .LBB117_109
; %bb.99:                               ;   in Loop: Header=BB117_15 Depth=1
	s_add_i32 s24, s27, s62
                                        ; implicit-def: $vgpr8
	s_mul_hi_u32 s28, s24, s68
	s_mul_i32 s28, s28, s50
	s_sub_i32 s28, s24, s28
	s_sub_i32 s29, s28, s50
	s_cmp_ge_u32 s28, s50
	s_cselect_b32 s28, s29, s28
	s_sub_i32 s29, s28, s50
	s_cmp_ge_u32 s28, s50
	s_cselect_b32 s28, s29, s28
	s_mov_b32 s29, exec_lo
	s_sub_i32 s30, s24, s28
	s_mov_b32 s28, 0
	s_mov_b32 s24, 0
	v_cmpx_gt_u32_e64 s30, v0
	s_cbranch_execz .LBB117_108
; %bb.100:                              ;   in Loop: Header=BB117_15 Depth=1
	v_mov_b32_e32 v1, v20
	v_mov_b32_e32 v4, v0
                                        ; implicit-def: $sgpr31
	s_branch .LBB117_103
.LBB117_101:                            ;   in Loop: Header=BB117_103 Depth=2
	s_or_b32 exec_lo, exec_lo, s33
	s_waitcnt lgkmcnt(0)
	s_barrier
	buffer_gl0_inv
	ds_read_b32 v8, v9 offset:3072
	s_mov_b32 s33, -1
	s_mov_b32 s34, -1
	s_waitcnt lgkmcnt(0)
	s_barrier
	buffer_gl0_inv
	v_and_b32_e32 v13, 0x7fff, v8
	v_cmp_ne_u32_e32 vcc_lo, 0, v13
	s_cbranch_vccz .LBB117_106
.LBB117_102:                            ;   in Loop: Header=BB117_103 Depth=2
	s_and_b32 s33, exec_lo, s33
	s_or_b32 s24, s33, s24
	s_andn2_b32 s31, s31, exec_lo
	s_and_b32 s33, s34, exec_lo
	s_or_b32 s31, s31, s33
	s_andn2_b32 exec_lo, exec_lo, s24
	s_cbranch_execz .LBB117_107
.LBB117_103:                            ;   Parent Loop BB117_15 Depth=1
                                        ; =>  This Inner Loop Header: Depth=2
	s_mov_b32 s33, exec_lo
	v_cmpx_gt_u32_e64 s27, v4
	s_cbranch_execz .LBB117_101
; %bb.104:                              ;   in Loop: Header=BB117_103 Depth=2
	ds_read_u16 v8, v1
	s_waitcnt lgkmcnt(0)
	v_cmp_lt_i16_e32 vcc_lo, -1, v8
	v_lshlrev_b32_e32 v14, 16, v8
	v_cndmask_b32_e32 v13, 0xffff, v35, vcc_lo
	v_cmp_o_f32_e32 vcc_lo, v14, v14
	v_xor_b32_sdwa v13, v13, v8 dst_sel:DWORD dst_unused:UNUSED_PAD src0_sel:DWORD src1_sel:WORD_0
	v_cndmask_b32_e32 v13, 0xffff, v13, vcc_lo
	v_and_b32_e32 v13, v13, v3
	v_cmp_eq_u32_e32 vcc_lo, v13, v2
	s_and_b32 exec_lo, exec_lo, vcc_lo
	s_cbranch_execz .LBB117_101
; %bb.105:                              ;   in Loop: Header=BB117_103 Depth=2
	v_perm_b32 v8, v8, s74, 0x5040100
	ds_write_b32 v9, v8 offset:3072
	s_branch .LBB117_101
.LBB117_106:                            ;   in Loop: Header=BB117_103 Depth=2
	v_add_nc_u32_e32 v4, s50, v4
	v_add_nc_u32_e32 v1, s72, v1
	s_mov_b32 s34, 0
	v_cmp_le_u32_e32 vcc_lo, s30, v4
	s_orn2_b32 s33, vcc_lo, exec_lo
	s_branch .LBB117_102
.LBB117_107:                            ;   in Loop: Header=BB117_15 Depth=1
	s_or_b32 exec_lo, exec_lo, s24
	v_lshrrev_b32_e32 v8, 16, v8
	s_and_b32 s24, s31, exec_lo
.LBB117_108:                            ;   in Loop: Header=BB117_15 Depth=1
	s_or_b32 exec_lo, exec_lo, s29
.LBB117_109:                            ;   in Loop: Header=BB117_15 Depth=1
	s_and_b32 vcc_lo, exec_lo, s28
	s_cbranch_vccz .LBB117_120
; %bb.110:                              ;   in Loop: Header=BB117_15 Depth=1
                                        ; implicit-def: $vgpr8
	s_and_saveexec_b32 s25, s13
	s_cbranch_execz .LBB117_119
; %bb.111:                              ;   in Loop: Header=BB117_15 Depth=1
	v_mov_b32_e32 v8, v7
	v_mov_b32_e32 v1, v0
	s_mov_b32 s26, 0
                                        ; implicit-def: $sgpr27
	s_branch .LBB117_114
.LBB117_112:                            ;   in Loop: Header=BB117_114 Depth=2
	s_or_b32 exec_lo, exec_lo, s28
	s_waitcnt lgkmcnt(0)
	s_barrier
	buffer_gl0_inv
	ds_read_b32 v4, v9 offset:3072
	s_mov_b32 s28, -1
	s_mov_b32 s29, -1
	s_waitcnt lgkmcnt(0)
	s_barrier
	buffer_gl0_inv
	v_and_b32_e32 v13, 0x7fff, v4
	v_cmp_ne_u32_e32 vcc_lo, 0, v13
	s_cbranch_vccz .LBB117_117
.LBB117_113:                            ;   in Loop: Header=BB117_114 Depth=2
	s_and_b32 s28, exec_lo, s28
	s_or_b32 s26, s28, s26
	s_andn2_b32 s27, s27, exec_lo
	s_and_b32 s28, s29, exec_lo
	s_or_b32 s27, s27, s28
	s_andn2_b32 exec_lo, exec_lo, s26
	s_cbranch_execz .LBB117_118
.LBB117_114:                            ;   Parent Loop BB117_15 Depth=1
                                        ; =>  This Inner Loop Header: Depth=2
	s_mov_b32 s28, exec_lo
	v_cmpx_gt_u32_e64 s36, v1
	s_cbranch_execz .LBB117_112
; %bb.115:                              ;   in Loop: Header=BB117_114 Depth=2
	v_lshlrev_b64 v[13:14], 1, v[8:9]
	v_add_co_u32 v13, vcc_lo, s42, v13
	v_add_co_ci_u32_e64 v14, null, s48, v14, vcc_lo
	global_load_ushort v4, v[13:14], off
	s_waitcnt vmcnt(0)
	v_cmp_lt_i16_e32 vcc_lo, -1, v4
	v_lshlrev_b32_e32 v14, 16, v4
	v_cndmask_b32_e32 v13, 0xffff, v35, vcc_lo
	v_cmp_o_f32_e32 vcc_lo, v14, v14
	v_xor_b32_sdwa v13, v13, v4 dst_sel:DWORD dst_unused:UNUSED_PAD src0_sel:DWORD src1_sel:WORD_0
	v_cndmask_b32_e32 v13, 0xffff, v13, vcc_lo
	v_and_b32_e32 v13, v13, v3
	v_cmp_eq_u32_e32 vcc_lo, v13, v2
	s_and_b32 exec_lo, exec_lo, vcc_lo
	s_cbranch_execz .LBB117_112
; %bb.116:                              ;   in Loop: Header=BB117_114 Depth=2
	v_perm_b32 v4, v4, s74, 0x5040100
	ds_write_b32 v9, v4 offset:3072
	s_branch .LBB117_112
.LBB117_117:                            ;   in Loop: Header=BB117_114 Depth=2
	v_add_nc_u32_e32 v1, s50, v1
	v_add_nc_u32_e32 v8, s52, v8
	s_mov_b32 s29, 0
	v_cmp_le_u32_e32 vcc_lo, s69, v1
	s_orn2_b32 s28, vcc_lo, exec_lo
	s_branch .LBB117_113
.LBB117_118:                            ;   in Loop: Header=BB117_15 Depth=1
	s_or_b32 exec_lo, exec_lo, s26
	v_lshrrev_b32_e32 v8, 16, v4
	s_andn2_b32 s24, s24, exec_lo
	s_and_b32 s26, s27, exec_lo
	s_or_b32 s24, s24, s26
.LBB117_119:                            ;   in Loop: Header=BB117_15 Depth=1
	s_or_b32 exec_lo, exec_lo, s25
	s_mov_b32 s25, 0
	s_mov_b32 s26, -1
.LBB117_120:                            ;   in Loop: Header=BB117_15 Depth=1
	s_orn2_b32 s29, s24, exec_lo
.LBB117_121:                            ;   in Loop: Header=BB117_15 Depth=1
	s_or_b32 exec_lo, exec_lo, s23
	s_mov_b32 s27, 0
	s_mov_b32 s24, 0
	;; [unrolled: 1-line block ×3, first 2 shown]
                                        ; implicit-def: $vgpr4
                                        ; implicit-def: $vgpr1
	s_and_saveexec_b32 s28, s29
	s_cbranch_execz .LBB117_251
; %bb.122:                              ;   in Loop: Header=BB117_15 Depth=1
	v_mov_b32_e32 v4, 1
	v_mov_b32_e32 v1, 1
	s_xor_b32 s23, s6, -1
	s_mov_b32 s30, 0
	s_and_saveexec_b32 s6, s23
	s_cbranch_execz .LBB117_131
; %bb.123:                              ;   in Loop: Header=BB117_15 Depth=1
	s_mov_b32 s23, exec_lo
	v_cmpx_ge_u32_e64 s17, v39
	s_xor_b32 s23, exec_lo, s23
	s_cbranch_execz .LBB117_128
; %bb.124:                              ;   in Loop: Header=BB117_15 Depth=1
	ds_read_b32 v1, v9 offset:4096
	v_and_b32_e32 v2, s19, v2
	v_or_b32_e32 v3, s18, v3
	s_waitcnt lgkmcnt(0)
	v_cmp_ne_u32_e32 vcc_lo, 0, v1
	s_cbranch_vccnz .LBB117_128
; %bb.125:                              ;   in Loop: Header=BB117_15 Depth=1
	s_and_saveexec_b32 s24, s3
; %bb.126:                              ;   in Loop: Header=BB117_15 Depth=1
	v_mov_b32_e32 v1, s17
	ds_write_b32 v9, v1 offset:4100
; %bb.127:                              ;   in Loop: Header=BB117_15 Depth=1
	s_or_b32 exec_lo, exec_lo, s24
	s_waitcnt lgkmcnt(0)
	s_barrier
	buffer_gl0_inv
.LBB117_128:                            ;   in Loop: Header=BB117_15 Depth=1
	s_or_saveexec_b32 s23, s23
	v_mov_b32_e32 v1, 8
	v_mov_b32_e32 v4, v39
	s_mov_b32 s24, 0
	s_xor_b32 exec_lo, exec_lo, s23
; %bb.129:                              ;   in Loop: Header=BB117_15 Depth=1
	v_subrev_nc_u32_e32 v4, s17, v39
	v_mov_b32_e32 v1, 0
	s_mov_b32 s24, exec_lo
; %bb.130:                              ;   in Loop: Header=BB117_15 Depth=1
	s_or_b32 exec_lo, exec_lo, s23
	s_and_b32 s30, s24, exec_lo
.LBB117_131:                            ;   in Loop: Header=BB117_15 Depth=1
	s_or_b32 exec_lo, exec_lo, s6
	s_mov_b32 s29, -1
                                        ; implicit-def: $sgpr23
                                        ; implicit-def: $sgpr24
	s_and_saveexec_b32 s6, s30
	s_xor_b32 s6, exec_lo, s6
	s_cbranch_execz .LBB117_248
; %bb.132:                              ;   in Loop: Header=BB117_15 Depth=1
	v_cmp_eq_u32_e32 vcc_lo, 1, v4
	s_cmp_eq_u32 s20, 1
	s_mov_b32 s31, -1
	s_cselect_b32 s23, -1, 0
                                        ; implicit-def: $sgpr24
	s_and_b32 s30, s23, vcc_lo
                                        ; implicit-def: $sgpr23
	s_and_saveexec_b32 s29, s30
	s_cbranch_execz .LBB117_158
; %bb.133:                              ;   in Loop: Header=BB117_15 Depth=1
	ds_read_b32 v8, v9 offset:4096
	s_waitcnt lgkmcnt(0)
	s_barrier
	buffer_gl0_inv
	v_readfirstlane_b32 s33, v8
	s_and_saveexec_b32 s23, s15
; %bb.134:                              ;   in Loop: Header=BB117_15 Depth=1
	ds_write_b16 v21, v9
; %bb.135:                              ;   in Loop: Header=BB117_15 Depth=1
	s_or_b32 exec_lo, exec_lo, s23
	s_lshl_b32 s23, 1, s79
	v_or_b32_e32 v3, s18, v3
	v_and_or_b32 v2, v2, s19, s23
	s_mov_b32 s23, -1
	s_mov_b32 s24, 0
	s_cmp_eq_u32 s33, 0
	s_mov_b32 s31, 0
	s_mov_b32 s34, -1
	s_waitcnt lgkmcnt(0)
	s_barrier
	buffer_gl0_inv
                                        ; implicit-def: $vgpr8
	s_cbranch_scc1 .LBB117_146
; %bb.136:                              ;   in Loop: Header=BB117_15 Depth=1
	s_add_i32 s31, s33, s62
                                        ; implicit-def: $vgpr8
	s_mul_hi_u32 s34, s31, s68
	s_mul_i32 s34, s34, s50
	s_sub_i32 s34, s31, s34
	s_sub_i32 s86, s34, s50
	s_cmp_ge_u32 s34, s50
	s_cselect_b32 s34, s86, s34
	s_sub_i32 s86, s34, s50
	s_cmp_ge_u32 s34, s50
	s_cselect_b32 s34, s86, s34
	s_mov_b32 s86, exec_lo
	s_sub_i32 s87, s31, s34
	s_mov_b32 s34, 0
	s_mov_b32 s31, 0
	v_cmpx_gt_u32_e64 s87, v0
	s_cbranch_execz .LBB117_145
; %bb.137:                              ;   in Loop: Header=BB117_15 Depth=1
	v_mov_b32_e32 v8, v20
	v_mov_b32_e32 v13, v0
                                        ; implicit-def: $sgpr88
	s_branch .LBB117_140
.LBB117_138:                            ;   in Loop: Header=BB117_140 Depth=2
	s_or_b32 exec_lo, exec_lo, s89
	s_waitcnt lgkmcnt(0)
	s_barrier
	buffer_gl0_inv
	ds_read_b32 v14, v9 offset:3072
	s_mov_b32 s89, -1
	s_mov_b32 s90, -1
	s_waitcnt lgkmcnt(0)
	s_barrier
	buffer_gl0_inv
	v_and_b32_e32 v15, 0x7fff, v14
	v_cmp_ne_u32_e32 vcc_lo, 0, v15
	s_cbranch_vccz .LBB117_143
.LBB117_139:                            ;   in Loop: Header=BB117_140 Depth=2
	s_and_b32 s89, exec_lo, s89
	s_or_b32 s31, s89, s31
	s_andn2_b32 s88, s88, exec_lo
	s_and_b32 s89, s90, exec_lo
	s_or_b32 s88, s88, s89
	s_andn2_b32 exec_lo, exec_lo, s31
	s_cbranch_execz .LBB117_144
.LBB117_140:                            ;   Parent Loop BB117_15 Depth=1
                                        ; =>  This Inner Loop Header: Depth=2
	s_mov_b32 s89, exec_lo
	v_cmpx_gt_u32_e64 s33, v13
	s_cbranch_execz .LBB117_138
; %bb.141:                              ;   in Loop: Header=BB117_140 Depth=2
	ds_read_u16 v14, v8
	s_waitcnt lgkmcnt(0)
	v_cmp_lt_i16_e32 vcc_lo, -1, v14
	v_lshlrev_b32_e32 v16, 16, v14
	v_cndmask_b32_e32 v15, 0xffff, v35, vcc_lo
	v_cmp_o_f32_e32 vcc_lo, v16, v16
	v_xor_b32_sdwa v15, v15, v14 dst_sel:DWORD dst_unused:UNUSED_PAD src0_sel:DWORD src1_sel:WORD_0
	v_cndmask_b32_e32 v15, 0xffff, v15, vcc_lo
	v_and_b32_e32 v15, v15, v3
	v_cmp_eq_u32_e32 vcc_lo, v15, v2
	s_and_b32 exec_lo, exec_lo, vcc_lo
	s_cbranch_execz .LBB117_138
; %bb.142:                              ;   in Loop: Header=BB117_140 Depth=2
	v_perm_b32 v14, v14, s74, 0x5040100
	ds_write_b32 v9, v14 offset:3072
	s_branch .LBB117_138
.LBB117_143:                            ;   in Loop: Header=BB117_140 Depth=2
	v_add_nc_u32_e32 v13, s50, v13
	v_add_nc_u32_e32 v8, s72, v8
	s_mov_b32 s90, 0
	v_cmp_le_u32_e32 vcc_lo, s87, v13
	s_orn2_b32 s89, vcc_lo, exec_lo
	s_branch .LBB117_139
.LBB117_144:                            ;   in Loop: Header=BB117_15 Depth=1
	s_or_b32 exec_lo, exec_lo, s31
	v_lshrrev_b32_e32 v8, 16, v14
	s_and_b32 s31, s88, exec_lo
.LBB117_145:                            ;   in Loop: Header=BB117_15 Depth=1
	s_or_b32 exec_lo, exec_lo, s86
.LBB117_146:                            ;   in Loop: Header=BB117_15 Depth=1
	s_and_b32 vcc_lo, exec_lo, s34
	s_cbranch_vccz .LBB117_157
; %bb.147:                              ;   in Loop: Header=BB117_15 Depth=1
                                        ; implicit-def: $vgpr8
	s_and_saveexec_b32 s23, s13
	s_cbranch_execz .LBB117_156
; %bb.148:                              ;   in Loop: Header=BB117_15 Depth=1
	v_mov_b32_e32 v8, v7
	v_mov_b32_e32 v13, v0
	s_mov_b32 s24, 0
                                        ; implicit-def: $sgpr33
	s_branch .LBB117_151
.LBB117_149:                            ;   in Loop: Header=BB117_151 Depth=2
	s_or_b32 exec_lo, exec_lo, s34
	s_waitcnt lgkmcnt(0)
	s_barrier
	buffer_gl0_inv
	ds_read_b32 v14, v9 offset:3072
	s_mov_b32 s34, -1
	s_mov_b32 s86, -1
	s_waitcnt lgkmcnt(0)
	s_barrier
	buffer_gl0_inv
	v_and_b32_e32 v15, 0x7fff, v14
	v_cmp_eq_u32_e32 vcc_lo, 0, v15
	s_cbranch_vccnz .LBB117_154
.LBB117_150:                            ;   in Loop: Header=BB117_151 Depth=2
	s_and_b32 s34, exec_lo, s34
	s_or_b32 s24, s34, s24
	s_andn2_b32 s33, s33, exec_lo
	s_and_b32 s34, s86, exec_lo
	s_or_b32 s33, s33, s34
	s_andn2_b32 exec_lo, exec_lo, s24
	s_cbranch_execz .LBB117_155
.LBB117_151:                            ;   Parent Loop BB117_15 Depth=1
                                        ; =>  This Inner Loop Header: Depth=2
	s_mov_b32 s34, exec_lo
	v_cmpx_gt_u32_e64 s36, v13
	s_cbranch_execz .LBB117_149
; %bb.152:                              ;   in Loop: Header=BB117_151 Depth=2
	v_lshlrev_b64 v[14:15], 1, v[8:9]
	v_add_co_u32 v14, vcc_lo, s42, v14
	v_add_co_ci_u32_e64 v15, null, s48, v15, vcc_lo
	global_load_ushort v14, v[14:15], off
	s_waitcnt vmcnt(0)
	v_cmp_lt_i16_e32 vcc_lo, -1, v14
	v_lshlrev_b32_e32 v16, 16, v14
	v_cndmask_b32_e32 v15, 0xffff, v35, vcc_lo
	v_cmp_o_f32_e32 vcc_lo, v16, v16
	v_xor_b32_sdwa v15, v15, v14 dst_sel:DWORD dst_unused:UNUSED_PAD src0_sel:DWORD src1_sel:WORD_0
	v_cndmask_b32_e32 v15, 0xffff, v15, vcc_lo
	v_and_b32_e32 v15, v15, v3
	v_cmp_eq_u32_e32 vcc_lo, v15, v2
	s_and_b32 exec_lo, exec_lo, vcc_lo
	s_cbranch_execz .LBB117_149
; %bb.153:                              ;   in Loop: Header=BB117_151 Depth=2
	v_perm_b32 v14, v14, s74, 0x5040100
	ds_write_b32 v9, v14 offset:3072
	s_branch .LBB117_149
.LBB117_154:                            ;   in Loop: Header=BB117_151 Depth=2
	v_add_nc_u32_e32 v13, s50, v13
	v_add_nc_u32_e32 v8, s52, v8
	s_mov_b32 s86, 0
	v_cmp_le_u32_e32 vcc_lo, s69, v13
	s_orn2_b32 s34, vcc_lo, exec_lo
	s_branch .LBB117_150
.LBB117_155:                            ;   in Loop: Header=BB117_15 Depth=1
	s_or_b32 exec_lo, exec_lo, s24
	v_lshrrev_b32_e32 v8, 16, v14
	s_andn2_b32 s24, s31, exec_lo
	s_and_b32 s31, s33, exec_lo
	s_or_b32 s31, s24, s31
.LBB117_156:                            ;   in Loop: Header=BB117_15 Depth=1
	s_or_b32 exec_lo, exec_lo, s23
	s_mov_b32 s23, 0
	s_mov_b32 s24, -1
.LBB117_157:                            ;   in Loop: Header=BB117_15 Depth=1
	s_orn2_b32 s31, s31, exec_lo
.LBB117_158:                            ;   in Loop: Header=BB117_15 Depth=1
	s_or_b32 exec_lo, exec_lo, s29
	s_mov_b32 s33, 0
	s_and_saveexec_b32 s29, s31
	s_cbranch_execz .LBB117_247
; %bb.159:                              ;   in Loop: Header=BB117_15 Depth=1
	v_mov_b32_e32 v13, 1
	v_mov_b32_e32 v1, 1
	s_xor_b32 s31, s30, -1
	s_mov_b32 s86, 0
	s_and_saveexec_b32 s30, s31
	s_cbranch_execz .LBB117_168
; %bb.160:                              ;   in Loop: Header=BB117_15 Depth=1
	s_mov_b32 s31, exec_lo
	v_cmpx_ge_u32_e64 s20, v4
	s_xor_b32 s31, exec_lo, s31
	s_cbranch_execz .LBB117_165
; %bb.161:                              ;   in Loop: Header=BB117_15 Depth=1
	ds_read_b32 v1, v9 offset:4096
	s_lshl_b32 s33, 1, s79
	v_or_b32_e32 v3, s18, v3
	v_and_or_b32 v2, v2, s19, s33
	s_waitcnt lgkmcnt(0)
	v_cmp_ne_u32_e32 vcc_lo, 0, v1
	s_cbranch_vccnz .LBB117_165
; %bb.162:                              ;   in Loop: Header=BB117_15 Depth=1
	s_and_saveexec_b32 s33, s3
; %bb.163:                              ;   in Loop: Header=BB117_15 Depth=1
	v_mov_b32_e32 v1, s20
	ds_write_b32 v9, v1 offset:4100
; %bb.164:                              ;   in Loop: Header=BB117_15 Depth=1
	s_or_b32 exec_lo, exec_lo, s33
	s_waitcnt lgkmcnt(0)
	s_barrier
	buffer_gl0_inv
.LBB117_165:                            ;   in Loop: Header=BB117_15 Depth=1
	s_or_saveexec_b32 s31, s31
	v_mov_b32_e32 v1, 8
	s_mov_b32 s33, 0
	s_xor_b32 exec_lo, exec_lo, s31
; %bb.166:                              ;   in Loop: Header=BB117_15 Depth=1
	v_subrev_nc_u32_e32 v4, s20, v4
	v_mov_b32_e32 v1, 0
	s_mov_b32 s33, exec_lo
; %bb.167:                              ;   in Loop: Header=BB117_15 Depth=1
	s_or_b32 exec_lo, exec_lo, s31
	v_mov_b32_e32 v13, v4
	s_and_b32 s86, s33, exec_lo
.LBB117_168:                            ;   in Loop: Header=BB117_15 Depth=1
	s_or_b32 exec_lo, exec_lo, s30
	s_mov_b32 s34, -1
                                        ; implicit-def: $sgpr31
                                        ; implicit-def: $sgpr33
	s_and_saveexec_b32 s30, s86
	s_cbranch_execz .LBB117_246
; %bb.169:                              ;   in Loop: Header=BB117_15 Depth=1
	v_cmp_eq_u32_e32 vcc_lo, 1, v13
	s_cmp_eq_u32 s21, 1
	s_mov_b32 s87, -1
	s_cselect_b32 s31, -1, 0
                                        ; implicit-def: $sgpr33
	s_and_b32 s86, s31, vcc_lo
                                        ; implicit-def: $sgpr31
	s_and_saveexec_b32 s34, s86
	s_cbranch_execz .LBB117_195
; %bb.170:                              ;   in Loop: Header=BB117_15 Depth=1
	ds_read_b32 v4, v9 offset:4096
	s_waitcnt lgkmcnt(0)
	s_barrier
	buffer_gl0_inv
	v_readfirstlane_b32 s88, v4
	s_and_saveexec_b32 s31, s15
; %bb.171:                              ;   in Loop: Header=BB117_15 Depth=1
	ds_write_b16 v21, v9
; %bb.172:                              ;   in Loop: Header=BB117_15 Depth=1
	s_or_b32 exec_lo, exec_lo, s31
	s_lshl_b32 s31, 2, s79
	v_or_b32_e32 v3, s18, v3
	v_and_or_b32 v2, v2, s19, s31
	s_mov_b32 s31, -1
	s_mov_b32 s33, 0
	s_cmp_eq_u32 s88, 0
	s_mov_b32 s87, 0
	s_mov_b32 s89, -1
	s_waitcnt lgkmcnt(0)
	s_barrier
	buffer_gl0_inv
                                        ; implicit-def: $vgpr8
	s_cbranch_scc1 .LBB117_183
; %bb.173:                              ;   in Loop: Header=BB117_15 Depth=1
	s_add_i32 s87, s88, s62
                                        ; implicit-def: $vgpr8
	s_mul_hi_u32 s89, s87, s68
	s_mul_i32 s89, s89, s50
	s_sub_i32 s89, s87, s89
	s_sub_i32 s90, s89, s50
	s_cmp_ge_u32 s89, s50
	s_cselect_b32 s89, s90, s89
	s_sub_i32 s90, s89, s50
	s_cmp_ge_u32 s89, s50
	s_cselect_b32 s89, s90, s89
	s_mov_b32 s90, exec_lo
	s_sub_i32 s91, s87, s89
	s_mov_b32 s89, 0
	s_mov_b32 s87, 0
	v_cmpx_gt_u32_e64 s91, v0
	s_cbranch_execz .LBB117_182
; %bb.174:                              ;   in Loop: Header=BB117_15 Depth=1
	v_mov_b32_e32 v4, v20
	v_mov_b32_e32 v8, v0
                                        ; implicit-def: $sgpr92
	s_branch .LBB117_177
.LBB117_175:                            ;   in Loop: Header=BB117_177 Depth=2
	s_or_b32 exec_lo, exec_lo, s93
	s_waitcnt lgkmcnt(0)
	s_barrier
	buffer_gl0_inv
	ds_read_b32 v14, v9 offset:3072
	s_mov_b32 s93, -1
	s_mov_b32 s94, -1
	s_waitcnt lgkmcnt(0)
	s_barrier
	buffer_gl0_inv
	v_and_b32_e32 v15, 0x7fff, v14
	v_cmp_ne_u32_e32 vcc_lo, 0, v15
	s_cbranch_vccz .LBB117_180
.LBB117_176:                            ;   in Loop: Header=BB117_177 Depth=2
	s_and_b32 s93, exec_lo, s93
	s_or_b32 s87, s93, s87
	s_andn2_b32 s92, s92, exec_lo
	s_and_b32 s93, s94, exec_lo
	s_or_b32 s92, s92, s93
	s_andn2_b32 exec_lo, exec_lo, s87
	s_cbranch_execz .LBB117_181
.LBB117_177:                            ;   Parent Loop BB117_15 Depth=1
                                        ; =>  This Inner Loop Header: Depth=2
	s_mov_b32 s93, exec_lo
	v_cmpx_gt_u32_e64 s88, v8
	s_cbranch_execz .LBB117_175
; %bb.178:                              ;   in Loop: Header=BB117_177 Depth=2
	ds_read_u16 v14, v4
	s_waitcnt lgkmcnt(0)
	v_cmp_lt_i16_e32 vcc_lo, -1, v14
	v_lshlrev_b32_e32 v16, 16, v14
	v_cndmask_b32_e32 v15, 0xffff, v35, vcc_lo
	v_cmp_o_f32_e32 vcc_lo, v16, v16
	v_xor_b32_sdwa v15, v15, v14 dst_sel:DWORD dst_unused:UNUSED_PAD src0_sel:DWORD src1_sel:WORD_0
	v_cndmask_b32_e32 v15, 0xffff, v15, vcc_lo
	v_and_b32_e32 v15, v15, v3
	v_cmp_eq_u32_e32 vcc_lo, v15, v2
	s_and_b32 exec_lo, exec_lo, vcc_lo
	s_cbranch_execz .LBB117_175
; %bb.179:                              ;   in Loop: Header=BB117_177 Depth=2
	v_perm_b32 v14, v14, s74, 0x5040100
	ds_write_b32 v9, v14 offset:3072
	s_branch .LBB117_175
.LBB117_180:                            ;   in Loop: Header=BB117_177 Depth=2
	v_add_nc_u32_e32 v8, s50, v8
	v_add_nc_u32_e32 v4, s72, v4
	s_mov_b32 s94, 0
	v_cmp_le_u32_e32 vcc_lo, s91, v8
	s_orn2_b32 s93, vcc_lo, exec_lo
	s_branch .LBB117_176
.LBB117_181:                            ;   in Loop: Header=BB117_15 Depth=1
	s_or_b32 exec_lo, exec_lo, s87
	v_lshrrev_b32_e32 v8, 16, v14
	s_and_b32 s87, s92, exec_lo
.LBB117_182:                            ;   in Loop: Header=BB117_15 Depth=1
	s_or_b32 exec_lo, exec_lo, s90
.LBB117_183:                            ;   in Loop: Header=BB117_15 Depth=1
	s_and_b32 vcc_lo, exec_lo, s89
	s_cbranch_vccz .LBB117_194
; %bb.184:                              ;   in Loop: Header=BB117_15 Depth=1
                                        ; implicit-def: $vgpr8
	s_and_saveexec_b32 s31, s13
	s_cbranch_execz .LBB117_193
; %bb.185:                              ;   in Loop: Header=BB117_15 Depth=1
	v_mov_b32_e32 v8, v7
	v_mov_b32_e32 v4, v0
	s_mov_b32 s33, 0
                                        ; implicit-def: $sgpr88
	s_branch .LBB117_188
.LBB117_186:                            ;   in Loop: Header=BB117_188 Depth=2
	s_or_b32 exec_lo, exec_lo, s89
	s_waitcnt lgkmcnt(0)
	s_barrier
	buffer_gl0_inv
	ds_read_b32 v14, v9 offset:3072
	s_mov_b32 s89, -1
	s_mov_b32 s90, -1
	s_waitcnt lgkmcnt(0)
	s_barrier
	buffer_gl0_inv
	v_and_b32_e32 v15, 0x7fff, v14
	v_cmp_eq_u32_e32 vcc_lo, 0, v15
	s_cbranch_vccnz .LBB117_191
.LBB117_187:                            ;   in Loop: Header=BB117_188 Depth=2
	s_and_b32 s89, exec_lo, s89
	s_or_b32 s33, s89, s33
	s_andn2_b32 s88, s88, exec_lo
	s_and_b32 s89, s90, exec_lo
	s_or_b32 s88, s88, s89
	s_andn2_b32 exec_lo, exec_lo, s33
	s_cbranch_execz .LBB117_192
.LBB117_188:                            ;   Parent Loop BB117_15 Depth=1
                                        ; =>  This Inner Loop Header: Depth=2
	s_mov_b32 s89, exec_lo
	v_cmpx_gt_u32_e64 s36, v4
	s_cbranch_execz .LBB117_186
; %bb.189:                              ;   in Loop: Header=BB117_188 Depth=2
	v_lshlrev_b64 v[14:15], 1, v[8:9]
	v_add_co_u32 v14, vcc_lo, s42, v14
	v_add_co_ci_u32_e64 v15, null, s48, v15, vcc_lo
	global_load_ushort v14, v[14:15], off
	s_waitcnt vmcnt(0)
	v_cmp_lt_i16_e32 vcc_lo, -1, v14
	v_lshlrev_b32_e32 v16, 16, v14
	v_cndmask_b32_e32 v15, 0xffff, v35, vcc_lo
	v_cmp_o_f32_e32 vcc_lo, v16, v16
	v_xor_b32_sdwa v15, v15, v14 dst_sel:DWORD dst_unused:UNUSED_PAD src0_sel:DWORD src1_sel:WORD_0
	v_cndmask_b32_e32 v15, 0xffff, v15, vcc_lo
	v_and_b32_e32 v15, v15, v3
	v_cmp_eq_u32_e32 vcc_lo, v15, v2
	s_and_b32 exec_lo, exec_lo, vcc_lo
	s_cbranch_execz .LBB117_186
; %bb.190:                              ;   in Loop: Header=BB117_188 Depth=2
	v_perm_b32 v14, v14, s74, 0x5040100
	ds_write_b32 v9, v14 offset:3072
	s_branch .LBB117_186
.LBB117_191:                            ;   in Loop: Header=BB117_188 Depth=2
	v_add_nc_u32_e32 v4, s50, v4
	v_add_nc_u32_e32 v8, s52, v8
	s_mov_b32 s90, 0
	v_cmp_le_u32_e32 vcc_lo, s69, v4
	s_orn2_b32 s89, vcc_lo, exec_lo
	s_branch .LBB117_187
.LBB117_192:                            ;   in Loop: Header=BB117_15 Depth=1
	s_or_b32 exec_lo, exec_lo, s33
	v_lshrrev_b32_e32 v8, 16, v14
	s_andn2_b32 s33, s87, exec_lo
	s_and_b32 s87, s88, exec_lo
	s_or_b32 s87, s33, s87
.LBB117_193:                            ;   in Loop: Header=BB117_15 Depth=1
	s_or_b32 exec_lo, exec_lo, s31
	s_mov_b32 s31, 0
	s_mov_b32 s33, -1
.LBB117_194:                            ;   in Loop: Header=BB117_15 Depth=1
	s_orn2_b32 s87, s87, exec_lo
.LBB117_195:                            ;   in Loop: Header=BB117_15 Depth=1
	s_or_b32 exec_lo, exec_lo, s34
	s_mov_b32 s88, 0
	s_and_saveexec_b32 s34, s87
	s_cbranch_execz .LBB117_245
; %bb.196:                              ;   in Loop: Header=BB117_15 Depth=1
	v_mov_b32_e32 v4, 1
	v_mov_b32_e32 v1, 1
	s_xor_b32 s87, s86, -1
	s_mov_b32 s90, 0
	s_and_saveexec_b32 s86, s87
	s_cbranch_execz .LBB117_205
; %bb.197:                              ;   in Loop: Header=BB117_15 Depth=1
	s_mov_b32 s87, exec_lo
	v_cmpx_ge_u32_e64 s21, v13
	s_xor_b32 s87, exec_lo, s87
	s_cbranch_execz .LBB117_202
; %bb.198:                              ;   in Loop: Header=BB117_15 Depth=1
	ds_read_b32 v1, v9 offset:4096
	s_lshl_b32 s88, 2, s79
	v_or_b32_e32 v3, s18, v3
	v_and_or_b32 v2, v2, s19, s88
	s_waitcnt lgkmcnt(0)
	v_cmp_ne_u32_e32 vcc_lo, 0, v1
	s_cbranch_vccnz .LBB117_202
; %bb.199:                              ;   in Loop: Header=BB117_15 Depth=1
	s_and_saveexec_b32 s88, s3
; %bb.200:                              ;   in Loop: Header=BB117_15 Depth=1
	v_mov_b32_e32 v1, s21
	ds_write_b32 v9, v1 offset:4100
; %bb.201:                              ;   in Loop: Header=BB117_15 Depth=1
	s_or_b32 exec_lo, exec_lo, s88
	s_waitcnt lgkmcnt(0)
	s_barrier
	buffer_gl0_inv
.LBB117_202:                            ;   in Loop: Header=BB117_15 Depth=1
	s_or_saveexec_b32 s87, s87
	v_mov_b32_e32 v1, 8
	s_mov_b32 s88, 0
	s_xor_b32 exec_lo, exec_lo, s87
; %bb.203:                              ;   in Loop: Header=BB117_15 Depth=1
	v_subrev_nc_u32_e32 v13, s21, v13
	v_mov_b32_e32 v1, 0
	s_mov_b32 s88, exec_lo
; %bb.204:                              ;   in Loop: Header=BB117_15 Depth=1
	s_or_b32 exec_lo, exec_lo, s87
	v_mov_b32_e32 v4, v13
	s_and_b32 s90, s88, exec_lo
.LBB117_205:                            ;   in Loop: Header=BB117_15 Depth=1
	s_or_b32 exec_lo, exec_lo, s86
	s_mov_b32 s87, -1
                                        ; implicit-def: $sgpr89
                                        ; implicit-def: $sgpr88
	s_and_saveexec_b32 s86, s90
	s_cbranch_execz .LBB117_244
; %bb.206:                              ;   in Loop: Header=BB117_15 Depth=1
	v_cmp_eq_u32_e32 vcc_lo, 1, v4
	s_cmp_eq_u32 s22, 1
	s_mov_b32 s91, -1
	s_cselect_b32 s87, -1, 0
                                        ; implicit-def: $sgpr89
                                        ; implicit-def: $sgpr88
	s_and_b32 s87, s87, vcc_lo
	s_and_saveexec_b32 s90, s87
	s_cbranch_execz .LBB117_232
; %bb.207:                              ;   in Loop: Header=BB117_15 Depth=1
	ds_read_b32 v8, v9 offset:4096
	s_waitcnt lgkmcnt(0)
	s_barrier
	buffer_gl0_inv
	v_readfirstlane_b32 s92, v8
	s_and_saveexec_b32 s88, s15
; %bb.208:                              ;   in Loop: Header=BB117_15 Depth=1
	ds_write_b16 v21, v9
; %bb.209:                              ;   in Loop: Header=BB117_15 Depth=1
	s_or_b32 exec_lo, exec_lo, s88
	v_or_b32_e32 v2, s18, v2
	v_or_b32_e32 v3, s18, v3
	s_mov_b32 s88, -1
	s_mov_b32 s89, 0
	s_cmp_eq_u32 s92, 0
	s_mov_b32 s91, 0
	s_mov_b32 s93, -1
	s_waitcnt lgkmcnt(0)
	s_barrier
	buffer_gl0_inv
                                        ; implicit-def: $vgpr8
	s_cbranch_scc1 .LBB117_220
; %bb.210:                              ;   in Loop: Header=BB117_15 Depth=1
	s_add_i32 s91, s92, s62
                                        ; implicit-def: $vgpr8
	s_mul_hi_u32 s93, s91, s68
	s_mul_i32 s93, s93, s50
	s_sub_i32 s93, s91, s93
	s_sub_i32 s94, s93, s50
	s_cmp_ge_u32 s93, s50
	s_cselect_b32 s93, s94, s93
	s_sub_i32 s94, s93, s50
	s_cmp_ge_u32 s93, s50
	s_cselect_b32 s93, s94, s93
	s_mov_b32 s94, exec_lo
	s_sub_i32 s95, s91, s93
	s_mov_b32 s93, 0
	s_mov_b32 s91, 0
	v_cmpx_gt_u32_e64 s95, v0
	s_cbranch_execz .LBB117_219
; %bb.211:                              ;   in Loop: Header=BB117_15 Depth=1
	v_mov_b32_e32 v8, v20
	v_mov_b32_e32 v13, v0
                                        ; implicit-def: $sgpr96
	s_branch .LBB117_214
.LBB117_212:                            ;   in Loop: Header=BB117_214 Depth=2
	s_or_b32 exec_lo, exec_lo, s97
	s_waitcnt lgkmcnt(0)
	s_barrier
	buffer_gl0_inv
	ds_read_b32 v14, v9 offset:3072
	s_mov_b32 s97, -1
	s_mov_b32 s98, -1
	s_waitcnt lgkmcnt(0)
	s_barrier
	buffer_gl0_inv
	v_and_b32_e32 v15, 0x7fff, v14
	v_cmp_ne_u32_e32 vcc_lo, 0, v15
	s_cbranch_vccz .LBB117_217
.LBB117_213:                            ;   in Loop: Header=BB117_214 Depth=2
	s_and_b32 s97, exec_lo, s97
	s_or_b32 s91, s97, s91
	s_andn2_b32 s96, s96, exec_lo
	s_and_b32 s97, s98, exec_lo
	s_or_b32 s96, s96, s97
	s_andn2_b32 exec_lo, exec_lo, s91
	s_cbranch_execz .LBB117_218
.LBB117_214:                            ;   Parent Loop BB117_15 Depth=1
                                        ; =>  This Inner Loop Header: Depth=2
	s_mov_b32 s97, exec_lo
	v_cmpx_gt_u32_e64 s92, v13
	s_cbranch_execz .LBB117_212
; %bb.215:                              ;   in Loop: Header=BB117_214 Depth=2
	ds_read_u16 v14, v8
	s_waitcnt lgkmcnt(0)
	v_cmp_lt_i16_e32 vcc_lo, -1, v14
	v_lshlrev_b32_e32 v16, 16, v14
	v_cndmask_b32_e32 v15, 0xffff, v35, vcc_lo
	v_cmp_o_f32_e32 vcc_lo, v16, v16
	v_xor_b32_sdwa v15, v15, v14 dst_sel:DWORD dst_unused:UNUSED_PAD src0_sel:DWORD src1_sel:WORD_0
	v_cndmask_b32_e32 v15, 0xffff, v15, vcc_lo
	v_and_b32_e32 v15, v15, v3
	v_cmp_eq_u32_e32 vcc_lo, v15, v2
	s_and_b32 exec_lo, exec_lo, vcc_lo
	s_cbranch_execz .LBB117_212
; %bb.216:                              ;   in Loop: Header=BB117_214 Depth=2
	v_perm_b32 v14, v14, s74, 0x5040100
	ds_write_b32 v9, v14 offset:3072
	s_branch .LBB117_212
.LBB117_217:                            ;   in Loop: Header=BB117_214 Depth=2
	v_add_nc_u32_e32 v13, s50, v13
	v_add_nc_u32_e32 v8, s72, v8
	s_mov_b32 s98, 0
	v_cmp_le_u32_e32 vcc_lo, s95, v13
	s_orn2_b32 s97, vcc_lo, exec_lo
	s_branch .LBB117_213
.LBB117_218:                            ;   in Loop: Header=BB117_15 Depth=1
	s_or_b32 exec_lo, exec_lo, s91
	v_lshrrev_b32_e32 v8, 16, v14
	s_and_b32 s91, s96, exec_lo
.LBB117_219:                            ;   in Loop: Header=BB117_15 Depth=1
	s_or_b32 exec_lo, exec_lo, s94
.LBB117_220:                            ;   in Loop: Header=BB117_15 Depth=1
	s_and_b32 vcc_lo, exec_lo, s93
	s_cbranch_vccz .LBB117_231
; %bb.221:                              ;   in Loop: Header=BB117_15 Depth=1
                                        ; implicit-def: $vgpr8
	s_and_saveexec_b32 s88, s13
	s_cbranch_execz .LBB117_230
; %bb.222:                              ;   in Loop: Header=BB117_15 Depth=1
	v_mov_b32_e32 v8, v7
	v_mov_b32_e32 v13, v0
	s_mov_b32 s89, 0
                                        ; implicit-def: $sgpr92
	s_branch .LBB117_225
.LBB117_223:                            ;   in Loop: Header=BB117_225 Depth=2
	s_or_b32 exec_lo, exec_lo, s93
	s_waitcnt lgkmcnt(0)
	s_barrier
	buffer_gl0_inv
	ds_read_b32 v14, v9 offset:3072
	s_mov_b32 s93, -1
	s_mov_b32 s94, -1
	s_waitcnt lgkmcnt(0)
	s_barrier
	buffer_gl0_inv
	v_and_b32_e32 v15, 0x7fff, v14
	v_cmp_eq_u32_e32 vcc_lo, 0, v15
	s_cbranch_vccnz .LBB117_228
.LBB117_224:                            ;   in Loop: Header=BB117_225 Depth=2
	s_and_b32 s93, exec_lo, s93
	s_or_b32 s89, s93, s89
	s_andn2_b32 s92, s92, exec_lo
	s_and_b32 s93, s94, exec_lo
	s_or_b32 s92, s92, s93
	s_andn2_b32 exec_lo, exec_lo, s89
	s_cbranch_execz .LBB117_229
.LBB117_225:                            ;   Parent Loop BB117_15 Depth=1
                                        ; =>  This Inner Loop Header: Depth=2
	s_mov_b32 s93, exec_lo
	v_cmpx_gt_u32_e64 s36, v13
	s_cbranch_execz .LBB117_223
; %bb.226:                              ;   in Loop: Header=BB117_225 Depth=2
	v_lshlrev_b64 v[14:15], 1, v[8:9]
	v_add_co_u32 v14, vcc_lo, s42, v14
	v_add_co_ci_u32_e64 v15, null, s48, v15, vcc_lo
	global_load_ushort v14, v[14:15], off
	s_waitcnt vmcnt(0)
	v_cmp_lt_i16_e32 vcc_lo, -1, v14
	v_lshlrev_b32_e32 v16, 16, v14
	v_cndmask_b32_e32 v15, 0xffff, v35, vcc_lo
	v_cmp_o_f32_e32 vcc_lo, v16, v16
	v_xor_b32_sdwa v15, v15, v14 dst_sel:DWORD dst_unused:UNUSED_PAD src0_sel:DWORD src1_sel:WORD_0
	v_cndmask_b32_e32 v15, 0xffff, v15, vcc_lo
	v_and_b32_e32 v15, v15, v3
	v_cmp_eq_u32_e32 vcc_lo, v15, v2
	s_and_b32 exec_lo, exec_lo, vcc_lo
	s_cbranch_execz .LBB117_223
; %bb.227:                              ;   in Loop: Header=BB117_225 Depth=2
	v_perm_b32 v14, v14, s74, 0x5040100
	ds_write_b32 v9, v14 offset:3072
	s_branch .LBB117_223
.LBB117_228:                            ;   in Loop: Header=BB117_225 Depth=2
	v_add_nc_u32_e32 v13, s50, v13
	v_add_nc_u32_e32 v8, s52, v8
	s_mov_b32 s94, 0
	v_cmp_le_u32_e32 vcc_lo, s69, v13
	s_orn2_b32 s93, vcc_lo, exec_lo
	s_branch .LBB117_224
.LBB117_229:                            ;   in Loop: Header=BB117_15 Depth=1
	s_or_b32 exec_lo, exec_lo, s89
	v_lshrrev_b32_e32 v8, 16, v14
	s_andn2_b32 s89, s91, exec_lo
	s_and_b32 s91, s92, exec_lo
	s_or_b32 s91, s89, s91
.LBB117_230:                            ;   in Loop: Header=BB117_15 Depth=1
	s_or_b32 exec_lo, exec_lo, s88
	s_mov_b32 s88, 0
	s_mov_b32 s89, -1
.LBB117_231:                            ;   in Loop: Header=BB117_15 Depth=1
	s_orn2_b32 s91, s91, exec_lo
.LBB117_232:                            ;   in Loop: Header=BB117_15 Depth=1
	s_or_b32 exec_lo, exec_lo, s90
	s_mov_b32 s92, 0
	s_and_saveexec_b32 s90, s91
	s_cbranch_execz .LBB117_243
; %bb.233:                              ;   in Loop: Header=BB117_15 Depth=1
	v_mov_b32_e32 v1, 1
	v_mov_b32_e32 v13, 1
	s_xor_b32 s91, s87, -1
	s_and_saveexec_b32 s87, s91
	s_cbranch_execz .LBB117_242
; %bb.234:                              ;   in Loop: Header=BB117_15 Depth=1
	s_mov_b32 s91, exec_lo
	v_cmpx_ge_u32_e64 s22, v4
	s_xor_b32 s91, exec_lo, s91
	s_cbranch_execz .LBB117_239
; %bb.235:                              ;   in Loop: Header=BB117_15 Depth=1
	ds_read_b32 v1, v9 offset:4096
	v_or_b32_e32 v2, s18, v2
	v_or_b32_e32 v3, s18, v3
	s_waitcnt lgkmcnt(0)
	v_cmp_ne_u32_e32 vcc_lo, 0, v1
	s_cbranch_vccnz .LBB117_239
; %bb.236:                              ;   in Loop: Header=BB117_15 Depth=1
	s_and_saveexec_b32 s92, s3
; %bb.237:                              ;   in Loop: Header=BB117_15 Depth=1
	v_mov_b32_e32 v1, s22
	ds_write_b32 v9, v1 offset:4100
; %bb.238:                              ;   in Loop: Header=BB117_15 Depth=1
	s_or_b32 exec_lo, exec_lo, s92
	s_waitcnt lgkmcnt(0)
	s_barrier
	buffer_gl0_inv
.LBB117_239:                            ;   in Loop: Header=BB117_15 Depth=1
	s_andn2_saveexec_b32 s91, s91
; %bb.240:                              ;   in Loop: Header=BB117_15 Depth=1
	v_subrev_nc_u32_e32 v4, s22, v4
; %bb.241:                              ;   in Loop: Header=BB117_15 Depth=1
	s_or_b32 exec_lo, exec_lo, s91
	v_mov_b32_e32 v1, 8
	v_mov_b32_e32 v13, v4
.LBB117_242:                            ;   in Loop: Header=BB117_15 Depth=1
	s_or_b32 exec_lo, exec_lo, s87
	v_mov_b32_e32 v4, v13
	s_mov_b32 s92, exec_lo
.LBB117_243:                            ;   in Loop: Header=BB117_15 Depth=1
	s_or_b32 exec_lo, exec_lo, s90
	s_orn2_b32 s87, s92, exec_lo
.LBB117_244:                            ;   in Loop: Header=BB117_15 Depth=1
	s_or_b32 exec_lo, exec_lo, s86
	v_mov_b32_e32 v13, v4
	s_andn2_b32 s33, s33, exec_lo
	s_and_b32 s86, s89, exec_lo
	s_andn2_b32 s31, s31, exec_lo
	s_and_b32 s88, s88, exec_lo
	s_or_b32 s33, s33, s86
	s_or_b32 s31, s31, s88
	s_and_b32 s88, s87, exec_lo
.LBB117_245:                            ;   in Loop: Header=BB117_15 Depth=1
	s_or_b32 exec_lo, exec_lo, s34
	s_orn2_b32 s34, s88, exec_lo
.LBB117_246:                            ;   in Loop: Header=BB117_15 Depth=1
	s_or_b32 exec_lo, exec_lo, s30
	v_mov_b32_e32 v4, v13
	s_andn2_b32 s24, s24, exec_lo
	s_and_b32 s30, s33, exec_lo
	s_andn2_b32 s23, s23, exec_lo
	s_and_b32 s31, s31, exec_lo
	s_or_b32 s24, s24, s30
	s_or_b32 s23, s23, s31
	s_and_b32 s33, s34, exec_lo
.LBB117_247:                            ;   in Loop: Header=BB117_15 Depth=1
	s_or_b32 exec_lo, exec_lo, s29
	s_orn2_b32 s29, s33, exec_lo
.LBB117_248:                            ;   in Loop: Header=BB117_15 Depth=1
	s_or_b32 exec_lo, exec_lo, s6
	s_mov_b32 s6, 0
	s_mov_b32 s30, 0
	s_and_saveexec_b32 s31, s29
	s_xor_b32 s29, exec_lo, s31
; %bb.249:                              ;   in Loop: Header=BB117_15 Depth=1
	v_cmp_ne_u32_e32 vcc_lo, 8, v1
	v_cmp_eq_u32_e64 s6, 8, v1
	s_and_b32 s30, vcc_lo, exec_lo
	s_and_b32 s6, s6, exec_lo
; %bb.250:                              ;   in Loop: Header=BB117_15 Depth=1
	s_or_b32 exec_lo, exec_lo, s29
	s_andn2_b32 s26, s26, exec_lo
	s_and_b32 s24, s24, exec_lo
	s_andn2_b32 s25, s25, exec_lo
	s_and_b32 s23, s23, exec_lo
	s_or_b32 s26, s26, s24
	s_or_b32 s25, s25, s23
	s_and_b32 s23, s30, exec_lo
	s_and_b32 s24, s6, exec_lo
.LBB117_251:                            ;   in Loop: Header=BB117_15 Depth=1
	s_or_b32 exec_lo, exec_lo, s28
.LBB117_252:                            ;   in Loop: Header=BB117_15 Depth=1
	s_and_b32 vcc_lo, exec_lo, s27
	s_cbranch_vccz .LBB117_265
; %bb.253:                              ;   in Loop: Header=BB117_15 Depth=1
	s_cmp_eq_u32 s22, 1
	s_mov_b32 s26, -1
	s_cselect_b32 s6, -1, 0
                                        ; implicit-def: $sgpr16
	s_and_b32 s6, s6, s14
                                        ; implicit-def: $sgpr14
	s_and_saveexec_b32 s25, s6
	s_cbranch_execz .LBB117_280
; %bb.254:                              ;   in Loop: Header=BB117_15 Depth=1
	ds_read_b32 v1, v9 offset:4096
	s_waitcnt lgkmcnt(0)
	s_barrier
	buffer_gl0_inv
	v_readfirstlane_b32 s27, v1
	s_and_saveexec_b32 s14, s15
; %bb.255:                              ;   in Loop: Header=BB117_15 Depth=1
	ds_write_b16 v21, v9
; %bb.256:                              ;   in Loop: Header=BB117_15 Depth=1
	s_or_b32 exec_lo, exec_lo, s14
	v_or_b32_e32 v27, s18, v27
	v_or_b32_e32 v37, s18, v37
	s_mov_b32 s16, -1
	s_mov_b32 s14, 0
	s_cmp_eq_u32 s27, 0
	s_mov_b32 s26, 0
	s_mov_b32 s28, -1
	s_waitcnt lgkmcnt(0)
	s_barrier
	buffer_gl0_inv
                                        ; implicit-def: $vgpr38
	s_cbranch_scc1 .LBB117_268
; %bb.257:                              ;   in Loop: Header=BB117_15 Depth=1
	s_add_i32 s26, s27, s62
                                        ; implicit-def: $vgpr38
	s_mul_hi_u32 s28, s26, s68
	s_mul_i32 s28, s28, s50
	s_sub_i32 s28, s26, s28
	s_sub_i32 s29, s28, s50
	s_cmp_ge_u32 s28, s50
	s_cselect_b32 s28, s29, s28
	s_sub_i32 s29, s28, s50
	s_cmp_ge_u32 s28, s50
	s_cselect_b32 s28, s29, s28
	s_mov_b32 s29, exec_lo
	s_sub_i32 s30, s26, s28
	s_mov_b32 s28, 0
	s_mov_b32 s26, 0
	v_cmpx_gt_u32_e64 s30, v0
	s_cbranch_execz .LBB117_267
; %bb.258:                              ;   in Loop: Header=BB117_15 Depth=1
	v_mov_b32_e32 v1, v20
	v_mov_b32_e32 v2, v0
                                        ; implicit-def: $sgpr31
	s_branch .LBB117_261
.LBB117_259:                            ;   in Loop: Header=BB117_261 Depth=2
	s_or_b32 exec_lo, exec_lo, s33
	s_waitcnt lgkmcnt(0)
	s_barrier
	buffer_gl0_inv
	ds_read_b32 v3, v9 offset:3072
	s_mov_b32 s33, -1
	s_mov_b32 s34, -1
	s_waitcnt lgkmcnt(0)
	s_barrier
	buffer_gl0_inv
	v_and_b32_e32 v4, 0x7fff, v3
	v_cmp_ne_u32_e32 vcc_lo, 0, v4
	s_cbranch_vccz .LBB117_264
.LBB117_260:                            ;   in Loop: Header=BB117_261 Depth=2
	s_and_b32 s33, exec_lo, s33
	s_or_b32 s26, s33, s26
	s_andn2_b32 s31, s31, exec_lo
	s_and_b32 s33, s34, exec_lo
	s_or_b32 s31, s31, s33
	s_andn2_b32 exec_lo, exec_lo, s26
	s_cbranch_execz .LBB117_266
.LBB117_261:                            ;   Parent Loop BB117_15 Depth=1
                                        ; =>  This Inner Loop Header: Depth=2
	s_mov_b32 s33, exec_lo
	v_cmpx_gt_u32_e64 s27, v2
	s_cbranch_execz .LBB117_259
; %bb.262:                              ;   in Loop: Header=BB117_261 Depth=2
	ds_read_u16 v3, v1
	s_waitcnt lgkmcnt(0)
	v_cmp_lt_i16_e32 vcc_lo, -1, v3
	v_lshlrev_b32_e32 v8, 16, v3
	v_cndmask_b32_e32 v4, 0xffff, v35, vcc_lo
	v_cmp_o_f32_e32 vcc_lo, v8, v8
	v_xor_b32_sdwa v4, v4, v3 dst_sel:DWORD dst_unused:UNUSED_PAD src0_sel:DWORD src1_sel:WORD_0
	v_cndmask_b32_e32 v4, 0xffff, v4, vcc_lo
	v_and_b32_e32 v4, v4, v37
	v_cmp_eq_u32_e32 vcc_lo, v4, v27
	s_and_b32 exec_lo, exec_lo, vcc_lo
	s_cbranch_execz .LBB117_259
; %bb.263:                              ;   in Loop: Header=BB117_261 Depth=2
	v_perm_b32 v3, v3, s74, 0x5040100
	ds_write_b32 v9, v3 offset:3072
	s_branch .LBB117_259
.LBB117_264:                            ;   in Loop: Header=BB117_261 Depth=2
	v_add_nc_u32_e32 v2, s50, v2
	v_add_nc_u32_e32 v1, s72, v1
	s_mov_b32 s34, 0
	v_cmp_le_u32_e32 vcc_lo, s30, v2
	s_orn2_b32 s33, vcc_lo, exec_lo
	s_branch .LBB117_260
.LBB117_265:                            ;   in Loop: Header=BB117_15 Depth=1
	v_mov_b32_e32 v27, v2
	v_mov_b32_e32 v37, v3
	;; [unrolled: 1-line block ×3, first 2 shown]
	s_mov_b32 s14, 0
	s_and_saveexec_b32 s6, s24
	s_cbranch_execnz .LBB117_411
	s_branch .LBB117_412
.LBB117_266:                            ;   in Loop: Header=BB117_15 Depth=1
	s_or_b32 exec_lo, exec_lo, s26
	v_lshrrev_b32_e32 v38, 16, v3
	s_and_b32 s26, s31, exec_lo
.LBB117_267:                            ;   in Loop: Header=BB117_15 Depth=1
	s_or_b32 exec_lo, exec_lo, s29
.LBB117_268:                            ;   in Loop: Header=BB117_15 Depth=1
	s_and_b32 vcc_lo, exec_lo, s28
	s_cbranch_vccz .LBB117_279
; %bb.269:                              ;   in Loop: Header=BB117_15 Depth=1
                                        ; implicit-def: $vgpr38
	s_and_saveexec_b32 s14, s13
	s_cbranch_execz .LBB117_278
; %bb.270:                              ;   in Loop: Header=BB117_15 Depth=1
	v_mov_b32_e32 v8, v7
	v_mov_b32_e32 v1, v0
	s_mov_b32 s16, 0
                                        ; implicit-def: $sgpr27
	s_branch .LBB117_273
.LBB117_271:                            ;   in Loop: Header=BB117_273 Depth=2
	s_or_b32 exec_lo, exec_lo, s28
	s_waitcnt lgkmcnt(0)
	s_barrier
	buffer_gl0_inv
	ds_read_b32 v2, v9 offset:3072
	s_mov_b32 s28, -1
	s_mov_b32 s29, -1
	s_waitcnt lgkmcnt(0)
	s_barrier
	buffer_gl0_inv
	v_and_b32_e32 v3, 0x7fff, v2
	v_cmp_ne_u32_e32 vcc_lo, 0, v3
	s_cbranch_vccz .LBB117_276
.LBB117_272:                            ;   in Loop: Header=BB117_273 Depth=2
	s_and_b32 s28, exec_lo, s28
	s_or_b32 s16, s28, s16
	s_andn2_b32 s27, s27, exec_lo
	s_and_b32 s28, s29, exec_lo
	s_or_b32 s27, s27, s28
	s_andn2_b32 exec_lo, exec_lo, s16
	s_cbranch_execz .LBB117_277
.LBB117_273:                            ;   Parent Loop BB117_15 Depth=1
                                        ; =>  This Inner Loop Header: Depth=2
	s_mov_b32 s28, exec_lo
	v_cmpx_gt_u32_e64 s36, v1
	s_cbranch_execz .LBB117_271
; %bb.274:                              ;   in Loop: Header=BB117_273 Depth=2
	v_lshlrev_b64 v[2:3], 1, v[8:9]
	v_add_co_u32 v2, vcc_lo, s42, v2
	v_add_co_ci_u32_e64 v3, null, s48, v3, vcc_lo
	global_load_ushort v2, v[2:3], off
	s_waitcnt vmcnt(0)
	v_cmp_lt_i16_e32 vcc_lo, -1, v2
	v_lshlrev_b32_e32 v4, 16, v2
	v_cndmask_b32_e32 v3, 0xffff, v35, vcc_lo
	v_cmp_o_f32_e32 vcc_lo, v4, v4
	v_xor_b32_sdwa v3, v3, v2 dst_sel:DWORD dst_unused:UNUSED_PAD src0_sel:DWORD src1_sel:WORD_0
	v_cndmask_b32_e32 v3, 0xffff, v3, vcc_lo
	v_and_b32_e32 v3, v3, v37
	v_cmp_eq_u32_e32 vcc_lo, v3, v27
	s_and_b32 exec_lo, exec_lo, vcc_lo
	s_cbranch_execz .LBB117_271
; %bb.275:                              ;   in Loop: Header=BB117_273 Depth=2
	v_perm_b32 v2, v2, s74, 0x5040100
	ds_write_b32 v9, v2 offset:3072
	s_branch .LBB117_271
.LBB117_276:                            ;   in Loop: Header=BB117_273 Depth=2
	v_add_nc_u32_e32 v1, s50, v1
	v_add_nc_u32_e32 v8, s52, v8
	s_mov_b32 s29, 0
	v_cmp_le_u32_e32 vcc_lo, s69, v1
	s_orn2_b32 s28, vcc_lo, exec_lo
	s_branch .LBB117_272
.LBB117_277:                            ;   in Loop: Header=BB117_15 Depth=1
	s_or_b32 exec_lo, exec_lo, s16
	v_lshrrev_b32_e32 v38, 16, v2
	s_andn2_b32 s16, s26, exec_lo
	s_and_b32 s26, s27, exec_lo
	s_or_b32 s26, s16, s26
.LBB117_278:                            ;   in Loop: Header=BB117_15 Depth=1
	s_or_b32 exec_lo, exec_lo, s14
	s_mov_b32 s16, 0
	s_mov_b32 s14, -1
.LBB117_279:                            ;   in Loop: Header=BB117_15 Depth=1
	s_orn2_b32 s26, s26, exec_lo
.LBB117_280:                            ;   in Loop: Header=BB117_15 Depth=1
	s_or_b32 exec_lo, exec_lo, s25
                                        ; implicit-def: $vgpr4
                                        ; implicit-def: $vgpr1
	s_and_saveexec_b32 s25, s26
	s_cbranch_execz .LBB117_410
; %bb.281:                              ;   in Loop: Header=BB117_15 Depth=1
	v_mov_b32_e32 v4, 1
	v_mov_b32_e32 v1, 1
	s_xor_b32 s26, s6, -1
	s_mov_b32 s28, 0
	s_and_saveexec_b32 s6, s26
	s_cbranch_execz .LBB117_290
; %bb.282:                              ;   in Loop: Header=BB117_15 Depth=1
	s_mov_b32 s26, exec_lo
	v_cmpx_ge_u32_e64 s22, v39
	s_xor_b32 s26, exec_lo, s26
	s_cbranch_execz .LBB117_287
; %bb.283:                              ;   in Loop: Header=BB117_15 Depth=1
	ds_read_b32 v1, v9 offset:4096
	v_or_b32_e32 v27, s18, v27
	v_or_b32_e32 v37, s18, v37
	s_waitcnt lgkmcnt(0)
	v_cmp_ne_u32_e32 vcc_lo, 0, v1
	s_cbranch_vccnz .LBB117_287
; %bb.284:                              ;   in Loop: Header=BB117_15 Depth=1
	s_and_saveexec_b32 s27, s3
; %bb.285:                              ;   in Loop: Header=BB117_15 Depth=1
	v_mov_b32_e32 v1, s22
	ds_write_b32 v9, v1 offset:4100
; %bb.286:                              ;   in Loop: Header=BB117_15 Depth=1
	s_or_b32 exec_lo, exec_lo, s27
	s_waitcnt lgkmcnt(0)
	s_barrier
	buffer_gl0_inv
.LBB117_287:                            ;   in Loop: Header=BB117_15 Depth=1
	s_or_saveexec_b32 s26, s26
	v_mov_b32_e32 v1, 5
	s_mov_b32 s27, 0
	s_xor_b32 exec_lo, exec_lo, s26
; %bb.288:                              ;   in Loop: Header=BB117_15 Depth=1
	v_subrev_nc_u32_e32 v39, s22, v39
	v_mov_b32_e32 v1, 0
	s_mov_b32 s27, exec_lo
; %bb.289:                              ;   in Loop: Header=BB117_15 Depth=1
	s_or_b32 exec_lo, exec_lo, s26
	v_mov_b32_e32 v4, v39
	s_and_b32 s28, s27, exec_lo
.LBB117_290:                            ;   in Loop: Header=BB117_15 Depth=1
	s_or_b32 exec_lo, exec_lo, s6
	s_mov_b32 s27, -1
                                        ; implicit-def: $sgpr22
                                        ; implicit-def: $sgpr26
	s_and_saveexec_b32 s6, s28
	s_xor_b32 s6, exec_lo, s6
	s_cbranch_execz .LBB117_407
; %bb.291:                              ;   in Loop: Header=BB117_15 Depth=1
	v_cmp_eq_u32_e32 vcc_lo, 1, v4
	s_cmp_eq_u32 s21, 1
	s_mov_b32 s29, -1
	s_cselect_b32 s22, -1, 0
                                        ; implicit-def: $sgpr26
	s_and_b32 s28, s22, vcc_lo
                                        ; implicit-def: $sgpr22
	s_and_saveexec_b32 s27, s28
	s_cbranch_execz .LBB117_317
; %bb.292:                              ;   in Loop: Header=BB117_15 Depth=1
	ds_read_b32 v2, v9 offset:4096
	s_waitcnt lgkmcnt(0)
	s_barrier
	buffer_gl0_inv
	v_readfirstlane_b32 s30, v2
	s_and_saveexec_b32 s22, s15
; %bb.293:                              ;   in Loop: Header=BB117_15 Depth=1
	ds_write_b16 v21, v9
; %bb.294:                              ;   in Loop: Header=BB117_15 Depth=1
	s_or_b32 exec_lo, exec_lo, s22
	s_lshl_b32 s22, 2, s79
	v_or_b32_e32 v37, s18, v37
	v_and_or_b32 v27, v27, s19, s22
	s_mov_b32 s22, -1
	s_mov_b32 s26, 0
	s_cmp_eq_u32 s30, 0
	s_mov_b32 s29, 0
	s_mov_b32 s31, -1
	s_waitcnt lgkmcnt(0)
	s_barrier
	buffer_gl0_inv
                                        ; implicit-def: $vgpr38
	s_cbranch_scc1 .LBB117_305
; %bb.295:                              ;   in Loop: Header=BB117_15 Depth=1
	s_add_i32 s29, s30, s62
                                        ; implicit-def: $vgpr38
	s_mul_hi_u32 s31, s29, s68
	s_mul_i32 s31, s31, s50
	s_sub_i32 s31, s29, s31
	s_sub_i32 s33, s31, s50
	s_cmp_ge_u32 s31, s50
	s_cselect_b32 s31, s33, s31
	s_sub_i32 s33, s31, s50
	s_cmp_ge_u32 s31, s50
	s_cselect_b32 s31, s33, s31
	s_mov_b32 s33, exec_lo
	s_sub_i32 s34, s29, s31
	s_mov_b32 s31, 0
	s_mov_b32 s29, 0
	v_cmpx_gt_u32_e64 s34, v0
	s_cbranch_execz .LBB117_304
; %bb.296:                              ;   in Loop: Header=BB117_15 Depth=1
	v_mov_b32_e32 v2, v20
	v_mov_b32_e32 v3, v0
                                        ; implicit-def: $sgpr86
	s_branch .LBB117_299
.LBB117_297:                            ;   in Loop: Header=BB117_299 Depth=2
	s_or_b32 exec_lo, exec_lo, s87
	s_waitcnt lgkmcnt(0)
	s_barrier
	buffer_gl0_inv
	ds_read_b32 v8, v9 offset:3072
	s_mov_b32 s87, -1
	s_mov_b32 s88, -1
	s_waitcnt lgkmcnt(0)
	s_barrier
	buffer_gl0_inv
	v_and_b32_e32 v13, 0x7fff, v8
	v_cmp_ne_u32_e32 vcc_lo, 0, v13
	s_cbranch_vccz .LBB117_302
.LBB117_298:                            ;   in Loop: Header=BB117_299 Depth=2
	s_and_b32 s87, exec_lo, s87
	s_or_b32 s29, s87, s29
	s_andn2_b32 s86, s86, exec_lo
	s_and_b32 s87, s88, exec_lo
	s_or_b32 s86, s86, s87
	s_andn2_b32 exec_lo, exec_lo, s29
	s_cbranch_execz .LBB117_303
.LBB117_299:                            ;   Parent Loop BB117_15 Depth=1
                                        ; =>  This Inner Loop Header: Depth=2
	s_mov_b32 s87, exec_lo
	v_cmpx_gt_u32_e64 s30, v3
	s_cbranch_execz .LBB117_297
; %bb.300:                              ;   in Loop: Header=BB117_299 Depth=2
	ds_read_u16 v8, v2
	s_waitcnt lgkmcnt(0)
	v_cmp_lt_i16_e32 vcc_lo, -1, v8
	v_lshlrev_b32_e32 v14, 16, v8
	v_cndmask_b32_e32 v13, 0xffff, v35, vcc_lo
	v_cmp_o_f32_e32 vcc_lo, v14, v14
	v_xor_b32_sdwa v13, v13, v8 dst_sel:DWORD dst_unused:UNUSED_PAD src0_sel:DWORD src1_sel:WORD_0
	v_cndmask_b32_e32 v13, 0xffff, v13, vcc_lo
	v_and_b32_e32 v13, v13, v37
	v_cmp_eq_u32_e32 vcc_lo, v13, v27
	s_and_b32 exec_lo, exec_lo, vcc_lo
	s_cbranch_execz .LBB117_297
; %bb.301:                              ;   in Loop: Header=BB117_299 Depth=2
	v_perm_b32 v8, v8, s74, 0x5040100
	ds_write_b32 v9, v8 offset:3072
	s_branch .LBB117_297
.LBB117_302:                            ;   in Loop: Header=BB117_299 Depth=2
	v_add_nc_u32_e32 v3, s50, v3
	v_add_nc_u32_e32 v2, s72, v2
	s_mov_b32 s88, 0
	v_cmp_le_u32_e32 vcc_lo, s34, v3
	s_orn2_b32 s87, vcc_lo, exec_lo
	s_branch .LBB117_298
.LBB117_303:                            ;   in Loop: Header=BB117_15 Depth=1
	s_or_b32 exec_lo, exec_lo, s29
	v_lshrrev_b32_e32 v38, 16, v8
	s_and_b32 s29, s86, exec_lo
.LBB117_304:                            ;   in Loop: Header=BB117_15 Depth=1
	s_or_b32 exec_lo, exec_lo, s33
.LBB117_305:                            ;   in Loop: Header=BB117_15 Depth=1
	s_and_b32 vcc_lo, exec_lo, s31
	s_cbranch_vccz .LBB117_316
; %bb.306:                              ;   in Loop: Header=BB117_15 Depth=1
                                        ; implicit-def: $vgpr38
	s_and_saveexec_b32 s22, s13
	s_cbranch_execz .LBB117_315
; %bb.307:                              ;   in Loop: Header=BB117_15 Depth=1
	v_mov_b32_e32 v8, v7
	v_mov_b32_e32 v2, v0
	s_mov_b32 s26, 0
                                        ; implicit-def: $sgpr30
	s_branch .LBB117_310
.LBB117_308:                            ;   in Loop: Header=BB117_310 Depth=2
	s_or_b32 exec_lo, exec_lo, s31
	s_waitcnt lgkmcnt(0)
	s_barrier
	buffer_gl0_inv
	ds_read_b32 v3, v9 offset:3072
	s_mov_b32 s31, -1
	s_mov_b32 s33, -1
	s_waitcnt lgkmcnt(0)
	s_barrier
	buffer_gl0_inv
	v_and_b32_e32 v13, 0x7fff, v3
	v_cmp_eq_u32_e32 vcc_lo, 0, v13
	s_cbranch_vccnz .LBB117_313
.LBB117_309:                            ;   in Loop: Header=BB117_310 Depth=2
	s_and_b32 s31, exec_lo, s31
	s_or_b32 s26, s31, s26
	s_andn2_b32 s30, s30, exec_lo
	s_and_b32 s31, s33, exec_lo
	s_or_b32 s30, s30, s31
	s_andn2_b32 exec_lo, exec_lo, s26
	s_cbranch_execz .LBB117_314
.LBB117_310:                            ;   Parent Loop BB117_15 Depth=1
                                        ; =>  This Inner Loop Header: Depth=2
	s_mov_b32 s31, exec_lo
	v_cmpx_gt_u32_e64 s36, v2
	s_cbranch_execz .LBB117_308
; %bb.311:                              ;   in Loop: Header=BB117_310 Depth=2
	v_lshlrev_b64 v[13:14], 1, v[8:9]
	v_add_co_u32 v13, vcc_lo, s42, v13
	v_add_co_ci_u32_e64 v14, null, s48, v14, vcc_lo
	global_load_ushort v3, v[13:14], off
	s_waitcnt vmcnt(0)
	v_cmp_lt_i16_e32 vcc_lo, -1, v3
	v_lshlrev_b32_e32 v14, 16, v3
	v_cndmask_b32_e32 v13, 0xffff, v35, vcc_lo
	v_cmp_o_f32_e32 vcc_lo, v14, v14
	v_xor_b32_sdwa v13, v13, v3 dst_sel:DWORD dst_unused:UNUSED_PAD src0_sel:DWORD src1_sel:WORD_0
	v_cndmask_b32_e32 v13, 0xffff, v13, vcc_lo
	v_and_b32_e32 v13, v13, v37
	v_cmp_eq_u32_e32 vcc_lo, v13, v27
	s_and_b32 exec_lo, exec_lo, vcc_lo
	s_cbranch_execz .LBB117_308
; %bb.312:                              ;   in Loop: Header=BB117_310 Depth=2
	v_perm_b32 v3, v3, s74, 0x5040100
	ds_write_b32 v9, v3 offset:3072
	s_branch .LBB117_308
.LBB117_313:                            ;   in Loop: Header=BB117_310 Depth=2
	v_add_nc_u32_e32 v2, s50, v2
	v_add_nc_u32_e32 v8, s52, v8
	s_mov_b32 s33, 0
	v_cmp_le_u32_e32 vcc_lo, s69, v2
	s_orn2_b32 s31, vcc_lo, exec_lo
	s_branch .LBB117_309
.LBB117_314:                            ;   in Loop: Header=BB117_15 Depth=1
	s_or_b32 exec_lo, exec_lo, s26
	v_lshrrev_b32_e32 v38, 16, v3
	s_andn2_b32 s26, s29, exec_lo
	s_and_b32 s29, s30, exec_lo
	s_or_b32 s29, s26, s29
.LBB117_315:                            ;   in Loop: Header=BB117_15 Depth=1
	s_or_b32 exec_lo, exec_lo, s22
	s_mov_b32 s22, 0
	s_mov_b32 s26, -1
.LBB117_316:                            ;   in Loop: Header=BB117_15 Depth=1
	s_orn2_b32 s29, s29, exec_lo
.LBB117_317:                            ;   in Loop: Header=BB117_15 Depth=1
	s_or_b32 exec_lo, exec_lo, s27
	s_mov_b32 s30, 0
	s_and_saveexec_b32 s27, s29
	s_cbranch_execz .LBB117_406
; %bb.318:                              ;   in Loop: Header=BB117_15 Depth=1
	v_mov_b32_e32 v2, 1
	v_mov_b32_e32 v1, 1
	s_xor_b32 s29, s28, -1
	s_mov_b32 s31, 0
	s_and_saveexec_b32 s28, s29
	s_cbranch_execz .LBB117_327
; %bb.319:                              ;   in Loop: Header=BB117_15 Depth=1
	s_mov_b32 s29, exec_lo
	v_cmpx_ge_u32_e64 s21, v4
	s_xor_b32 s29, exec_lo, s29
	s_cbranch_execz .LBB117_324
; %bb.320:                              ;   in Loop: Header=BB117_15 Depth=1
	ds_read_b32 v1, v9 offset:4096
	s_lshl_b32 s30, 2, s79
	v_or_b32_e32 v37, s18, v37
	v_and_or_b32 v27, v27, s19, s30
	s_waitcnt lgkmcnt(0)
	v_cmp_ne_u32_e32 vcc_lo, 0, v1
	s_cbranch_vccnz .LBB117_324
; %bb.321:                              ;   in Loop: Header=BB117_15 Depth=1
	s_and_saveexec_b32 s30, s3
; %bb.322:                              ;   in Loop: Header=BB117_15 Depth=1
	v_mov_b32_e32 v1, s21
	ds_write_b32 v9, v1 offset:4100
; %bb.323:                              ;   in Loop: Header=BB117_15 Depth=1
	s_or_b32 exec_lo, exec_lo, s30
	s_waitcnt lgkmcnt(0)
	s_barrier
	buffer_gl0_inv
.LBB117_324:                            ;   in Loop: Header=BB117_15 Depth=1
	s_or_saveexec_b32 s29, s29
	v_mov_b32_e32 v1, 5
	s_mov_b32 s30, 0
	s_xor_b32 exec_lo, exec_lo, s29
; %bb.325:                              ;   in Loop: Header=BB117_15 Depth=1
	v_subrev_nc_u32_e32 v4, s21, v4
	v_mov_b32_e32 v1, 0
	s_mov_b32 s30, exec_lo
; %bb.326:                              ;   in Loop: Header=BB117_15 Depth=1
	s_or_b32 exec_lo, exec_lo, s29
	v_mov_b32_e32 v2, v4
	s_and_b32 s31, s30, exec_lo
.LBB117_327:                            ;   in Loop: Header=BB117_15 Depth=1
	s_or_b32 exec_lo, exec_lo, s28
	s_mov_b32 s30, -1
                                        ; implicit-def: $sgpr28
                                        ; implicit-def: $sgpr29
	s_and_saveexec_b32 s21, s31
	s_cbranch_execz .LBB117_405
; %bb.328:                              ;   in Loop: Header=BB117_15 Depth=1
	v_cmp_eq_u32_e32 vcc_lo, 1, v2
	s_cmp_eq_u32 s20, 1
	s_mov_b32 s33, -1
	s_cselect_b32 s28, -1, 0
                                        ; implicit-def: $sgpr29
	s_and_b32 s31, s28, vcc_lo
                                        ; implicit-def: $sgpr28
	s_and_saveexec_b32 s30, s31
	s_cbranch_execz .LBB117_354
; %bb.329:                              ;   in Loop: Header=BB117_15 Depth=1
	ds_read_b32 v3, v9 offset:4096
	s_waitcnt lgkmcnt(0)
	s_barrier
	buffer_gl0_inv
	v_readfirstlane_b32 s34, v3
	s_and_saveexec_b32 s28, s15
; %bb.330:                              ;   in Loop: Header=BB117_15 Depth=1
	ds_write_b16 v21, v9
; %bb.331:                              ;   in Loop: Header=BB117_15 Depth=1
	s_or_b32 exec_lo, exec_lo, s28
	s_lshl_b32 s28, 1, s79
	v_or_b32_e32 v37, s18, v37
	v_and_or_b32 v27, v27, s19, s28
	s_mov_b32 s28, -1
	s_mov_b32 s29, 0
	s_cmp_eq_u32 s34, 0
	s_mov_b32 s33, 0
	s_mov_b32 s86, -1
	s_waitcnt lgkmcnt(0)
	s_barrier
	buffer_gl0_inv
                                        ; implicit-def: $vgpr38
	s_cbranch_scc1 .LBB117_342
; %bb.332:                              ;   in Loop: Header=BB117_15 Depth=1
	s_add_i32 s33, s34, s62
                                        ; implicit-def: $vgpr38
	s_mul_hi_u32 s86, s33, s68
	s_mul_i32 s86, s86, s50
	s_sub_i32 s86, s33, s86
	s_sub_i32 s87, s86, s50
	s_cmp_ge_u32 s86, s50
	s_cselect_b32 s86, s87, s86
	s_sub_i32 s87, s86, s50
	s_cmp_ge_u32 s86, s50
	s_cselect_b32 s86, s87, s86
	s_mov_b32 s87, exec_lo
	s_sub_i32 s88, s33, s86
	s_mov_b32 s86, 0
	s_mov_b32 s33, 0
	v_cmpx_gt_u32_e64 s88, v0
	s_cbranch_execz .LBB117_341
; %bb.333:                              ;   in Loop: Header=BB117_15 Depth=1
	v_mov_b32_e32 v3, v20
	v_mov_b32_e32 v4, v0
                                        ; implicit-def: $sgpr89
	s_branch .LBB117_336
.LBB117_334:                            ;   in Loop: Header=BB117_336 Depth=2
	s_or_b32 exec_lo, exec_lo, s90
	s_waitcnt lgkmcnt(0)
	s_barrier
	buffer_gl0_inv
	ds_read_b32 v8, v9 offset:3072
	s_mov_b32 s90, -1
	s_mov_b32 s91, -1
	s_waitcnt lgkmcnt(0)
	s_barrier
	buffer_gl0_inv
	v_and_b32_e32 v13, 0x7fff, v8
	v_cmp_ne_u32_e32 vcc_lo, 0, v13
	s_cbranch_vccz .LBB117_339
.LBB117_335:                            ;   in Loop: Header=BB117_336 Depth=2
	s_and_b32 s90, exec_lo, s90
	s_or_b32 s33, s90, s33
	s_andn2_b32 s89, s89, exec_lo
	s_and_b32 s90, s91, exec_lo
	s_or_b32 s89, s89, s90
	s_andn2_b32 exec_lo, exec_lo, s33
	s_cbranch_execz .LBB117_340
.LBB117_336:                            ;   Parent Loop BB117_15 Depth=1
                                        ; =>  This Inner Loop Header: Depth=2
	s_mov_b32 s90, exec_lo
	v_cmpx_gt_u32_e64 s34, v4
	s_cbranch_execz .LBB117_334
; %bb.337:                              ;   in Loop: Header=BB117_336 Depth=2
	ds_read_u16 v8, v3
	s_waitcnt lgkmcnt(0)
	v_cmp_lt_i16_e32 vcc_lo, -1, v8
	v_lshlrev_b32_e32 v14, 16, v8
	v_cndmask_b32_e32 v13, 0xffff, v35, vcc_lo
	v_cmp_o_f32_e32 vcc_lo, v14, v14
	v_xor_b32_sdwa v13, v13, v8 dst_sel:DWORD dst_unused:UNUSED_PAD src0_sel:DWORD src1_sel:WORD_0
	v_cndmask_b32_e32 v13, 0xffff, v13, vcc_lo
	v_and_b32_e32 v13, v13, v37
	v_cmp_eq_u32_e32 vcc_lo, v13, v27
	s_and_b32 exec_lo, exec_lo, vcc_lo
	s_cbranch_execz .LBB117_334
; %bb.338:                              ;   in Loop: Header=BB117_336 Depth=2
	v_perm_b32 v8, v8, s74, 0x5040100
	ds_write_b32 v9, v8 offset:3072
	s_branch .LBB117_334
.LBB117_339:                            ;   in Loop: Header=BB117_336 Depth=2
	v_add_nc_u32_e32 v4, s50, v4
	v_add_nc_u32_e32 v3, s72, v3
	s_mov_b32 s91, 0
	v_cmp_le_u32_e32 vcc_lo, s88, v4
	s_orn2_b32 s90, vcc_lo, exec_lo
	s_branch .LBB117_335
.LBB117_340:                            ;   in Loop: Header=BB117_15 Depth=1
	s_or_b32 exec_lo, exec_lo, s33
	v_lshrrev_b32_e32 v38, 16, v8
	s_and_b32 s33, s89, exec_lo
.LBB117_341:                            ;   in Loop: Header=BB117_15 Depth=1
	s_or_b32 exec_lo, exec_lo, s87
.LBB117_342:                            ;   in Loop: Header=BB117_15 Depth=1
	s_and_b32 vcc_lo, exec_lo, s86
	s_cbranch_vccz .LBB117_353
; %bb.343:                              ;   in Loop: Header=BB117_15 Depth=1
                                        ; implicit-def: $vgpr38
	s_and_saveexec_b32 s28, s13
	s_cbranch_execz .LBB117_352
; %bb.344:                              ;   in Loop: Header=BB117_15 Depth=1
	v_mov_b32_e32 v8, v7
	v_mov_b32_e32 v3, v0
	s_mov_b32 s29, 0
                                        ; implicit-def: $sgpr34
	s_branch .LBB117_347
.LBB117_345:                            ;   in Loop: Header=BB117_347 Depth=2
	s_or_b32 exec_lo, exec_lo, s86
	s_waitcnt lgkmcnt(0)
	s_barrier
	buffer_gl0_inv
	ds_read_b32 v4, v9 offset:3072
	s_mov_b32 s86, -1
	s_mov_b32 s87, -1
	s_waitcnt lgkmcnt(0)
	s_barrier
	buffer_gl0_inv
	v_and_b32_e32 v13, 0x7fff, v4
	v_cmp_eq_u32_e32 vcc_lo, 0, v13
	s_cbranch_vccnz .LBB117_350
.LBB117_346:                            ;   in Loop: Header=BB117_347 Depth=2
	s_and_b32 s86, exec_lo, s86
	s_or_b32 s29, s86, s29
	s_andn2_b32 s34, s34, exec_lo
	s_and_b32 s86, s87, exec_lo
	s_or_b32 s34, s34, s86
	s_andn2_b32 exec_lo, exec_lo, s29
	s_cbranch_execz .LBB117_351
.LBB117_347:                            ;   Parent Loop BB117_15 Depth=1
                                        ; =>  This Inner Loop Header: Depth=2
	s_mov_b32 s86, exec_lo
	v_cmpx_gt_u32_e64 s36, v3
	s_cbranch_execz .LBB117_345
; %bb.348:                              ;   in Loop: Header=BB117_347 Depth=2
	v_lshlrev_b64 v[13:14], 1, v[8:9]
	v_add_co_u32 v13, vcc_lo, s42, v13
	v_add_co_ci_u32_e64 v14, null, s48, v14, vcc_lo
	global_load_ushort v4, v[13:14], off
	s_waitcnt vmcnt(0)
	v_cmp_lt_i16_e32 vcc_lo, -1, v4
	v_lshlrev_b32_e32 v14, 16, v4
	v_cndmask_b32_e32 v13, 0xffff, v35, vcc_lo
	v_cmp_o_f32_e32 vcc_lo, v14, v14
	v_xor_b32_sdwa v13, v13, v4 dst_sel:DWORD dst_unused:UNUSED_PAD src0_sel:DWORD src1_sel:WORD_0
	v_cndmask_b32_e32 v13, 0xffff, v13, vcc_lo
	v_and_b32_e32 v13, v13, v37
	v_cmp_eq_u32_e32 vcc_lo, v13, v27
	s_and_b32 exec_lo, exec_lo, vcc_lo
	s_cbranch_execz .LBB117_345
; %bb.349:                              ;   in Loop: Header=BB117_347 Depth=2
	v_perm_b32 v4, v4, s74, 0x5040100
	ds_write_b32 v9, v4 offset:3072
	s_branch .LBB117_345
.LBB117_350:                            ;   in Loop: Header=BB117_347 Depth=2
	v_add_nc_u32_e32 v3, s50, v3
	v_add_nc_u32_e32 v8, s52, v8
	s_mov_b32 s87, 0
	v_cmp_le_u32_e32 vcc_lo, s69, v3
	s_orn2_b32 s86, vcc_lo, exec_lo
	s_branch .LBB117_346
.LBB117_351:                            ;   in Loop: Header=BB117_15 Depth=1
	s_or_b32 exec_lo, exec_lo, s29
	v_lshrrev_b32_e32 v38, 16, v4
	s_andn2_b32 s29, s33, exec_lo
	s_and_b32 s33, s34, exec_lo
	s_or_b32 s33, s29, s33
.LBB117_352:                            ;   in Loop: Header=BB117_15 Depth=1
	s_or_b32 exec_lo, exec_lo, s28
	s_mov_b32 s28, 0
	s_mov_b32 s29, -1
.LBB117_353:                            ;   in Loop: Header=BB117_15 Depth=1
	s_orn2_b32 s33, s33, exec_lo
.LBB117_354:                            ;   in Loop: Header=BB117_15 Depth=1
	s_or_b32 exec_lo, exec_lo, s30
	s_mov_b32 s34, 0
	s_and_saveexec_b32 s30, s33
	s_cbranch_execz .LBB117_404
; %bb.355:                              ;   in Loop: Header=BB117_15 Depth=1
	v_mov_b32_e32 v3, 1
	v_mov_b32_e32 v1, 1
	s_xor_b32 s33, s31, -1
	s_mov_b32 s86, 0
	s_and_saveexec_b32 s31, s33
	s_cbranch_execz .LBB117_364
; %bb.356:                              ;   in Loop: Header=BB117_15 Depth=1
	s_mov_b32 s33, exec_lo
	v_cmpx_ge_u32_e64 s20, v2
	s_xor_b32 s33, exec_lo, s33
	s_cbranch_execz .LBB117_361
; %bb.357:                              ;   in Loop: Header=BB117_15 Depth=1
	ds_read_b32 v1, v9 offset:4096
	s_lshl_b32 s34, 1, s79
	v_or_b32_e32 v37, s18, v37
	v_and_or_b32 v27, v27, s19, s34
	s_waitcnt lgkmcnt(0)
	v_cmp_ne_u32_e32 vcc_lo, 0, v1
	s_cbranch_vccnz .LBB117_361
; %bb.358:                              ;   in Loop: Header=BB117_15 Depth=1
	s_and_saveexec_b32 s34, s3
; %bb.359:                              ;   in Loop: Header=BB117_15 Depth=1
	v_mov_b32_e32 v1, s20
	ds_write_b32 v9, v1 offset:4100
; %bb.360:                              ;   in Loop: Header=BB117_15 Depth=1
	s_or_b32 exec_lo, exec_lo, s34
	s_waitcnt lgkmcnt(0)
	s_barrier
	buffer_gl0_inv
.LBB117_361:                            ;   in Loop: Header=BB117_15 Depth=1
	s_or_saveexec_b32 s33, s33
	v_mov_b32_e32 v1, 5
	s_mov_b32 s34, 0
	s_xor_b32 exec_lo, exec_lo, s33
; %bb.362:                              ;   in Loop: Header=BB117_15 Depth=1
	v_subrev_nc_u32_e32 v2, s20, v2
	v_mov_b32_e32 v1, 0
	s_mov_b32 s34, exec_lo
; %bb.363:                              ;   in Loop: Header=BB117_15 Depth=1
	s_or_b32 exec_lo, exec_lo, s33
	v_mov_b32_e32 v3, v2
	s_and_b32 s86, s34, exec_lo
.LBB117_364:                            ;   in Loop: Header=BB117_15 Depth=1
	s_or_b32 exec_lo, exec_lo, s31
	s_mov_b32 s31, -1
                                        ; implicit-def: $sgpr34
                                        ; implicit-def: $sgpr33
	s_and_saveexec_b32 s20, s86
	s_cbranch_execz .LBB117_403
; %bb.365:                              ;   in Loop: Header=BB117_15 Depth=1
	v_cmp_eq_u32_e32 vcc_lo, 1, v3
	s_cmp_eq_u32 s17, 1
	s_mov_b32 s87, -1
	s_cselect_b32 s31, -1, 0
                                        ; implicit-def: $sgpr34
                                        ; implicit-def: $sgpr33
	s_and_b32 s31, s31, vcc_lo
	s_and_saveexec_b32 s86, s31
	s_cbranch_execz .LBB117_391
; %bb.366:                              ;   in Loop: Header=BB117_15 Depth=1
	ds_read_b32 v2, v9 offset:4096
	s_waitcnt lgkmcnt(0)
	s_barrier
	buffer_gl0_inv
	v_readfirstlane_b32 s88, v2
	s_and_saveexec_b32 s33, s15
; %bb.367:                              ;   in Loop: Header=BB117_15 Depth=1
	ds_write_b16 v21, v9
; %bb.368:                              ;   in Loop: Header=BB117_15 Depth=1
	s_or_b32 exec_lo, exec_lo, s33
	v_and_b32_e32 v27, s19, v27
	v_or_b32_e32 v37, s18, v37
	s_mov_b32 s33, -1
	s_mov_b32 s34, 0
	s_cmp_eq_u32 s88, 0
	s_mov_b32 s87, 0
	s_mov_b32 s89, -1
	s_waitcnt lgkmcnt(0)
	s_barrier
	buffer_gl0_inv
                                        ; implicit-def: $vgpr38
	s_cbranch_scc1 .LBB117_379
; %bb.369:                              ;   in Loop: Header=BB117_15 Depth=1
	s_add_i32 s87, s88, s62
                                        ; implicit-def: $vgpr38
	s_mul_hi_u32 s89, s87, s68
	s_mul_i32 s89, s89, s50
	s_sub_i32 s89, s87, s89
	s_sub_i32 s90, s89, s50
	s_cmp_ge_u32 s89, s50
	s_cselect_b32 s89, s90, s89
	s_sub_i32 s90, s89, s50
	s_cmp_ge_u32 s89, s50
	s_cselect_b32 s89, s90, s89
	s_mov_b32 s90, exec_lo
	s_sub_i32 s91, s87, s89
	s_mov_b32 s89, 0
	s_mov_b32 s87, 0
	v_cmpx_gt_u32_e64 s91, v0
	s_cbranch_execz .LBB117_378
; %bb.370:                              ;   in Loop: Header=BB117_15 Depth=1
	v_mov_b32_e32 v2, v20
	v_mov_b32_e32 v4, v0
                                        ; implicit-def: $sgpr92
	s_branch .LBB117_373
.LBB117_371:                            ;   in Loop: Header=BB117_373 Depth=2
	s_or_b32 exec_lo, exec_lo, s93
	s_waitcnt lgkmcnt(0)
	s_barrier
	buffer_gl0_inv
	ds_read_b32 v8, v9 offset:3072
	s_mov_b32 s93, -1
	s_mov_b32 s94, -1
	s_waitcnt lgkmcnt(0)
	s_barrier
	buffer_gl0_inv
	v_and_b32_e32 v13, 0x7fff, v8
	v_cmp_ne_u32_e32 vcc_lo, 0, v13
	s_cbranch_vccz .LBB117_376
.LBB117_372:                            ;   in Loop: Header=BB117_373 Depth=2
	s_and_b32 s93, exec_lo, s93
	s_or_b32 s87, s93, s87
	s_andn2_b32 s92, s92, exec_lo
	s_and_b32 s93, s94, exec_lo
	s_or_b32 s92, s92, s93
	s_andn2_b32 exec_lo, exec_lo, s87
	s_cbranch_execz .LBB117_377
.LBB117_373:                            ;   Parent Loop BB117_15 Depth=1
                                        ; =>  This Inner Loop Header: Depth=2
	s_mov_b32 s93, exec_lo
	v_cmpx_gt_u32_e64 s88, v4
	s_cbranch_execz .LBB117_371
; %bb.374:                              ;   in Loop: Header=BB117_373 Depth=2
	ds_read_u16 v8, v2
	s_waitcnt lgkmcnt(0)
	v_cmp_lt_i16_e32 vcc_lo, -1, v8
	v_lshlrev_b32_e32 v14, 16, v8
	v_cndmask_b32_e32 v13, 0xffff, v35, vcc_lo
	v_cmp_o_f32_e32 vcc_lo, v14, v14
	v_xor_b32_sdwa v13, v13, v8 dst_sel:DWORD dst_unused:UNUSED_PAD src0_sel:DWORD src1_sel:WORD_0
	v_cndmask_b32_e32 v13, 0xffff, v13, vcc_lo
	v_and_b32_e32 v13, v13, v37
	v_cmp_eq_u32_e32 vcc_lo, v13, v27
	s_and_b32 exec_lo, exec_lo, vcc_lo
	s_cbranch_execz .LBB117_371
; %bb.375:                              ;   in Loop: Header=BB117_373 Depth=2
	v_perm_b32 v8, v8, s74, 0x5040100
	ds_write_b32 v9, v8 offset:3072
	s_branch .LBB117_371
.LBB117_376:                            ;   in Loop: Header=BB117_373 Depth=2
	v_add_nc_u32_e32 v4, s50, v4
	v_add_nc_u32_e32 v2, s72, v2
	s_mov_b32 s94, 0
	v_cmp_le_u32_e32 vcc_lo, s91, v4
	s_orn2_b32 s93, vcc_lo, exec_lo
	s_branch .LBB117_372
.LBB117_377:                            ;   in Loop: Header=BB117_15 Depth=1
	s_or_b32 exec_lo, exec_lo, s87
	v_lshrrev_b32_e32 v38, 16, v8
	s_and_b32 s87, s92, exec_lo
.LBB117_378:                            ;   in Loop: Header=BB117_15 Depth=1
	s_or_b32 exec_lo, exec_lo, s90
.LBB117_379:                            ;   in Loop: Header=BB117_15 Depth=1
	s_and_b32 vcc_lo, exec_lo, s89
	s_cbranch_vccz .LBB117_390
; %bb.380:                              ;   in Loop: Header=BB117_15 Depth=1
                                        ; implicit-def: $vgpr38
	s_and_saveexec_b32 s33, s13
	s_cbranch_execz .LBB117_389
; %bb.381:                              ;   in Loop: Header=BB117_15 Depth=1
	v_mov_b32_e32 v8, v7
	v_mov_b32_e32 v2, v0
	s_mov_b32 s34, 0
                                        ; implicit-def: $sgpr88
	s_branch .LBB117_384
.LBB117_382:                            ;   in Loop: Header=BB117_384 Depth=2
	s_or_b32 exec_lo, exec_lo, s89
	s_waitcnt lgkmcnt(0)
	s_barrier
	buffer_gl0_inv
	ds_read_b32 v4, v9 offset:3072
	s_mov_b32 s89, -1
	s_mov_b32 s90, -1
	s_waitcnt lgkmcnt(0)
	s_barrier
	buffer_gl0_inv
	v_and_b32_e32 v13, 0x7fff, v4
	v_cmp_eq_u32_e32 vcc_lo, 0, v13
	s_cbranch_vccnz .LBB117_387
.LBB117_383:                            ;   in Loop: Header=BB117_384 Depth=2
	s_and_b32 s89, exec_lo, s89
	s_or_b32 s34, s89, s34
	s_andn2_b32 s88, s88, exec_lo
	s_and_b32 s89, s90, exec_lo
	s_or_b32 s88, s88, s89
	s_andn2_b32 exec_lo, exec_lo, s34
	s_cbranch_execz .LBB117_388
.LBB117_384:                            ;   Parent Loop BB117_15 Depth=1
                                        ; =>  This Inner Loop Header: Depth=2
	s_mov_b32 s89, exec_lo
	v_cmpx_gt_u32_e64 s36, v2
	s_cbranch_execz .LBB117_382
; %bb.385:                              ;   in Loop: Header=BB117_384 Depth=2
	v_lshlrev_b64 v[13:14], 1, v[8:9]
	v_add_co_u32 v13, vcc_lo, s42, v13
	v_add_co_ci_u32_e64 v14, null, s48, v14, vcc_lo
	global_load_ushort v4, v[13:14], off
	s_waitcnt vmcnt(0)
	v_cmp_lt_i16_e32 vcc_lo, -1, v4
	v_lshlrev_b32_e32 v14, 16, v4
	v_cndmask_b32_e32 v13, 0xffff, v35, vcc_lo
	v_cmp_o_f32_e32 vcc_lo, v14, v14
	v_xor_b32_sdwa v13, v13, v4 dst_sel:DWORD dst_unused:UNUSED_PAD src0_sel:DWORD src1_sel:WORD_0
	v_cndmask_b32_e32 v13, 0xffff, v13, vcc_lo
	v_and_b32_e32 v13, v13, v37
	v_cmp_eq_u32_e32 vcc_lo, v13, v27
	s_and_b32 exec_lo, exec_lo, vcc_lo
	s_cbranch_execz .LBB117_382
; %bb.386:                              ;   in Loop: Header=BB117_384 Depth=2
	v_perm_b32 v4, v4, s74, 0x5040100
	ds_write_b32 v9, v4 offset:3072
	s_branch .LBB117_382
.LBB117_387:                            ;   in Loop: Header=BB117_384 Depth=2
	v_add_nc_u32_e32 v2, s50, v2
	v_add_nc_u32_e32 v8, s52, v8
	s_mov_b32 s90, 0
	v_cmp_le_u32_e32 vcc_lo, s69, v2
	s_orn2_b32 s89, vcc_lo, exec_lo
	s_branch .LBB117_383
.LBB117_388:                            ;   in Loop: Header=BB117_15 Depth=1
	s_or_b32 exec_lo, exec_lo, s34
	v_lshrrev_b32_e32 v38, 16, v4
	s_andn2_b32 s34, s87, exec_lo
	s_and_b32 s87, s88, exec_lo
	s_or_b32 s87, s34, s87
.LBB117_389:                            ;   in Loop: Header=BB117_15 Depth=1
	s_or_b32 exec_lo, exec_lo, s33
	s_mov_b32 s33, 0
	s_mov_b32 s34, -1
.LBB117_390:                            ;   in Loop: Header=BB117_15 Depth=1
	s_orn2_b32 s87, s87, exec_lo
.LBB117_391:                            ;   in Loop: Header=BB117_15 Depth=1
	s_or_b32 exec_lo, exec_lo, s86
	s_mov_b32 s88, 0
	s_and_saveexec_b32 s86, s87
	s_cbranch_execz .LBB117_402
; %bb.392:                              ;   in Loop: Header=BB117_15 Depth=1
	v_mov_b32_e32 v1, 1
	v_mov_b32_e32 v2, 1
	s_xor_b32 s87, s31, -1
	s_and_saveexec_b32 s31, s87
	s_cbranch_execz .LBB117_401
; %bb.393:                              ;   in Loop: Header=BB117_15 Depth=1
	s_mov_b32 s87, exec_lo
	v_cmpx_ge_u32_e64 s17, v3
	s_xor_b32 s87, exec_lo, s87
	s_cbranch_execz .LBB117_398
; %bb.394:                              ;   in Loop: Header=BB117_15 Depth=1
	ds_read_b32 v1, v9 offset:4096
	v_and_b32_e32 v27, s19, v27
	v_or_b32_e32 v37, s18, v37
	s_waitcnt lgkmcnt(0)
	v_cmp_ne_u32_e32 vcc_lo, 0, v1
	s_cbranch_vccnz .LBB117_398
; %bb.395:                              ;   in Loop: Header=BB117_15 Depth=1
	s_and_saveexec_b32 s18, s3
; %bb.396:                              ;   in Loop: Header=BB117_15 Depth=1
	v_mov_b32_e32 v1, s17
	ds_write_b32 v9, v1 offset:4100
; %bb.397:                              ;   in Loop: Header=BB117_15 Depth=1
	s_or_b32 exec_lo, exec_lo, s18
	s_waitcnt lgkmcnt(0)
	s_barrier
	buffer_gl0_inv
.LBB117_398:                            ;   in Loop: Header=BB117_15 Depth=1
	s_andn2_saveexec_b32 s18, s87
; %bb.399:                              ;   in Loop: Header=BB117_15 Depth=1
	v_subrev_nc_u32_e32 v3, s17, v3
; %bb.400:                              ;   in Loop: Header=BB117_15 Depth=1
	s_or_b32 exec_lo, exec_lo, s18
	v_mov_b32_e32 v1, 5
	v_mov_b32_e32 v2, v3
.LBB117_401:                            ;   in Loop: Header=BB117_15 Depth=1
	s_or_b32 exec_lo, exec_lo, s31
	v_mov_b32_e32 v3, v2
	s_mov_b32 s88, exec_lo
.LBB117_402:                            ;   in Loop: Header=BB117_15 Depth=1
	s_or_b32 exec_lo, exec_lo, s86
	s_orn2_b32 s31, s88, exec_lo
.LBB117_403:                            ;   in Loop: Header=BB117_15 Depth=1
	s_or_b32 exec_lo, exec_lo, s20
	v_mov_b32_e32 v2, v3
	s_andn2_b32 s17, s29, exec_lo
	s_and_b32 s18, s34, exec_lo
	s_andn2_b32 s19, s28, exec_lo
	s_and_b32 s20, s33, exec_lo
	s_or_b32 s29, s17, s18
	s_or_b32 s28, s19, s20
	s_and_b32 s34, s31, exec_lo
.LBB117_404:                            ;   in Loop: Header=BB117_15 Depth=1
	s_or_b32 exec_lo, exec_lo, s30
	s_orn2_b32 s30, s34, exec_lo
.LBB117_405:                            ;   in Loop: Header=BB117_15 Depth=1
	s_or_b32 exec_lo, exec_lo, s21
	v_mov_b32_e32 v4, v2
	s_andn2_b32 s17, s26, exec_lo
	s_and_b32 s18, s29, exec_lo
	s_andn2_b32 s19, s22, exec_lo
	s_and_b32 s20, s28, exec_lo
	s_or_b32 s26, s17, s18
	s_or_b32 s22, s19, s20
	s_and_b32 s30, s30, exec_lo
.LBB117_406:                            ;   in Loop: Header=BB117_15 Depth=1
	s_or_b32 exec_lo, exec_lo, s27
	s_orn2_b32 s27, s30, exec_lo
.LBB117_407:                            ;   in Loop: Header=BB117_15 Depth=1
	s_or_b32 exec_lo, exec_lo, s6
	s_mov_b32 s6, s24
	s_mov_b32 s17, s23
	s_and_saveexec_b32 s18, s27
; %bb.408:                              ;   in Loop: Header=BB117_15 Depth=1
	v_cmp_ne_u32_e32 vcc_lo, 5, v1
	v_cmp_eq_u32_e64 s6, 5, v1
	s_andn2_b32 s17, s23, exec_lo
	s_andn2_b32 s19, s24, exec_lo
	s_and_b32 s20, vcc_lo, exec_lo
	s_and_b32 s6, s6, exec_lo
	s_or_b32 s17, s17, s20
	s_or_b32 s6, s19, s6
; %bb.409:                              ;   in Loop: Header=BB117_15 Depth=1
	s_or_b32 exec_lo, exec_lo, s18
	s_andn2_b32 s14, s14, exec_lo
	s_and_b32 s18, s26, exec_lo
	s_andn2_b32 s16, s16, exec_lo
	s_and_b32 s19, s22, exec_lo
	s_or_b32 s14, s14, s18
	s_or_b32 s16, s16, s19
	s_andn2_b32 s18, s23, exec_lo
	s_and_b32 s17, s17, exec_lo
	s_andn2_b32 s19, s24, exec_lo
	s_and_b32 s6, s6, exec_lo
	s_or_b32 s23, s18, s17
	s_or_b32 s24, s19, s6
.LBB117_410:                            ;   in Loop: Header=BB117_15 Depth=1
	s_or_b32 exec_lo, exec_lo, s25
	s_mov_b32 s25, 0
	s_mov_b32 s26, 0
	s_and_saveexec_b32 s6, s24
.LBB117_411:                            ;   in Loop: Header=BB117_15 Depth=1
	v_mov_b32_e32 v1, 0
	s_or_b32 s23, s23, exec_lo
.LBB117_412:                            ;   in Loop: Header=BB117_15 Depth=1
	s_or_b32 exec_lo, exec_lo, s6
	s_andn2_b32 s6, s83, exec_lo
	s_and_b32 s14, s14, exec_lo
	s_andn2_b32 s18, s81, exec_lo
	s_and_b32 s16, s16, exec_lo
	v_mov_b32_e32 v39, v4
	s_or_b32 s83, s6, s14
	s_or_b32 s81, s18, s16
	s_andn2_b32 s6, s85, exec_lo
	s_and_b32 s14, s26, exec_lo
	s_andn2_b32 s16, s84, exec_lo
	s_and_b32 s18, s25, exec_lo
	s_mov_b32 s17, -1
	s_andn2_b32 s82, s82, exec_lo
	s_or_b32 s85, s6, s14
	s_or_b32 s84, s16, s18
	s_and_saveexec_b32 s6, s23
	s_xor_b32 s6, exec_lo, s6
	s_cbranch_execz .LBB117_14
; %bb.413:                              ;   in Loop: Header=BB117_15 Depth=1
	s_mov_b32 s14, -1
	s_mov_b32 s16, -1
	s_mov_b32 s17, exec_lo
	v_cmpx_eq_u32_e32 0, v1
	s_cbranch_execz .LBB117_13
; %bb.414:                              ;   in Loop: Header=BB117_15 Depth=1
	s_xor_b32 s75, s75, 1
	s_add_i32 s18, s79, -2
	s_cmp_eq_u32 s79, 0
	s_mov_b32 s79, s18
	s_cselect_b32 s14, -1, 0
	s_xor_b32 s16, exec_lo, -1
	s_orn2_b32 s14, s14, exec_lo
	s_branch .LBB117_13
.LBB117_415:
	s_or_b32 exec_lo, exec_lo, s49
	s_xor_b32 s9, s80, -1
	s_xor_b32 s12, s77, -1
	;; [unrolled: 1-line block ×5, first 2 shown]
	s_mov_b32 s7, 0
	s_and_saveexec_b32 s8, s6
	s_xor_b32 s6, exec_lo, s8
	s_cbranch_execnz .LBB117_420
; %bb.416:
	s_andn2_saveexec_b32 s0, s6
	s_cbranch_execnz .LBB117_439
.LBB117_417:
	s_or_b32 exec_lo, exec_lo, s0
	s_and_saveexec_b32 s0, s7
.LBB117_418:
	; divergent unreachable
.LBB117_419:
	s_endpgm
.LBB117_420:
	s_mov_b32 s8, 0
	s_and_saveexec_b32 s7, s11
	s_xor_b32 s7, exec_lo, s7
	s_cbranch_execz .LBB117_437
; %bb.421:
	s_mov_b32 s11, 0
	s_and_saveexec_b32 s8, s12
	s_xor_b32 s8, exec_lo, s8
	s_cbranch_execz .LBB117_435
; %bb.422:
	s_and_saveexec_b32 s12, s9
	s_xor_b32 s9, exec_lo, s12
	s_cbranch_execz .LBB117_433
; %bb.423:
	s_and_saveexec_b32 s11, s10
	s_xor_b32 s10, exec_lo, s11
; %bb.424:
	v_and_b32_e32 v1, 0x8000, v27
	v_mov_b32_e32 v2, 0xffff
	v_cmp_eq_u32_e32 vcc_lo, 0, v1
	v_cndmask_b32_e32 v1, 0x8000, v2, vcc_lo
	v_xor_b32_e32 v38, v1, v27
; %bb.425:
	s_or_b32 exec_lo, exec_lo, s10
	s_and_saveexec_b32 s10, s3
; %bb.426:
	v_mov_b32_e32 v1, 0
	ds_write_b32 v1, v1 offset:4108
; %bb.427:
	s_or_b32 exec_lo, exec_lo, s10
	v_mov_b32_e32 v9, 0
	s_waitcnt lgkmcnt(0)
	s_barrier
	buffer_gl0_inv
	s_and_saveexec_b32 s3, s1
	s_cbranch_execz .LBB117_429
; %bb.428:
	global_load_ushort v9, v[5:6], off
.LBB117_429:
	s_or_b32 exec_lo, exec_lo, s3
	v_mov_b32_e32 v8, 0x8000
	v_cmp_lt_i16_e32 vcc_lo, -1, v38
	s_clause 0x1
	s_load_dword s10, s[4:5], 0x1c8
	s_load_dword s11, s[4:5], 0x2a8
	v_lshlrev_b32_e32 v1, 16, v38
	s_mul_i32 s3, s54, s53
	s_mov_b32 s5, 0
	v_cndmask_b32_e32 v2, 0xffff, v8, vcc_lo
	s_add_i32 s4, s3, s35
	v_cmp_o_f32_e32 vcc_lo, v1, v1
	s_add_i32 s12, s36, 31
	s_mul_i32 s13, s55, s51
	v_xor_b32_sdwa v2, v2, v38 dst_sel:DWORD dst_unused:UNUSED_PAD src0_sel:DWORD src1_sel:WORD_0
	s_lshl_b64 s[14:15], s[4:5], 1
	s_andn2_b32 s12, s12, 31
	s_add_i32 s16, s13, s43
	s_mov_b32 s17, s5
	s_add_u32 s13, s46, s14
	v_cndmask_b32_e32 v7, 0xffff, v2, vcc_lo
	s_addc_u32 s14, s47, s15
	s_lshl_b64 s[16:17], s[16:17], 3
	v_cmp_gt_u32_e32 vcc_lo, s12, v0
	s_add_u32 s15, s44, s16
	s_mov_b32 s18, -1
	s_addc_u32 s16, s45, s17
	s_mov_b32 s3, 0
	s_and_saveexec_b32 s17, vcc_lo
	s_cbranch_execnz .LBB117_440
; %bb.430:
	s_or_b32 exec_lo, exec_lo, s17
	s_and_saveexec_b32 s2, s18
	s_cbranch_execnz .LBB117_457
.LBB117_431:
	s_or_b32 exec_lo, exec_lo, s2
	s_and_saveexec_b32 s0, s3
	s_xor_b32 s0, exec_lo, s0
	s_cbranch_execnz .LBB117_482
.LBB117_432:
	s_or_b32 exec_lo, exec_lo, s0
	s_waitcnt lgkmcnt(0)
	s_and_b32 s11, s5, exec_lo
.LBB117_433:
	s_andn2_saveexec_b32 s0, s9
	s_cbranch_execnz .LBB117_484
.LBB117_434:
	s_or_b32 exec_lo, exec_lo, s0
	s_and_b32 s11, s11, exec_lo
.LBB117_435:
	s_andn2_saveexec_b32 s0, s8
	s_cbranch_execnz .LBB117_483
.LBB117_436:
	s_or_b32 exec_lo, exec_lo, s0
	s_and_b32 s8, s11, exec_lo
.LBB117_437:
	s_andn2_saveexec_b32 s0, s7
	s_cbranch_execnz .LBB117_478
.LBB117_438:
	s_or_b32 exec_lo, exec_lo, s0
	s_and_b32 s7, s8, exec_lo
	s_andn2_saveexec_b32 s0, s6
	s_cbranch_execz .LBB117_417
.LBB117_439:
	s_or_b32 s7, s7, exec_lo
	s_trap 2
	s_or_b32 exec_lo, exec_lo, s0
	s_and_saveexec_b32 s0, s7
	s_cbranch_execnz .LBB117_418
	s_branch .LBB117_419
.LBB117_440:
	v_add_nc_u32_e32 v1, s50, v0
	v_mov_b32_e32 v2, 0
	v_mov_b32_e32 v3, v0
	s_mov_b32 s18, 0
                                        ; implicit-def: $sgpr19
                                        ; implicit-def: $vgpr11
	v_mul_lo_u32 v1, s40, v1
	s_branch .LBB117_442
.LBB117_441:                            ;   in Loop: Header=BB117_442 Depth=1
	s_or_b32 exec_lo, exec_lo, s21
	s_xor_b32 s3, s20, -1
	s_and_b32 s4, exec_lo, s4
	v_mov_b32_e32 v3, v10
	s_or_b32 s18, s4, s18
	s_waitcnt vmcnt(0)
	v_mov_b32_e32 v9, v12
	s_andn2_b32 s4, s19, exec_lo
	s_and_b32 s3, s3, exec_lo
	s_or_b32 s19, s4, s3
	s_andn2_b32 exec_lo, exec_lo, s18
	s_cbranch_execz .LBB117_456
.LBB117_442:                            ; =>This Inner Loop Header: Depth=1
	v_add_nc_u32_e32 v10, s50, v3
	v_mov_b32_e32 v12, 0
	s_mov_b32 s4, exec_lo
	v_cmpx_gt_u32_e64 s36, v10
	s_cbranch_execz .LBB117_444
; %bb.443:                              ;   in Loop: Header=BB117_442 Depth=1
	v_lshlrev_b64 v[12:13], 1, v[1:2]
	v_add_co_u32 v12, s3, s42, v12
	v_add_co_ci_u32_e64 v13, null, s48, v13, s3
	global_load_ushort v12, v[12:13], off
.LBB117_444:                            ;   in Loop: Header=BB117_442 Depth=1
	s_or_b32 exec_lo, exec_lo, s4
	s_mov_b32 s20, 0
	s_mov_b32 s4, exec_lo
	v_cmpx_gt_u32_e64 s36, v3
	s_cbranch_execz .LBB117_446
; %bb.445:                              ;   in Loop: Header=BB117_442 Depth=1
	s_waitcnt vmcnt(0)
	v_cmp_lt_i16_e64 s3, -1, v9
	v_lshlrev_b32_e32 v13, 16, v9
	v_cndmask_b32_e64 v4, 0xffff, v8, s3
	v_cmp_o_f32_e64 s3, v13, v13
	v_xor_b32_sdwa v4, v4, v9 dst_sel:DWORD dst_unused:UNUSED_PAD src0_sel:DWORD src1_sel:WORD_0
	v_cndmask_b32_e64 v4, 0xffff, v4, s3
	v_cmp_gt_u32_e64 s3, v4, v7
	v_cndmask_b32_e64 v13, 0, 1, s3
	v_cmp_lt_u32_e64 s3, v4, v7
	v_cndmask_b32_e64 v4, 0, 1, s3
	v_cndmask_b32_e64 v4, v4, v13, s2
	v_and_b32_e32 v4, 1, v4
	v_cmp_eq_u32_e64 s3, 1, v4
	s_and_b32 s20, s3, exec_lo
.LBB117_446:                            ;   in Loop: Header=BB117_442 Depth=1
	s_or_b32 exec_lo, exec_lo, s4
	v_cndmask_b32_e64 v4, 0, 1, s20
	v_cmp_ne_u32_e64 s3, 0, v4
	s_cmp_lg_u32 s3, 0
	s_cselect_b32 s4, -1, 0
	s_and_b32 s4, s0, s4
	s_and_saveexec_b32 s21, s4
	s_cbranch_execz .LBB117_450
; %bb.447:                              ;   in Loop: Header=BB117_442 Depth=1
	s_mov_b32 s24, exec_lo
	s_bcnt1_i32_b32 s22, s3
	v_mbcnt_lo_u32_b32 v4, s24, 0
	s_mov_b32 s23, exec_lo
                                        ; implicit-def: $vgpr11
	v_cmpx_eq_u32_e32 0, v4
	s_cbranch_execz .LBB117_449
; %bb.448:                              ;   in Loop: Header=BB117_442 Depth=1
	s_bcnt1_i32_b32 s4, s24
	s_mul_i32 s4, s22, s4
	s_waitcnt lgkmcnt(0)
	v_mov_b32_e32 v11, s4
	ds_add_rtn_u32 v11, v2, v11 offset:4108
.LBB117_449:                            ;   in Loop: Header=BB117_442 Depth=1
	s_or_b32 exec_lo, exec_lo, s23
	s_waitcnt lgkmcnt(0)
	v_readfirstlane_b32 s4, v11
	v_mad_u32_u24 v11, s22, v4, s4
.LBB117_450:                            ;   in Loop: Header=BB117_442 Depth=1
	s_or_b32 exec_lo, exec_lo, s21
	s_waitcnt lgkmcnt(0)
	ds_bpermute_b32 v11, v2, v11
	s_mov_b32 s4, -1
	s_mov_b32 s22, -1
	s_and_saveexec_b32 s21, s20
	s_cbranch_execz .LBB117_454
; %bb.451:                              ;   in Loop: Header=BB117_442 Depth=1
	v_and_b32_e32 v4, s3, v17
	s_mov_b32 s20, 0
	s_mov_b32 s22, exec_lo
	s_waitcnt lgkmcnt(0)
	v_bcnt_u32_b32 v4, v4, v11
	v_cmpx_gt_u32_e64 s37, v4
	s_cbranch_execz .LBB117_453
; %bb.452:                              ;   in Loop: Header=BB117_442 Depth=1
	v_mul_lo_u32 v13, v4, s10
	v_mul_lo_u32 v15, v4, s11
	v_mov_b32_e32 v14, v2
	v_mov_b32_e32 v16, v2
	;; [unrolled: 1-line block ×3, first 2 shown]
	s_mov_b32 s20, exec_lo
	v_lshlrev_b64 v[13:14], 1, v[13:14]
	v_lshlrev_b64 v[15:16], 3, v[15:16]
	v_add_co_u32 v13, s3, s13, v13
	v_add_co_ci_u32_e64 v14, null, s14, v14, s3
	v_add_co_u32 v15, s3, s15, v15
	v_add_co_ci_u32_e64 v16, null, s16, v16, s3
	s_waitcnt vmcnt(0)
	global_store_short v[13:14], v9, off
	global_store_dwordx2 v[15:16], v[3:4], off
.LBB117_453:                            ;   in Loop: Header=BB117_442 Depth=1
	s_or_b32 exec_lo, exec_lo, s22
	s_orn2_b32 s22, s20, exec_lo
.LBB117_454:                            ;   in Loop: Header=BB117_442 Depth=1
	s_or_b32 exec_lo, exec_lo, s21
	s_mov_b32 s20, -1
	s_and_saveexec_b32 s21, s22
	s_cbranch_execz .LBB117_441
; %bb.455:                              ;   in Loop: Header=BB117_442 Depth=1
	v_cmp_le_u32_e64 s3, s12, v10
	v_add_nc_u32_e32 v1, s52, v1
	s_xor_b32 s20, exec_lo, -1
	s_orn2_b32 s4, s3, exec_lo
	s_branch .LBB117_441
.LBB117_456:
	s_or_b32 exec_lo, exec_lo, s18
	s_mov_b32 s3, exec_lo
	s_orn2_b32 s18, s19, exec_lo
	s_or_b32 exec_lo, exec_lo, s17
	s_and_saveexec_b32 s2, s18
	s_cbranch_execz .LBB117_431
.LBB117_457:
	s_waitcnt vmcnt(0)
	v_mov_b32_e32 v9, 0
	s_waitcnt lgkmcnt(0)
	s_waitcnt_vscnt null, 0x0
	s_barrier
	buffer_gl0_inv
	s_and_saveexec_b32 s4, s1
	s_cbranch_execz .LBB117_459
; %bb.458:
	global_load_ushort v9, v[5:6], off
.LBB117_459:
	s_or_b32 exec_lo, exec_lo, s4
	s_mov_b32 s1, 0
	s_and_saveexec_b32 s4, vcc_lo
	s_cbranch_execz .LBB117_481
; %bb.460:
	v_add_nc_u32_e32 v1, s50, v0
	v_mov_b32_e32 v3, 0
	v_mov_b32_e32 v4, 0x8000
	s_mov_b32 s5, 0
                                        ; implicit-def: $sgpr17
                                        ; implicit-def: $vgpr6
	v_mul_lo_u32 v2, s40, v1
	s_branch .LBB117_463
.LBB117_461:                            ;   in Loop: Header=BB117_463 Depth=1
	s_or_b32 exec_lo, exec_lo, s18
	s_orn2_b32 s20, s21, exec_lo
	s_orn2_b32 s19, s19, exec_lo
.LBB117_462:                            ;   in Loop: Header=BB117_463 Depth=1
	s_or_b32 exec_lo, exec_lo, s1
	s_xor_b32 s1, s20, -1
	s_and_b32 s18, exec_lo, s19
	v_mov_b32_e32 v0, v5
	s_or_b32 s5, s18, s5
	s_waitcnt vmcnt(0)
	v_mov_b32_e32 v9, v8
	s_andn2_b32 s17, s17, exec_lo
	s_and_b32 s1, s1, exec_lo
	s_or_b32 s17, s17, s1
	s_andn2_b32 exec_lo, exec_lo, s5
	s_cbranch_execz .LBB117_479
.LBB117_463:                            ; =>This Inner Loop Header: Depth=1
	v_add_nc_u32_e32 v5, s50, v0
	v_mov_b32_e32 v8, 0
	s_mov_b32 s1, exec_lo
	v_cmpx_gt_u32_e64 s36, v5
	s_cbranch_execz .LBB117_465
; %bb.464:                              ;   in Loop: Header=BB117_463 Depth=1
	v_lshlrev_b64 v[10:11], 1, v[2:3]
	v_add_co_u32 v10, vcc_lo, s42, v10
	v_add_co_ci_u32_e64 v11, null, s48, v11, vcc_lo
	global_load_ushort v8, v[10:11], off
.LBB117_465:                            ;   in Loop: Header=BB117_463 Depth=1
	s_or_b32 exec_lo, exec_lo, s1
	s_mov_b32 s18, 0
	s_mov_b32 s1, exec_lo
	v_cmpx_gt_u32_e64 s36, v0
	s_cbranch_execz .LBB117_467
; %bb.466:                              ;   in Loop: Header=BB117_463 Depth=1
	s_waitcnt vmcnt(0)
	v_cmp_lt_i16_e32 vcc_lo, -1, v9
	v_lshlrev_b32_e32 v10, 16, v9
	v_cndmask_b32_e32 v1, 0xffff, v4, vcc_lo
	v_cmp_o_f32_e32 vcc_lo, v10, v10
	v_xor_b32_sdwa v1, v1, v9 dst_sel:DWORD dst_unused:UNUSED_PAD src0_sel:DWORD src1_sel:WORD_0
	v_cndmask_b32_e32 v1, 0xffff, v1, vcc_lo
	v_cmp_eq_u32_e32 vcc_lo, v1, v7
	s_and_b32 s18, vcc_lo, exec_lo
.LBB117_467:                            ;   in Loop: Header=BB117_463 Depth=1
	s_or_b32 exec_lo, exec_lo, s1
	v_cndmask_b32_e64 v1, 0, 1, s18
	v_cmp_ne_u32_e32 vcc_lo, 0, v1
	s_cmp_lg_u32 vcc_lo, 0
	s_cselect_b32 s1, -1, 0
	s_and_b32 s1, s0, s1
	s_and_saveexec_b32 s19, s1
	s_cbranch_execz .LBB117_471
; %bb.468:                              ;   in Loop: Header=BB117_463 Depth=1
	s_mov_b32 s22, exec_lo
	s_bcnt1_i32_b32 s20, vcc_lo
	v_mbcnt_lo_u32_b32 v1, s22, 0
	s_mov_b32 s21, exec_lo
                                        ; implicit-def: $vgpr6
	v_cmpx_eq_u32_e32 0, v1
; %bb.469:                              ;   in Loop: Header=BB117_463 Depth=1
	s_bcnt1_i32_b32 s1, s22
	s_mul_i32 s1, s20, s1
	v_mov_b32_e32 v6, s1
	ds_add_rtn_u32 v6, v3, v6 offset:4108
; %bb.470:                              ;   in Loop: Header=BB117_463 Depth=1
	s_or_b32 exec_lo, exec_lo, s21
	s_waitcnt lgkmcnt(0)
	v_readfirstlane_b32 s1, v6
	v_mad_u32_u24 v6, s20, v1, s1
.LBB117_471:                            ;   in Loop: Header=BB117_463 Depth=1
	s_or_b32 exec_lo, exec_lo, s19
	ds_bpermute_b32 v6, v3, v6
	s_cmp_eq_u32 vcc_lo, 0
	s_mov_b32 s19, -1
	s_cselect_b32 s20, -1, 0
	s_waitcnt lgkmcnt(0)
	v_cmp_gt_u32_e64 s1, s37, v6
	s_or_b32 s21, s20, s1
	s_mov_b32 s20, -1
	s_and_saveexec_b32 s1, s21
	s_cbranch_execz .LBB117_462
; %bb.472:                              ;   in Loop: Header=BB117_463 Depth=1
	v_and_b32_e32 v1, vcc_lo, v17
	v_sub_nc_u32_e32 v10, s37, v6
	s_mov_b32 s21, -1
	v_bcnt_u32_b32 v1, v1, 0
	v_bcnt_u32_b32 v1, 0, v1
	v_cmp_gt_u32_e32 vcc_lo, v10, v1
	s_and_b32 s22, s18, vcc_lo
	s_and_saveexec_b32 s18, s22
	s_cbranch_execz .LBB117_476
; %bb.473:                              ;   in Loop: Header=BB117_463 Depth=1
	v_add_nc_u32_e32 v1, v6, v1
	s_mov_b32 s20, 0
	s_mov_b32 s21, exec_lo
	v_cmpx_gt_u32_e64 s37, v1
	s_cbranch_execz .LBB117_475
; %bb.474:                              ;   in Loop: Header=BB117_463 Depth=1
	v_mul_lo_u32 v10, v1, s10
	v_mul_lo_u32 v12, v1, s11
	v_mov_b32_e32 v11, v3
	v_mov_b32_e32 v13, v3
	;; [unrolled: 1-line block ×3, first 2 shown]
	s_mov_b32 s20, exec_lo
	v_lshlrev_b64 v[10:11], 1, v[10:11]
	v_lshlrev_b64 v[12:13], 3, v[12:13]
	v_add_co_u32 v10, vcc_lo, s13, v10
	v_add_co_ci_u32_e64 v11, null, s14, v11, vcc_lo
	v_add_co_u32 v12, vcc_lo, s15, v12
	v_add_co_ci_u32_e64 v13, null, s16, v13, vcc_lo
	s_waitcnt vmcnt(0)
	global_store_short v[10:11], v9, off
	global_store_dwordx2 v[12:13], v[0:1], off
.LBB117_475:                            ;   in Loop: Header=BB117_463 Depth=1
	s_or_b32 exec_lo, exec_lo, s21
	s_xor_b32 s21, exec_lo, -1
	s_orn2_b32 s20, s20, exec_lo
.LBB117_476:                            ;   in Loop: Header=BB117_463 Depth=1
	s_or_b32 exec_lo, exec_lo, s18
	s_and_saveexec_b32 s18, s20
	s_cbranch_execz .LBB117_461
; %bb.477:                              ;   in Loop: Header=BB117_463 Depth=1
	v_cmp_le_u32_e32 vcc_lo, s12, v5
	v_add_nc_u32_e32 v2, s52, v2
	s_or_b32 s21, s21, exec_lo
	s_orn2_b32 s19, vcc_lo, exec_lo
	s_branch .LBB117_461
.LBB117_478:
	s_or_b32 s8, s8, exec_lo
	s_trap 2
	s_branch .LBB117_438
.LBB117_479:
	s_or_b32 exec_lo, exec_lo, s5
	s_mov_b32 s0, 0
	s_and_saveexec_b32 s1, s17
	s_xor_b32 s1, exec_lo, s1
	s_cbranch_execnz .LBB117_485
.LBB117_480:
	s_or_b32 exec_lo, exec_lo, s1
	s_and_b32 s1, s0, exec_lo
.LBB117_481:
	s_or_b32 exec_lo, exec_lo, s4
	s_and_b32 s5, s1, exec_lo
	s_andn2_b32 s3, s3, exec_lo
	s_or_b32 exec_lo, exec_lo, s2
	s_and_saveexec_b32 s0, s3
	s_xor_b32 s0, exec_lo, s0
	s_cbranch_execz .LBB117_432
.LBB117_482:
	s_or_b32 s5, s5, exec_lo
	s_trap 2
	s_branch .LBB117_432
.LBB117_483:
	s_or_b32 s11, s11, exec_lo
	s_trap 2
	s_branch .LBB117_436
.LBB117_484:
	s_or_b32 s11, s11, exec_lo
	s_trap 2
	s_branch .LBB117_434
.LBB117_485:
	s_mov_b32 s0, exec_lo
	s_trap 2
	s_branch .LBB117_480
	.section	.rodata,"a",@progbits
	.p2align	6, 0x0
	.amdhsa_kernel _ZN2at6native6sbtopk10gatherTopKIN3c108BFloat16EjLin1ELb0EEEvNS_4cuda6detail10TensorInfoIKT_T0_EESA_SA_bSA_SA_NS7_IS8_SA_EESA_NS7_IlSA_EESA_PS8_
		.amdhsa_group_segment_fixed_size 4112
		.amdhsa_private_segment_fixed_size 0
		.amdhsa_kernarg_size 952
		.amdhsa_user_sgpr_count 6
		.amdhsa_user_sgpr_private_segment_buffer 1
		.amdhsa_user_sgpr_dispatch_ptr 0
		.amdhsa_user_sgpr_queue_ptr 0
		.amdhsa_user_sgpr_kernarg_segment_ptr 1
		.amdhsa_user_sgpr_dispatch_id 0
		.amdhsa_user_sgpr_flat_scratch_init 0
		.amdhsa_user_sgpr_private_segment_size 0
		.amdhsa_wavefront_size32 1
		.amdhsa_uses_dynamic_stack 0
		.amdhsa_system_sgpr_private_segment_wavefront_offset 0
		.amdhsa_system_sgpr_workgroup_id_x 1
		.amdhsa_system_sgpr_workgroup_id_y 1
		.amdhsa_system_sgpr_workgroup_id_z 1
		.amdhsa_system_sgpr_workgroup_info 0
		.amdhsa_system_vgpr_workitem_id 0
		.amdhsa_next_free_vgpr 62
		.amdhsa_next_free_sgpr 99
		.amdhsa_reserve_vcc 1
		.amdhsa_reserve_flat_scratch 0
		.amdhsa_float_round_mode_32 0
		.amdhsa_float_round_mode_16_64 0
		.amdhsa_float_denorm_mode_32 3
		.amdhsa_float_denorm_mode_16_64 3
		.amdhsa_dx10_clamp 1
		.amdhsa_ieee_mode 1
		.amdhsa_fp16_overflow 0
		.amdhsa_workgroup_processor_mode 1
		.amdhsa_memory_ordered 1
		.amdhsa_forward_progress 1
		.amdhsa_shared_vgpr_count 0
		.amdhsa_exception_fp_ieee_invalid_op 0
		.amdhsa_exception_fp_denorm_src 0
		.amdhsa_exception_fp_ieee_div_zero 0
		.amdhsa_exception_fp_ieee_overflow 0
		.amdhsa_exception_fp_ieee_underflow 0
		.amdhsa_exception_fp_ieee_inexact 0
		.amdhsa_exception_int_div_zero 0
	.end_amdhsa_kernel
	.section	.text._ZN2at6native6sbtopk10gatherTopKIN3c108BFloat16EjLin1ELb0EEEvNS_4cuda6detail10TensorInfoIKT_T0_EESA_SA_bSA_SA_NS7_IS8_SA_EESA_NS7_IlSA_EESA_PS8_,"axG",@progbits,_ZN2at6native6sbtopk10gatherTopKIN3c108BFloat16EjLin1ELb0EEEvNS_4cuda6detail10TensorInfoIKT_T0_EESA_SA_bSA_SA_NS7_IS8_SA_EESA_NS7_IlSA_EESA_PS8_,comdat
.Lfunc_end117:
	.size	_ZN2at6native6sbtopk10gatherTopKIN3c108BFloat16EjLin1ELb0EEEvNS_4cuda6detail10TensorInfoIKT_T0_EESA_SA_bSA_SA_NS7_IS8_SA_EESA_NS7_IlSA_EESA_PS8_, .Lfunc_end117-_ZN2at6native6sbtopk10gatherTopKIN3c108BFloat16EjLin1ELb0EEEvNS_4cuda6detail10TensorInfoIKT_T0_EESA_SA_bSA_SA_NS7_IS8_SA_EESA_NS7_IlSA_EESA_PS8_
                                        ; -- End function
	.set _ZN2at6native6sbtopk10gatherTopKIN3c108BFloat16EjLin1ELb0EEEvNS_4cuda6detail10TensorInfoIKT_T0_EESA_SA_bSA_SA_NS7_IS8_SA_EESA_NS7_IlSA_EESA_PS8_.num_vgpr, 62
	.set _ZN2at6native6sbtopk10gatherTopKIN3c108BFloat16EjLin1ELb0EEEvNS_4cuda6detail10TensorInfoIKT_T0_EESA_SA_bSA_SA_NS7_IS8_SA_EESA_NS7_IlSA_EESA_PS8_.num_agpr, 0
	.set _ZN2at6native6sbtopk10gatherTopKIN3c108BFloat16EjLin1ELb0EEEvNS_4cuda6detail10TensorInfoIKT_T0_EESA_SA_bSA_SA_NS7_IS8_SA_EESA_NS7_IlSA_EESA_PS8_.numbered_sgpr, 99
	.set _ZN2at6native6sbtopk10gatherTopKIN3c108BFloat16EjLin1ELb0EEEvNS_4cuda6detail10TensorInfoIKT_T0_EESA_SA_bSA_SA_NS7_IS8_SA_EESA_NS7_IlSA_EESA_PS8_.num_named_barrier, 0
	.set _ZN2at6native6sbtopk10gatherTopKIN3c108BFloat16EjLin1ELb0EEEvNS_4cuda6detail10TensorInfoIKT_T0_EESA_SA_bSA_SA_NS7_IS8_SA_EESA_NS7_IlSA_EESA_PS8_.private_seg_size, 0
	.set _ZN2at6native6sbtopk10gatherTopKIN3c108BFloat16EjLin1ELb0EEEvNS_4cuda6detail10TensorInfoIKT_T0_EESA_SA_bSA_SA_NS7_IS8_SA_EESA_NS7_IlSA_EESA_PS8_.uses_vcc, 1
	.set _ZN2at6native6sbtopk10gatherTopKIN3c108BFloat16EjLin1ELb0EEEvNS_4cuda6detail10TensorInfoIKT_T0_EESA_SA_bSA_SA_NS7_IS8_SA_EESA_NS7_IlSA_EESA_PS8_.uses_flat_scratch, 0
	.set _ZN2at6native6sbtopk10gatherTopKIN3c108BFloat16EjLin1ELb0EEEvNS_4cuda6detail10TensorInfoIKT_T0_EESA_SA_bSA_SA_NS7_IS8_SA_EESA_NS7_IlSA_EESA_PS8_.has_dyn_sized_stack, 0
	.set _ZN2at6native6sbtopk10gatherTopKIN3c108BFloat16EjLin1ELb0EEEvNS_4cuda6detail10TensorInfoIKT_T0_EESA_SA_bSA_SA_NS7_IS8_SA_EESA_NS7_IlSA_EESA_PS8_.has_recursion, 0
	.set _ZN2at6native6sbtopk10gatherTopKIN3c108BFloat16EjLin1ELb0EEEvNS_4cuda6detail10TensorInfoIKT_T0_EESA_SA_bSA_SA_NS7_IS8_SA_EESA_NS7_IlSA_EESA_PS8_.has_indirect_call, 0
	.section	.AMDGPU.csdata,"",@progbits
; Kernel info:
; codeLenInByte = 17192
; TotalNumSgprs: 101
; NumVgprs: 62
; ScratchSize: 0
; MemoryBound: 0
; FloatMode: 240
; IeeeMode: 1
; LDSByteSize: 4112 bytes/workgroup (compile time only)
; SGPRBlocks: 0
; VGPRBlocks: 7
; NumSGPRsForWavesPerEU: 101
; NumVGPRsForWavesPerEU: 62
; Occupancy: 16
; WaveLimiterHint : 1
; COMPUTE_PGM_RSRC2:SCRATCH_EN: 0
; COMPUTE_PGM_RSRC2:USER_SGPR: 6
; COMPUTE_PGM_RSRC2:TRAP_HANDLER: 0
; COMPUTE_PGM_RSRC2:TGID_X_EN: 1
; COMPUTE_PGM_RSRC2:TGID_Y_EN: 1
; COMPUTE_PGM_RSRC2:TGID_Z_EN: 1
; COMPUTE_PGM_RSRC2:TIDIG_COMP_CNT: 0
	.section	.text._ZN2at6native6mbtopk23computeBlockDigitCountsIhmjLi1EEEvNS_4cuda6detail10TensorInfoIKT_T0_EEjPjjS8_iijT1_PSB_Ps,"axG",@progbits,_ZN2at6native6mbtopk23computeBlockDigitCountsIhmjLi1EEEvNS_4cuda6detail10TensorInfoIKT_T0_EEjPjjS8_iijT1_PSB_Ps,comdat
	.protected	_ZN2at6native6mbtopk23computeBlockDigitCountsIhmjLi1EEEvNS_4cuda6detail10TensorInfoIKT_T0_EEjPjjS8_iijT1_PSB_Ps ; -- Begin function _ZN2at6native6mbtopk23computeBlockDigitCountsIhmjLi1EEEvNS_4cuda6detail10TensorInfoIKT_T0_EEjPjjS8_iijT1_PSB_Ps
	.globl	_ZN2at6native6mbtopk23computeBlockDigitCountsIhmjLi1EEEvNS_4cuda6detail10TensorInfoIKT_T0_EEjPjjS8_iijT1_PSB_Ps
	.p2align	8
	.type	_ZN2at6native6mbtopk23computeBlockDigitCountsIhmjLi1EEEvNS_4cuda6detail10TensorInfoIKT_T0_EEjPjjS8_iijT1_PSB_Ps,@function
_ZN2at6native6mbtopk23computeBlockDigitCountsIhmjLi1EEEvNS_4cuda6detail10TensorInfoIKT_T0_EEjPjjS8_iijT1_PSB_Ps: ; @_ZN2at6native6mbtopk23computeBlockDigitCountsIhmjLi1EEEvNS_4cuda6detail10TensorInfoIKT_T0_EEjPjjS8_iijT1_PSB_Ps
; %bb.0:
	s_clause 0x2
	s_load_dwordx4 s[0:3], s[4:5], 0x1c0
	s_load_dword s13, s[4:5], 0x1b0
	s_load_dwordx2 s[10:11], s[4:5], 0x1e0
	s_waitcnt lgkmcnt(0)
	v_cvt_f32_u32_e32 v1, s2
	s_mul_i32 s8, s11, s8
	s_sub_i32 s11, 0, s2
	s_add_i32 s7, s8, s7
	v_rcp_iflag_f32_e32 v1, v1
	s_mul_i32 s14, s7, s10
	s_add_i32 s14, s14, s6
	v_mul_f32_e32 v1, 0x4f7ffffe, v1
	v_cvt_u32_f32_e32 v1, v1
	v_readfirstlane_b32 s9, v1
	s_mul_i32 s11, s11, s9
	s_mul_hi_u32 s7, s9, s11
	s_add_i32 s9, s9, s7
	s_mul_hi_u32 s6, s14, s9
	s_mul_i32 s7, s6, s2
	s_add_i32 s8, s6, 1
	s_sub_i32 s7, s14, s7
	s_sub_i32 s9, s7, s2
	s_cmp_ge_u32 s7, s2
	s_cselect_b32 s6, s8, s6
	s_cselect_b32 s7, s9, s7
	s_add_i32 s8, s6, 1
	s_cmp_ge_u32 s7, s2
	s_cselect_b32 s12, s8, s6
	s_cmp_ge_u32 s12, s13
	s_mov_b32 s13, 0
	s_cbranch_scc1 .LBB118_27
; %bb.1:
	s_load_dwordx4 s[8:11], s[4:5], 0x1d0
	s_lshl_b64 s[6:7], s[12:13], 2
	v_cmp_gt_u32_e32 vcc_lo, 0x100, v0
	v_lshlrev_b32_e32 v1, 2, v0
	s_waitcnt lgkmcnt(0)
	s_add_u32 s8, s8, s6
	s_addc_u32 s9, s9, s7
	s_and_saveexec_b32 s6, vcc_lo
; %bb.2:
	v_mov_b32_e32 v2, 0
	ds_write_b32 v1, v2
; %bb.3:
	s_or_b32 exec_lo, exec_lo, s6
	s_load_dword s13, s[4:5], 0x1a0
	s_mul_i32 s6, s12, s2
	s_mov_b32 s17, 0
	s_sub_i32 s6, s14, s6
	s_waitcnt lgkmcnt(0)
	s_mul_i32 s7, s1, s6
	s_add_i32 s16, s6, 1
	s_lshl_b32 s15, s7, 8
	s_barrier
	buffer_gl0_inv
	s_sub_i32 s7, s13, s15
	s_add_u32 s6, s7, 0xff
	s_addc_u32 s7, 0, 0
	s_lshr_b64 s[6:7], s[6:7], 8
	s_cmp_lt_u32 s16, s2
	s_cselect_b32 s16, s1, s6
	s_cmp_lt_i32 s16, 1
	s_cbranch_scc1 .LBB118_25
; %bb.4:
	s_clause 0x2
	s_load_dwordx2 s[18:19], s[4:5], 0xd0
	s_load_dwordx2 s[6:7], s[4:5], 0x1b8
	;; [unrolled: 1-line block ×3, first 2 shown]
	s_load_dword s1, s[8:9], 0x0
	s_waitcnt lgkmcnt(0)
	s_mul_i32 s2, s19, s12
	s_mul_hi_u32 s8, s18, s12
	s_mul_i32 s9, s18, s12
	s_add_i32 s8, s8, s2
	s_add_u32 s4, s4, s9
	s_addc_u32 s5, s5, s8
	s_and_b32 s2, s0, 0xff
	s_cmp_lt_u32 s16, 4
	s_cbranch_scc1 .LBB118_19
; %bb.5:
	v_add_nc_u32_e32 v2, s15, v0
	v_mov_b32_e32 v3, 1
	s_and_b32 s17, s16, 0x7ffffffc
	s_mov_b32 s8, 0
	s_branch .LBB118_7
.LBB118_6:                              ;   in Loop: Header=BB118_7 Depth=1
	s_or_b32 exec_lo, exec_lo, s9
	v_add_nc_u32_e32 v2, 0x400, v2
	s_add_i32 s8, s8, 4
	s_cmp_eq_u32 s17, s8
	s_cbranch_scc1 .LBB118_19
.LBB118_7:                              ; =>This Inner Loop Header: Depth=1
	s_mov_b32 s9, exec_lo
	v_cmpx_gt_u32_e64 s13, v2
	s_cbranch_execz .LBB118_10
; %bb.8:                                ;   in Loop: Header=BB118_7 Depth=1
	v_mad_u64_u32 v[4:5], null, s6, v2, s[4:5]
	v_mad_u64_u32 v[5:6], null, s7, v2, v[5:6]
	global_load_ubyte v4, v[4:5], off
	s_waitcnt vmcnt(0)
	v_xor_b32_e32 v5, s1, v4
	v_and_b32_e32 v5, s3, v5
	v_cmp_eq_u32_e64 s0, 0, v5
	s_and_b32 exec_lo, exec_lo, s0
; %bb.9:                                ;   in Loop: Header=BB118_7 Depth=1
	v_lshrrev_b32_e32 v4, s2, v4
	v_lshlrev_b32_e32 v4, 2, v4
	ds_add_u32 v4, v3
.LBB118_10:                             ;   in Loop: Header=BB118_7 Depth=1
	s_or_b32 exec_lo, exec_lo, s9
	v_add_nc_u32_e32 v4, 0x100, v2
	s_mov_b32 s9, exec_lo
	v_cmpx_gt_u32_e64 s13, v4
	s_cbranch_execz .LBB118_13
; %bb.11:                               ;   in Loop: Header=BB118_7 Depth=1
	v_mad_u64_u32 v[5:6], null, s6, v4, s[4:5]
	v_mad_u64_u32 v[6:7], null, s7, v4, v[6:7]
	global_load_ubyte v4, v[5:6], off
	s_waitcnt vmcnt(0)
	v_xor_b32_e32 v5, s1, v4
	v_and_b32_e32 v5, s3, v5
	v_cmp_eq_u32_e64 s0, 0, v5
	s_and_b32 exec_lo, exec_lo, s0
; %bb.12:                               ;   in Loop: Header=BB118_7 Depth=1
	v_lshrrev_b32_e32 v4, s2, v4
	v_lshlrev_b32_e32 v4, 2, v4
	ds_add_u32 v4, v3
.LBB118_13:                             ;   in Loop: Header=BB118_7 Depth=1
	s_or_b32 exec_lo, exec_lo, s9
	v_add_nc_u32_e32 v4, 0x200, v2
	s_mov_b32 s9, exec_lo
	v_cmpx_gt_u32_e64 s13, v4
	s_cbranch_execz .LBB118_16
; %bb.14:                               ;   in Loop: Header=BB118_7 Depth=1
	v_mad_u64_u32 v[5:6], null, s6, v4, s[4:5]
	v_mad_u64_u32 v[6:7], null, s7, v4, v[6:7]
	global_load_ubyte v4, v[5:6], off
	s_waitcnt vmcnt(0)
	v_xor_b32_e32 v5, s1, v4
	v_and_b32_e32 v5, s3, v5
	v_cmp_eq_u32_e64 s0, 0, v5
	s_and_b32 exec_lo, exec_lo, s0
; %bb.15:                               ;   in Loop: Header=BB118_7 Depth=1
	v_lshrrev_b32_e32 v4, s2, v4
	v_lshlrev_b32_e32 v4, 2, v4
	ds_add_u32 v4, v3
.LBB118_16:                             ;   in Loop: Header=BB118_7 Depth=1
	s_or_b32 exec_lo, exec_lo, s9
	v_add_nc_u32_e32 v4, 0x300, v2
	s_mov_b32 s9, exec_lo
	v_cmpx_gt_u32_e64 s13, v4
	s_cbranch_execz .LBB118_6
; %bb.17:                               ;   in Loop: Header=BB118_7 Depth=1
	v_mad_u64_u32 v[5:6], null, s6, v4, s[4:5]
	v_mad_u64_u32 v[6:7], null, s7, v4, v[6:7]
	global_load_ubyte v4, v[5:6], off
	s_waitcnt vmcnt(0)
	v_xor_b32_e32 v5, s1, v4
	v_and_b32_e32 v5, s3, v5
	v_cmp_eq_u32_e64 s0, 0, v5
	s_and_b32 exec_lo, exec_lo, s0
	s_cbranch_execz .LBB118_6
; %bb.18:                               ;   in Loop: Header=BB118_7 Depth=1
	v_lshrrev_b32_e32 v4, s2, v4
	v_lshlrev_b32_e32 v4, 2, v4
	ds_add_u32 v4, v3
	s_branch .LBB118_6
.LBB118_19:
	s_and_b32 s8, s16, 3
	s_cmp_eq_u32 s8, 0
	s_cbranch_scc1 .LBB118_25
; %bb.20:
	s_lshl_b32 s0, s17, 8
	v_mov_b32_e32 v3, 1
	v_add3_u32 v2, s0, s15, v0
	s_inst_prefetch 0x1
	s_branch .LBB118_22
	.p2align	6
.LBB118_21:                             ;   in Loop: Header=BB118_22 Depth=1
	s_or_b32 exec_lo, exec_lo, s9
	v_add_nc_u32_e32 v2, 0x100, v2
	s_add_i32 s8, s8, -1
	s_cmp_lg_u32 s8, 0
	s_cbranch_scc0 .LBB118_25
.LBB118_22:                             ; =>This Inner Loop Header: Depth=1
	s_mov_b32 s9, exec_lo
	v_cmpx_gt_u32_e64 s13, v2
	s_cbranch_execz .LBB118_21
; %bb.23:                               ;   in Loop: Header=BB118_22 Depth=1
	v_mad_u64_u32 v[4:5], null, s6, v2, s[4:5]
	v_mad_u64_u32 v[5:6], null, s7, v2, v[5:6]
	global_load_ubyte v4, v[4:5], off
	s_waitcnt vmcnt(0)
	v_xor_b32_e32 v5, s1, v4
	v_and_b32_e32 v5, s3, v5
	v_cmp_eq_u32_e64 s0, 0, v5
	s_and_b32 exec_lo, exec_lo, s0
	s_cbranch_execz .LBB118_21
; %bb.24:                               ;   in Loop: Header=BB118_22 Depth=1
	v_lshrrev_b32_e32 v4, s2, v4
	v_lshlrev_b32_e32 v4, 2, v4
	ds_add_u32 v4, v3
	s_branch .LBB118_21
.LBB118_25:
	s_inst_prefetch 0x2
	s_waitcnt lgkmcnt(0)
	s_barrier
	buffer_gl0_inv
	s_and_saveexec_b32 s0, vcc_lo
	s_cbranch_execz .LBB118_27
; %bb.26:
	ds_read_b32 v2, v1
	v_lshl_or_b32 v0, s14, 8, v0
	v_mov_b32_e32 v1, 0
	v_lshlrev_b64 v[0:1], 1, v[0:1]
	v_add_co_u32 v0, vcc_lo, s10, v0
	v_add_co_ci_u32_e64 v1, null, s11, v1, vcc_lo
	s_waitcnt lgkmcnt(0)
	global_store_short v[0:1], v2, off
.LBB118_27:
	s_endpgm
	.section	.rodata,"a",@progbits
	.p2align	6, 0x0
	.amdhsa_kernel _ZN2at6native6mbtopk23computeBlockDigitCountsIhmjLi1EEEvNS_4cuda6detail10TensorInfoIKT_T0_EEjPjjS8_iijT1_PSB_Ps
		.amdhsa_group_segment_fixed_size 1024
		.amdhsa_private_segment_fixed_size 0
		.amdhsa_kernarg_size 736
		.amdhsa_user_sgpr_count 6
		.amdhsa_user_sgpr_private_segment_buffer 1
		.amdhsa_user_sgpr_dispatch_ptr 0
		.amdhsa_user_sgpr_queue_ptr 0
		.amdhsa_user_sgpr_kernarg_segment_ptr 1
		.amdhsa_user_sgpr_dispatch_id 0
		.amdhsa_user_sgpr_flat_scratch_init 0
		.amdhsa_user_sgpr_private_segment_size 0
		.amdhsa_wavefront_size32 1
		.amdhsa_uses_dynamic_stack 0
		.amdhsa_system_sgpr_private_segment_wavefront_offset 0
		.amdhsa_system_sgpr_workgroup_id_x 1
		.amdhsa_system_sgpr_workgroup_id_y 1
		.amdhsa_system_sgpr_workgroup_id_z 1
		.amdhsa_system_sgpr_workgroup_info 0
		.amdhsa_system_vgpr_workitem_id 0
		.amdhsa_next_free_vgpr 8
		.amdhsa_next_free_sgpr 20
		.amdhsa_reserve_vcc 1
		.amdhsa_reserve_flat_scratch 0
		.amdhsa_float_round_mode_32 0
		.amdhsa_float_round_mode_16_64 0
		.amdhsa_float_denorm_mode_32 3
		.amdhsa_float_denorm_mode_16_64 3
		.amdhsa_dx10_clamp 1
		.amdhsa_ieee_mode 1
		.amdhsa_fp16_overflow 0
		.amdhsa_workgroup_processor_mode 1
		.amdhsa_memory_ordered 1
		.amdhsa_forward_progress 1
		.amdhsa_shared_vgpr_count 0
		.amdhsa_exception_fp_ieee_invalid_op 0
		.amdhsa_exception_fp_denorm_src 0
		.amdhsa_exception_fp_ieee_div_zero 0
		.amdhsa_exception_fp_ieee_overflow 0
		.amdhsa_exception_fp_ieee_underflow 0
		.amdhsa_exception_fp_ieee_inexact 0
		.amdhsa_exception_int_div_zero 0
	.end_amdhsa_kernel
	.section	.text._ZN2at6native6mbtopk23computeBlockDigitCountsIhmjLi1EEEvNS_4cuda6detail10TensorInfoIKT_T0_EEjPjjS8_iijT1_PSB_Ps,"axG",@progbits,_ZN2at6native6mbtopk23computeBlockDigitCountsIhmjLi1EEEvNS_4cuda6detail10TensorInfoIKT_T0_EEjPjjS8_iijT1_PSB_Ps,comdat
.Lfunc_end118:
	.size	_ZN2at6native6mbtopk23computeBlockDigitCountsIhmjLi1EEEvNS_4cuda6detail10TensorInfoIKT_T0_EEjPjjS8_iijT1_PSB_Ps, .Lfunc_end118-_ZN2at6native6mbtopk23computeBlockDigitCountsIhmjLi1EEEvNS_4cuda6detail10TensorInfoIKT_T0_EEjPjjS8_iijT1_PSB_Ps
                                        ; -- End function
	.set _ZN2at6native6mbtopk23computeBlockDigitCountsIhmjLi1EEEvNS_4cuda6detail10TensorInfoIKT_T0_EEjPjjS8_iijT1_PSB_Ps.num_vgpr, 8
	.set _ZN2at6native6mbtopk23computeBlockDigitCountsIhmjLi1EEEvNS_4cuda6detail10TensorInfoIKT_T0_EEjPjjS8_iijT1_PSB_Ps.num_agpr, 0
	.set _ZN2at6native6mbtopk23computeBlockDigitCountsIhmjLi1EEEvNS_4cuda6detail10TensorInfoIKT_T0_EEjPjjS8_iijT1_PSB_Ps.numbered_sgpr, 20
	.set _ZN2at6native6mbtopk23computeBlockDigitCountsIhmjLi1EEEvNS_4cuda6detail10TensorInfoIKT_T0_EEjPjjS8_iijT1_PSB_Ps.num_named_barrier, 0
	.set _ZN2at6native6mbtopk23computeBlockDigitCountsIhmjLi1EEEvNS_4cuda6detail10TensorInfoIKT_T0_EEjPjjS8_iijT1_PSB_Ps.private_seg_size, 0
	.set _ZN2at6native6mbtopk23computeBlockDigitCountsIhmjLi1EEEvNS_4cuda6detail10TensorInfoIKT_T0_EEjPjjS8_iijT1_PSB_Ps.uses_vcc, 1
	.set _ZN2at6native6mbtopk23computeBlockDigitCountsIhmjLi1EEEvNS_4cuda6detail10TensorInfoIKT_T0_EEjPjjS8_iijT1_PSB_Ps.uses_flat_scratch, 0
	.set _ZN2at6native6mbtopk23computeBlockDigitCountsIhmjLi1EEEvNS_4cuda6detail10TensorInfoIKT_T0_EEjPjjS8_iijT1_PSB_Ps.has_dyn_sized_stack, 0
	.set _ZN2at6native6mbtopk23computeBlockDigitCountsIhmjLi1EEEvNS_4cuda6detail10TensorInfoIKT_T0_EEjPjjS8_iijT1_PSB_Ps.has_recursion, 0
	.set _ZN2at6native6mbtopk23computeBlockDigitCountsIhmjLi1EEEvNS_4cuda6detail10TensorInfoIKT_T0_EEjPjjS8_iijT1_PSB_Ps.has_indirect_call, 0
	.section	.AMDGPU.csdata,"",@progbits
; Kernel info:
; codeLenInByte = 1032
; TotalNumSgprs: 22
; NumVgprs: 8
; ScratchSize: 0
; MemoryBound: 0
; FloatMode: 240
; IeeeMode: 1
; LDSByteSize: 1024 bytes/workgroup (compile time only)
; SGPRBlocks: 0
; VGPRBlocks: 0
; NumSGPRsForWavesPerEU: 22
; NumVGPRsForWavesPerEU: 8
; Occupancy: 16
; WaveLimiterHint : 1
; COMPUTE_PGM_RSRC2:SCRATCH_EN: 0
; COMPUTE_PGM_RSRC2:USER_SGPR: 6
; COMPUTE_PGM_RSRC2:TRAP_HANDLER: 0
; COMPUTE_PGM_RSRC2:TGID_X_EN: 1
; COMPUTE_PGM_RSRC2:TGID_Y_EN: 1
; COMPUTE_PGM_RSRC2:TGID_Z_EN: 1
; COMPUTE_PGM_RSRC2:TIDIG_COMP_CNT: 0
	.section	.text._ZN2at6native6mbtopk10gatherTopKIhmLi1EEEvNS_4cuda6detail10TensorInfoIKT_T0_EES8_S8_bjS8_NS5_IS6_S8_EES8_NS5_IlS8_EES8_jjPS6_PjSD_j,"axG",@progbits,_ZN2at6native6mbtopk10gatherTopKIhmLi1EEEvNS_4cuda6detail10TensorInfoIKT_T0_EES8_S8_bjS8_NS5_IS6_S8_EES8_NS5_IlS8_EES8_jjPS6_PjSD_j,comdat
	.protected	_ZN2at6native6mbtopk10gatherTopKIhmLi1EEEvNS_4cuda6detail10TensorInfoIKT_T0_EES8_S8_bjS8_NS5_IS6_S8_EES8_NS5_IlS8_EES8_jjPS6_PjSD_j ; -- Begin function _ZN2at6native6mbtopk10gatherTopKIhmLi1EEEvNS_4cuda6detail10TensorInfoIKT_T0_EES8_S8_bjS8_NS5_IS6_S8_EES8_NS5_IlS8_EES8_jjPS6_PjSD_j
	.globl	_ZN2at6native6mbtopk10gatherTopKIhmLi1EEEvNS_4cuda6detail10TensorInfoIKT_T0_EES8_S8_bjS8_NS5_IS6_S8_EES8_NS5_IlS8_EES8_jjPS6_PjSD_j
	.p2align	8
	.type	_ZN2at6native6mbtopk10gatherTopKIhmLi1EEEvNS_4cuda6detail10TensorInfoIKT_T0_EES8_S8_bjS8_NS5_IS6_S8_EES8_NS5_IlS8_EES8_jjPS6_PjSD_j,@function
_ZN2at6native6mbtopk10gatherTopKIhmLi1EEEvNS_4cuda6detail10TensorInfoIKT_T0_EES8_S8_bjS8_NS5_IS6_S8_EES8_NS5_IlS8_EES8_jjPS6_PjSD_j: ; @_ZN2at6native6mbtopk10gatherTopKIhmLi1EEEvNS_4cuda6detail10TensorInfoIKT_T0_EES8_S8_bjS8_NS5_IS6_S8_EES8_NS5_IlS8_EES8_jjPS6_PjSD_j
; %bb.0:
	s_clause 0x1
	s_load_dwordx2 s[0:1], s[4:5], 0x538
	s_load_dword s2, s[4:5], 0x530
	s_waitcnt lgkmcnt(0)
	s_mul_i32 s1, s1, s8
	s_add_i32 s1, s1, s7
	s_mul_i32 s0, s1, s0
	s_add_i32 s0, s0, s6
	s_cmp_ge_u32 s0, s2
	s_cbranch_scc1 .LBB119_42
; %bb.1:
	s_clause 0x1
	s_load_dwordx2 s[6:7], s[4:5], 0x510
	s_load_dwordx4 s[8:11], s[4:5], 0x1a0
	s_waitcnt lgkmcnt(0)
	v_cvt_f32_u32_e32 v1, s7
	s_sub_i32 s2, 0, s7
	s_lshl_b32 s33, s6, 8
	v_rcp_iflag_f32_e32 v1, v1
	v_mul_f32_e32 v1, 0x4f7ffffe, v1
	v_cvt_u32_f32_e32 v1, v1
	v_readfirstlane_b32 s1, v1
	s_mul_i32 s2, s2, s1
	s_mul_hi_u32 s2, s1, s2
	s_add_i32 s1, s1, s2
	s_mul_hi_u32 s1, s0, s1
	s_mul_i32 s2, s1, s7
	s_add_i32 s3, s1, 1
	s_sub_i32 s2, s0, s2
	s_sub_i32 s12, s2, s7
	s_cmp_ge_u32 s2, s7
	s_cselect_b32 s1, s3, s1
	s_cselect_b32 s2, s12, s2
	s_add_i32 s3, s1, 1
	s_cmp_ge_u32 s2, s7
	s_cselect_b32 s35, s3, s1
	s_mul_i32 s16, s35, s7
	s_sub_i32 s34, s0, s16
	s_add_i32 s0, s34, 1
	s_cmp_lt_u32 s0, s7
	s_cbranch_scc1 .LBB119_3
; %bb.2:
	s_mul_i32 s0, s34, s33
	s_sub_u32 s0, s8, s0
	s_subb_u32 s1, s9, 0
	s_add_u32 s0, s0, 0xff
	s_addc_u32 s1, s1, 0
	s_ashr_i32 s2, s1, 31
	s_lshr_b32 s2, s2, 24
	s_add_u32 s0, s0, s2
	s_addc_u32 s1, s1, 0
	s_lshr_b64 s[0:1], s[0:1], 8
	s_mov_b32 s6, s0
.LBB119_3:
	s_load_dwordx4 s[0:3], s[4:5], 0x518
	v_mov_b32_e32 v1, s35
	s_waitcnt lgkmcnt(0)
	global_load_ubyte v8, v1, s[0:1]
	s_clause 0x3
	s_load_dwordx2 s[20:21], s[4:5], 0x0
	s_load_dwordx2 s[26:27], s[4:5], 0xd0
	;; [unrolled: 1-line block ×4, first 2 shown]
	v_cmp_ne_u32_e64 s0, 0, v0
	v_cmp_eq_u32_e64 s1, 0, v0
	s_and_saveexec_b32 s36, s1
	s_cbranch_execz .LBB119_19
; %bb.4:
	s_load_dwordx2 s[18:19], s[4:5], 0x528
	s_mov_b32 s17, 0
	s_mov_b32 s37, 0
	s_lshl_b64 s[28:29], s[16:17], 2
	s_mov_b32 s16, 0
	s_add_u32 s12, s2, s28
	s_addc_u32 s13, s3, s29
	s_waitcnt lgkmcnt(0)
	s_add_u32 s14, s18, s28
	s_addc_u32 s15, s19, s29
	s_cmp_lt_u32 s7, 4
	s_cbranch_scc1 .LBB119_16
; %bb.5:
	s_mov_b32 s38, 0
.LBB119_6:                              ; =>This Inner Loop Header: Depth=1
	s_add_u32 s12, s2, s28
	s_addc_u32 s13, s3, s29
	s_add_u32 s30, s18, s28
	s_load_dwordx4 s[12:15], s[12:13], 0x0
	s_addc_u32 s31, s19, s29
	s_cmp_ge_u32 s38, s34
	s_cbranch_scc0 .LBB119_13
; %bb.7:                                ;   in Loop: Header=BB119_6 Depth=1
	s_add_i32 s39, s38, 1
	s_cmp_ge_u32 s39, s34
	s_cbranch_scc0 .LBB119_14
.LBB119_8:                              ;   in Loop: Header=BB119_6 Depth=1
	s_add_i32 s39, s39, 1
	s_cmp_ge_u32 s39, s34
	s_cbranch_scc0 .LBB119_15
.LBB119_9:                              ;   in Loop: Header=BB119_6 Depth=1
	s_add_i32 s39, s39, 1
	s_cmp_ge_u32 s39, s34
	s_cbranch_scc1 .LBB119_11
.LBB119_10:                             ;   in Loop: Header=BB119_6 Depth=1
	s_load_dword s30, s[30:31], 0xc
	s_waitcnt lgkmcnt(0)
	s_add_i32 s17, s17, s15
	s_add_i32 s16, s30, s16
.LBB119_11:                             ;   in Loop: Header=BB119_6 Depth=1
	s_waitcnt lgkmcnt(0)
	s_add_i32 s12, s12, s37
	s_add_i32 s12, s12, s13
	;; [unrolled: 1-line block ×4, first 2 shown]
	s_add_u32 s2, s2, 16
	s_addc_u32 s3, s3, 0
	s_add_u32 s18, s18, 16
	s_addc_u32 s19, s19, 0
	s_add_i32 s31, s39, 4
	s_add_u32 s14, s18, s28
	s_addc_u32 s15, s19, s29
	s_add_u32 s12, s2, s28
	s_addc_u32 s13, s3, s29
	s_add_i32 s30, s39, 1
	s_cmp_ge_u32 s31, s7
	s_cbranch_scc1 .LBB119_17
; %bb.12:                               ;   in Loop: Header=BB119_6 Depth=1
	s_mov_b32 s38, s30
	s_branch .LBB119_6
.LBB119_13:                             ;   in Loop: Header=BB119_6 Depth=1
	s_load_dword s39, s[30:31], 0x0
	s_waitcnt lgkmcnt(0)
	s_add_i32 s17, s12, s17
	s_add_i32 s16, s39, s16
	;; [unrolled: 1-line block ×3, first 2 shown]
	s_cmp_ge_u32 s39, s34
	s_cbranch_scc1 .LBB119_8
.LBB119_14:                             ;   in Loop: Header=BB119_6 Depth=1
	s_load_dword s40, s[30:31], 0x4
	s_waitcnt lgkmcnt(0)
	s_add_i32 s17, s17, s13
	s_add_i32 s16, s40, s16
	s_add_i32 s39, s39, 1
	s_cmp_ge_u32 s39, s34
	s_cbranch_scc1 .LBB119_9
.LBB119_15:                             ;   in Loop: Header=BB119_6 Depth=1
	s_load_dword s40, s[30:31], 0x8
	s_waitcnt lgkmcnt(0)
	s_add_i32 s17, s17, s14
	s_add_i32 s16, s40, s16
	;; [unrolled: 1-line block ×3, first 2 shown]
	s_cmp_ge_u32 s39, s34
	s_cbranch_scc0 .LBB119_10
	s_branch .LBB119_11
.LBB119_16:
	s_mov_b32 s2, 0
	s_cmp_ge_u32 s2, s7
	s_cbranch_scc0 .LBB119_40
	s_branch .LBB119_18
.LBB119_17:
	s_add_i32 s2, s38, 4
	s_cmp_ge_u32 s2, s7
	s_cbranch_scc0 .LBB119_40
.LBB119_18:
	v_mov_b32_e32 v1, s16
	v_mov_b32_e32 v2, s37
	;; [unrolled: 1-line block ×4, first 2 shown]
	ds_write_b96 v4, v[1:3] offset:1056
.LBB119_19:
	s_or_b32 exec_lo, exec_lo, s36
	s_clause 0x1
	s_load_dwordx4 s[12:15], s[4:5], 0x1b8
	s_load_dwordx4 s[16:19], s[4:5], 0x360
	s_cmp_eq_u32 s6, 0
	s_waitcnt vmcnt(0) lgkmcnt(0)
	s_barrier
	buffer_gl0_inv
	s_cbranch_scc1 .LBB119_42
; %bb.20:
	v_mov_b32_e32 v5, 0
	s_mul_i32 s2, s27, s35
	s_mul_hi_u32 s3, s26, s35
	v_add_nc_u32_e32 v4, -1, v0
	s_add_i32 s7, s3, s2
	ds_read_b96 v[1:3], v5 offset:1056
	s_mul_i32 s2, s25, s35
	s_mul_hi_u32 s3, s24, s35
	v_lshrrev_b32_e32 v6, 3, v0
	s_add_i32 s25, s3, s2
	s_mul_i32 s2, s23, s35
	s_mul_hi_u32 s3, s22, s35
	v_lshrrev_b32_e32 v7, 3, v4
	s_add_i32 s3, s3, s2
	s_mul_i32 s2, s22, s35
	s_clause 0x1
	s_load_dword s22, s[4:5], 0x1b0
	s_load_dwordx2 s[4:5], s[4:5], 0x508
	s_mul_i32 s26, s26, s35
	v_and_b32_e32 v13, 0x1ffffffc, v7
	s_mul_i32 s23, s24, s35
	s_add_u32 s20, s20, s26
	s_addc_u32 s21, s21, s7
	v_and_b32_e32 v11, 0xfc, v0
	v_lshlrev_b32_e32 v12, 5, v0
	v_mbcnt_lo_u32_b32 v9, -1, 0
	s_waitcnt lgkmcnt(0)
	v_add_nc_u32_e32 v1, v1, v2
	v_and_b32_e32 v2, 28, v6
	s_add_u32 s14, s14, s23
	s_addc_u32 s15, s15, s25
	s_lshl_b64 s[2:3], s[2:3], 3
	v_mad_u64_u32 v[6:7], null, s34, s33, v[0:1]
	s_add_u32 s7, s18, s2
	s_addc_u32 s18, s19, s3
	v_lshl_add_u32 v10, v0, 2, v2
	v_cmp_gt_u32_e64 s2, 32, v0
	v_lshl_add_u32 v0, v4, 2, v13
	v_add_nc_u32_e32 v11, v11, v12
	v_and_b32_e32 v12, 15, v9
	v_bfe_i32 v13, v9, 4, 1
	v_add_nc_u32_e32 v14, -1, v9
	v_mov_b32_e32 v4, v6
	s_bitcmp1_b32 s22, 0
                                        ; implicit-def: $vgpr15
	s_cselect_b32 s3, -1, 0
	s_branch .LBB119_23
.LBB119_21:                             ;   in Loop: Header=BB119_23 Depth=1
	s_or_b32 exec_lo, exec_lo, s19
	v_add_nc_u32_e32 v1, v2, v1
.LBB119_22:                             ;   in Loop: Header=BB119_23 Depth=1
	v_add_nc_u32_e32 v3, v16, v3
	v_add_nc_u32_e32 v4, 0x100, v4
	s_add_i32 s6, s6, -1
	s_cmp_lg_u32 s6, 0
	s_cbranch_scc0 .LBB119_42
.LBB119_23:                             ; =>This Inner Loop Header: Depth=1
	v_mov_b32_e32 v2, v5
	v_mov_b32_e32 v6, v5
	s_mov_b32 s19, exec_lo
	v_cmpx_gt_u64_e64 s[8:9], v[4:5]
	s_cbranch_execz .LBB119_25
; %bb.24:                               ;   in Loop: Header=BB119_23 Depth=1
	v_mad_u64_u32 v[6:7], null, s12, v4, s[20:21]
	v_mov_b32_e32 v2, v7
	v_mad_u64_u32 v[15:16], null, s13, v4, v[2:3]
	v_mov_b32_e32 v7, v15
	global_load_ubyte v15, v[6:7], off
	s_waitcnt vmcnt(0)
	v_cmp_gt_u16_sdwa s22, v15, v8 src0_sel:DWORD src1_sel:BYTE_0
	v_cndmask_b32_e64 v2, 0, 1, s22
	v_cmp_lt_u16_sdwa s22, v15, v8 src0_sel:DWORD src1_sel:BYTE_0
	v_cndmask_b32_e64 v6, 0, 1, s22
	v_cmp_eq_u16_sdwa s22, v15, v8 src0_sel:DWORD src1_sel:BYTE_0
	v_cndmask_b32_e64 v2, v6, v2, s3
	v_cndmask_b32_e64 v6, 0, 1, s22
	v_and_b32_e32 v2, 1, v2
.LBB119_25:                             ;   in Loop: Header=BB119_23 Depth=1
	s_or_b32 exec_lo, exec_lo, s19
	ds_write_b32 v10, v2
	s_waitcnt lgkmcnt(0)
	s_barrier
	buffer_gl0_inv
	s_and_saveexec_b32 s19, s2
	s_cbranch_execz .LBB119_27
; %bb.26:                               ;   in Loop: Header=BB119_23 Depth=1
	ds_read2_b32 v[16:17], v11 offset1:1
	ds_read2_b32 v[18:19], v11 offset0:2 offset1:3
	ds_read2_b32 v[20:21], v11 offset0:4 offset1:5
	;; [unrolled: 1-line block ×3, first 2 shown]
	v_cmp_ne_u32_e32 vcc_lo, 0, v12
	; wave barrier
	s_waitcnt lgkmcnt(3)
	v_add_nc_u32_e32 v7, v17, v16
	s_waitcnt lgkmcnt(2)
	v_add3_u32 v7, v7, v18, v19
	s_waitcnt lgkmcnt(1)
	v_add3_u32 v7, v7, v20, v21
	;; [unrolled: 2-line block ×3, first 2 shown]
	v_mov_b32_dpp v17, v7 row_shr:1 row_mask:0xf bank_mask:0xf
	v_cndmask_b32_e32 v17, 0, v17, vcc_lo
	v_cmp_lt_u32_e32 vcc_lo, 1, v12
	v_add_nc_u32_e32 v7, v17, v7
	v_mov_b32_dpp v17, v7 row_shr:2 row_mask:0xf bank_mask:0xf
	v_cndmask_b32_e32 v17, 0, v17, vcc_lo
	v_cmp_lt_u32_e32 vcc_lo, 3, v12
	v_add_nc_u32_e32 v7, v7, v17
	;; [unrolled: 4-line block ×3, first 2 shown]
	v_mov_b32_dpp v17, v7 row_shr:8 row_mask:0xf bank_mask:0xf
	v_cndmask_b32_e32 v17, 0, v17, vcc_lo
	v_cmp_gt_i32_e32 vcc_lo, 0, v14
	v_add_nc_u32_e32 v7, v7, v17
	v_cndmask_b32_e32 v18, v14, v9, vcc_lo
	ds_swizzle_b32 v17, v7 offset:swizzle(BROADCAST,32,15)
	v_lshlrev_b32_e32 v18, 2, v18
	s_waitcnt lgkmcnt(0)
	v_and_b32_e32 v17, v13, v17
	v_add_nc_u32_e32 v7, v7, v17
	ds_bpermute_b32 v7, v18, v7
	s_waitcnt lgkmcnt(0)
	v_add_nc_u32_e32 v7, v7, v16
	v_cndmask_b32_e64 v7, v7, v2, s1
	ds_write_b32 v11, v7
	; wave barrier
	ds_read2_b32 v[16:17], v11 offset0:1 offset1:2
	ds_read2_b32 v[18:19], v11 offset0:3 offset1:4
	;; [unrolled: 1-line block ×3, first 2 shown]
	ds_read_b32 v22, v11 offset:28
	s_waitcnt lgkmcnt(3)
	v_add_nc_u32_e32 v7, v16, v7
	v_add_nc_u32_e32 v16, v17, v7
	s_waitcnt lgkmcnt(2)
	v_add_nc_u32_e32 v17, v18, v16
	v_add_nc_u32_e32 v18, v19, v17
	;; [unrolled: 3-line block ×3, first 2 shown]
	s_waitcnt lgkmcnt(0)
	v_add_nc_u32_e32 v21, v22, v20
	ds_write2_b32 v11, v7, v16 offset0:1 offset1:2
	ds_write2_b32 v11, v17, v18 offset0:3 offset1:4
	;; [unrolled: 1-line block ×3, first 2 shown]
	ds_write_b32 v11, v21 offset:28
.LBB119_27:                             ;   in Loop: Header=BB119_23 Depth=1
	s_or_b32 exec_lo, exec_lo, s19
	v_mov_b32_e32 v7, 0
	s_waitcnt lgkmcnt(0)
	s_barrier
	buffer_gl0_inv
	s_and_saveexec_b32 s19, s0
; %bb.28:                               ;   in Loop: Header=BB119_23 Depth=1
	ds_read_b32 v7, v0
; %bb.29:                               ;   in Loop: Header=BB119_23 Depth=1
	s_or_b32 exec_lo, exec_lo, s19
	ds_read_b32 v16, v5 offset:1048
	s_mov_b32 s19, exec_lo
	s_waitcnt lgkmcnt(0)
	s_barrier
	buffer_gl0_inv
	v_cmpx_ne_u32_e32 0, v2
	s_cbranch_execz .LBB119_31
; %bb.30:                               ;   in Loop: Header=BB119_23 Depth=1
	v_add_nc_u32_e32 v7, v7, v3
	v_mad_u64_u32 v[17:18], null, s4, v7, 0
	v_mad_u64_u32 v[19:20], null, s16, v7, s[14:15]
	v_mov_b32_e32 v2, v18
	v_mad_u64_u32 v[21:22], null, s5, v7, v[2:3]
	v_mov_b32_e32 v2, v20
	v_mov_b32_e32 v18, v21
	v_mad_u64_u32 v[20:21], null, s17, v7, v[2:3]
	v_lshlrev_b64 v[17:18], 3, v[17:18]
	v_add_co_u32 v17, vcc_lo, s7, v17
	v_add_co_ci_u32_e64 v18, null, s18, v18, vcc_lo
	global_store_byte v[19:20], v15, off
	global_store_dwordx2 v[17:18], v[4:5], off
.LBB119_31:                             ;   in Loop: Header=BB119_23 Depth=1
	s_or_b32 exec_lo, exec_lo, s19
	v_mov_b32_e32 v2, v5
	v_cmp_le_u64_e32 vcc_lo, s[10:11], v[1:2]
	s_cbranch_vccnz .LBB119_22
; %bb.32:                               ;   in Loop: Header=BB119_23 Depth=1
	ds_write_b32 v10, v6
	s_waitcnt lgkmcnt(0)
	s_waitcnt_vscnt null, 0x0
	s_barrier
	buffer_gl0_inv
	s_and_saveexec_b32 s19, s2
	s_cbranch_execz .LBB119_34
; %bb.33:                               ;   in Loop: Header=BB119_23 Depth=1
	ds_read2_b32 v[17:18], v11 offset1:1
	ds_read2_b32 v[19:20], v11 offset0:2 offset1:3
	ds_read2_b32 v[21:22], v11 offset0:4 offset1:5
	;; [unrolled: 1-line block ×3, first 2 shown]
	v_cmp_ne_u32_e32 vcc_lo, 0, v12
	; wave barrier
	s_waitcnt lgkmcnt(3)
	v_add_nc_u32_e32 v2, v18, v17
	s_waitcnt lgkmcnt(2)
	v_add3_u32 v2, v2, v19, v20
	s_waitcnt lgkmcnt(1)
	v_add3_u32 v2, v2, v21, v22
	;; [unrolled: 2-line block ×3, first 2 shown]
	v_mov_b32_dpp v7, v2 row_shr:1 row_mask:0xf bank_mask:0xf
	v_cndmask_b32_e32 v7, 0, v7, vcc_lo
	v_cmp_lt_u32_e32 vcc_lo, 1, v12
	v_add_nc_u32_e32 v2, v7, v2
	v_mov_b32_dpp v7, v2 row_shr:2 row_mask:0xf bank_mask:0xf
	v_cndmask_b32_e32 v7, 0, v7, vcc_lo
	v_cmp_lt_u32_e32 vcc_lo, 3, v12
	v_add_nc_u32_e32 v2, v2, v7
	;; [unrolled: 4-line block ×3, first 2 shown]
	v_mov_b32_dpp v7, v2 row_shr:8 row_mask:0xf bank_mask:0xf
	v_cndmask_b32_e32 v7, 0, v7, vcc_lo
	v_cmp_gt_i32_e32 vcc_lo, 0, v14
	v_add_nc_u32_e32 v2, v2, v7
	v_cndmask_b32_e32 v18, v14, v9, vcc_lo
	ds_swizzle_b32 v7, v2 offset:swizzle(BROADCAST,32,15)
	v_lshlrev_b32_e32 v18, 2, v18
	s_waitcnt lgkmcnt(0)
	v_and_b32_e32 v7, v13, v7
	v_add_nc_u32_e32 v2, v2, v7
	ds_bpermute_b32 v2, v18, v2
	s_waitcnt lgkmcnt(0)
	v_add_nc_u32_e32 v2, v2, v17
	v_cndmask_b32_e64 v2, v2, v6, s1
	ds_write_b32 v11, v2
	; wave barrier
	ds_read2_b32 v[17:18], v11 offset0:1 offset1:2
	ds_read2_b32 v[19:20], v11 offset0:3 offset1:4
	;; [unrolled: 1-line block ×3, first 2 shown]
	ds_read_b32 v7, v11 offset:28
	s_waitcnt lgkmcnt(3)
	v_add_nc_u32_e32 v2, v17, v2
	v_add_nc_u32_e32 v17, v18, v2
	s_waitcnt lgkmcnt(2)
	v_add_nc_u32_e32 v18, v19, v17
	v_add_nc_u32_e32 v19, v20, v18
	;; [unrolled: 3-line block ×3, first 2 shown]
	s_waitcnt lgkmcnt(0)
	v_add_nc_u32_e32 v7, v7, v21
	ds_write2_b32 v11, v2, v17 offset0:1 offset1:2
	ds_write2_b32 v11, v18, v19 offset0:3 offset1:4
	;; [unrolled: 1-line block ×3, first 2 shown]
	ds_write_b32 v11, v7 offset:28
.LBB119_34:                             ;   in Loop: Header=BB119_23 Depth=1
	s_or_b32 exec_lo, exec_lo, s19
	v_mov_b32_e32 v7, 0
	s_waitcnt lgkmcnt(0)
	s_barrier
	buffer_gl0_inv
	s_and_saveexec_b32 s19, s0
; %bb.35:                               ;   in Loop: Header=BB119_23 Depth=1
	ds_read_b32 v7, v0
; %bb.36:                               ;   in Loop: Header=BB119_23 Depth=1
	s_or_b32 exec_lo, exec_lo, s19
	ds_read_b32 v2, v5 offset:1048
	s_mov_b32 s19, exec_lo
	s_waitcnt lgkmcnt(0)
	s_barrier
	buffer_gl0_inv
	v_cmpx_ne_u32_e32 0, v6
	s_cbranch_execz .LBB119_21
; %bb.37:                               ;   in Loop: Header=BB119_23 Depth=1
	v_add_nc_u32_e32 v6, v7, v1
	v_mov_b32_e32 v7, v5
	v_cmp_gt_u64_e32 vcc_lo, s[10:11], v[6:7]
	s_and_b32 exec_lo, exec_lo, vcc_lo
	s_cbranch_execz .LBB119_21
; %bb.38:                               ;   in Loop: Header=BB119_23 Depth=1
	v_mad_u64_u32 v[17:18], null, s4, v6, 0
	v_mad_u64_u32 v[19:20], null, s16, v6, s[14:15]
	v_mov_b32_e32 v7, v18
	v_mad_u64_u32 v[21:22], null, s5, v6, v[7:8]
	v_mov_b32_e32 v7, v20
	;; [unrolled: 2-line block ×3, first 2 shown]
	v_lshlrev_b64 v[17:18], 3, v[17:18]
	v_mov_b32_e32 v20, v6
	v_add_co_u32 v6, vcc_lo, s7, v17
	v_add_co_ci_u32_e64 v7, null, s18, v18, vcc_lo
	global_store_byte v[19:20], v15, off
	global_store_dwordx2 v[6:7], v[4:5], off
	s_branch .LBB119_21
	.p2align	6
.LBB119_39:                             ;   in Loop: Header=BB119_40 Depth=1
	s_add_u32 s12, s12, 4
	s_addc_u32 s13, s13, 0
	s_waitcnt lgkmcnt(0)
	s_add_i32 s37, s3, s37
	s_add_u32 s14, s14, 4
	s_addc_u32 s15, s15, 0
	s_add_i32 s2, s2, 1
	s_cmp_lt_u32 s2, s7
	s_cbranch_scc0 .LBB119_18
.LBB119_40:                             ; =>This Inner Loop Header: Depth=1
	s_load_dword s3, s[12:13], 0x0
	s_cmp_ge_u32 s2, s34
	s_cbranch_scc1 .LBB119_39
; %bb.41:                               ;   in Loop: Header=BB119_40 Depth=1
	s_load_dword s18, s[14:15], 0x0
	s_waitcnt lgkmcnt(0)
	s_add_i32 s17, s3, s17
	s_add_i32 s16, s18, s16
	s_branch .LBB119_39
.LBB119_42:
	s_endpgm
	.section	.rodata,"a",@progbits
	.p2align	6, 0x0
	.amdhsa_kernel _ZN2at6native6mbtopk10gatherTopKIhmLi1EEEvNS_4cuda6detail10TensorInfoIKT_T0_EES8_S8_bjS8_NS5_IS6_S8_EES8_NS5_IlS8_EES8_jjPS6_PjSD_j
		.amdhsa_group_segment_fixed_size 1068
		.amdhsa_private_segment_fixed_size 0
		.amdhsa_kernarg_size 1592
		.amdhsa_user_sgpr_count 6
		.amdhsa_user_sgpr_private_segment_buffer 1
		.amdhsa_user_sgpr_dispatch_ptr 0
		.amdhsa_user_sgpr_queue_ptr 0
		.amdhsa_user_sgpr_kernarg_segment_ptr 1
		.amdhsa_user_sgpr_dispatch_id 0
		.amdhsa_user_sgpr_flat_scratch_init 0
		.amdhsa_user_sgpr_private_segment_size 0
		.amdhsa_wavefront_size32 1
		.amdhsa_uses_dynamic_stack 0
		.amdhsa_system_sgpr_private_segment_wavefront_offset 0
		.amdhsa_system_sgpr_workgroup_id_x 1
		.amdhsa_system_sgpr_workgroup_id_y 1
		.amdhsa_system_sgpr_workgroup_id_z 1
		.amdhsa_system_sgpr_workgroup_info 0
		.amdhsa_system_vgpr_workitem_id 0
		.amdhsa_next_free_vgpr 25
		.amdhsa_next_free_sgpr 41
		.amdhsa_reserve_vcc 1
		.amdhsa_reserve_flat_scratch 0
		.amdhsa_float_round_mode_32 0
		.amdhsa_float_round_mode_16_64 0
		.amdhsa_float_denorm_mode_32 3
		.amdhsa_float_denorm_mode_16_64 3
		.amdhsa_dx10_clamp 1
		.amdhsa_ieee_mode 1
		.amdhsa_fp16_overflow 0
		.amdhsa_workgroup_processor_mode 1
		.amdhsa_memory_ordered 1
		.amdhsa_forward_progress 1
		.amdhsa_shared_vgpr_count 0
		.amdhsa_exception_fp_ieee_invalid_op 0
		.amdhsa_exception_fp_denorm_src 0
		.amdhsa_exception_fp_ieee_div_zero 0
		.amdhsa_exception_fp_ieee_overflow 0
		.amdhsa_exception_fp_ieee_underflow 0
		.amdhsa_exception_fp_ieee_inexact 0
		.amdhsa_exception_int_div_zero 0
	.end_amdhsa_kernel
	.section	.text._ZN2at6native6mbtopk10gatherTopKIhmLi1EEEvNS_4cuda6detail10TensorInfoIKT_T0_EES8_S8_bjS8_NS5_IS6_S8_EES8_NS5_IlS8_EES8_jjPS6_PjSD_j,"axG",@progbits,_ZN2at6native6mbtopk10gatherTopKIhmLi1EEEvNS_4cuda6detail10TensorInfoIKT_T0_EES8_S8_bjS8_NS5_IS6_S8_EES8_NS5_IlS8_EES8_jjPS6_PjSD_j,comdat
.Lfunc_end119:
	.size	_ZN2at6native6mbtopk10gatherTopKIhmLi1EEEvNS_4cuda6detail10TensorInfoIKT_T0_EES8_S8_bjS8_NS5_IS6_S8_EES8_NS5_IlS8_EES8_jjPS6_PjSD_j, .Lfunc_end119-_ZN2at6native6mbtopk10gatherTopKIhmLi1EEEvNS_4cuda6detail10TensorInfoIKT_T0_EES8_S8_bjS8_NS5_IS6_S8_EES8_NS5_IlS8_EES8_jjPS6_PjSD_j
                                        ; -- End function
	.set _ZN2at6native6mbtopk10gatherTopKIhmLi1EEEvNS_4cuda6detail10TensorInfoIKT_T0_EES8_S8_bjS8_NS5_IS6_S8_EES8_NS5_IlS8_EES8_jjPS6_PjSD_j.num_vgpr, 25
	.set _ZN2at6native6mbtopk10gatherTopKIhmLi1EEEvNS_4cuda6detail10TensorInfoIKT_T0_EES8_S8_bjS8_NS5_IS6_S8_EES8_NS5_IlS8_EES8_jjPS6_PjSD_j.num_agpr, 0
	.set _ZN2at6native6mbtopk10gatherTopKIhmLi1EEEvNS_4cuda6detail10TensorInfoIKT_T0_EES8_S8_bjS8_NS5_IS6_S8_EES8_NS5_IlS8_EES8_jjPS6_PjSD_j.numbered_sgpr, 41
	.set _ZN2at6native6mbtopk10gatherTopKIhmLi1EEEvNS_4cuda6detail10TensorInfoIKT_T0_EES8_S8_bjS8_NS5_IS6_S8_EES8_NS5_IlS8_EES8_jjPS6_PjSD_j.num_named_barrier, 0
	.set _ZN2at6native6mbtopk10gatherTopKIhmLi1EEEvNS_4cuda6detail10TensorInfoIKT_T0_EES8_S8_bjS8_NS5_IS6_S8_EES8_NS5_IlS8_EES8_jjPS6_PjSD_j.private_seg_size, 0
	.set _ZN2at6native6mbtopk10gatherTopKIhmLi1EEEvNS_4cuda6detail10TensorInfoIKT_T0_EES8_S8_bjS8_NS5_IS6_S8_EES8_NS5_IlS8_EES8_jjPS6_PjSD_j.uses_vcc, 1
	.set _ZN2at6native6mbtopk10gatherTopKIhmLi1EEEvNS_4cuda6detail10TensorInfoIKT_T0_EES8_S8_bjS8_NS5_IS6_S8_EES8_NS5_IlS8_EES8_jjPS6_PjSD_j.uses_flat_scratch, 0
	.set _ZN2at6native6mbtopk10gatherTopKIhmLi1EEEvNS_4cuda6detail10TensorInfoIKT_T0_EES8_S8_bjS8_NS5_IS6_S8_EES8_NS5_IlS8_EES8_jjPS6_PjSD_j.has_dyn_sized_stack, 0
	.set _ZN2at6native6mbtopk10gatherTopKIhmLi1EEEvNS_4cuda6detail10TensorInfoIKT_T0_EES8_S8_bjS8_NS5_IS6_S8_EES8_NS5_IlS8_EES8_jjPS6_PjSD_j.has_recursion, 0
	.set _ZN2at6native6mbtopk10gatherTopKIhmLi1EEEvNS_4cuda6detail10TensorInfoIKT_T0_EES8_S8_bjS8_NS5_IS6_S8_EES8_NS5_IlS8_EES8_jjPS6_PjSD_j.has_indirect_call, 0
	.section	.AMDGPU.csdata,"",@progbits
; Kernel info:
; codeLenInByte = 2320
; TotalNumSgprs: 43
; NumVgprs: 25
; ScratchSize: 0
; MemoryBound: 0
; FloatMode: 240
; IeeeMode: 1
; LDSByteSize: 1068 bytes/workgroup (compile time only)
; SGPRBlocks: 0
; VGPRBlocks: 3
; NumSGPRsForWavesPerEU: 43
; NumVGPRsForWavesPerEU: 25
; Occupancy: 16
; WaveLimiterHint : 1
; COMPUTE_PGM_RSRC2:SCRATCH_EN: 0
; COMPUTE_PGM_RSRC2:USER_SGPR: 6
; COMPUTE_PGM_RSRC2:TRAP_HANDLER: 0
; COMPUTE_PGM_RSRC2:TGID_X_EN: 1
; COMPUTE_PGM_RSRC2:TGID_Y_EN: 1
; COMPUTE_PGM_RSRC2:TGID_Z_EN: 1
; COMPUTE_PGM_RSRC2:TIDIG_COMP_CNT: 0
	.section	.text._ZN2at6native6sbtopk10gatherTopKIhmLi1ELb0EEEvNS_4cuda6detail10TensorInfoIKT_T0_EES8_S8_bS8_S8_NS5_IS6_S8_EES8_NS5_IlS8_EES8_PS6_,"axG",@progbits,_ZN2at6native6sbtopk10gatherTopKIhmLi1ELb0EEEvNS_4cuda6detail10TensorInfoIKT_T0_EES8_S8_bS8_S8_NS5_IS6_S8_EES8_NS5_IlS8_EES8_PS6_,comdat
	.protected	_ZN2at6native6sbtopk10gatherTopKIhmLi1ELb0EEEvNS_4cuda6detail10TensorInfoIKT_T0_EES8_S8_bS8_S8_NS5_IS6_S8_EES8_NS5_IlS8_EES8_PS6_ ; -- Begin function _ZN2at6native6sbtopk10gatherTopKIhmLi1ELb0EEEvNS_4cuda6detail10TensorInfoIKT_T0_EES8_S8_bS8_S8_NS5_IS6_S8_EES8_NS5_IlS8_EES8_PS6_
	.globl	_ZN2at6native6sbtopk10gatherTopKIhmLi1ELb0EEEvNS_4cuda6detail10TensorInfoIKT_T0_EES8_S8_bS8_S8_NS5_IS6_S8_EES8_NS5_IlS8_EES8_PS6_
	.p2align	8
	.type	_ZN2at6native6sbtopk10gatherTopKIhmLi1ELb0EEEvNS_4cuda6detail10TensorInfoIKT_T0_EES8_S8_bS8_S8_NS5_IS6_S8_EES8_NS5_IlS8_EES8_PS6_,@function
_ZN2at6native6sbtopk10gatherTopKIhmLi1ELb0EEEvNS_4cuda6detail10TensorInfoIKT_T0_EES8_S8_bS8_S8_NS5_IS6_S8_EES8_NS5_IlS8_EES8_PS6_: ; @_ZN2at6native6sbtopk10gatherTopKIhmLi1ELb0EEEvNS_4cuda6detail10TensorInfoIKT_T0_EES8_S8_bS8_S8_NS5_IS6_S8_EES8_NS5_IlS8_EES8_PS6_
; %bb.0:
	s_clause 0x1
	s_load_dwordx2 s[14:15], s[4:5], 0x520
	s_load_dwordx4 s[36:39], s[4:5], 0x1b8
	s_add_u32 s12, s4, 0x520
	s_addc_u32 s13, s5, 0
	s_mov_b32 s41, 0
	s_waitcnt lgkmcnt(0)
	s_mul_i32 s0, s15, s8
	s_add_i32 s0, s0, s7
	s_mul_i32 s0, s0, s14
	s_add_i32 s40, s0, s6
	v_cmp_le_u64_e64 s0, s[36:37], s[40:41]
	s_and_b32 vcc_lo, exec_lo, s0
	s_cbranch_vccnz .LBB120_472
; %bb.1:
	s_load_dwordx2 s[0:1], s[4:5], 0x440
                                        ; implicit-def: $vgpr57 : SGPR spill to VGPR lane
	v_cmp_eq_u32_e64 s3, 0, v0
	s_waitcnt lgkmcnt(0)
	v_writelane_b32 v57, s0, 0
	v_writelane_b32 v57, s1, 1
	s_load_dwordx2 s[0:1], s[4:5], 0x370
	s_waitcnt lgkmcnt(0)
	v_writelane_b32 v57, s0, 2
	v_writelane_b32 v57, s1, 3
	s_clause 0x1
	s_load_dwordx4 s[28:31], s[4:5], 0x1a0
	s_load_dwordx2 s[0:1], s[4:5], 0x1c8
	s_waitcnt lgkmcnt(0)
	v_writelane_b32 v57, s0, 4
	v_writelane_b32 v57, s1, 5
	s_clause 0x1
	s_load_dwordx2 s[0:1], s[4:5], 0xd0
	s_load_dwordx2 s[34:35], s[4:5], 0x0
	s_and_saveexec_b32 s2, s3
	s_cbranch_execz .LBB120_3
; %bb.2:
	v_mov_b32_e32 v1, 0
	v_mov_b32_e32 v3, s28
	;; [unrolled: 1-line block ×4, first 2 shown]
	ds_write_b32 v1, v1 offset:5144
	ds_write_b128 v1, v[1:4] offset:5120
.LBB120_3:
	s_or_b32 exec_lo, exec_lo, s2
	s_load_dword s2, s[4:5], 0x1b0
	v_mad_u64_u32 v[4:5], null, s38, v0, 0
	v_mbcnt_lo_u32_b32 v31, -1, 0
	s_waitcnt lgkmcnt(0)
	s_mul_i32 s1, s1, s40
	s_mul_hi_u32 s7, s0, s40
	s_mul_i32 s73, s0, s40
	v_cmp_gt_u32_e32 vcc_lo, 32, v0
	s_add_i32 s74, s7, s1
	v_mov_b32_e32 v1, v5
	v_cmp_gt_i32_e64 s1, 4, v31
	s_add_u32 s50, s34, s73
	s_addc_u32 s51, s35, s74
	v_mad_u64_u32 v[2:3], null, s39, v0, v[1:2]
	v_mov_b32_e32 v3, 0
	s_barrier
	buffer_gl0_inv
	s_load_dword s8, s[12:13], 0xc
	s_bitcmp1_b32 s2, 0
	v_lshlrev_b64 v[6:7], v31, -1
	s_cselect_b32 s2, -1, 0
	s_and_b32 s76, vcc_lo, s1
	v_add_co_u32 v12, vcc_lo, s50, v4
	v_mov_b32_e32 v5, v2
	v_add_co_ci_u32_e64 v13, null, s51, v2, vcc_lo
	v_add_nc_u32_e32 v2, 2, v0
	v_lshlrev_b32_e32 v14, 2, v0
	v_not_b32_e32 v30, v6
	v_not_b32_e32 v6, v0
	s_xor_b32 s75, s2, -1
	v_cmp_gt_u64_e32 vcc_lo, s[28:29], v[2:3]
	v_or_b32_e32 v8, 3, v14
	v_or_b32_e32 v10, 2, v14
	v_mad_u64_u32 v[23:24], null, s38, v14, s[38:39]
	s_waitcnt lgkmcnt(0)
	s_and_b32 s33, s8, 0xffff
	v_cndmask_b32_e64 v2, v2, s28, vcc_lo
	v_cndmask_b32_e64 v7, 0, s29, vcc_lo
	v_mad_u64_u32 v[19:20], null, s38, v8, 0
	s_bfe_u32 s7, s33, 0x80008
	v_add_co_u32 v6, vcc_lo, v2, v6
	v_add_co_ci_u32_e64 v7, null, -1, v7, vcc_lo
	s_lshl_b32 s78, s7, 3
	v_and_b32_e32 v16, -4, v6
	s_bfe_u32 s9, s8, 0xb0005
	s_cmp_gt_u32 s33, 31
	v_mad_u64_u32 v[21:22], null, s38, v10, 0
	v_add_co_u32 v18, vcc_lo, v16, v0
	v_add_co_ci_u32_e64 v2, null, 0, v7, vcc_lo
	s_cselect_b32 s79, -1, 0
	s_add_u32 s80, s33, -1
	v_mov_b32_e32 v2, v20
	s_addc_u32 s81, 0, -1
	s_add_u32 s82, s80, s28
	s_addc_u32 s53, s81, s29
	v_mov_b32_e32 v17, v7
	s_cmp_lt_u32 s6, s14
	v_mad_u64_u32 v[8:9], null, s39, v8, v[2:3]
	s_movk_i32 s6, 0x3e0
	s_cselect_b32 s7, 12, 18
	v_and_or_b32 v32, v0, s6, 0xc00
	s_add_u32 s54, s12, s7
	v_cmp_lt_u64_e64 s7, 3, v[6:7]
	v_cmp_ne_u64_e64 s6, v[6:7], v[16:17]
	v_mov_b32_e32 v6, v22
	v_mov_b32_e32 v7, v24
	;; [unrolled: 1-line block ×3, first 2 shown]
	s_addc_u32 s55, s13, 0
	s_add_i32 s9, s9, -1
	v_writelane_b32 v57, s6, 6
	v_mad_u64_u32 v[9:10], null, s39, v10, v[6:7]
	v_mad_u64_u32 v[6:7], null, s39, v14, v[7:8]
	s_and_b32 s6, s9, 0xffff
	s_bfe_u32 s89, s33, 0x30005
	v_cmp_lt_u64_e64 s77, 0xc00, s[28:29]
	v_cmp_gt_u64_e64 s1, s[28:29], v[0:1]
	s_cmp_gt_u32 s6, 6
	v_lshlrev_b64 v[24:25], 2, v[4:5]
	v_mov_b32_e32 v26, s30
	v_cmp_eq_u32_e64 s0, 0, v31
	v_mov_b32_e32 v15, v3
	v_cmp_gt_u32_e64 s10, 2, v0
	v_mov_b32_e32 v22, v8
	v_mov_b32_e32 v33, v9
	;; [unrolled: 1-line block ×3, first 2 shown]
	v_lshl_or_b32 v35, v31, 3, 0xc00
	v_mov_b32_e32 v27, s31
	v_mov_b32_e32 v36, 8
	;; [unrolled: 1-line block ×5, first 2 shown]
	s_cselect_b32 s90, -1, 0
	s_cmp_lg_u32 s89, 0
	s_mul_i32 s6, s39, s33
	s_mul_hi_u32 s9, s38, s33
	s_mov_b32 s49, 0
	s_mov_b32 s83, s38
	;; [unrolled: 1-line block ×8, first 2 shown]
	s_cselect_b32 s91, -1, 0
	s_lshl_b64 s[56:57], s[38:39], 2
	s_add_i32 s41, s9, s6
	s_mul_i32 s72, s38, s33
	s_mov_b32 s93, 0
	s_mov_b32 s95, 0
                                        ; implicit-def: $sgpr94
                                        ; implicit-def: $sgpr98
                                        ; implicit-def: $sgpr97
                                        ; implicit-def: $sgpr99
                                        ; implicit-def: $sgpr96
                                        ; implicit-def: $sgpr37
                                        ; implicit-def: $sgpr44
                                        ; implicit-def: $sgpr104
                                        ; implicit-def: $sgpr36
                                        ; implicit-def: $vcc_hi
	s_branch .LBB120_6
.LBB120_4:                              ;   in Loop: Header=BB120_6 Depth=1
	s_or_b32 exec_lo, exec_lo, s12
	v_mov_b32_e32 v27, v5
	v_mov_b32_e32 v26, v4
	s_andn2_b32 s8, vcc_hi, exec_lo
	s_and_b32 s11, s11, exec_lo
	s_andn2_b32 s36, s36, exec_lo
	s_or_b32 vcc_hi, s8, s11
	s_andn2_b32 s104, s104, exec_lo
	s_andn2_b32 s44, s44, exec_lo
	;; [unrolled: 1-line block ×3, first 2 shown]
	s_orn2_b32 s11, s9, exec_lo
.LBB120_5:                              ;   in Loop: Header=BB120_6 Depth=1
	s_or_b32 exec_lo, exec_lo, s6
	s_and_b32 s6, exec_lo, s11
	s_or_b32 s93, s6, s93
	s_andn2_b32 s6, s96, exec_lo
	s_and_b32 s9, vcc_hi, exec_lo
	s_andn2_b32 s11, s99, exec_lo
	s_or_b32 s96, s6, s9
	s_and_b32 s6, s36, exec_lo
	s_andn2_b32 s9, s97, exec_lo
	s_and_b32 s12, s104, exec_lo
	s_or_b32 s99, s11, s6
	s_or_b32 s97, s9, s12
	s_andn2_b32 s6, s98, exec_lo
	s_and_b32 s9, s44, exec_lo
	s_andn2_b32 s11, s94, exec_lo
	s_and_b32 s12, s37, exec_lo
	s_or_b32 s98, s6, s9
	s_or_b32 s94, s11, s12
	s_andn2_b32 exec_lo, exec_lo, s93
	s_cbranch_execz .LBB120_468
.LBB120_6:                              ; =>This Loop Header: Depth=1
                                        ;     Child Loop BB120_11 Depth 2
                                        ;     Child Loop BB120_25 Depth 2
	;; [unrolled: 1-line block ×25, first 2 shown]
	ds_read_b128 v[4:7], v3 offset:5120
	s_waitcnt lgkmcnt(0)
	v_readfirstlane_b32 s59, v5
	v_readfirstlane_b32 s58, v4
	s_cmp_lg_u64 s[58:59], 0
	s_cbranch_scc1 .LBB120_38
; %bb.7:                                ;   in Loop: Header=BB120_6 Depth=1
	s_and_b32 vcc_lo, exec_lo, s77
	s_cbranch_vccz .LBB120_19
; %bb.8:                                ;   in Loop: Header=BB120_6 Depth=1
	v_cmp_gt_u64_e32 vcc_lo, 0xc01, v[6:7]
	s_mov_b32 s9, 0
	s_mov_b32 s6, 0
	s_cbranch_vccz .LBB120_20
; %bb.9:                                ;   in Loop: Header=BB120_6 Depth=1
	global_load_ushort v4, v3, s[54:55]
	global_load_ubyte v8, v[12:13], off
	s_waitcnt vmcnt(1)
	v_and_b32_e32 v2, 0xffff, v4
	v_add_co_u32 v5, s6, v0, v2
	v_add_co_ci_u32_e64 v6, null, 0, 0, s6
	v_readfirstlane_b32 s6, v4
	v_mul_lo_u32 v7, s39, v5
	v_mad_u64_u32 v[4:5], null, s38, v5, s[50:51]
	v_mul_lo_u32 v6, s38, v6
	s_and_b32 s6, 0xffff, s6
	s_mul_i32 s11, s39, s6
	s_mul_hi_u32 s12, s38, s6
	s_mul_i32 s13, s38, s6
	s_add_i32 s11, s12, s11
	s_mov_b32 s12, 0
	v_add3_u32 v5, v7, v5, v6
	v_mov_b32_e32 v7, v1
	v_mov_b32_e32 v6, v0
	s_branch .LBB120_11
.LBB120_10:                             ;   in Loop: Header=BB120_11 Depth=2
	s_or_b32 exec_lo, exec_lo, s6
	v_add_co_u32 v4, vcc_lo, v4, s13
	v_add_co_ci_u32_e64 v5, null, s11, v5, vcc_lo
	v_mov_b32_e32 v8, v9
	s_andn2_b32 exec_lo, exec_lo, s12
	s_cbranch_execz .LBB120_92
.LBB120_11:                             ;   Parent Loop BB120_6 Depth=1
                                        ; =>  This Inner Loop Header: Depth=2
	v_add_co_u32 v6, vcc_lo, v6, v2
	v_add_co_ci_u32_e64 v7, null, 0, v7, vcc_lo
	s_waitcnt lgkmcnt(0)
	v_mov_b32_e32 v10, 0
	v_mov_b32_e32 v9, 0
	s_mov_b32 s14, exec_lo
	v_cmp_le_u64_e32 vcc_lo, s[28:29], v[6:7]
	v_cmpx_gt_u64_e64 s[28:29], v[6:7]
	s_cbranch_execz .LBB120_13
; %bb.12:                               ;   in Loop: Header=BB120_11 Depth=2
	global_load_ubyte v9, v[4:5], off
.LBB120_13:                             ;   in Loop: Header=BB120_11 Depth=2
	s_or_b32 exec_lo, exec_lo, s14
	s_waitcnt vmcnt(0)
	v_and_b32_e32 v11, v8, v37
	v_cmp_eq_u32_sdwa s14, v11, v20 src0_sel:BYTE_0 src1_sel:DWORD
	s_cmp_lg_u32 s14, 0
	s_cselect_b32 s6, -1, 0
	s_and_b32 s6, s0, s6
	s_and_saveexec_b32 s15, s6
	s_cbranch_execz .LBB120_17
; %bb.14:                               ;   in Loop: Header=BB120_11 Depth=2
	s_mov_b32 s18, exec_lo
	s_bcnt1_i32_b32 s16, s14
	v_mbcnt_lo_u32_b32 v10, s18, 0
	s_mov_b32 s17, exec_lo
                                        ; implicit-def: $vgpr11
	v_cmpx_eq_u32_e32 0, v10
; %bb.15:                               ;   in Loop: Header=BB120_11 Depth=2
	s_bcnt1_i32_b32 s6, s18
	s_mul_i32 s6, s16, s6
	v_mov_b32_e32 v11, s6
	ds_add_rtn_u32 v11, v3, v11 offset:5144
; %bb.16:                               ;   in Loop: Header=BB120_11 Depth=2
	s_or_b32 exec_lo, exec_lo, s17
	s_waitcnt lgkmcnt(0)
	v_readfirstlane_b32 s6, v11
	v_mad_u32_u24 v10, s16, v10, s6
.LBB120_17:                             ;   in Loop: Header=BB120_11 Depth=2
	s_or_b32 exec_lo, exec_lo, s15
	ds_bpermute_b32 v10, v3, v10
	s_and_b32 s6, exec_lo, vcc_lo
	s_or_b32 s12, s6, s12
	s_and_saveexec_b32 s6, s14
	s_cbranch_execz .LBB120_10
; %bb.18:                               ;   in Loop: Header=BB120_11 Depth=2
	v_and_b32_e32 v11, s14, v30
	s_waitcnt lgkmcnt(0)
	v_bcnt_u32_b32 v10, v11, v10
	ds_write_b8 v10, v8
	s_branch .LBB120_10
.LBB120_19:                             ;   in Loop: Header=BB120_6 Depth=1
	s_mov_b32 s9, -1
	s_mov_b32 s6, 0
.LBB120_20:                             ;   in Loop: Header=BB120_6 Depth=1
	s_and_b32 vcc_lo, exec_lo, s9
	s_cbranch_vccz .LBB120_36
.LBB120_21:                             ;   in Loop: Header=BB120_6 Depth=1
	s_and_saveexec_b32 s11, s1
	s_cbranch_execz .LBB120_33
; %bb.22:                               ;   in Loop: Header=BB120_6 Depth=1
	global_load_ushort v4, v3, s[54:55]
	global_load_ubyte v39, v[12:13], off
	v_mov_b32_e32 v8, v0
	s_mov_b32 s12, exec_lo
	s_waitcnt vmcnt(1)
	v_add_nc_u32_sdwa v2, v4, v0 dst_sel:DWORD dst_unused:UNUSED_PAD src0_sel:WORD_0 src1_sel:DWORD
	v_readfirstlane_b32 s6, v4
	v_cmpx_gt_u64_e64 s[28:29], v[2:3]
	s_cbranch_execz .LBB120_32
; %bb.23:                               ;   in Loop: Header=BB120_6 Depth=1
	s_and_b32 s13, s6, 0xffff
	v_mov_b32_e32 v7, v1
	s_cmp_eq_u32 s13, 1
	v_mov_b32_e32 v5, v3
	v_mov_b32_e32 v6, v0
	;; [unrolled: 1-line block ×3, first 2 shown]
	s_cselect_b32 s6, -1, 0
                                        ; implicit-def: $vgpr8_vgpr9
	s_and_b32 s9, s7, s6
	s_mov_b32 s6, -1
	s_and_saveexec_b32 s14, s9
	s_cbranch_execz .LBB120_27
; %bb.24:                               ;   in Loop: Header=BB120_6 Depth=1
	v_add_co_u32 v8, s6, v2, 3
	v_add_co_ci_u32_e64 v9, null, 0, 0, s6
	v_add_co_u32 v6, s6, v2, 2
	v_add_co_ci_u32_e64 v7, null, 0, 0, s6
	;; [unrolled: 2-line block ×3, first 2 shown]
	v_mov_b32_e32 v29, v17
	v_mov_b32_e32 v11, v9
	s_waitcnt vmcnt(0)
	v_lshlrev_b32_e32 v41, 24, v39
	v_mov_b32_e32 v28, v16
	v_mov_b32_e32 v40, v0
	;; [unrolled: 1-line block ×9, first 2 shown]
	s_mov_b32 s15, 0
.LBB120_25:                             ;   Parent Loop BB120_6 Depth=1
                                        ; =>  This Inner Loop Header: Depth=2
	v_mul_lo_u32 v51, v7, s38
	v_mul_lo_u32 v52, v6, s39
	v_mad_u64_u32 v[44:45], null, v6, s38, 0
	v_mul_lo_u32 v39, v9, s85
	v_mul_lo_u32 v50, v8, s86
	v_mad_u64_u32 v[42:43], null, v8, s85, 0
	;; [unrolled: 3-line block ×3, first 2 shown]
	v_mad_u64_u32 v[48:49], null, v10, s87, s[50:51]
	v_mul_lo_u32 v55, v10, s88
	v_mul_lo_u32 v56, v11, s87
	v_add3_u32 v51, v45, v52, v51
	v_add3_u32 v39, v43, v50, v39
	;; [unrolled: 1-line block ×3, first 2 shown]
	v_add_co_u32 v50, s9, s50, v44
	v_add_co_u32 v45, s6, s50, v42
	v_add3_u32 v49, v56, v49, v55
	v_add_co_u32 v43, vcc_lo, s50, v46
	v_add_co_ci_u32_e64 v51, null, s51, v51, s9
	v_add_co_ci_u32_e64 v46, null, s51, v39, s6
	v_add_co_ci_u32_e64 v44, null, s51, v47, vcc_lo
	s_clause 0x3
	global_load_ubyte v39, v[48:49], off
	global_load_ubyte v42, v[50:51], off
	;; [unrolled: 1-line block ×4, first 2 shown]
	v_add_co_u32 v10, vcc_lo, v10, 4
	v_add_co_ci_u32_e64 v11, null, 0, v11, vcc_lo
	v_add_co_u32 v8, vcc_lo, v8, 4
	v_add_co_ci_u32_e64 v9, null, 0, v9, vcc_lo
	;; [unrolled: 2-line block ×3, first 2 shown]
	v_add_co_u32 v28, vcc_lo, v28, -4
	v_add_co_ci_u32_e64 v29, null, -1, v29, vcc_lo
	v_add_co_u32 v4, vcc_lo, v4, 4
	v_add_co_ci_u32_e64 v5, null, 0, v5, vcc_lo
	v_cmp_eq_u64_e64 s6, 0, v[28:29]
	s_or_b32 s15, s6, s15
	s_waitcnt vmcnt(0)
	v_perm_b32 v44, v43, v42, 0xc0c0004
	v_perm_b32 v42, v42, v45, 0xc0c0004
	;; [unrolled: 1-line block ×4, first 2 shown]
	v_lshl_or_b32 v41, v42, 16, v41
	v_lshl_or_b32 v42, v43, 16, v44
	ds_write_b32 v40, v41
	v_add_nc_u32_e32 v40, 4, v40
	v_mov_b32_e32 v41, v42
	s_andn2_b32 exec_lo, exec_lo, s15
	s_cbranch_execnz .LBB120_25
; %bb.26:                               ;   in Loop: Header=BB120_6 Depth=1
	s_or_b32 exec_lo, exec_lo, s15
	v_add_co_u32 v4, vcc_lo, v2, v16
	v_readlane_b32 s6, v57, 6
	v_add_co_ci_u32_e64 v5, null, 0, v17, vcc_lo
	v_add_co_u32 v8, vcc_lo, v4, -1
	v_mov_b32_e32 v6, v18
	s_orn2_b32 s6, s6, exec_lo
	v_add_co_ci_u32_e64 v2, null, -1, v5, vcc_lo
	v_mov_b32_e32 v7, v19
.LBB120_27:                             ;   in Loop: Header=BB120_6 Depth=1
	s_or_b32 exec_lo, exec_lo, s14
	s_and_saveexec_b32 s9, s6
	s_cbranch_execz .LBB120_31
; %bb.28:                               ;   in Loop: Header=BB120_6 Depth=1
	v_mad_u64_u32 v[9:10], null, s38, v4, s[50:51]
	v_mul_lo_u32 v2, s38, v5
	v_mul_lo_u32 v7, s39, v4
	s_mul_i32 s6, s39, s13
	s_mul_hi_u32 s16, s38, s13
	s_sub_u32 s14, 0, s13
	s_subb_u32 s15, 0, 0
	s_add_i32 s16, s16, s6
	s_mul_i32 s17, s38, s13
	s_mov_b32 s18, 0
	v_add3_u32 v10, v7, v10, v2
	.p2align	6
.LBB120_29:                             ;   Parent Loop BB120_6 Depth=1
                                        ; =>  This Inner Loop Header: Depth=2
	global_load_ubyte v2, v[9:10], off
	v_mov_b32_e32 v8, v5
	v_mov_b32_e32 v7, v4
	v_add_co_u32 v9, vcc_lo, v9, s17
	v_add_co_ci_u32_e64 v10, null, s16, v10, vcc_lo
	v_add_co_u32 v4, s6, v7, s13
	v_add_co_ci_u32_e64 v5, null, 0, v8, s6
	s_waitcnt vmcnt(1)
	ds_write_b8 v6, v39
	v_mov_b32_e32 v6, v7
	v_mov_b32_e32 v7, v8
	v_cmp_le_u64_e32 vcc_lo, s[28:29], v[4:5]
	v_add_co_u32 v8, s6, s14, v4
	v_add_co_ci_u32_e64 v7, null, s15, v5, s6
	s_or_b32 s18, vcc_lo, s18
	s_waitcnt vmcnt(0)
	v_mov_b32_e32 v39, v2
	s_andn2_b32 exec_lo, exec_lo, s18
	s_cbranch_execnz .LBB120_29
; %bb.30:                               ;   in Loop: Header=BB120_6 Depth=1
	s_or_b32 exec_lo, exec_lo, s18
	v_mov_b32_e32 v39, v2
.LBB120_31:                             ;   in Loop: Header=BB120_6 Depth=1
	s_or_b32 exec_lo, exec_lo, s9
.LBB120_32:                             ;   in Loop: Header=BB120_6 Depth=1
	s_or_b32 exec_lo, exec_lo, s12
	s_waitcnt vmcnt(0)
	ds_write_b8 v8, v39
.LBB120_33:                             ;   in Loop: Header=BB120_6 Depth=1
	s_or_b32 exec_lo, exec_lo, s11
	s_waitcnt lgkmcnt(0)
	s_barrier
	buffer_gl0_inv
	s_and_saveexec_b32 s6, s3
; %bb.34:                               ;   in Loop: Header=BB120_6 Depth=1
	v_mov_b32_e32 v4, s28
	v_mov_b32_e32 v5, s29
	ds_write_b64 v3, v[4:5] offset:5120
; %bb.35:                               ;   in Loop: Header=BB120_6 Depth=1
	s_or_b32 exec_lo, exec_lo, s6
	s_mov_b32 s6, -1
	s_waitcnt lgkmcnt(0)
	s_barrier
.LBB120_36:                             ;   in Loop: Header=BB120_6 Depth=1
	s_and_b32 vcc_lo, exec_lo, s6
	s_mov_b64 s[58:59], 0
	s_cbranch_vccz .LBB120_38
; %bb.37:                               ;   in Loop: Header=BB120_6 Depth=1
	buffer_gl0_inv
	ds_read_b64 v[4:5], v3 offset:5120
	s_waitcnt lgkmcnt(0)
	v_readfirstlane_b32 s58, v4
.LBB120_38:                             ;   in Loop: Header=BB120_6 Depth=1
	s_cmp_lt_i32 s58, 1
	s_mov_b32 s6, -1
                                        ; implicit-def: $vgpr10_vgpr11
                                        ; implicit-def: $vgpr6_vgpr7
	s_cbranch_scc1 .LBB120_48
; %bb.39:                               ;   in Loop: Header=BB120_6 Depth=1
	s_and_b32 vcc_lo, exec_lo, s6
	s_cbranch_vccnz .LBB120_62
.LBB120_40:                             ;   in Loop: Header=BB120_6 Depth=1
	s_lshl_b32 s6, s95, 7
	s_and_saveexec_b32 s9, s0
	s_cbranch_execz .LBB120_42
.LBB120_41:                             ;   in Loop: Header=BB120_6 Depth=1
	v_lshl_add_u32 v2, s6, 3, v32
	ds_write_b128 v2, v[4:7]
	ds_write_b128 v2, v[8:11] offset:16
.LBB120_42:                             ;   in Loop: Header=BB120_6 Depth=1
	s_or_b32 exec_lo, exec_lo, s9
	s_waitcnt lgkmcnt(0)
	s_barrier
	buffer_gl0_inv
	s_and_saveexec_b32 s9, s76
	s_cbranch_execz .LBB120_76
; %bb.43:                               ;   in Loop: Header=BB120_6 Depth=1
	v_mov_b32_e32 v4, 0
	v_mov_b32_e32 v5, 0
	s_andn2_b32 vcc_lo, exec_lo, s79
	s_cbranch_vccnz .LBB120_75
; %bb.44:                               ;   in Loop: Header=BB120_6 Depth=1
	v_mov_b32_e32 v4, 0
	v_mov_b32_e32 v5, 0
	s_andn2_b32 vcc_lo, exec_lo, s90
	s_cbranch_vccnz .LBB120_72
; %bb.45:                               ;   in Loop: Header=BB120_6 Depth=1
	v_lshl_add_u32 v2, s95, 10, v35
	s_mov_b32 s11, 0
	s_inst_prefetch 0x1
	.p2align	6
.LBB120_46:                             ;   Parent Loop BB120_6 Depth=1
                                        ; =>  This Inner Loop Header: Depth=2
	ds_read2_b64 v[6:9], v2 offset1:4
	ds_read2_b64 v[39:42], v2 offset0:8 offset1:12
	ds_read2_b64 v[43:46], v2 offset0:16 offset1:20
	s_add_i32 s11, s11, 8
	s_cmp_eq_u32 s78, s11
	s_waitcnt lgkmcnt(2)
	v_add_co_u32 v4, vcc_lo, v6, v4
	v_add_co_ci_u32_e64 v5, null, v7, v5, vcc_lo
	v_add_co_u32 v8, vcc_lo, v8, v4
	v_add_co_ci_u32_e64 v9, null, v9, v5, vcc_lo
	ds_read2_b64 v[4:7], v2 offset0:24 offset1:28
	s_waitcnt lgkmcnt(2)
	v_add_co_u32 v8, vcc_lo, v39, v8
	v_add_co_ci_u32_e64 v9, null, v40, v9, vcc_lo
	v_add_nc_u32_e32 v2, 0x100, v2
	v_add_co_u32 v8, vcc_lo, v41, v8
	v_add_co_ci_u32_e64 v9, null, v42, v9, vcc_lo
	s_waitcnt lgkmcnt(1)
	v_add_co_u32 v8, vcc_lo, v43, v8
	v_add_co_ci_u32_e64 v9, null, v44, v9, vcc_lo
	v_add_co_u32 v8, vcc_lo, v45, v8
	v_add_co_ci_u32_e64 v9, null, v46, v9, vcc_lo
	s_waitcnt lgkmcnt(0)
	v_add_co_u32 v4, vcc_lo, v4, v8
	v_add_co_ci_u32_e64 v5, null, v5, v9, vcc_lo
	v_add_co_u32 v4, vcc_lo, v6, v4
	v_add_co_ci_u32_e64 v5, null, v7, v5, vcc_lo
	s_cbranch_scc0 .LBB120_46
; %bb.47:                               ;   in Loop: Header=BB120_6 Depth=1
	s_inst_prefetch 0x2
	s_mov_b32 s11, s78
	s_andn2_b32 vcc_lo, exec_lo, s91
	s_cbranch_vccz .LBB120_73
	s_branch .LBB120_75
.LBB120_48:                             ;   in Loop: Header=BB120_6 Depth=1
	global_load_ushort v2, v3, s[54:55]
	s_mov_b32 s12, s49
	s_mov_b32 s13, s29
	s_waitcnt vmcnt(0)
	v_readfirstlane_b32 s6, v2
	s_and_b32 s45, s6, 0xffff
	s_lshl_b32 s52, s45, 2
	s_cmp_lg_u64 s[12:13], 0
	s_cbranch_scc0 .LBB120_71
; %bb.49:                               ;   in Loop: Header=BB120_6 Depth=1
	v_cvt_f32_u32_e32 v2, s52
	s_sub_u32 s11, 0, s52
	s_subb_u32 s12, 0, 0
	v_fmac_f32_e64 v2, 0x4f800000, 0
	v_rcp_f32_e32 v2, v2
	v_mul_f32_e32 v2, 0x5f7ffffc, v2
	v_mul_f32_e32 v4, 0x2f800000, v2
	v_trunc_f32_e32 v4, v4
	v_fmac_f32_e32 v2, 0xcf800000, v4
	v_cvt_u32_f32_e32 v4, v4
	v_cvt_u32_f32_e32 v2, v2
	v_readfirstlane_b32 s6, v4
	v_readfirstlane_b32 s9, v2
	s_mul_i32 s13, s11, s6
	s_mul_hi_u32 s15, s11, s9
	s_mul_i32 s14, s12, s9
	s_add_i32 s13, s15, s13
	s_mul_i32 s16, s11, s9
	s_add_i32 s13, s13, s14
	s_mul_hi_u32 s15, s9, s16
	s_mul_i32 s18, s9, s13
	s_mul_hi_u32 s17, s6, s16
	s_mul_i32 s14, s6, s16
	s_mul_hi_u32 s16, s9, s13
	s_add_u32 s15, s15, s18
	s_addc_u32 s16, 0, s16
	s_mul_hi_u32 s19, s6, s13
	s_add_u32 s14, s15, s14
	s_mul_i32 s13, s6, s13
	s_addc_u32 s14, s16, s17
	s_addc_u32 s15, s19, 0
	s_add_u32 s13, s14, s13
	s_addc_u32 s14, 0, s15
	s_add_u32 s9, s9, s13
	s_cselect_b32 s13, -1, 0
	s_mul_hi_u32 s15, s11, s9
	s_cmp_lg_u32 s13, 0
	s_mul_i32 s13, s11, s9
	s_addc_u32 s6, s6, s14
	s_mul_i32 s12, s12, s9
	s_mul_i32 s11, s11, s6
	s_mul_hi_u32 s14, s9, s13
	s_add_i32 s11, s15, s11
	s_mul_hi_u32 s15, s6, s13
	s_add_i32 s11, s11, s12
	s_mul_i32 s12, s6, s13
	s_mul_i32 s17, s9, s11
	s_mul_hi_u32 s16, s9, s11
	s_add_u32 s14, s14, s17
	s_addc_u32 s16, 0, s16
	s_mul_hi_u32 s13, s6, s11
	s_add_u32 s12, s14, s12
	s_mul_i32 s11, s6, s11
	s_addc_u32 s12, s16, s15
	s_addc_u32 s13, s13, 0
	s_add_u32 s11, s12, s11
	s_addc_u32 s12, 0, s13
	s_add_u32 s9, s9, s11
	s_cselect_b32 s11, -1, 0
	s_mul_hi_u32 s13, s28, s9
	s_cmp_lg_u32 s11, 0
	s_mul_hi_u32 s11, s29, s9
	s_addc_u32 s6, s6, s12
	s_mul_i32 s9, s29, s9
	s_mul_i32 s14, s28, s6
	s_mul_hi_u32 s12, s28, s6
	s_add_u32 s13, s13, s14
	s_addc_u32 s12, 0, s12
	s_mul_hi_u32 s15, s29, s6
	s_add_u32 s9, s13, s9
	s_mul_i32 s6, s29, s6
	s_addc_u32 s9, s12, s11
	s_addc_u32 s11, s15, 0
	s_add_u32 s6, s9, s6
	s_addc_u32 s9, 0, s11
	s_mul_hi_u32 s11, s52, s6
	s_mul_i32 s9, s52, s9
	s_mul_i32 s6, s52, s6
	s_add_i32 s11, s11, s9
	s_sub_u32 s6, s28, s6
	s_cselect_b32 s9, -1, 0
	s_cmp_lg_u32 s9, 0
	s_subb_u32 s9, s29, s11
	s_sub_u32 s11, s6, s52
	s_cselect_b32 s12, -1, 0
	s_cmp_lg_u32 s12, 0
	s_subb_u32 s12, s9, 0
	;; [unrolled: 4-line block ×3, first 2 shown]
	s_cmp_ge_u32 s11, s52
	s_cselect_b32 s15, -1, 0
	s_cmp_eq_u32 s12, 0
	s_cselect_b32 s15, s15, -1
	s_cmp_lg_u32 s15, 0
	s_cselect_b32 s12, s14, s12
	s_cselect_b32 s11, s13, s11
	s_cmp_ge_u32 s6, s52
	s_cselect_b32 s13, -1, 0
	s_cmp_eq_u32 s9, 0
	s_cselect_b32 s13, s13, -1
	s_cmp_lg_u32 s13, 0
	s_cselect_b32 s13, s12, s9
	s_cselect_b32 s12, s11, s6
	s_cbranch_execnz .LBB120_51
.LBB120_50:                             ;   in Loop: Header=BB120_6 Depth=1
	v_cvt_f32_u32_e32 v2, s52
	s_sub_i32 s9, 0, s52
	v_rcp_iflag_f32_e32 v2, v2
	v_mul_f32_e32 v2, 0x4f7ffffe, v2
	v_cvt_u32_f32_e32 v2, v2
	v_readfirstlane_b32 s6, v2
	s_mul_i32 s9, s9, s6
	s_mul_hi_u32 s9, s6, s9
	s_add_i32 s6, s6, s9
	s_mul_hi_u32 s6, s28, s6
	s_mul_i32 s6, s6, s52
	s_sub_i32 s6, s28, s6
	s_sub_i32 s9, s6, s52
	s_cmp_ge_u32 s6, s52
	s_cselect_b32 s6, s9, s6
	s_sub_i32 s9, s6, s52
	s_cmp_ge_u32 s6, s52
	s_cselect_b32 s48, s9, s6
	s_mov_b64 s[12:13], s[48:49]
.LBB120_51:                             ;   in Loop: Header=BB120_6 Depth=1
	v_mov_b32_e32 v4, 0
	v_mov_b32_e32 v6, 0
	;; [unrolled: 1-line block ×8, first 2 shown]
	s_sub_u32 s60, s28, s12
	s_subb_u32 s61, s29, s13
	s_mov_b32 s48, exec_lo
	v_cmpx_gt_u64_e64 s[60:61], v[14:15]
	s_cbranch_execz .LBB120_55
; %bb.52:                               ;   in Loop: Header=BB120_6 Depth=1
	v_mov_b32_e32 v29, v15
	v_mov_b32_e32 v28, v14
	s_mul_i32 s6, s57, s45
	s_mul_hi_u32 s9, s56, s45
	s_mov_b64 s[62:63], 0
	s_add_i32 s59, s9, s6
	s_mov_b32 s42, 0
	s_mov_b64 s[64:65], s[50:51]
	s_mov_b64 s[66:67], 0
	;; [unrolled: 1-line block ×4, first 2 shown]
.LBB120_53:                             ;   Parent Loop BB120_6 Depth=1
                                        ; =>  This Inner Loop Header: Depth=2
	v_add_co_u32 v4, vcc_lo, s64, v24
	v_add_co_ci_u32_e64 v5, null, s65, v25, vcc_lo
	global_load_ubyte v2, v[4:5], off
	v_add_co_u32 v4, vcc_lo, s64, v23
	v_add_co_ci_u32_e64 v5, null, s65, v34, vcc_lo
	global_load_ubyte v6, v[4:5], off
	;; [unrolled: 3-line block ×4, first 2 shown]
	s_waitcnt vmcnt(3)
	v_and_b32_e32 v5, v37, v2
	v_bfe_u32 v2, v2, s92, 2
	v_cmp_eq_u32_e32 vcc_lo, v5, v20
	v_cmp_eq_u32_e64 s12, 0, v2
	v_cmp_eq_u32_e64 s13, 1, v2
	;; [unrolled: 1-line block ×4, first 2 shown]
	s_waitcnt vmcnt(2)
	v_bfe_u32 v2, v6, s92, 2
	v_and_b32_e32 v5, v37, v6
	s_and_b32 s12, vcc_lo, s12
	v_cmp_eq_u32_e64 s16, 0, v2
	v_cmp_eq_u32_e64 s17, 1, v2
	;; [unrolled: 1-line block ×4, first 2 shown]
	s_waitcnt vmcnt(1)
	v_bfe_u32 v2, v7, s92, 2
	v_cmp_eq_u32_e64 s6, v5, v20
	v_and_b32_e32 v5, v37, v7
	v_cmp_eq_u32_e64 s20, 0, v2
	v_cmp_eq_u32_e64 s21, 1, v2
	v_cmp_eq_u32_e64 s22, 2, v2
	v_cmp_eq_u32_e64 s23, 3, v2
	s_waitcnt vmcnt(0)
	v_bfe_u32 v2, v4, s92, 2
	v_cmp_eq_u32_e64 s9, v5, v20
	v_and_b32_e32 v5, v37, v4
	s_and_b32 s16, s6, s16
	v_cmp_eq_u32_e64 s24, 0, v2
	v_cmp_eq_u32_e64 s25, 1, v2
	;; [unrolled: 1-line block ×4, first 2 shown]
	v_cndmask_b32_e64 v2, 0, 1, s12
	v_cmp_eq_u32_e64 s11, v5, v20
	s_and_b32 s20, s9, s20
	v_cmp_ne_u32_e64 s12, 0, v2
	v_cndmask_b32_e64 v2, 0, 1, s16
	s_and_b32 s24, s11, s24
	s_bcnt1_i32_b32 s12, s12
	v_cmp_ne_u32_e64 s16, 0, v2
	v_cndmask_b32_e64 v2, 0, 1, s20
	s_bcnt1_i32_b32 s16, s16
	v_cmp_ne_u32_e64 s20, 0, v2
	v_cndmask_b32_e64 v2, 0, 1, s24
	s_add_i32 s12, s16, s12
	s_bcnt1_i32_b32 s20, s20
	v_cmp_ne_u32_e64 s24, 0, v2
	s_add_i32 s12, s12, s20
	s_bcnt1_i32_b32 s24, s24
	s_add_i32 s12, s12, s24
	s_add_u32 s70, s70, s12
	s_addc_u32 s71, s71, 0
	s_and_b32 s12, vcc_lo, s13
	s_and_b32 s13, s6, s17
	v_cndmask_b32_e64 v2, 0, 1, s12
	s_and_b32 s16, s9, s21
	s_and_b32 s17, s11, s25
	v_mov_b32_e32 v4, s70
	v_mov_b32_e32 v5, s71
	v_cmp_ne_u32_e64 s12, 0, v2
	v_cndmask_b32_e64 v2, 0, 1, s13
	s_bcnt1_i32_b32 s12, s12
	v_cmp_ne_u32_e64 s13, 0, v2
	v_cndmask_b32_e64 v2, 0, 1, s16
	s_bcnt1_i32_b32 s13, s13
	v_cmp_ne_u32_e64 s16, 0, v2
	v_cndmask_b32_e64 v2, 0, 1, s17
	s_add_i32 s12, s13, s12
	s_bcnt1_i32_b32 s16, s16
	v_cmp_ne_u32_e64 s17, 0, v2
	s_add_i32 s12, s12, s16
	s_bcnt1_i32_b32 s17, s17
	s_add_i32 s12, s12, s17
	s_add_u32 s68, s68, s12
	s_addc_u32 s69, s69, 0
	s_and_b32 s12, vcc_lo, s14
	s_and_b32 s13, s6, s18
	v_cndmask_b32_e64 v2, 0, 1, s12
	s_and_b32 s14, s9, s22
	s_and_b32 s16, s11, s26
	v_mov_b32_e32 v6, s68
	v_mov_b32_e32 v7, s69
	v_cmp_ne_u32_e64 s12, 0, v2
	v_cndmask_b32_e64 v2, 0, 1, s13
	s_bcnt1_i32_b32 s12, s12
	v_cmp_ne_u32_e64 s13, 0, v2
	v_cndmask_b32_e64 v2, 0, 1, s14
	s_bcnt1_i32_b32 s13, s13
	v_cmp_ne_u32_e64 s14, 0, v2
	v_cndmask_b32_e64 v2, 0, 1, s16
	s_add_i32 s12, s13, s12
	s_mul_i32 s13, s56, s45
	s_bcnt1_i32_b32 s14, s14
	v_cmp_ne_u32_e64 s16, 0, v2
	s_add_i32 s12, s12, s14
	s_bcnt1_i32_b32 s16, s16
	s_add_i32 s12, s12, s16
	s_add_u32 s66, s66, s12
	s_addc_u32 s67, s67, 0
	s_and_b32 s12, vcc_lo, s15
	s_and_b32 s6, s6, s19
	v_cndmask_b32_e64 v2, 0, 1, s12
	s_and_b32 s9, s9, s23
	s_and_b32 s11, s11, s27
	v_add_co_u32 v28, s12, v28, s52
	v_cmp_ne_u32_e32 vcc_lo, 0, v2
	v_cndmask_b32_e64 v2, 0, 1, s6
	v_add_co_ci_u32_e64 v29, null, 0, v29, s12
	v_mov_b32_e32 v8, s66
	s_bcnt1_i32_b32 s14, vcc_lo
	v_cmp_ne_u32_e64 s6, 0, v2
	v_cndmask_b32_e64 v2, 0, 1, s9
	v_cmp_le_u64_e64 s12, s[60:61], v[28:29]
	v_mov_b32_e32 v9, s67
	s_bcnt1_i32_b32 s6, s6
	v_cmp_ne_u32_e64 s9, 0, v2
	v_cndmask_b32_e64 v2, 0, 1, s11
	s_add_i32 s6, s6, s14
	s_bcnt1_i32_b32 s9, s9
	v_cmp_ne_u32_e64 s11, 0, v2
	s_add_i32 s6, s6, s9
	s_bcnt1_i32_b32 s11, s11
	s_add_i32 s6, s6, s11
	s_add_u32 s62, s62, s6
	s_addc_u32 s63, s63, 0
	v_mov_b32_e32 v10, s62
	v_mov_b32_e32 v11, s63
	s_add_u32 s64, s64, s13
	s_addc_u32 s65, s65, s59
	s_or_b32 s42, s12, s42
	s_andn2_b32 exec_lo, exec_lo, s42
	s_cbranch_execnz .LBB120_53
; %bb.54:                               ;   in Loop: Header=BB120_6 Depth=1
	s_or_b32 exec_lo, exec_lo, s42
.LBB120_55:                             ;   in Loop: Header=BB120_6 Depth=1
	s_or_b32 exec_lo, exec_lo, s48
	v_add_co_u32 v28, s6, s60, v0
	v_add_co_ci_u32_e64 v29, null, s61, 0, s6
	s_mov_b32 s12, exec_lo
	v_cmpx_gt_u64_e64 s[28:29], v[28:29]
	s_cbranch_execz .LBB120_61
; %bb.56:                               ;   in Loop: Header=BB120_6 Depth=1
	v_mad_u64_u32 v[39:40], null, v28, s38, s[50:51]
	v_mul_lo_u32 v2, v28, s39
	v_mul_lo_u32 v41, v29, s38
	s_mov_b32 s13, 0
	v_add3_u32 v40, v41, v40, v2
	global_load_ubyte v39, v[39:40], off
	s_branch .LBB120_58
.LBB120_57:                             ;   in Loop: Header=BB120_58 Depth=2
	s_or_b32 exec_lo, exec_lo, s9
	s_waitcnt vmcnt(0)
	v_and_b32_e32 v39, 0xff, v39
	s_and_b32 s11, exec_lo, vcc_lo
	s_or_b32 s13, s11, s13
	v_and_b32_e32 v40, v37, v39
	v_bfe_u32 v39, v39, s92, 2
	v_cmp_eq_u32_e64 s6, v40, v20
	v_cmp_eq_u32_e64 s9, 0, v39
	v_cmp_eq_u32_e32 vcc_lo, 1, v39
	v_cmp_eq_u32_e64 s11, 2, v39
	s_and_b32 s9, s6, s9
	v_cndmask_b32_e64 v40, 0, 1, s9
	s_and_b32 s9, s6, vcc_lo
	v_cmp_eq_u32_e32 vcc_lo, 3, v39
	v_cndmask_b32_e64 v41, 0, 1, s9
	s_and_b32 s9, s6, s11
	v_cndmask_b32_e64 v39, 0, 1, s9
	v_cmp_ne_u32_e64 s9, 0, v40
	v_cmp_ne_u32_e64 s11, 0, v41
	s_and_b32 s6, s6, vcc_lo
	v_cndmask_b32_e64 v40, 0, 1, s6
	s_bcnt1_i32_b32 s6, s9
	v_cmp_ne_u32_e32 vcc_lo, 0, v39
	s_bcnt1_i32_b32 s9, s11
	v_add_co_u32 v4, s6, v4, s6
	v_add_co_ci_u32_e64 v5, null, 0, v5, s6
	v_add_co_u32 v6, s6, v6, s9
	v_add_co_ci_u32_e64 v7, null, 0, v7, s6
	s_bcnt1_i32_b32 s6, vcc_lo
	v_cmp_ne_u32_e32 vcc_lo, 0, v40
	v_add_co_u32 v8, s6, v8, s6
	v_add_co_ci_u32_e64 v9, null, 0, v9, s6
	s_bcnt1_i32_b32 s6, vcc_lo
	v_mov_b32_e32 v39, v2
	v_add_co_u32 v10, vcc_lo, v10, s6
	v_add_co_ci_u32_e64 v11, null, 0, v11, vcc_lo
	s_andn2_b32 exec_lo, exec_lo, s13
	s_cbranch_execz .LBB120_60
.LBB120_58:                             ;   Parent Loop BB120_6 Depth=1
                                        ; =>  This Inner Loop Header: Depth=2
	v_add_co_u32 v28, vcc_lo, v28, s45
	v_add_co_ci_u32_e64 v29, null, 0, v29, vcc_lo
	v_mov_b32_e32 v2, 0
	s_mov_b32 s9, exec_lo
	v_cmp_le_u64_e32 vcc_lo, s[28:29], v[28:29]
	v_cmpx_gt_u64_e64 s[28:29], v[28:29]
	s_cbranch_execz .LBB120_57
; %bb.59:                               ;   in Loop: Header=BB120_58 Depth=2
	v_mad_u64_u32 v[40:41], null, v28, s38, s[50:51]
	v_mul_lo_u32 v2, v28, s39
	v_mul_lo_u32 v42, v29, s38
	v_add3_u32 v41, v42, v41, v2
	global_load_ubyte v2, v[40:41], off
	s_branch .LBB120_57
.LBB120_60:                             ;   in Loop: Header=BB120_6 Depth=1
	s_or_b32 exec_lo, exec_lo, s13
.LBB120_61:                             ;   in Loop: Header=BB120_6 Depth=1
	s_or_b32 exec_lo, exec_lo, s12
	s_branch .LBB120_40
.LBB120_62:                             ;   in Loop: Header=BB120_6 Depth=1
	global_load_ushort v2, v3, s[54:55]
	v_mov_b32_e32 v6, 0
	v_mov_b32_e32 v8, 0
	;; [unrolled: 1-line block ×6, first 2 shown]
	s_mov_b32 s42, exec_lo
	s_waitcnt vmcnt(0)
	v_readfirstlane_b32 s6, v2
	s_and_b32 s45, 0xffff, s6
	s_lshl_b32 s48, s45, 2
	v_cvt_f32_u32_e32 v4, s48
	s_sub_i32 s9, 0, s48
	v_rcp_iflag_f32_e32 v4, v4
	v_mul_f32_e32 v4, 0x4f7ffffe, v4
	v_cvt_u32_f32_e32 v4, v4
	v_readfirstlane_b32 s6, v4
	v_mov_b32_e32 v4, 0
	v_mov_b32_e32 v5, 0
	s_mul_i32 s9, s9, s6
	s_mul_hi_u32 s9, s6, s9
	s_add_i32 s6, s6, s9
	s_mul_hi_u32 s6, s58, s6
	s_mul_i32 s9, s6, s48
	s_add_i32 s11, s6, 1
	s_sub_i32 s9, s58, s9
	s_sub_i32 s12, s9, s48
	s_cmp_ge_u32 s9, s48
	s_cselect_b32 s6, s11, s6
	s_cselect_b32 s9, s12, s9
	s_add_i32 s11, s6, 1
	s_cmp_ge_u32 s9, s48
	s_cselect_b32 s6, s11, s6
	s_mul_hi_u32 s61, s45, s6
	s_mul_i32 s60, s45, s6
	s_lshl_b64 s[62:63], s[60:61], 2
	v_cmpx_gt_u64_e64 s[62:63], v[14:15]
	s_cbranch_execz .LBB120_66
; %bb.63:                               ;   in Loop: Header=BB120_6 Depth=1
	v_mov_b32_e32 v29, v15
	v_mov_b32_e32 v39, v14
	;; [unrolled: 1-line block ×3, first 2 shown]
	s_mov_b64 s[64:65], 0
	s_mov_b32 s43, 0
	s_mov_b64 s[66:67], 0
	s_mov_b64 s[68:69], 0
	;; [unrolled: 1-line block ×3, first 2 shown]
.LBB120_64:                             ;   Parent Loop BB120_6 Depth=1
                                        ; =>  This Inner Loop Header: Depth=2
	ds_read_b32 v4, v39
	v_add_nc_u32_e32 v39, s48, v39
	s_waitcnt lgkmcnt(0)
	v_and_b32_e32 v5, 0xff, v4
	v_and_b32_e32 v6, v37, v5
	v_bfe_u32 v5, v5, s92, 2
	v_cmp_eq_u32_e32 vcc_lo, v6, v20
	v_bfe_u32 v6, v4, 8, 8
	v_cmp_eq_u32_e64 s12, 0, v5
	v_cmp_eq_u32_e64 s13, 1, v5
	;; [unrolled: 1-line block ×4, first 2 shown]
	v_and_b32_e32 v7, v37, v6
	v_bfe_u32 v5, v6, s92, 2
	s_and_b32 s12, vcc_lo, s12
	v_cmp_eq_u32_e64 s6, v7, v20
	v_bfe_u32 v7, v4, 16, 8
	v_lshrrev_b32_e32 v4, 24, v4
	v_cmp_eq_u32_e64 s16, 0, v5
	v_cmp_eq_u32_e64 s17, 1, v5
	;; [unrolled: 1-line block ×3, first 2 shown]
	v_and_b32_e32 v8, v37, v7
	v_cmp_eq_u32_e64 s19, 3, v5
	v_bfe_u32 v5, v7, s92, 2
	s_and_b32 s16, s6, s16
	v_cmp_eq_u32_e64 s9, v8, v20
	v_and_b32_e32 v8, v37, v4
	v_bfe_u32 v4, v4, s92, 2
	v_cmp_eq_u32_e64 s20, 0, v5
	v_cmp_eq_u32_e64 s21, 1, v5
	;; [unrolled: 1-line block ×8, first 2 shown]
	v_cndmask_b32_e64 v4, 0, 1, s12
	s_and_b32 s20, s9, s20
	s_and_b32 s24, s11, s24
	v_cmp_eq_u32_e64 s23, 3, v5
	v_cmp_ne_u32_e64 s12, 0, v4
	v_cndmask_b32_e64 v4, 0, 1, s16
	s_bcnt1_i32_b32 s12, s12
	v_cmp_ne_u32_e64 s16, 0, v4
	v_cndmask_b32_e64 v4, 0, 1, s20
	s_bcnt1_i32_b32 s16, s16
	v_cmp_ne_u32_e64 s20, 0, v4
	v_cndmask_b32_e64 v4, 0, 1, s24
	s_add_i32 s12, s16, s12
	s_bcnt1_i32_b32 s20, s20
	v_cmp_ne_u32_e64 s24, 0, v4
	s_add_i32 s12, s12, s20
	s_bcnt1_i32_b32 s24, s24
	s_add_i32 s12, s12, s24
	s_add_u32 s70, s70, s12
	s_addc_u32 s71, s71, 0
	s_and_b32 s12, vcc_lo, s13
	s_and_b32 s13, s6, s17
	v_cndmask_b32_e64 v4, 0, 1, s12
	s_and_b32 s16, s9, s21
	s_and_b32 s17, s11, s25
	v_cmp_ne_u32_e64 s12, 0, v4
	v_cndmask_b32_e64 v4, 0, 1, s13
	s_bcnt1_i32_b32 s12, s12
	v_cmp_ne_u32_e64 s13, 0, v4
	v_cndmask_b32_e64 v4, 0, 1, s16
	s_bcnt1_i32_b32 s13, s13
	v_cmp_ne_u32_e64 s16, 0, v4
	v_cndmask_b32_e64 v4, 0, 1, s17
	s_add_i32 s12, s13, s12
	s_bcnt1_i32_b32 s16, s16
	v_cmp_ne_u32_e64 s17, 0, v4
	s_add_i32 s12, s12, s16
	s_bcnt1_i32_b32 s17, s17
	s_add_i32 s12, s12, s17
	s_add_u32 s68, s68, s12
	s_addc_u32 s69, s69, 0
	s_and_b32 s12, vcc_lo, s14
	s_and_b32 s13, s6, s18
	v_cndmask_b32_e64 v4, 0, 1, s12
	s_and_b32 s14, s9, s22
	s_and_b32 s16, s11, s26
	v_mov_b32_e32 v6, s68
	v_mov_b32_e32 v7, s69
	v_cmp_ne_u32_e64 s12, 0, v4
	v_cndmask_b32_e64 v4, 0, 1, s13
	s_bcnt1_i32_b32 s12, s12
	v_cmp_ne_u32_e64 s13, 0, v4
	v_cndmask_b32_e64 v4, 0, 1, s14
	s_bcnt1_i32_b32 s13, s13
	v_cmp_ne_u32_e64 s14, 0, v4
	v_cndmask_b32_e64 v4, 0, 1, s16
	s_add_i32 s12, s13, s12
	s_bcnt1_i32_b32 s14, s14
	v_cmp_ne_u32_e64 s16, 0, v4
	s_add_i32 s12, s12, s14
	s_bcnt1_i32_b32 s16, s16
	s_add_i32 s12, s12, s16
	s_add_u32 s66, s66, s12
	s_addc_u32 s67, s67, 0
	s_and_b32 s12, vcc_lo, s15
	s_and_b32 s6, s6, s19
	v_cndmask_b32_e64 v4, 0, 1, s12
	s_and_b32 s9, s9, s23
	s_and_b32 s11, s11, s27
	v_add_co_u32 v28, s12, v28, s48
	v_cmp_ne_u32_e32 vcc_lo, 0, v4
	v_cndmask_b32_e64 v4, 0, 1, s6
	v_add_co_ci_u32_e64 v29, null, 0, v29, s12
	v_mov_b32_e32 v8, s66
	s_bcnt1_i32_b32 s13, vcc_lo
	v_cmp_ne_u32_e64 s6, 0, v4
	v_cndmask_b32_e64 v4, 0, 1, s9
	v_cmp_le_u64_e64 s12, s[62:63], v[28:29]
	v_mov_b32_e32 v9, s67
	s_bcnt1_i32_b32 s6, s6
	v_cmp_ne_u32_e64 s9, 0, v4
	v_cndmask_b32_e64 v4, 0, 1, s11
	s_add_i32 s6, s6, s13
	s_bcnt1_i32_b32 s9, s9
	v_cmp_ne_u32_e64 s11, 0, v4
	s_add_i32 s6, s6, s9
	v_mov_b32_e32 v4, s70
	v_mov_b32_e32 v5, s71
	s_bcnt1_i32_b32 s11, s11
	s_add_i32 s6, s6, s11
	s_add_u32 s64, s64, s6
	s_addc_u32 s65, s65, 0
	v_mov_b32_e32 v10, s64
	v_mov_b32_e32 v11, s65
	s_or_b32 s43, s12, s43
	s_andn2_b32 exec_lo, exec_lo, s43
	s_cbranch_execnz .LBB120_64
; %bb.65:                               ;   in Loop: Header=BB120_6 Depth=1
	s_or_b32 exec_lo, exec_lo, s43
.LBB120_66:                             ;   in Loop: Header=BB120_6 Depth=1
	s_or_b32 exec_lo, exec_lo, s42
	v_add_co_u32 v28, s6, s62, v0
	v_and_b32_e32 v2, 0xffff, v2
	v_add_co_ci_u32_e64 v29, null, s63, 0, s6
	s_and_b32 s48, s58, 0x7fffffff
	s_mov_b32 s14, exec_lo
	v_cmpx_gt_u64_e64 s[48:49], v[28:29]
	s_cbranch_execz .LBB120_70
; %bb.67:                               ;   in Loop: Header=BB120_6 Depth=1
	v_lshl_add_u32 v39, s60, 2, v0
	s_mov_b32 s15, 0
.LBB120_68:                             ;   Parent Loop BB120_6 Depth=1
                                        ; =>  This Inner Loop Header: Depth=2
	ds_read_u8 v40, v39
	v_add_co_u32 v28, vcc_lo, v28, v2
	v_add_co_ci_u32_e64 v29, null, 0, v29, vcc_lo
	v_add_nc_u32_e32 v39, s45, v39
	v_cmp_le_u64_e32 vcc_lo, s[48:49], v[28:29]
	s_waitcnt lgkmcnt(0)
	v_and_b32_e32 v41, v37, v40
	v_bfe_u32 v40, v40, s92, 2
	v_cmp_eq_u32_e64 s6, v41, v20
	v_cmp_eq_u32_e64 s9, 0, v40
	;; [unrolled: 1-line block ×5, first 2 shown]
	s_and_b32 s9, s6, s9
	v_cndmask_b32_e64 v40, 0, 1, s9
	s_and_b32 s9, s6, s11
	v_cndmask_b32_e64 v41, 0, 1, s9
	s_and_b32 s9, s6, s12
	s_and_b32 s6, s6, s13
	v_cndmask_b32_e64 v42, 0, 1, s9
	v_cndmask_b32_e64 v43, 0, 1, s6
	v_cmp_ne_u32_e64 s6, 0, v40
	v_cmp_ne_u32_e64 s9, 0, v41
	;; [unrolled: 1-line block ×4, first 2 shown]
	s_bcnt1_i32_b32 s6, s6
	s_bcnt1_i32_b32 s9, s9
	v_add_co_u32 v4, s6, v4, s6
	s_bcnt1_i32_b32 s11, s11
	v_add_co_ci_u32_e64 v5, null, 0, v5, s6
	v_add_co_u32 v6, s6, v6, s9
	s_bcnt1_i32_b32 s12, s12
	v_add_co_ci_u32_e64 v7, null, 0, v7, s6
	v_add_co_u32 v8, s6, v8, s11
	v_add_co_ci_u32_e64 v9, null, 0, v9, s6
	v_add_co_u32 v10, s6, v10, s12
	v_add_co_ci_u32_e64 v11, null, 0, v11, s6
	s_or_b32 s15, vcc_lo, s15
	s_andn2_b32 exec_lo, exec_lo, s15
	s_cbranch_execnz .LBB120_68
; %bb.69:                               ;   in Loop: Header=BB120_6 Depth=1
	s_or_b32 exec_lo, exec_lo, s15
.LBB120_70:                             ;   in Loop: Header=BB120_6 Depth=1
	s_or_b32 exec_lo, exec_lo, s14
	s_lshl_b32 s6, s95, 7
	s_and_saveexec_b32 s9, s0
	s_cbranch_execnz .LBB120_41
	s_branch .LBB120_42
.LBB120_71:                             ;   in Loop: Header=BB120_6 Depth=1
                                        ; implicit-def: $sgpr12_sgpr13
	s_branch .LBB120_50
.LBB120_72:                             ;   in Loop: Header=BB120_6 Depth=1
	s_mov_b32 s11, 0
	s_andn2_b32 vcc_lo, exec_lo, s91
	s_cbranch_vccnz .LBB120_75
.LBB120_73:                             ;   in Loop: Header=BB120_6 Depth=1
	s_lshl_b32 s12, s95, 10
	s_lshl_b32 s11, s11, 5
	v_add3_u32 v2, s12, s11, v35
	s_mov_b32 s11, s89
.LBB120_74:                             ;   Parent Loop BB120_6 Depth=1
                                        ; =>  This Inner Loop Header: Depth=2
	ds_read_b64 v[6:7], v2
	v_add_nc_u32_e32 v2, 32, v2
	s_add_i32 s11, s11, -1
	s_cmp_lg_u32 s11, 0
	s_waitcnt lgkmcnt(0)
	v_add_co_u32 v4, vcc_lo, v6, v4
	v_add_co_ci_u32_e64 v5, null, v7, v5, vcc_lo
	s_cbranch_scc1 .LBB120_74
.LBB120_75:                             ;   in Loop: Header=BB120_6 Depth=1
	v_add_lshl_u32 v2, s6, v31, 3
	ds_write_b64 v2, v[4:5] offset:3072
.LBB120_76:                             ;   in Loop: Header=BB120_6 Depth=1
	s_or_b32 exec_lo, exec_lo, s9
	s_lshl_b32 s6, s6, 3
	s_waitcnt lgkmcnt(0)
	v_mov_b32_e32 v2, s6
	s_barrier
	buffer_gl0_inv
	v_cmp_eq_u64_e64 s9, 1, v[26:27]
	s_lshl_b32 s11, 3, s92
	ds_read_b128 v[4:7], v2 offset:3072
	ds_read_b128 v[8:11], v2 offset:3088
	s_mov_b32 s61, -1
	s_not_b32 s26, s11
	s_mov_b32 s27, 0
	s_andn2_b32 vcc_lo, exec_lo, s75
	s_mov_b32 s58, 0
	s_mov_b32 s45, 0
                                        ; implicit-def: $sgpr59
                                        ; implicit-def: $sgpr60
                                        ; implicit-def: $vgpr2
	s_waitcnt lgkmcnt(1)
	v_readfirstlane_b32 s13, v5
	v_readfirstlane_b32 s12, v4
	;; [unrolled: 1-line block ×4, first 2 shown]
	s_waitcnt lgkmcnt(0)
	v_readfirstlane_b32 s17, v9
	v_readfirstlane_b32 s16, v8
	;; [unrolled: 1-line block ×4, first 2 shown]
                                        ; implicit-def: $vgpr4_vgpr5
                                        ; implicit-def: $vgpr10
                                        ; implicit-def: $vgpr11
                                        ; implicit-def: $vgpr8
	s_cbranch_vccnz .LBB120_271
; %bb.77:                               ;   in Loop: Header=BB120_6 Depth=1
	s_cmp_eq_u64 s[12:13], 1
	v_mov_b32_e32 v10, v20
	v_mov_b32_e32 v11, v37
	;; [unrolled: 1-line block ×3, first 2 shown]
	s_cselect_b32 s6, -1, 0
                                        ; implicit-def: $sgpr60
                                        ; implicit-def: $sgpr59
	s_and_b32 s63, s6, s9
	s_mov_b32 s6, -1
	s_and_saveexec_b32 s45, s63
	s_cbranch_execz .LBB120_112
; %bb.78:                               ;   in Loop: Header=BB120_6 Depth=1
	ds_read_b64 v[4:5], v3 offset:5120
	s_waitcnt lgkmcnt(0)
	s_barrier
	buffer_gl0_inv
	v_readfirstlane_b32 s20, v4
	v_readfirstlane_b32 s21, v5
	s_and_saveexec_b32 s6, s10
; %bb.79:                               ;   in Loop: Header=BB120_6 Depth=1
	ds_write_b8 v0, v3 offset:3072
; %bb.80:                               ;   in Loop: Header=BB120_6 Depth=1
	s_or_b32 exec_lo, exec_lo, s6
	v_and_b32_e32 v10, s26, v20
	v_or_b32_e32 v11, s11, v37
	s_mov_b32 s59, -1
	s_mov_b32 s60, 0
	s_cmp_eq_u64 s[20:21], 0
	s_mov_b32 s24, 0
	s_mov_b32 s6, -1
	s_waitcnt lgkmcnt(0)
	s_barrier
	buffer_gl0_inv
                                        ; implicit-def: $vgpr8
	s_cbranch_scc1 .LBB120_97
; %bb.81:                               ;   in Loop: Header=BB120_6 Depth=1
	s_add_u32 s6, s20, s80
	s_addc_u32 s23, s21, s81
	s_mov_b32 s22, s49
	s_cmp_lg_u64 s[22:23], 0
	s_cbranch_scc0 .LBB120_138
; %bb.82:                               ;   in Loop: Header=BB120_6 Depth=1
	v_cvt_f32_u32_e32 v2, s33
	s_sub_u32 s24, 0, s33
	s_subb_u32 s25, 0, 0
	v_fmac_f32_e64 v2, 0x4f800000, 0
	v_rcp_f32_e32 v2, v2
	v_mul_f32_e32 v2, 0x5f7ffffc, v2
	v_mul_f32_e32 v4, 0x2f800000, v2
	v_trunc_f32_e32 v4, v4
	v_fmac_f32_e32 v2, 0xcf800000, v4
	v_cvt_u32_f32_e32 v4, v4
	v_cvt_u32_f32_e32 v2, v2
	v_readfirstlane_b32 s8, v4
	v_readfirstlane_b32 s22, v2
	s_mul_i32 s42, s24, s8
	s_mul_hi_u32 s46, s24, s22
	s_mul_i32 s43, s25, s22
	s_add_i32 s42, s46, s42
	s_mul_i32 s47, s24, s22
	s_add_i32 s42, s42, s43
	s_mul_hi_u32 s46, s22, s47
	s_mul_i32 s52, s22, s42
	s_mul_hi_u32 s48, s8, s47
	s_mul_i32 s43, s8, s47
	s_mul_hi_u32 s47, s22, s42
	s_add_u32 s46, s46, s52
	s_addc_u32 s47, 0, s47
	s_mul_hi_u32 s58, s8, s42
	s_add_u32 s43, s46, s43
	s_mul_i32 s42, s8, s42
	s_addc_u32 s43, s47, s48
	s_addc_u32 s46, s58, 0
	s_add_u32 s42, s43, s42
	s_addc_u32 s43, 0, s46
	s_add_u32 s22, s22, s42
	s_cselect_b32 s42, -1, 0
	s_mul_hi_u32 s46, s24, s22
	s_cmp_lg_u32 s42, 0
	s_mul_i32 s42, s24, s22
	s_addc_u32 s8, s8, s43
	s_mul_i32 s25, s25, s22
	s_mul_i32 s24, s24, s8
	s_mul_hi_u32 s43, s22, s42
	s_add_i32 s24, s46, s24
	s_mul_hi_u32 s46, s8, s42
	s_add_i32 s24, s24, s25
	s_mul_i32 s25, s8, s42
	s_mul_i32 s48, s22, s24
	s_mul_hi_u32 s47, s22, s24
	s_add_u32 s43, s43, s48
	s_addc_u32 s47, 0, s47
	s_mul_hi_u32 s42, s8, s24
	s_add_u32 s25, s43, s25
	s_mul_i32 s24, s8, s24
	s_addc_u32 s25, s47, s46
	s_addc_u32 s42, s42, 0
	s_add_u32 s24, s25, s24
	s_addc_u32 s25, 0, s42
	s_add_u32 s22, s22, s24
	s_cselect_b32 s24, -1, 0
	s_mul_hi_u32 s42, s6, s22
	s_cmp_lg_u32 s24, 0
	s_mul_hi_u32 s24, s23, s22
	s_addc_u32 s8, s8, s25
	s_mul_i32 s22, s23, s22
	s_mul_i32 s43, s6, s8
	s_mul_hi_u32 s25, s6, s8
	s_add_u32 s42, s42, s43
	s_addc_u32 s25, 0, s25
	s_mul_hi_u32 s46, s23, s8
	s_add_u32 s22, s42, s22
	s_mul_i32 s8, s23, s8
	s_addc_u32 s22, s25, s24
	s_addc_u32 s24, s46, 0
	s_add_u32 s8, s22, s8
	s_addc_u32 s22, 0, s24
	s_mul_hi_u32 s24, s33, s8
	s_mul_i32 s22, s33, s22
	s_mul_i32 s8, s33, s8
	s_add_i32 s24, s24, s22
	s_sub_u32 s8, s6, s8
	s_cselect_b32 s22, -1, 0
	s_cmp_lg_u32 s22, 0
	s_subb_u32 s22, s23, s24
	s_sub_u32 s24, s8, s33
	s_cselect_b32 s25, -1, 0
	s_cmp_lg_u32 s25, 0
	s_subb_u32 s25, s22, 0
	;; [unrolled: 4-line block ×3, first 2 shown]
	s_cmp_ge_u32 s24, s33
	s_cselect_b32 s46, -1, 0
	s_cmp_eq_u32 s25, 0
	s_cselect_b32 s46, s46, -1
	s_cmp_lg_u32 s46, 0
	s_cselect_b32 s25, s43, s25
	s_cselect_b32 s24, s42, s24
	s_cmp_ge_u32 s8, s33
	s_cselect_b32 s42, -1, 0
	s_cmp_eq_u32 s22, 0
	s_cselect_b32 s42, s42, -1
	s_cmp_lg_u32 s42, 0
	s_cselect_b32 s25, s25, s22
	s_cselect_b32 s24, s24, s8
	s_cbranch_execnz .LBB120_84
.LBB120_83:                             ;   in Loop: Header=BB120_6 Depth=1
	v_cvt_f32_u32_e32 v2, s33
	s_sub_i32 s22, 0, s33
	v_rcp_iflag_f32_e32 v2, v2
	v_mul_f32_e32 v2, 0x4f7ffffe, v2
	v_cvt_u32_f32_e32 v2, v2
	v_readfirstlane_b32 s8, v2
	s_mul_i32 s22, s22, s8
	s_mul_hi_u32 s22, s8, s22
	s_add_i32 s8, s8, s22
	s_mul_hi_u32 s8, s6, s8
	s_mul_i32 s8, s8, s33
	s_sub_i32 s8, s6, s8
	s_sub_i32 s22, s8, s33
	s_cmp_ge_u32 s8, s33
	s_cselect_b32 s8, s22, s8
	s_sub_i32 s22, s8, s33
	s_cmp_ge_u32 s8, s33
	s_cselect_b32 s48, s22, s8
	s_mov_b64 s[24:25], s[48:49]
.LBB120_84:                             ;   in Loop: Header=BB120_6 Depth=1
	s_sub_u32 s22, s6, s24
	s_subb_u32 s23, s23, s25
	s_mov_b32 s6, 0
	s_mov_b32 s24, 0
	s_mov_b32 s25, exec_lo
                                        ; implicit-def: $vgpr8
	v_cmpx_gt_u64_e64 s[22:23], v[0:1]
	s_cbranch_execz .LBB120_96
; %bb.85:                               ;   in Loop: Header=BB120_6 Depth=1
	v_mov_b32_e32 v5, v1
	v_mov_b32_e32 v2, v0
	;; [unrolled: 1-line block ×3, first 2 shown]
                                        ; implicit-def: $sgpr42
	s_inst_prefetch 0x1
	s_branch .LBB120_88
	.p2align	6
.LBB120_86:                             ;   in Loop: Header=BB120_88 Depth=2
	s_or_b32 exec_lo, exec_lo, s43
	s_waitcnt lgkmcnt(0)
	s_barrier
	buffer_gl0_inv
	ds_read_u16 v6, v3 offset:3072
	s_mov_b32 s43, -1
	s_mov_b32 s48, -1
	s_waitcnt lgkmcnt(0)
	s_barrier
	buffer_gl0_inv
	v_cmp_ne_u32_sdwa s8, v6, v3 src0_sel:BYTE_0 src1_sel:DWORD
	s_and_b32 vcc_lo, exec_lo, s8
	s_cbranch_vccz .LBB120_91
.LBB120_87:                             ;   in Loop: Header=BB120_88 Depth=2
	s_and_b32 s8, exec_lo, s43
	s_or_b32 s24, s8, s24
	s_andn2_b32 s8, s42, exec_lo
	s_and_b32 s42, s48, exec_lo
	s_or_b32 s42, s8, s42
	s_andn2_b32 exec_lo, exec_lo, s24
	s_cbranch_execz .LBB120_95
.LBB120_88:                             ;   Parent Loop BB120_6 Depth=1
                                        ; =>  This Inner Loop Header: Depth=2
	s_mov_b32 s43, exec_lo
	v_cmpx_gt_u64_e64 s[20:21], v[4:5]
	s_cbranch_execz .LBB120_86
; %bb.89:                               ;   in Loop: Header=BB120_88 Depth=2
	ds_read_u8 v6, v2
	s_waitcnt lgkmcnt(0)
	v_and_b32_e32 v7, v6, v11
	v_cmp_eq_u32_sdwa s8, v7, v10 src0_sel:BYTE_0 src1_sel:DWORD
	s_and_b32 exec_lo, exec_lo, s8
	s_cbranch_execz .LBB120_86
; %bb.90:                               ;   in Loop: Header=BB120_88 Depth=2
	v_lshlrev_b16 v6, 8, v6
	v_or_b32_e32 v6, 1, v6
	ds_write_b16 v3, v6 offset:3072
	s_branch .LBB120_86
.LBB120_91:                             ;   in Loop: Header=BB120_88 Depth=2
	v_add_co_u32 v4, vcc_lo, v4, s33
	v_add_co_ci_u32_e64 v5, null, 0, v5, vcc_lo
	v_add_nc_u32_e32 v2, s33, v2
	s_mov_b32 s48, 0
	v_cmp_le_u64_e32 vcc_lo, s[22:23], v[4:5]
	s_orn2_b32 s43, vcc_lo, exec_lo
	s_branch .LBB120_87
.LBB120_92:                             ;   in Loop: Header=BB120_6 Depth=1
	s_or_b32 exec_lo, exec_lo, s12
	s_waitcnt lgkmcnt(0)
	s_barrier
	buffer_gl0_inv
	s_and_saveexec_b32 s6, s3
	s_cbranch_execz .LBB120_94
; %bb.93:                               ;   in Loop: Header=BB120_6 Depth=1
	ds_read_b32 v4, v3 offset:5144
	s_waitcnt lgkmcnt(0)
	v_ashrrev_i32_e32 v5, 31, v4
	ds_write_b64 v3, v[4:5] offset:5120
.LBB120_94:                             ;   in Loop: Header=BB120_6 Depth=1
	s_or_b32 exec_lo, exec_lo, s6
	s_waitcnt lgkmcnt(0)
	s_mov_b32 s6, -1
	s_barrier
	s_and_b32 vcc_lo, exec_lo, s9
	s_cbranch_vccnz .LBB120_21
	s_branch .LBB120_36
.LBB120_95:                             ;   in Loop: Header=BB120_6 Depth=1
	s_inst_prefetch 0x2
	s_or_b32 exec_lo, exec_lo, s24
	v_lshrrev_b32_sdwa v8, v36, v6 dst_sel:DWORD dst_unused:UNUSED_PAD src0_sel:DWORD src1_sel:WORD_0
	s_and_b32 s24, s42, exec_lo
.LBB120_96:                             ;   in Loop: Header=BB120_6 Depth=1
	s_or_b32 exec_lo, exec_lo, s25
.LBB120_97:                             ;   in Loop: Header=BB120_6 Depth=1
	s_and_b32 vcc_lo, exec_lo, s6
	s_cbranch_vccz .LBB120_111
; %bb.98:                               ;   in Loop: Header=BB120_6 Depth=1
	s_mov_b32 s52, s49
	s_cmp_lg_u64 s[52:53], 0
	s_cbranch_scc0 .LBB120_139
; %bb.99:                               ;   in Loop: Header=BB120_6 Depth=1
	v_cvt_f32_u32_e32 v2, s33
	s_sub_u32 s20, 0, s33
	s_subb_u32 s21, 0, 0
	v_fmac_f32_e64 v2, 0x4f800000, 0
	v_rcp_f32_e32 v2, v2
	v_mul_f32_e32 v2, 0x5f7ffffc, v2
	v_mul_f32_e32 v4, 0x2f800000, v2
	v_trunc_f32_e32 v4, v4
	v_fmac_f32_e32 v2, 0xcf800000, v4
	v_cvt_u32_f32_e32 v4, v4
	v_cvt_u32_f32_e32 v2, v2
	v_readfirstlane_b32 s6, v4
	v_readfirstlane_b32 s8, v2
	s_mul_i32 s22, s20, s6
	s_mul_hi_u32 s25, s20, s8
	s_mul_i32 s23, s21, s8
	s_add_i32 s22, s25, s22
	s_mul_i32 s42, s20, s8
	s_add_i32 s22, s22, s23
	s_mul_hi_u32 s25, s8, s42
	s_mul_i32 s46, s8, s22
	s_mul_hi_u32 s43, s6, s42
	s_mul_i32 s23, s6, s42
	s_mul_hi_u32 s42, s8, s22
	s_add_u32 s25, s25, s46
	s_addc_u32 s42, 0, s42
	s_mul_hi_u32 s47, s6, s22
	s_add_u32 s23, s25, s23
	s_mul_i32 s22, s6, s22
	s_addc_u32 s23, s42, s43
	s_addc_u32 s25, s47, 0
	s_add_u32 s22, s23, s22
	s_addc_u32 s23, 0, s25
	s_add_u32 s8, s8, s22
	s_cselect_b32 s22, -1, 0
	s_mul_hi_u32 s25, s20, s8
	s_cmp_lg_u32 s22, 0
	s_mul_i32 s22, s20, s8
	s_addc_u32 s6, s6, s23
	s_mul_i32 s21, s21, s8
	s_mul_i32 s20, s20, s6
	s_mul_hi_u32 s23, s8, s22
	s_add_i32 s20, s25, s20
	s_mul_hi_u32 s25, s6, s22
	s_add_i32 s20, s20, s21
	s_mul_i32 s21, s6, s22
	s_mul_i32 s43, s8, s20
	s_mul_hi_u32 s42, s8, s20
	s_add_u32 s23, s23, s43
	s_addc_u32 s42, 0, s42
	s_mul_hi_u32 s22, s6, s20
	s_add_u32 s21, s23, s21
	s_mul_i32 s20, s6, s20
	s_addc_u32 s21, s42, s25
	s_addc_u32 s22, s22, 0
	s_add_u32 s20, s21, s20
	s_addc_u32 s21, 0, s22
	s_add_u32 s8, s8, s20
	s_cselect_b32 s20, -1, 0
	s_mul_hi_u32 s22, s82, s8
	s_cmp_lg_u32 s20, 0
	s_mul_hi_u32 s20, s53, s8
	s_addc_u32 s6, s6, s21
	s_mul_i32 s8, s53, s8
	s_mul_i32 s23, s82, s6
	s_mul_hi_u32 s21, s82, s6
	s_add_u32 s22, s22, s23
	s_addc_u32 s21, 0, s21
	s_mul_hi_u32 s25, s53, s6
	s_add_u32 s8, s22, s8
	s_mul_i32 s6, s53, s6
	s_addc_u32 s8, s21, s20
	s_addc_u32 s20, s25, 0
	s_add_u32 s6, s8, s6
	s_addc_u32 s8, 0, s20
	s_mul_hi_u32 s20, s33, s6
	s_mul_i32 s8, s33, s8
	s_mul_i32 s6, s33, s6
	s_add_i32 s20, s20, s8
	s_sub_u32 s6, s82, s6
	s_cselect_b32 s8, -1, 0
	s_cmp_lg_u32 s8, 0
	s_subb_u32 s8, s53, s20
	s_sub_u32 s20, s6, s33
	s_cselect_b32 s21, -1, 0
	s_cmp_lg_u32 s21, 0
	s_subb_u32 s21, s8, 0
	;; [unrolled: 4-line block ×3, first 2 shown]
	s_cmp_ge_u32 s20, s33
	s_cselect_b32 s25, -1, 0
	s_cmp_eq_u32 s21, 0
	s_cselect_b32 s25, s25, -1
	s_cmp_lg_u32 s25, 0
	s_cselect_b32 s21, s23, s21
	s_cselect_b32 s20, s22, s20
	s_cmp_ge_u32 s6, s33
	s_cselect_b32 s22, -1, 0
	s_cmp_eq_u32 s8, 0
	s_cselect_b32 s22, s22, -1
	s_cmp_lg_u32 s22, 0
	s_cselect_b32 s21, s21, s8
	s_cselect_b32 s20, s20, s6
	s_cbranch_execnz .LBB120_101
.LBB120_100:                            ;   in Loop: Header=BB120_6 Depth=1
	v_cvt_f32_u32_e32 v2, s33
	s_sub_i32 s8, 0, s33
	v_rcp_iflag_f32_e32 v2, v2
	v_mul_f32_e32 v2, 0x4f7ffffe, v2
	v_cvt_u32_f32_e32 v2, v2
	v_readfirstlane_b32 s6, v2
	s_mul_i32 s8, s8, s6
	s_mul_hi_u32 s8, s6, s8
	s_add_i32 s6, s6, s8
	s_mul_hi_u32 s6, s82, s6
	s_mul_i32 s6, s6, s33
	s_sub_i32 s6, s82, s6
	s_sub_i32 s8, s6, s33
	s_cmp_ge_u32 s6, s33
	s_cselect_b32 s6, s8, s6
	s_sub_i32 s8, s6, s33
	s_cmp_ge_u32 s6, s33
	s_cselect_b32 s48, s8, s6
	s_mov_b64 s[20:21], s[48:49]
.LBB120_101:                            ;   in Loop: Header=BB120_6 Depth=1
	s_sub_u32 s20, s82, s20
	s_subb_u32 s21, s53, s21
	s_mov_b32 s22, exec_lo
                                        ; implicit-def: $vgpr8
	v_cmpx_gt_u64_e64 s[20:21], v[0:1]
	s_cbranch_execz .LBB120_110
; %bb.102:                              ;   in Loop: Header=BB120_6 Depth=1
	v_mov_b32_e32 v4, v12
	v_mov_b32_e32 v7, v1
	;; [unrolled: 1-line block ×4, first 2 shown]
	s_mov_b32 s23, 0
                                        ; implicit-def: $sgpr25
	s_inst_prefetch 0x1
	s_branch .LBB120_105
	.p2align	6
.LBB120_103:                            ;   in Loop: Header=BB120_105 Depth=2
	s_or_b32 exec_lo, exec_lo, s6
	s_waitcnt lgkmcnt(0)
	s_barrier
	buffer_gl0_inv
	ds_read_u16 v2, v3 offset:3072
	s_mov_b32 s6, -1
	s_mov_b32 s42, -1
	s_waitcnt lgkmcnt(0)
	s_barrier
	buffer_gl0_inv
	v_cmp_ne_u32_sdwa s8, v2, v3 src0_sel:BYTE_0 src1_sel:DWORD
	s_and_b32 vcc_lo, exec_lo, s8
	s_cbranch_vccz .LBB120_108
.LBB120_104:                            ;   in Loop: Header=BB120_105 Depth=2
	s_and_b32 s6, exec_lo, s6
	s_or_b32 s23, s6, s23
	s_andn2_b32 s6, s25, exec_lo
	s_and_b32 s8, s42, exec_lo
	s_or_b32 s25, s6, s8
	s_andn2_b32 exec_lo, exec_lo, s23
	s_cbranch_execz .LBB120_109
.LBB120_105:                            ;   Parent Loop BB120_6 Depth=1
                                        ; =>  This Inner Loop Header: Depth=2
	s_mov_b32 s6, exec_lo
	v_cmpx_gt_u64_e64 s[28:29], v[6:7]
	s_cbranch_execz .LBB120_103
; %bb.106:                              ;   in Loop: Header=BB120_105 Depth=2
	global_load_ubyte v2, v[4:5], off
	s_waitcnt vmcnt(0)
	v_and_b32_e32 v8, v2, v11
	v_cmp_eq_u32_sdwa s8, v8, v10 src0_sel:BYTE_0 src1_sel:DWORD
	s_and_b32 exec_lo, exec_lo, s8
	s_cbranch_execz .LBB120_103
; %bb.107:                              ;   in Loop: Header=BB120_105 Depth=2
	v_lshlrev_b16 v2, 8, v2
	v_or_b32_e32 v2, 1, v2
	ds_write_b16 v3, v2 offset:3072
	s_branch .LBB120_103
.LBB120_108:                            ;   in Loop: Header=BB120_105 Depth=2
	v_add_co_u32 v6, vcc_lo, v6, s33
	v_add_co_ci_u32_e64 v7, null, 0, v7, vcc_lo
	v_add_co_u32 v4, s6, v4, s72
	v_add_co_ci_u32_e64 v5, null, s41, v5, s6
	v_cmp_le_u64_e32 vcc_lo, s[20:21], v[6:7]
	s_mov_b32 s42, 0
	s_orn2_b32 s6, vcc_lo, exec_lo
	s_branch .LBB120_104
.LBB120_109:                            ;   in Loop: Header=BB120_6 Depth=1
	s_inst_prefetch 0x2
	s_or_b32 exec_lo, exec_lo, s23
	v_lshrrev_b32_sdwa v8, v36, v2 dst_sel:DWORD dst_unused:UNUSED_PAD src0_sel:DWORD src1_sel:WORD_0
	s_andn2_b32 s6, s24, exec_lo
	s_and_b32 s8, s25, exec_lo
	s_or_b32 s24, s6, s8
.LBB120_110:                            ;   in Loop: Header=BB120_6 Depth=1
	s_or_b32 exec_lo, exec_lo, s22
	s_mov_b32 s59, 0
	s_mov_b32 s60, -1
.LBB120_111:                            ;   in Loop: Header=BB120_6 Depth=1
	s_orn2_b32 s6, s24, exec_lo
.LBB120_112:                            ;   in Loop: Header=BB120_6 Depth=1
	s_or_b32 exec_lo, exec_lo, s45
	s_mov_b32 s61, 0
	s_mov_b32 s58, 0
	;; [unrolled: 1-line block ×3, first 2 shown]
                                        ; implicit-def: $vgpr4_vgpr5
                                        ; implicit-def: $vgpr2
	s_and_saveexec_b32 s62, s6
	s_cbranch_execz .LBB120_270
; %bb.113:                              ;   in Loop: Header=BB120_6 Depth=1
	v_mov_b32_e32 v4, 1
	v_mov_b32_e32 v5, 0
	;; [unrolled: 1-line block ×3, first 2 shown]
	s_xor_b32 s8, s63, -1
	s_mov_b32 s20, 0
	s_and_saveexec_b32 s6, s8
	s_cbranch_execz .LBB120_122
; %bb.114:                              ;   in Loop: Header=BB120_6 Depth=1
	s_mov_b32 s8, exec_lo
	v_cmpx_ge_u64_e64 s[12:13], v[26:27]
	s_xor_b32 s20, exec_lo, s8
	s_cbranch_execz .LBB120_119
; %bb.115:                              ;   in Loop: Header=BB120_6 Depth=1
	ds_read_b64 v[4:5], v3 offset:5120
	v_and_b32_e32 v10, s26, v10
	v_or_b32_e32 v11, s11, v11
	s_waitcnt lgkmcnt(0)
	v_cmp_ne_u64_e32 vcc_lo, 0, v[4:5]
	s_cbranch_vccnz .LBB120_119
; %bb.116:                              ;   in Loop: Header=BB120_6 Depth=1
	s_and_saveexec_b32 s21, s3
; %bb.117:                              ;   in Loop: Header=BB120_6 Depth=1
	v_mov_b32_e32 v4, s12
	v_mov_b32_e32 v5, s13
	ds_write_b64 v3, v[4:5] offset:5128
; %bb.118:                              ;   in Loop: Header=BB120_6 Depth=1
	s_or_b32 exec_lo, exec_lo, s21
	s_waitcnt lgkmcnt(0)
	s_barrier
	buffer_gl0_inv
.LBB120_119:                            ;   in Loop: Header=BB120_6 Depth=1
	s_or_saveexec_b32 s20, s20
	v_mov_b32_e32 v4, v26
	v_mov_b32_e32 v2, 8
	;; [unrolled: 1-line block ×3, first 2 shown]
	s_mov_b32 s21, 0
	s_xor_b32 exec_lo, exec_lo, s20
; %bb.120:                              ;   in Loop: Header=BB120_6 Depth=1
	v_sub_co_u32 v4, vcc_lo, v26, s12
	v_subrev_co_ci_u32_e64 v5, null, s13, v27, vcc_lo
	v_mov_b32_e32 v2, 0
	s_mov_b32 s21, exec_lo
; %bb.121:                              ;   in Loop: Header=BB120_6 Depth=1
	s_or_b32 exec_lo, exec_lo, s20
	s_and_b32 s20, s21, exec_lo
.LBB120_122:                            ;   in Loop: Header=BB120_6 Depth=1
	s_or_b32 exec_lo, exec_lo, s6
	s_mov_b32 s6, -1
                                        ; implicit-def: $sgpr58
                                        ; implicit-def: $sgpr63
	s_and_saveexec_b32 s8, s20
	s_xor_b32 s45, exec_lo, s8
	s_cbranch_execz .LBB120_267
; %bb.123:                              ;   in Loop: Header=BB120_6 Depth=1
	v_cmp_eq_u64_e32 vcc_lo, 1, v[4:5]
	s_cmp_eq_u64 s[14:15], 1
                                        ; implicit-def: $sgpr63
                                        ; implicit-def: $sgpr58
	s_cselect_b32 s6, -1, 0
	s_and_b32 s65, s6, vcc_lo
	s_mov_b32 s6, -1
	s_and_saveexec_b32 s64, s65
	s_cbranch_execz .LBB120_157
; %bb.124:                              ;   in Loop: Header=BB120_6 Depth=1
	ds_read_b64 v[6:7], v3 offset:5120
	s_waitcnt lgkmcnt(0)
	s_barrier
	buffer_gl0_inv
	v_readfirstlane_b32 s20, v6
	v_readfirstlane_b32 s21, v7
	s_and_saveexec_b32 s6, s10
; %bb.125:                              ;   in Loop: Header=BB120_6 Depth=1
	ds_write_b8 v0, v3 offset:3072
; %bb.126:                              ;   in Loop: Header=BB120_6 Depth=1
	s_or_b32 exec_lo, exec_lo, s6
	s_lshl_b32 s6, 1, s92
	v_or_b32_e32 v11, s11, v11
	v_and_or_b32 v10, v10, s26, s6
	s_mov_b32 s58, -1
	s_mov_b32 s63, 0
	s_cmp_eq_u64 s[20:21], 0
	s_mov_b32 s24, 0
	s_mov_b32 s6, -1
	s_waitcnt lgkmcnt(0)
	s_barrier
	buffer_gl0_inv
                                        ; implicit-def: $vgpr8
	s_cbranch_scc1 .LBB120_142
; %bb.127:                              ;   in Loop: Header=BB120_6 Depth=1
	s_add_u32 s6, s20, s80
	s_addc_u32 s23, s21, s81
	s_mov_b32 s22, s49
	s_cmp_lg_u64 s[22:23], 0
	s_cbranch_scc0 .LBB120_183
; %bb.128:                              ;   in Loop: Header=BB120_6 Depth=1
	v_cvt_f32_u32_e32 v6, s33
	s_sub_u32 s25, 0, s33
	s_subb_u32 s42, 0, 0
	v_fmac_f32_e64 v6, 0x4f800000, 0
	v_rcp_f32_e32 v6, v6
	v_mul_f32_e32 v6, 0x5f7ffffc, v6
	v_mul_f32_e32 v7, 0x2f800000, v6
	v_trunc_f32_e32 v7, v7
	v_fmac_f32_e32 v6, 0xcf800000, v7
	v_cvt_u32_f32_e32 v7, v7
	v_cvt_u32_f32_e32 v6, v6
	v_readfirstlane_b32 s22, v7
	v_readfirstlane_b32 s24, v6
	s_mul_i32 s43, s25, s22
	s_mul_hi_u32 s47, s25, s24
	s_mul_i32 s46, s42, s24
	s_add_i32 s43, s47, s43
	s_mul_i32 s48, s25, s24
	s_add_i32 s43, s43, s46
	s_mul_hi_u32 s47, s24, s48
	s_mul_i32 s66, s24, s43
	s_mul_hi_u32 s52, s22, s48
	s_mul_i32 s46, s22, s48
	s_mul_hi_u32 s48, s24, s43
	s_add_u32 s47, s47, s66
	s_addc_u32 s48, 0, s48
	s_mul_hi_u32 s67, s22, s43
	s_add_u32 s46, s47, s46
	s_mul_i32 s43, s22, s43
	s_addc_u32 s46, s48, s52
	s_addc_u32 s47, s67, 0
	s_add_u32 s43, s46, s43
	s_addc_u32 s46, 0, s47
	s_add_u32 s24, s24, s43
	s_cselect_b32 s43, -1, 0
	s_mul_hi_u32 s47, s25, s24
	s_cmp_lg_u32 s43, 0
	s_mul_i32 s43, s25, s24
	s_addc_u32 s22, s22, s46
	s_mul_i32 s42, s42, s24
	s_mul_i32 s25, s25, s22
	s_mul_hi_u32 s46, s24, s43
	s_add_i32 s25, s47, s25
	s_mul_hi_u32 s47, s22, s43
	s_add_i32 s25, s25, s42
	s_mul_i32 s42, s22, s43
	s_mul_i32 s52, s24, s25
	s_mul_hi_u32 s48, s24, s25
	s_add_u32 s46, s46, s52
	s_addc_u32 s48, 0, s48
	s_mul_hi_u32 s43, s22, s25
	s_add_u32 s42, s46, s42
	s_mul_i32 s25, s22, s25
	s_addc_u32 s42, s48, s47
	s_addc_u32 s43, s43, 0
	s_add_u32 s25, s42, s25
	s_addc_u32 s42, 0, s43
	s_add_u32 s24, s24, s25
	s_cselect_b32 s25, -1, 0
	s_mul_hi_u32 s43, s6, s24
	s_cmp_lg_u32 s25, 0
	s_mul_hi_u32 s25, s23, s24
	s_addc_u32 s22, s22, s42
	s_mul_i32 s24, s23, s24
	s_mul_i32 s46, s6, s22
	s_mul_hi_u32 s42, s6, s22
	s_add_u32 s43, s43, s46
	s_addc_u32 s42, 0, s42
	s_mul_hi_u32 s47, s23, s22
	s_add_u32 s24, s43, s24
	s_mul_i32 s22, s23, s22
	s_addc_u32 s24, s42, s25
	s_addc_u32 s25, s47, 0
	s_add_u32 s22, s24, s22
	s_addc_u32 s24, 0, s25
	s_mul_hi_u32 s25, s33, s22
	s_mul_i32 s24, s33, s24
	s_mul_i32 s22, s33, s22
	s_add_i32 s25, s25, s24
	s_sub_u32 s22, s6, s22
	s_cselect_b32 s24, -1, 0
	s_cmp_lg_u32 s24, 0
	s_subb_u32 s24, s23, s25
	s_sub_u32 s25, s22, s33
	s_cselect_b32 s42, -1, 0
	s_cmp_lg_u32 s42, 0
	s_subb_u32 s42, s24, 0
	;; [unrolled: 4-line block ×3, first 2 shown]
	s_cmp_ge_u32 s25, s33
	s_cselect_b32 s47, -1, 0
	s_cmp_eq_u32 s42, 0
	s_cselect_b32 s47, s47, -1
	s_cmp_lg_u32 s47, 0
	s_cselect_b32 s42, s46, s42
	s_cselect_b32 s43, s43, s25
	s_cmp_ge_u32 s22, s33
	s_cselect_b32 s25, -1, 0
	s_cmp_eq_u32 s24, 0
	s_cselect_b32 s25, s25, -1
	s_cmp_lg_u32 s25, 0
	s_cselect_b32 s25, s42, s24
	s_cselect_b32 s24, s43, s22
	s_cbranch_execnz .LBB120_130
.LBB120_129:                            ;   in Loop: Header=BB120_6 Depth=1
	v_cvt_f32_u32_e32 v6, s33
	s_sub_i32 s24, 0, s33
	v_rcp_iflag_f32_e32 v6, v6
	v_mul_f32_e32 v6, 0x4f7ffffe, v6
	v_cvt_u32_f32_e32 v6, v6
	v_readfirstlane_b32 s22, v6
	s_mul_i32 s24, s24, s22
	s_mul_hi_u32 s24, s22, s24
	s_add_i32 s22, s22, s24
	s_mul_hi_u32 s22, s6, s22
	s_mul_i32 s22, s22, s33
	s_sub_i32 s22, s6, s22
	s_sub_i32 s24, s22, s33
	s_cmp_ge_u32 s22, s33
	s_cselect_b32 s22, s24, s22
	s_sub_i32 s24, s22, s33
	s_cmp_ge_u32 s22, s33
	s_cselect_b32 s48, s24, s22
	s_mov_b64 s[24:25], s[48:49]
.LBB120_130:                            ;   in Loop: Header=BB120_6 Depth=1
	s_sub_u32 s22, s6, s24
	s_subb_u32 s23, s23, s25
	s_mov_b32 s6, 0
	s_mov_b32 s24, 0
	s_mov_b32 s25, exec_lo
                                        ; implicit-def: $vgpr8
	v_cmpx_gt_u64_e64 s[22:23], v[0:1]
	s_cbranch_execz .LBB120_141
; %bb.131:                              ;   in Loop: Header=BB120_6 Depth=1
	v_mov_b32_e32 v7, v1
	v_mov_b32_e32 v8, v0
	;; [unrolled: 1-line block ×3, first 2 shown]
                                        ; implicit-def: $sgpr42
	s_inst_prefetch 0x1
	s_branch .LBB120_134
	.p2align	6
.LBB120_132:                            ;   in Loop: Header=BB120_134 Depth=2
	s_or_b32 exec_lo, exec_lo, s43
	s_waitcnt lgkmcnt(0)
	s_barrier
	buffer_gl0_inv
	ds_read_u16 v9, v3 offset:3072
	s_mov_b32 s43, -1
	s_mov_b32 s48, -1
	s_waitcnt lgkmcnt(0)
	s_barrier
	buffer_gl0_inv
	v_cmp_ne_u32_sdwa s46, v9, v3 src0_sel:BYTE_0 src1_sel:DWORD
	s_and_b32 vcc_lo, exec_lo, s46
	s_cbranch_vccz .LBB120_137
.LBB120_133:                            ;   in Loop: Header=BB120_134 Depth=2
	s_and_b32 s8, exec_lo, s43
	s_or_b32 s24, s8, s24
	s_andn2_b32 s8, s42, exec_lo
	s_and_b32 s42, s48, exec_lo
	s_or_b32 s42, s8, s42
	s_andn2_b32 exec_lo, exec_lo, s24
	s_cbranch_execz .LBB120_140
.LBB120_134:                            ;   Parent Loop BB120_6 Depth=1
                                        ; =>  This Inner Loop Header: Depth=2
	s_mov_b32 s43, exec_lo
	v_cmpx_gt_u64_e64 s[20:21], v[6:7]
	s_cbranch_execz .LBB120_132
; %bb.135:                              ;   in Loop: Header=BB120_134 Depth=2
	ds_read_u8 v9, v8
	s_waitcnt lgkmcnt(0)
	v_and_b32_e32 v28, v9, v11
	v_cmp_eq_u32_sdwa s46, v28, v10 src0_sel:BYTE_0 src1_sel:DWORD
	s_and_b32 exec_lo, exec_lo, s46
	s_cbranch_execz .LBB120_132
; %bb.136:                              ;   in Loop: Header=BB120_134 Depth=2
	v_lshlrev_b16 v9, 8, v9
	v_or_b32_e32 v9, 1, v9
	ds_write_b16 v3, v9 offset:3072
	s_branch .LBB120_132
.LBB120_137:                            ;   in Loop: Header=BB120_134 Depth=2
	v_add_co_u32 v6, vcc_lo, v6, s33
	v_add_co_ci_u32_e64 v7, null, 0, v7, vcc_lo
	v_add_nc_u32_e32 v8, s33, v8
	s_mov_b32 s48, 0
	v_cmp_le_u64_e32 vcc_lo, s[22:23], v[6:7]
	s_orn2_b32 s43, vcc_lo, exec_lo
	s_branch .LBB120_133
.LBB120_138:                            ;   in Loop: Header=BB120_6 Depth=1
                                        ; implicit-def: $sgpr24_sgpr25
	s_branch .LBB120_83
.LBB120_139:                            ;   in Loop: Header=BB120_6 Depth=1
                                        ; implicit-def: $sgpr20_sgpr21
	s_branch .LBB120_100
.LBB120_140:                            ;   in Loop: Header=BB120_6 Depth=1
	s_inst_prefetch 0x2
	s_or_b32 exec_lo, exec_lo, s24
	v_lshrrev_b32_sdwa v8, v36, v9 dst_sel:DWORD dst_unused:UNUSED_PAD src0_sel:DWORD src1_sel:WORD_0
	s_and_b32 s24, s42, exec_lo
.LBB120_141:                            ;   in Loop: Header=BB120_6 Depth=1
	s_or_b32 exec_lo, exec_lo, s25
.LBB120_142:                            ;   in Loop: Header=BB120_6 Depth=1
	s_and_b32 vcc_lo, exec_lo, s6
	s_cbranch_vccz .LBB120_156
; %bb.143:                              ;   in Loop: Header=BB120_6 Depth=1
	s_mov_b32 s52, s49
	s_cmp_lg_u64 s[52:53], 0
	s_cbranch_scc0 .LBB120_184
; %bb.144:                              ;   in Loop: Header=BB120_6 Depth=1
	v_cvt_f32_u32_e32 v6, s33
	s_sub_u32 s21, 0, s33
	s_subb_u32 s22, 0, 0
	v_fmac_f32_e64 v6, 0x4f800000, 0
	v_rcp_f32_e32 v6, v6
	v_mul_f32_e32 v6, 0x5f7ffffc, v6
	v_mul_f32_e32 v7, 0x2f800000, v6
	v_trunc_f32_e32 v7, v7
	v_fmac_f32_e32 v6, 0xcf800000, v7
	v_cvt_u32_f32_e32 v7, v7
	v_cvt_u32_f32_e32 v6, v6
	v_readfirstlane_b32 s6, v7
	v_readfirstlane_b32 s20, v6
	s_mul_i32 s23, s21, s6
	s_mul_hi_u32 s42, s21, s20
	s_mul_i32 s25, s22, s20
	s_add_i32 s23, s42, s23
	s_mul_i32 s43, s21, s20
	s_add_i32 s23, s23, s25
	s_mul_hi_u32 s42, s20, s43
	s_mul_i32 s47, s20, s23
	s_mul_hi_u32 s46, s6, s43
	s_mul_i32 s25, s6, s43
	s_mul_hi_u32 s43, s20, s23
	s_add_u32 s42, s42, s47
	s_addc_u32 s43, 0, s43
	s_mul_hi_u32 s48, s6, s23
	s_add_u32 s25, s42, s25
	s_mul_i32 s23, s6, s23
	s_addc_u32 s25, s43, s46
	s_addc_u32 s42, s48, 0
	s_add_u32 s23, s25, s23
	s_addc_u32 s25, 0, s42
	s_add_u32 s20, s20, s23
	s_cselect_b32 s23, -1, 0
	s_mul_hi_u32 s42, s21, s20
	s_cmp_lg_u32 s23, 0
	s_mul_i32 s23, s21, s20
	s_addc_u32 s6, s6, s25
	s_mul_i32 s22, s22, s20
	s_mul_i32 s21, s21, s6
	s_mul_hi_u32 s25, s20, s23
	s_add_i32 s21, s42, s21
	s_mul_hi_u32 s42, s6, s23
	s_add_i32 s21, s21, s22
	s_mul_i32 s22, s6, s23
	s_mul_i32 s46, s20, s21
	s_mul_hi_u32 s43, s20, s21
	s_add_u32 s25, s25, s46
	s_addc_u32 s43, 0, s43
	s_mul_hi_u32 s23, s6, s21
	s_add_u32 s22, s25, s22
	s_mul_i32 s21, s6, s21
	s_addc_u32 s22, s43, s42
	s_addc_u32 s23, s23, 0
	s_add_u32 s21, s22, s21
	s_addc_u32 s22, 0, s23
	s_add_u32 s20, s20, s21
	s_cselect_b32 s21, -1, 0
	s_mul_hi_u32 s23, s82, s20
	s_cmp_lg_u32 s21, 0
	s_mul_hi_u32 s21, s53, s20
	s_addc_u32 s6, s6, s22
	s_mul_i32 s20, s53, s20
	s_mul_i32 s25, s82, s6
	s_mul_hi_u32 s22, s82, s6
	s_add_u32 s23, s23, s25
	s_addc_u32 s22, 0, s22
	s_mul_hi_u32 s42, s53, s6
	s_add_u32 s20, s23, s20
	s_mul_i32 s6, s53, s6
	s_addc_u32 s20, s22, s21
	s_addc_u32 s21, s42, 0
	s_add_u32 s6, s20, s6
	s_addc_u32 s20, 0, s21
	s_mul_hi_u32 s21, s33, s6
	s_mul_i32 s20, s33, s20
	s_mul_i32 s6, s33, s6
	s_add_i32 s21, s21, s20
	s_sub_u32 s6, s82, s6
	s_cselect_b32 s20, -1, 0
	s_cmp_lg_u32 s20, 0
	s_subb_u32 s20, s53, s21
	s_sub_u32 s21, s6, s33
	s_cselect_b32 s22, -1, 0
	s_cmp_lg_u32 s22, 0
	s_subb_u32 s22, s20, 0
	;; [unrolled: 4-line block ×3, first 2 shown]
	s_cmp_ge_u32 s21, s33
	s_cselect_b32 s42, -1, 0
	s_cmp_eq_u32 s22, 0
	s_cselect_b32 s42, s42, -1
	s_cmp_lg_u32 s42, 0
	s_cselect_b32 s22, s25, s22
	s_cselect_b32 s23, s23, s21
	s_cmp_ge_u32 s6, s33
	s_cselect_b32 s21, -1, 0
	s_cmp_eq_u32 s20, 0
	s_cselect_b32 s21, s21, -1
	s_cmp_lg_u32 s21, 0
	s_cselect_b32 s21, s22, s20
	s_cselect_b32 s20, s23, s6
	s_cbranch_execnz .LBB120_146
.LBB120_145:                            ;   in Loop: Header=BB120_6 Depth=1
	v_cvt_f32_u32_e32 v6, s33
	s_sub_i32 s20, 0, s33
	v_rcp_iflag_f32_e32 v6, v6
	v_mul_f32_e32 v6, 0x4f7ffffe, v6
	v_cvt_u32_f32_e32 v6, v6
	v_readfirstlane_b32 s6, v6
	s_mul_i32 s20, s20, s6
	s_mul_hi_u32 s20, s6, s20
	s_add_i32 s6, s6, s20
	s_mul_hi_u32 s6, s82, s6
	s_mul_i32 s6, s6, s33
	s_sub_i32 s6, s82, s6
	s_sub_i32 s20, s6, s33
	s_cmp_ge_u32 s6, s33
	s_cselect_b32 s6, s20, s6
	s_sub_i32 s20, s6, s33
	s_cmp_ge_u32 s6, s33
	s_cselect_b32 s48, s20, s6
	s_mov_b64 s[20:21], s[48:49]
.LBB120_146:                            ;   in Loop: Header=BB120_6 Depth=1
	s_sub_u32 s20, s82, s20
	s_subb_u32 s21, s53, s21
	s_mov_b32 s22, exec_lo
                                        ; implicit-def: $vgpr8
	v_cmpx_gt_u64_e64 s[20:21], v[0:1]
	s_cbranch_execz .LBB120_155
; %bb.147:                              ;   in Loop: Header=BB120_6 Depth=1
	v_mov_b32_e32 v6, v12
	v_mov_b32_e32 v9, v1
	;; [unrolled: 1-line block ×4, first 2 shown]
	s_mov_b32 s23, 0
                                        ; implicit-def: $sgpr25
	s_inst_prefetch 0x1
	s_branch .LBB120_150
	.p2align	6
.LBB120_148:                            ;   in Loop: Header=BB120_150 Depth=2
	s_or_b32 exec_lo, exec_lo, s6
	s_waitcnt lgkmcnt(0)
	s_barrier
	buffer_gl0_inv
	ds_read_u16 v28, v3 offset:3072
	s_mov_b32 s6, -1
	s_waitcnt lgkmcnt(0)
	s_barrier
	buffer_gl0_inv
	v_cmp_eq_u32_sdwa s42, v28, v3 src0_sel:BYTE_0 src1_sel:DWORD
	s_and_b32 vcc_lo, exec_lo, s42
	s_mov_b32 s42, -1
	s_cbranch_vccnz .LBB120_153
.LBB120_149:                            ;   in Loop: Header=BB120_150 Depth=2
	s_and_b32 s6, exec_lo, s6
	s_or_b32 s23, s6, s23
	s_andn2_b32 s6, s25, exec_lo
	s_and_b32 s8, s42, exec_lo
	s_or_b32 s25, s6, s8
	s_andn2_b32 exec_lo, exec_lo, s23
	s_cbranch_execz .LBB120_154
.LBB120_150:                            ;   Parent Loop BB120_6 Depth=1
                                        ; =>  This Inner Loop Header: Depth=2
	s_mov_b32 s6, exec_lo
	v_cmpx_gt_u64_e64 s[28:29], v[8:9]
	s_cbranch_execz .LBB120_148
; %bb.151:                              ;   in Loop: Header=BB120_150 Depth=2
	global_load_ubyte v28, v[6:7], off
	s_waitcnt vmcnt(0)
	v_and_b32_e32 v29, v28, v11
	v_cmp_eq_u32_sdwa s42, v29, v10 src0_sel:BYTE_0 src1_sel:DWORD
	s_and_b32 exec_lo, exec_lo, s42
	s_cbranch_execz .LBB120_148
; %bb.152:                              ;   in Loop: Header=BB120_150 Depth=2
	v_lshlrev_b16 v28, 8, v28
	v_or_b32_e32 v28, 1, v28
	ds_write_b16 v3, v28 offset:3072
	s_branch .LBB120_148
.LBB120_153:                            ;   in Loop: Header=BB120_150 Depth=2
	v_add_co_u32 v8, vcc_lo, v8, s33
	v_add_co_ci_u32_e64 v9, null, 0, v9, vcc_lo
	v_add_co_u32 v6, s6, v6, s72
	v_add_co_ci_u32_e64 v7, null, s41, v7, s6
	v_cmp_le_u64_e32 vcc_lo, s[20:21], v[8:9]
	s_mov_b32 s42, 0
	s_orn2_b32 s6, vcc_lo, exec_lo
	s_branch .LBB120_149
.LBB120_154:                            ;   in Loop: Header=BB120_6 Depth=1
	s_inst_prefetch 0x2
	s_or_b32 exec_lo, exec_lo, s23
	v_lshrrev_b32_sdwa v8, v36, v28 dst_sel:DWORD dst_unused:UNUSED_PAD src0_sel:DWORD src1_sel:WORD_0
	s_andn2_b32 s6, s24, exec_lo
	s_and_b32 s8, s25, exec_lo
	s_or_b32 s24, s6, s8
.LBB120_155:                            ;   in Loop: Header=BB120_6 Depth=1
	s_or_b32 exec_lo, exec_lo, s22
	s_mov_b32 s58, 0
	s_mov_b32 s63, -1
.LBB120_156:                            ;   in Loop: Header=BB120_6 Depth=1
	s_orn2_b32 s6, s24, exec_lo
.LBB120_157:                            ;   in Loop: Header=BB120_6 Depth=1
	s_or_b32 exec_lo, exec_lo, s64
	s_mov_b32 s20, 0
	s_and_saveexec_b32 s64, s6
	s_cbranch_execz .LBB120_266
; %bb.158:                              ;   in Loop: Header=BB120_6 Depth=1
	v_mov_b32_e32 v6, 1
	v_mov_b32_e32 v7, 0
	;; [unrolled: 1-line block ×3, first 2 shown]
	s_xor_b32 s21, s65, -1
	s_and_saveexec_b32 s6, s21
	s_cbranch_execz .LBB120_167
; %bb.159:                              ;   in Loop: Header=BB120_6 Depth=1
	s_mov_b32 s20, exec_lo
	v_cmpx_ge_u64_e64 s[14:15], v[4:5]
	s_xor_b32 s20, exec_lo, s20
	s_cbranch_execz .LBB120_164
; %bb.160:                              ;   in Loop: Header=BB120_6 Depth=1
	ds_read_b64 v[6:7], v3 offset:5120
	s_lshl_b32 s21, 1, s92
	v_or_b32_e32 v11, s11, v11
	v_and_or_b32 v10, v10, s26, s21
	s_waitcnt lgkmcnt(0)
	v_cmp_ne_u64_e32 vcc_lo, 0, v[6:7]
	s_cbranch_vccnz .LBB120_164
; %bb.161:                              ;   in Loop: Header=BB120_6 Depth=1
	s_and_saveexec_b32 s21, s3
; %bb.162:                              ;   in Loop: Header=BB120_6 Depth=1
	v_mov_b32_e32 v6, s14
	v_mov_b32_e32 v7, s15
	ds_write_b64 v3, v[6:7] offset:5128
; %bb.163:                              ;   in Loop: Header=BB120_6 Depth=1
	s_or_b32 exec_lo, exec_lo, s21
	s_waitcnt lgkmcnt(0)
	s_barrier
	buffer_gl0_inv
.LBB120_164:                            ;   in Loop: Header=BB120_6 Depth=1
	s_or_saveexec_b32 s20, s20
	v_mov_b32_e32 v2, 8
	s_mov_b32 s21, 0
	s_xor_b32 exec_lo, exec_lo, s20
; %bb.165:                              ;   in Loop: Header=BB120_6 Depth=1
	v_sub_co_u32 v4, vcc_lo, v4, s14
	v_subrev_co_ci_u32_e64 v5, null, s15, v5, vcc_lo
	v_mov_b32_e32 v2, 0
	s_mov_b32 s21, exec_lo
; %bb.166:                              ;   in Loop: Header=BB120_6 Depth=1
	s_or_b32 exec_lo, exec_lo, s20
	v_mov_b32_e32 v7, v5
	v_mov_b32_e32 v6, v4
	s_and_b32 s20, s21, exec_lo
.LBB120_167:                            ;   in Loop: Header=BB120_6 Depth=1
	s_or_b32 exec_lo, exec_lo, s6
	s_mov_b32 s6, -1
                                        ; implicit-def: $sgpr66
                                        ; implicit-def: $sgpr67
	s_and_saveexec_b32 s65, s20
	s_cbranch_execz .LBB120_265
; %bb.168:                              ;   in Loop: Header=BB120_6 Depth=1
	v_cmp_eq_u64_e32 vcc_lo, 1, v[6:7]
	s_cmp_eq_u64 s[16:17], 1
                                        ; implicit-def: $sgpr67
                                        ; implicit-def: $sgpr66
	s_cselect_b32 s6, -1, 0
	s_and_b32 s69, s6, vcc_lo
	s_mov_b32 s6, -1
	s_and_saveexec_b32 s68, s69
	s_cbranch_execz .LBB120_202
; %bb.169:                              ;   in Loop: Header=BB120_6 Depth=1
	ds_read_b64 v[4:5], v3 offset:5120
	s_waitcnt lgkmcnt(0)
	s_barrier
	buffer_gl0_inv
	v_readfirstlane_b32 s20, v4
	v_readfirstlane_b32 s21, v5
	s_and_saveexec_b32 s6, s10
; %bb.170:                              ;   in Loop: Header=BB120_6 Depth=1
	ds_write_b8 v0, v3 offset:3072
; %bb.171:                              ;   in Loop: Header=BB120_6 Depth=1
	s_or_b32 exec_lo, exec_lo, s6
	s_lshl_b32 s6, 2, s92
	v_or_b32_e32 v11, s11, v11
	v_and_or_b32 v10, v10, s26, s6
	s_mov_b32 s66, -1
	s_mov_b32 s67, 0
	s_cmp_eq_u64 s[20:21], 0
	s_mov_b32 s24, 0
	s_mov_b32 s6, -1
	s_waitcnt lgkmcnt(0)
	s_barrier
	buffer_gl0_inv
                                        ; implicit-def: $vgpr8
	s_cbranch_scc1 .LBB120_187
; %bb.172:                              ;   in Loop: Header=BB120_6 Depth=1
	s_add_u32 s6, s20, s80
	s_addc_u32 s23, s21, s81
	s_mov_b32 s22, s49
	s_cmp_lg_u64 s[22:23], 0
	s_cbranch_scc0 .LBB120_219
; %bb.173:                              ;   in Loop: Header=BB120_6 Depth=1
	v_cvt_f32_u32_e32 v4, s33
	s_sub_u32 s25, 0, s33
	s_subb_u32 s42, 0, 0
	v_fmac_f32_e64 v4, 0x4f800000, 0
	v_rcp_f32_e32 v4, v4
	v_mul_f32_e32 v4, 0x5f7ffffc, v4
	v_mul_f32_e32 v5, 0x2f800000, v4
	v_trunc_f32_e32 v5, v5
	v_fmac_f32_e32 v4, 0xcf800000, v5
	v_cvt_u32_f32_e32 v5, v5
	v_cvt_u32_f32_e32 v4, v4
	v_readfirstlane_b32 s22, v5
	v_readfirstlane_b32 s24, v4
	s_mul_i32 s43, s25, s22
	s_mul_hi_u32 s47, s25, s24
	s_mul_i32 s46, s42, s24
	s_add_i32 s43, s47, s43
	s_mul_i32 s48, s25, s24
	s_add_i32 s43, s43, s46
	s_mul_hi_u32 s47, s24, s48
	s_mul_i32 s70, s24, s43
	s_mul_hi_u32 s52, s22, s48
	s_mul_i32 s46, s22, s48
	s_mul_hi_u32 s48, s24, s43
	s_add_u32 s47, s47, s70
	s_addc_u32 s48, 0, s48
	s_mul_hi_u32 s71, s22, s43
	s_add_u32 s46, s47, s46
	s_mul_i32 s43, s22, s43
	s_addc_u32 s46, s48, s52
	s_addc_u32 s47, s71, 0
	s_add_u32 s43, s46, s43
	s_addc_u32 s46, 0, s47
	s_add_u32 s24, s24, s43
	s_cselect_b32 s43, -1, 0
	s_mul_hi_u32 s47, s25, s24
	s_cmp_lg_u32 s43, 0
	s_mul_i32 s43, s25, s24
	s_addc_u32 s22, s22, s46
	s_mul_i32 s42, s42, s24
	s_mul_i32 s25, s25, s22
	s_mul_hi_u32 s46, s24, s43
	s_add_i32 s25, s47, s25
	s_mul_hi_u32 s47, s22, s43
	s_add_i32 s25, s25, s42
	s_mul_i32 s42, s22, s43
	s_mul_i32 s52, s24, s25
	s_mul_hi_u32 s48, s24, s25
	s_add_u32 s46, s46, s52
	s_addc_u32 s48, 0, s48
	s_mul_hi_u32 s43, s22, s25
	s_add_u32 s42, s46, s42
	s_mul_i32 s25, s22, s25
	s_addc_u32 s42, s48, s47
	s_addc_u32 s43, s43, 0
	s_add_u32 s25, s42, s25
	s_addc_u32 s42, 0, s43
	s_add_u32 s24, s24, s25
	s_cselect_b32 s25, -1, 0
	s_mul_hi_u32 s43, s6, s24
	s_cmp_lg_u32 s25, 0
	s_mul_hi_u32 s25, s23, s24
	s_addc_u32 s22, s22, s42
	s_mul_i32 s24, s23, s24
	s_mul_i32 s46, s6, s22
	s_mul_hi_u32 s42, s6, s22
	s_add_u32 s43, s43, s46
	s_addc_u32 s42, 0, s42
	s_mul_hi_u32 s47, s23, s22
	s_add_u32 s24, s43, s24
	s_mul_i32 s22, s23, s22
	s_addc_u32 s24, s42, s25
	s_addc_u32 s25, s47, 0
	s_add_u32 s22, s24, s22
	s_addc_u32 s24, 0, s25
	s_mul_hi_u32 s25, s33, s22
	s_mul_i32 s24, s33, s24
	s_mul_i32 s22, s33, s22
	s_add_i32 s25, s25, s24
	s_sub_u32 s22, s6, s22
	s_cselect_b32 s24, -1, 0
	s_cmp_lg_u32 s24, 0
	s_subb_u32 s24, s23, s25
	s_sub_u32 s25, s22, s33
	s_cselect_b32 s42, -1, 0
	s_cmp_lg_u32 s42, 0
	s_subb_u32 s42, s24, 0
	;; [unrolled: 4-line block ×3, first 2 shown]
	s_cmp_ge_u32 s25, s33
	s_cselect_b32 s47, -1, 0
	s_cmp_eq_u32 s42, 0
	s_cselect_b32 s47, s47, -1
	s_cmp_lg_u32 s47, 0
	s_cselect_b32 s42, s46, s42
	s_cselect_b32 s43, s43, s25
	s_cmp_ge_u32 s22, s33
	s_cselect_b32 s25, -1, 0
	s_cmp_eq_u32 s24, 0
	s_cselect_b32 s25, s25, -1
	s_cmp_lg_u32 s25, 0
	s_cselect_b32 s25, s42, s24
	s_cselect_b32 s24, s43, s22
	s_cbranch_execnz .LBB120_175
.LBB120_174:                            ;   in Loop: Header=BB120_6 Depth=1
	v_cvt_f32_u32_e32 v4, s33
	s_sub_i32 s24, 0, s33
	v_rcp_iflag_f32_e32 v4, v4
	v_mul_f32_e32 v4, 0x4f7ffffe, v4
	v_cvt_u32_f32_e32 v4, v4
	v_readfirstlane_b32 s22, v4
	s_mul_i32 s24, s24, s22
	s_mul_hi_u32 s24, s22, s24
	s_add_i32 s22, s22, s24
	s_mul_hi_u32 s22, s6, s22
	s_mul_i32 s22, s22, s33
	s_sub_i32 s22, s6, s22
	s_sub_i32 s24, s22, s33
	s_cmp_ge_u32 s22, s33
	s_cselect_b32 s22, s24, s22
	s_sub_i32 s24, s22, s33
	s_cmp_ge_u32 s22, s33
	s_cselect_b32 s48, s24, s22
	s_mov_b64 s[24:25], s[48:49]
.LBB120_175:                            ;   in Loop: Header=BB120_6 Depth=1
	s_sub_u32 s22, s6, s24
	s_subb_u32 s23, s23, s25
	s_mov_b32 s6, 0
	s_mov_b32 s24, 0
	s_mov_b32 s25, exec_lo
                                        ; implicit-def: $vgpr8
	v_cmpx_gt_u64_e64 s[22:23], v[0:1]
	s_cbranch_execz .LBB120_186
; %bb.176:                              ;   in Loop: Header=BB120_6 Depth=1
	v_mov_b32_e32 v5, v1
	v_mov_b32_e32 v8, v0
	;; [unrolled: 1-line block ×3, first 2 shown]
                                        ; implicit-def: $sgpr42
	s_inst_prefetch 0x1
	s_branch .LBB120_179
	.p2align	6
.LBB120_177:                            ;   in Loop: Header=BB120_179 Depth=2
	s_or_b32 exec_lo, exec_lo, s43
	s_waitcnt lgkmcnt(0)
	s_barrier
	buffer_gl0_inv
	ds_read_u16 v9, v3 offset:3072
	s_mov_b32 s43, -1
	s_mov_b32 s48, -1
	s_waitcnt lgkmcnt(0)
	s_barrier
	buffer_gl0_inv
	v_cmp_ne_u32_sdwa s46, v9, v3 src0_sel:BYTE_0 src1_sel:DWORD
	s_and_b32 vcc_lo, exec_lo, s46
	s_cbranch_vccz .LBB120_182
.LBB120_178:                            ;   in Loop: Header=BB120_179 Depth=2
	s_and_b32 s8, exec_lo, s43
	s_or_b32 s24, s8, s24
	s_andn2_b32 s8, s42, exec_lo
	s_and_b32 s42, s48, exec_lo
	s_or_b32 s42, s8, s42
	s_andn2_b32 exec_lo, exec_lo, s24
	s_cbranch_execz .LBB120_185
.LBB120_179:                            ;   Parent Loop BB120_6 Depth=1
                                        ; =>  This Inner Loop Header: Depth=2
	s_mov_b32 s43, exec_lo
	v_cmpx_gt_u64_e64 s[20:21], v[4:5]
	s_cbranch_execz .LBB120_177
; %bb.180:                              ;   in Loop: Header=BB120_179 Depth=2
	ds_read_u8 v9, v8
	s_waitcnt lgkmcnt(0)
	v_and_b32_e32 v28, v9, v11
	v_cmp_eq_u32_sdwa s46, v28, v10 src0_sel:BYTE_0 src1_sel:DWORD
	s_and_b32 exec_lo, exec_lo, s46
	s_cbranch_execz .LBB120_177
; %bb.181:                              ;   in Loop: Header=BB120_179 Depth=2
	v_lshlrev_b16 v9, 8, v9
	v_or_b32_e32 v9, 1, v9
	ds_write_b16 v3, v9 offset:3072
	s_branch .LBB120_177
.LBB120_182:                            ;   in Loop: Header=BB120_179 Depth=2
	v_add_co_u32 v4, vcc_lo, v4, s33
	v_add_co_ci_u32_e64 v5, null, 0, v5, vcc_lo
	v_add_nc_u32_e32 v8, s33, v8
	s_mov_b32 s48, 0
	v_cmp_le_u64_e32 vcc_lo, s[22:23], v[4:5]
	s_orn2_b32 s43, vcc_lo, exec_lo
	s_branch .LBB120_178
.LBB120_183:                            ;   in Loop: Header=BB120_6 Depth=1
                                        ; implicit-def: $sgpr24_sgpr25
	s_branch .LBB120_129
.LBB120_184:                            ;   in Loop: Header=BB120_6 Depth=1
                                        ; implicit-def: $sgpr20_sgpr21
	s_branch .LBB120_145
.LBB120_185:                            ;   in Loop: Header=BB120_6 Depth=1
	s_inst_prefetch 0x2
	s_or_b32 exec_lo, exec_lo, s24
	v_lshrrev_b32_sdwa v8, v36, v9 dst_sel:DWORD dst_unused:UNUSED_PAD src0_sel:DWORD src1_sel:WORD_0
	s_and_b32 s24, s42, exec_lo
.LBB120_186:                            ;   in Loop: Header=BB120_6 Depth=1
	s_or_b32 exec_lo, exec_lo, s25
.LBB120_187:                            ;   in Loop: Header=BB120_6 Depth=1
	s_and_b32 vcc_lo, exec_lo, s6
	s_cbranch_vccz .LBB120_201
; %bb.188:                              ;   in Loop: Header=BB120_6 Depth=1
	s_mov_b32 s52, s49
	s_cmp_lg_u64 s[52:53], 0
	s_cbranch_scc0 .LBB120_220
; %bb.189:                              ;   in Loop: Header=BB120_6 Depth=1
	v_cvt_f32_u32_e32 v4, s33
	s_sub_u32 s21, 0, s33
	s_subb_u32 s22, 0, 0
	v_fmac_f32_e64 v4, 0x4f800000, 0
	v_rcp_f32_e32 v4, v4
	v_mul_f32_e32 v4, 0x5f7ffffc, v4
	v_mul_f32_e32 v5, 0x2f800000, v4
	v_trunc_f32_e32 v5, v5
	v_fmac_f32_e32 v4, 0xcf800000, v5
	v_cvt_u32_f32_e32 v5, v5
	v_cvt_u32_f32_e32 v4, v4
	v_readfirstlane_b32 s6, v5
	v_readfirstlane_b32 s20, v4
	s_mul_i32 s23, s21, s6
	s_mul_hi_u32 s42, s21, s20
	s_mul_i32 s25, s22, s20
	s_add_i32 s23, s42, s23
	s_mul_i32 s43, s21, s20
	s_add_i32 s23, s23, s25
	s_mul_hi_u32 s42, s20, s43
	s_mul_i32 s47, s20, s23
	s_mul_hi_u32 s46, s6, s43
	s_mul_i32 s25, s6, s43
	s_mul_hi_u32 s43, s20, s23
	s_add_u32 s42, s42, s47
	s_addc_u32 s43, 0, s43
	s_mul_hi_u32 s48, s6, s23
	s_add_u32 s25, s42, s25
	s_mul_i32 s23, s6, s23
	s_addc_u32 s25, s43, s46
	s_addc_u32 s42, s48, 0
	s_add_u32 s23, s25, s23
	s_addc_u32 s25, 0, s42
	s_add_u32 s20, s20, s23
	s_cselect_b32 s23, -1, 0
	s_mul_hi_u32 s42, s21, s20
	s_cmp_lg_u32 s23, 0
	s_mul_i32 s23, s21, s20
	s_addc_u32 s6, s6, s25
	s_mul_i32 s22, s22, s20
	s_mul_i32 s21, s21, s6
	s_mul_hi_u32 s25, s20, s23
	s_add_i32 s21, s42, s21
	s_mul_hi_u32 s42, s6, s23
	s_add_i32 s21, s21, s22
	s_mul_i32 s22, s6, s23
	s_mul_i32 s46, s20, s21
	s_mul_hi_u32 s43, s20, s21
	s_add_u32 s25, s25, s46
	s_addc_u32 s43, 0, s43
	s_mul_hi_u32 s23, s6, s21
	s_add_u32 s22, s25, s22
	s_mul_i32 s21, s6, s21
	s_addc_u32 s22, s43, s42
	s_addc_u32 s23, s23, 0
	s_add_u32 s21, s22, s21
	s_addc_u32 s22, 0, s23
	s_add_u32 s20, s20, s21
	s_cselect_b32 s21, -1, 0
	s_mul_hi_u32 s23, s82, s20
	s_cmp_lg_u32 s21, 0
	s_mul_hi_u32 s21, s53, s20
	s_addc_u32 s6, s6, s22
	s_mul_i32 s20, s53, s20
	s_mul_i32 s25, s82, s6
	s_mul_hi_u32 s22, s82, s6
	s_add_u32 s23, s23, s25
	s_addc_u32 s22, 0, s22
	s_mul_hi_u32 s42, s53, s6
	s_add_u32 s20, s23, s20
	s_mul_i32 s6, s53, s6
	s_addc_u32 s20, s22, s21
	s_addc_u32 s21, s42, 0
	s_add_u32 s6, s20, s6
	s_addc_u32 s20, 0, s21
	s_mul_hi_u32 s21, s33, s6
	s_mul_i32 s20, s33, s20
	s_mul_i32 s6, s33, s6
	s_add_i32 s21, s21, s20
	s_sub_u32 s6, s82, s6
	s_cselect_b32 s20, -1, 0
	s_cmp_lg_u32 s20, 0
	s_subb_u32 s20, s53, s21
	s_sub_u32 s21, s6, s33
	s_cselect_b32 s22, -1, 0
	s_cmp_lg_u32 s22, 0
	s_subb_u32 s22, s20, 0
	;; [unrolled: 4-line block ×3, first 2 shown]
	s_cmp_ge_u32 s21, s33
	s_cselect_b32 s42, -1, 0
	s_cmp_eq_u32 s22, 0
	s_cselect_b32 s42, s42, -1
	s_cmp_lg_u32 s42, 0
	s_cselect_b32 s22, s25, s22
	s_cselect_b32 s23, s23, s21
	s_cmp_ge_u32 s6, s33
	s_cselect_b32 s21, -1, 0
	s_cmp_eq_u32 s20, 0
	s_cselect_b32 s21, s21, -1
	s_cmp_lg_u32 s21, 0
	s_cselect_b32 s21, s22, s20
	s_cselect_b32 s20, s23, s6
	s_cbranch_execnz .LBB120_191
.LBB120_190:                            ;   in Loop: Header=BB120_6 Depth=1
	v_cvt_f32_u32_e32 v4, s33
	s_sub_i32 s20, 0, s33
	v_rcp_iflag_f32_e32 v4, v4
	v_mul_f32_e32 v4, 0x4f7ffffe, v4
	v_cvt_u32_f32_e32 v4, v4
	v_readfirstlane_b32 s6, v4
	s_mul_i32 s20, s20, s6
	s_mul_hi_u32 s20, s6, s20
	s_add_i32 s6, s6, s20
	s_mul_hi_u32 s6, s82, s6
	s_mul_i32 s6, s6, s33
	s_sub_i32 s6, s82, s6
	s_sub_i32 s20, s6, s33
	s_cmp_ge_u32 s6, s33
	s_cselect_b32 s6, s20, s6
	s_sub_i32 s20, s6, s33
	s_cmp_ge_u32 s6, s33
	s_cselect_b32 s48, s20, s6
	s_mov_b64 s[20:21], s[48:49]
.LBB120_191:                            ;   in Loop: Header=BB120_6 Depth=1
	s_sub_u32 s20, s82, s20
	s_subb_u32 s21, s53, s21
	s_mov_b32 s22, exec_lo
                                        ; implicit-def: $vgpr8
	v_cmpx_gt_u64_e64 s[20:21], v[0:1]
	s_cbranch_execz .LBB120_200
; %bb.192:                              ;   in Loop: Header=BB120_6 Depth=1
	v_mov_b32_e32 v4, v12
	v_mov_b32_e32 v9, v1
	;; [unrolled: 1-line block ×4, first 2 shown]
	s_mov_b32 s23, 0
                                        ; implicit-def: $sgpr25
	s_inst_prefetch 0x1
	s_branch .LBB120_195
	.p2align	6
.LBB120_193:                            ;   in Loop: Header=BB120_195 Depth=2
	s_or_b32 exec_lo, exec_lo, s6
	s_waitcnt lgkmcnt(0)
	s_barrier
	buffer_gl0_inv
	ds_read_u16 v28, v3 offset:3072
	s_mov_b32 s6, -1
	s_waitcnt lgkmcnt(0)
	s_barrier
	buffer_gl0_inv
	v_cmp_eq_u32_sdwa s42, v28, v3 src0_sel:BYTE_0 src1_sel:DWORD
	s_and_b32 vcc_lo, exec_lo, s42
	s_mov_b32 s42, -1
	s_cbranch_vccnz .LBB120_198
.LBB120_194:                            ;   in Loop: Header=BB120_195 Depth=2
	s_and_b32 s6, exec_lo, s6
	s_or_b32 s23, s6, s23
	s_andn2_b32 s6, s25, exec_lo
	s_and_b32 s8, s42, exec_lo
	s_or_b32 s25, s6, s8
	s_andn2_b32 exec_lo, exec_lo, s23
	s_cbranch_execz .LBB120_199
.LBB120_195:                            ;   Parent Loop BB120_6 Depth=1
                                        ; =>  This Inner Loop Header: Depth=2
	s_mov_b32 s6, exec_lo
	v_cmpx_gt_u64_e64 s[28:29], v[8:9]
	s_cbranch_execz .LBB120_193
; %bb.196:                              ;   in Loop: Header=BB120_195 Depth=2
	global_load_ubyte v28, v[4:5], off
	s_waitcnt vmcnt(0)
	v_and_b32_e32 v29, v28, v11
	v_cmp_eq_u32_sdwa s42, v29, v10 src0_sel:BYTE_0 src1_sel:DWORD
	s_and_b32 exec_lo, exec_lo, s42
	s_cbranch_execz .LBB120_193
; %bb.197:                              ;   in Loop: Header=BB120_195 Depth=2
	v_lshlrev_b16 v28, 8, v28
	v_or_b32_e32 v28, 1, v28
	ds_write_b16 v3, v28 offset:3072
	s_branch .LBB120_193
.LBB120_198:                            ;   in Loop: Header=BB120_195 Depth=2
	v_add_co_u32 v8, vcc_lo, v8, s33
	v_add_co_ci_u32_e64 v9, null, 0, v9, vcc_lo
	v_add_co_u32 v4, s6, v4, s72
	v_add_co_ci_u32_e64 v5, null, s41, v5, s6
	v_cmp_le_u64_e32 vcc_lo, s[20:21], v[8:9]
	s_mov_b32 s42, 0
	s_orn2_b32 s6, vcc_lo, exec_lo
	s_branch .LBB120_194
.LBB120_199:                            ;   in Loop: Header=BB120_6 Depth=1
	s_inst_prefetch 0x2
	s_or_b32 exec_lo, exec_lo, s23
	v_lshrrev_b32_sdwa v8, v36, v28 dst_sel:DWORD dst_unused:UNUSED_PAD src0_sel:DWORD src1_sel:WORD_0
	s_andn2_b32 s6, s24, exec_lo
	s_and_b32 s8, s25, exec_lo
	s_or_b32 s24, s6, s8
.LBB120_200:                            ;   in Loop: Header=BB120_6 Depth=1
	s_or_b32 exec_lo, exec_lo, s22
	s_mov_b32 s66, 0
	s_mov_b32 s67, -1
.LBB120_201:                            ;   in Loop: Header=BB120_6 Depth=1
	s_orn2_b32 s6, s24, exec_lo
.LBB120_202:                            ;   in Loop: Header=BB120_6 Depth=1
	s_or_b32 exec_lo, exec_lo, s68
	s_mov_b32 s20, 0
	s_and_saveexec_b32 s68, s6
	s_cbranch_execz .LBB120_264
; %bb.203:                              ;   in Loop: Header=BB120_6 Depth=1
	v_mov_b32_e32 v4, 1
	v_mov_b32_e32 v5, 0
	;; [unrolled: 1-line block ×3, first 2 shown]
	s_xor_b32 s20, s69, -1
	s_mov_b32 s21, 0
	s_and_saveexec_b32 s6, s20
	s_cbranch_execz .LBB120_212
; %bb.204:                              ;   in Loop: Header=BB120_6 Depth=1
	s_mov_b32 s20, exec_lo
	v_cmpx_ge_u64_e64 s[16:17], v[6:7]
	s_xor_b32 s20, exec_lo, s20
	s_cbranch_execz .LBB120_209
; %bb.205:                              ;   in Loop: Header=BB120_6 Depth=1
	ds_read_b64 v[4:5], v3 offset:5120
	s_lshl_b32 s21, 2, s92
	v_or_b32_e32 v11, s11, v11
	v_and_or_b32 v10, v10, s26, s21
	s_waitcnt lgkmcnt(0)
	v_cmp_ne_u64_e32 vcc_lo, 0, v[4:5]
	s_cbranch_vccnz .LBB120_209
; %bb.206:                              ;   in Loop: Header=BB120_6 Depth=1
	s_and_saveexec_b32 s21, s3
; %bb.207:                              ;   in Loop: Header=BB120_6 Depth=1
	v_mov_b32_e32 v4, s16
	v_mov_b32_e32 v5, s17
	ds_write_b64 v3, v[4:5] offset:5128
; %bb.208:                              ;   in Loop: Header=BB120_6 Depth=1
	s_or_b32 exec_lo, exec_lo, s21
	s_waitcnt lgkmcnt(0)
	s_barrier
	buffer_gl0_inv
.LBB120_209:                            ;   in Loop: Header=BB120_6 Depth=1
	s_or_saveexec_b32 s20, s20
	v_mov_b32_e32 v2, 8
	s_mov_b32 s21, 0
	s_xor_b32 exec_lo, exec_lo, s20
; %bb.210:                              ;   in Loop: Header=BB120_6 Depth=1
	v_sub_co_u32 v6, vcc_lo, v6, s16
	v_subrev_co_ci_u32_e64 v7, null, s17, v7, vcc_lo
	v_mov_b32_e32 v2, 0
	s_mov_b32 s21, exec_lo
; %bb.211:                              ;   in Loop: Header=BB120_6 Depth=1
	s_or_b32 exec_lo, exec_lo, s20
	v_mov_b32_e32 v4, v6
	v_mov_b32_e32 v5, v7
	s_and_b32 s21, s21, exec_lo
.LBB120_212:                            ;   in Loop: Header=BB120_6 Depth=1
	s_or_b32 exec_lo, exec_lo, s6
	s_mov_b32 s20, -1
                                        ; implicit-def: $sgpr52
                                        ; implicit-def: $sgpr6
	s_and_saveexec_b32 s69, s21
	s_cbranch_execz .LBB120_263
; %bb.213:                              ;   in Loop: Header=BB120_6 Depth=1
	v_cmp_eq_u64_e32 vcc_lo, 1, v[4:5]
	s_cmp_eq_u64 s[18:19], 1
	s_mov_b32 s21, -1
	s_cselect_b32 s6, -1, 0
                                        ; implicit-def: $sgpr52
	s_and_b32 s70, s6, vcc_lo
                                        ; implicit-def: $sgpr6
	s_and_saveexec_b32 s71, s70
	s_cbranch_execz .LBB120_251
; %bb.214:                              ;   in Loop: Header=BB120_6 Depth=1
	ds_read_b64 v[6:7], v3 offset:5120
	s_waitcnt lgkmcnt(0)
	s_barrier
	buffer_gl0_inv
	v_readfirstlane_b32 s20, v6
	v_readfirstlane_b32 s21, v7
	s_and_saveexec_b32 s6, s10
; %bb.215:                              ;   in Loop: Header=BB120_6 Depth=1
	ds_write_b8 v0, v3 offset:3072
; %bb.216:                              ;   in Loop: Header=BB120_6 Depth=1
	s_or_b32 exec_lo, exec_lo, s6
	v_or_b32_e32 v10, s11, v10
	v_or_b32_e32 v11, s11, v11
	s_mov_b32 s6, -1
	s_mov_b32 s52, 0
	s_cmp_eq_u64 s[20:21], 0
	s_mov_b32 s24, 0
	s_mov_b32 s25, -1
	s_waitcnt lgkmcnt(0)
	s_barrier
	buffer_gl0_inv
                                        ; implicit-def: $vgpr8
	s_cbranch_scc1 .LBB120_234
; %bb.217:                              ;   in Loop: Header=BB120_6 Depth=1
	s_add_u32 s42, s20, s80
	s_addc_u32 s23, s21, s81
	s_mov_b32 s22, s49
	v_writelane_b32 v57, s7, 7
	s_mov_b32 s34, s2
	s_mov_b32 s2, s74
	;; [unrolled: 1-line block ×3, first 2 shown]
	s_cmp_lg_u64 s[22:23], 0
	s_cbranch_scc0 .LBB120_221
; %bb.218:                              ;   in Loop: Header=BB120_6 Depth=1
	v_cvt_f32_u32_e32 v6, s33
	s_sub_u32 s25, 0, s33
	s_subb_u32 s43, 0, 0
	v_fmac_f32_e64 v6, 0x4f800000, 0
	v_rcp_f32_e32 v6, v6
	v_mul_f32_e32 v6, 0x5f7ffffc, v6
	v_mul_f32_e32 v7, 0x2f800000, v6
	v_trunc_f32_e32 v7, v7
	v_fmac_f32_e32 v6, 0xcf800000, v7
	v_cvt_u32_f32_e32 v7, v7
	v_cvt_u32_f32_e32 v6, v6
	v_readfirstlane_b32 s22, v7
	v_readfirstlane_b32 s24, v6
	s_mul_i32 s46, s25, s22
	s_mul_hi_u32 s48, s25, s24
	s_mul_i32 s47, s43, s24
	s_add_i32 s46, s48, s46
	s_mul_i32 vcc_lo, s25, s24
	s_add_i32 s46, s46, s47
	s_mul_hi_u32 s48, s24, vcc_lo
	s_mul_i32 s73, s24, s46
	s_mul_hi_u32 s8, s22, vcc_lo
	s_mul_i32 s47, s22, vcc_lo
	s_mul_hi_u32 vcc_lo, s24, s46
	s_add_u32 s48, s48, s73
	s_addc_u32 s73, 0, vcc_lo
	s_mul_hi_u32 s74, s22, s46
	s_add_u32 s47, s48, s47
	s_mul_i32 s46, s22, s46
	s_addc_u32 s8, s73, s8
	s_addc_u32 s47, s74, 0
	s_add_u32 s8, s8, s46
	s_addc_u32 s46, 0, s47
	s_add_u32 s8, s24, s8
	s_cselect_b32 s24, -1, 0
	s_mul_hi_u32 s47, s25, s8
	s_cmp_lg_u32 s24, 0
	s_mul_i32 s24, s25, s8
	s_addc_u32 s22, s22, s46
	s_mul_i32 s43, s43, s8
	s_mul_i32 s25, s25, s22
	s_mul_hi_u32 s46, s8, s24
	s_add_i32 s25, s47, s25
	s_mul_hi_u32 s47, s22, s24
	s_add_i32 s25, s25, s43
	s_mul_i32 s24, s22, s24
	s_mul_i32 s73, s8, s25
	s_mul_hi_u32 s48, s8, s25
	s_add_u32 s46, s46, s73
	s_addc_u32 s48, 0, s48
	s_mul_hi_u32 s43, s22, s25
	s_add_u32 s24, s46, s24
	s_mul_i32 s25, s22, s25
	s_addc_u32 s24, s48, s47
	s_addc_u32 s43, s43, 0
	s_add_u32 s24, s24, s25
	s_addc_u32 s25, 0, s43
	s_add_u32 s8, s8, s24
	s_cselect_b32 s24, -1, 0
	s_mul_hi_u32 s43, s42, s8
	s_cmp_lg_u32 s24, 0
	s_mul_hi_u32 s24, s23, s8
	s_addc_u32 s22, s22, s25
	s_mul_i32 s8, s23, s8
	s_mul_i32 s46, s42, s22
	s_mul_hi_u32 s25, s42, s22
	s_add_u32 s43, s43, s46
	s_addc_u32 s25, 0, s25
	s_mul_hi_u32 s47, s23, s22
	s_add_u32 s8, s43, s8
	s_mul_i32 s22, s23, s22
	s_addc_u32 s8, s25, s24
	s_addc_u32 s24, s47, 0
	s_add_u32 s8, s8, s22
	s_addc_u32 s22, 0, s24
	s_mul_hi_u32 s24, s33, s8
	s_mul_i32 s22, s33, s22
	s_mul_i32 s8, s33, s8
	s_add_i32 s24, s24, s22
	s_sub_u32 s8, s42, s8
	s_cselect_b32 s22, -1, 0
	s_cmp_lg_u32 s22, 0
	s_subb_u32 s22, s23, s24
	s_sub_u32 s24, s8, s33
	s_cselect_b32 s25, -1, 0
	s_cmp_lg_u32 s25, 0
	s_subb_u32 s25, s22, 0
	;; [unrolled: 4-line block ×3, first 2 shown]
	s_cmp_ge_u32 s24, s33
	s_cselect_b32 s47, -1, 0
	s_cmp_eq_u32 s25, 0
	s_cselect_b32 s47, s47, -1
	s_cmp_lg_u32 s47, 0
	s_cselect_b32 s25, s46, s25
	s_cselect_b32 s24, s43, s24
	s_cmp_ge_u32 s8, s33
	s_cselect_b32 s43, -1, 0
	s_cmp_eq_u32 s22, 0
	s_cselect_b32 s43, s43, -1
	s_cmp_lg_u32 s43, 0
	s_cselect_b32 s25, s25, s22
	s_cselect_b32 s24, s24, s8
	s_mov_b32 s22, 0
	s_branch .LBB120_222
.LBB120_219:                            ;   in Loop: Header=BB120_6 Depth=1
                                        ; implicit-def: $sgpr24_sgpr25
	s_branch .LBB120_174
.LBB120_220:                            ;   in Loop: Header=BB120_6 Depth=1
                                        ; implicit-def: $sgpr20_sgpr21
	s_branch .LBB120_190
.LBB120_221:                            ;   in Loop: Header=BB120_6 Depth=1
	s_mov_b32 s22, -1
                                        ; implicit-def: $sgpr24_sgpr25
.LBB120_222:                            ;   in Loop: Header=BB120_6 Depth=1
	s_andn2_b32 vcc_lo, exec_lo, s22
	s_cbranch_vccnz .LBB120_224
; %bb.223:                              ;   in Loop: Header=BB120_6 Depth=1
	v_cvt_f32_u32_e32 v6, s33
	s_sub_i32 s24, 0, s33
	v_rcp_iflag_f32_e32 v6, v6
	v_mul_f32_e32 v6, 0x4f7ffffe, v6
	v_cvt_u32_f32_e32 v6, v6
	v_readfirstlane_b32 s22, v6
	s_mul_i32 s24, s24, s22
	s_mul_hi_u32 s24, s22, s24
	s_add_i32 s22, s22, s24
	s_mul_hi_u32 s22, s42, s22
	s_mul_i32 s22, s22, s33
	s_sub_i32 s22, s42, s22
	s_sub_i32 s24, s22, s33
	s_cmp_ge_u32 s22, s33
	s_cselect_b32 s22, s24, s22
	s_sub_i32 s24, s22, s33
	s_cmp_ge_u32 s22, s33
	s_cselect_b32 s48, s24, s22
	s_mov_b64 s[24:25], s[48:49]
.LBB120_224:                            ;   in Loop: Header=BB120_6 Depth=1
	s_sub_u32 s22, s42, s24
	s_subb_u32 s23, s23, s25
	s_mov_b32 s25, 0
	s_mov_b32 s24, 0
	s_mov_b32 s42, exec_lo
                                        ; implicit-def: $vgpr8
	v_cmpx_gt_u64_e64 s[22:23], v[0:1]
	s_mov_b32 s74, s2
	s_mov_b32 s2, s34
	s_load_dwordx2 s[34:35], s[4:5], 0x0
	s_mov_b32 s73, s7
	v_readlane_b32 s7, v57, 7
	s_cbranch_execz .LBB120_233
; %bb.225:                              ;   in Loop: Header=BB120_6 Depth=1
	v_mov_b32_e32 v7, v1
	v_mov_b32_e32 v8, v0
	;; [unrolled: 1-line block ×3, first 2 shown]
                                        ; implicit-def: $sgpr43
	s_inst_prefetch 0x1
	s_branch .LBB120_228
	.p2align	6
.LBB120_226:                            ;   in Loop: Header=BB120_228 Depth=2
	s_or_b32 exec_lo, exec_lo, s48
	s_waitcnt lgkmcnt(0)
	s_barrier
	buffer_gl0_inv
	ds_read_u16 v9, v3 offset:3072
	s_mov_b32 s48, -1
	s_mov_b32 s46, -1
	s_waitcnt lgkmcnt(0)
	s_barrier
	buffer_gl0_inv
	v_cmp_ne_u32_sdwa s8, v9, v3 src0_sel:BYTE_0 src1_sel:DWORD
	s_and_b32 vcc_lo, exec_lo, s8
	s_cbranch_vccz .LBB120_231
.LBB120_227:                            ;   in Loop: Header=BB120_228 Depth=2
	s_and_b32 s8, exec_lo, s48
	s_or_b32 s24, s8, s24
	s_andn2_b32 s8, s43, exec_lo
	s_and_b32 s43, s46, exec_lo
	s_or_b32 s43, s8, s43
	s_andn2_b32 exec_lo, exec_lo, s24
	s_cbranch_execz .LBB120_232
.LBB120_228:                            ;   Parent Loop BB120_6 Depth=1
                                        ; =>  This Inner Loop Header: Depth=2
	s_mov_b32 s48, exec_lo
	v_cmpx_gt_u64_e64 s[20:21], v[6:7]
	s_cbranch_execz .LBB120_226
; %bb.229:                              ;   in Loop: Header=BB120_228 Depth=2
	ds_read_u8 v9, v8
	s_waitcnt lgkmcnt(0)
	v_and_b32_e32 v28, v9, v11
	v_cmp_eq_u32_sdwa s8, v28, v10 src0_sel:BYTE_0 src1_sel:DWORD
	s_and_b32 exec_lo, exec_lo, s8
	s_cbranch_execz .LBB120_226
; %bb.230:                              ;   in Loop: Header=BB120_228 Depth=2
	v_lshlrev_b16 v9, 8, v9
	v_or_b32_e32 v9, 1, v9
	ds_write_b16 v3, v9 offset:3072
	s_branch .LBB120_226
.LBB120_231:                            ;   in Loop: Header=BB120_228 Depth=2
	v_add_co_u32 v6, vcc_lo, v6, s33
	v_add_co_ci_u32_e64 v7, null, 0, v7, vcc_lo
	v_add_nc_u32_e32 v8, s33, v8
	s_mov_b32 s46, 0
	v_cmp_le_u64_e32 vcc_lo, s[22:23], v[6:7]
	s_orn2_b32 s48, vcc_lo, exec_lo
	s_branch .LBB120_227
.LBB120_232:                            ;   in Loop: Header=BB120_6 Depth=1
	s_inst_prefetch 0x2
	s_or_b32 exec_lo, exec_lo, s24
	v_lshrrev_b32_sdwa v8, v36, v9 dst_sel:DWORD dst_unused:UNUSED_PAD src0_sel:DWORD src1_sel:WORD_0
	s_and_b32 s24, s43, exec_lo
.LBB120_233:                            ;   in Loop: Header=BB120_6 Depth=1
	s_or_b32 exec_lo, exec_lo, s42
.LBB120_234:                            ;   in Loop: Header=BB120_6 Depth=1
	s_and_b32 vcc_lo, exec_lo, s25
	s_cbranch_vccz .LBB120_250
; %bb.235:                              ;   in Loop: Header=BB120_6 Depth=1
	s_mov_b32 s52, s49
	s_cmp_lg_u64 s[52:53], 0
	s_cbranch_scc0 .LBB120_237
; %bb.236:                              ;   in Loop: Header=BB120_6 Depth=1
	v_cvt_f32_u32_e32 v6, s33
	s_sub_u32 s20, 0, s33
	s_subb_u32 s21, 0, 0
	v_fmac_f32_e64 v6, 0x4f800000, 0
	v_rcp_f32_e32 v6, v6
	v_mul_f32_e32 v6, 0x5f7ffffc, v6
	v_mul_f32_e32 v7, 0x2f800000, v6
	v_trunc_f32_e32 v7, v7
	v_fmac_f32_e32 v6, 0xcf800000, v7
	v_cvt_u32_f32_e32 v7, v7
	v_cvt_u32_f32_e32 v6, v6
	v_readfirstlane_b32 s6, v7
	v_readfirstlane_b32 s8, v6
	s_mul_i32 s22, s20, s6
	s_mul_hi_u32 s25, s20, s8
	s_mul_i32 s23, s21, s8
	s_add_i32 s22, s25, s22
	s_mul_i32 s42, s20, s8
	s_add_i32 s22, s22, s23
	s_mul_hi_u32 s25, s8, s42
	s_mul_i32 s46, s8, s22
	s_mul_hi_u32 s43, s6, s42
	s_mul_i32 s23, s6, s42
	s_mul_hi_u32 s42, s8, s22
	s_add_u32 s25, s25, s46
	s_addc_u32 s42, 0, s42
	s_mul_hi_u32 s47, s6, s22
	s_add_u32 s23, s25, s23
	s_mul_i32 s22, s6, s22
	s_addc_u32 s23, s42, s43
	s_addc_u32 s25, s47, 0
	s_add_u32 s22, s23, s22
	s_addc_u32 s23, 0, s25
	s_add_u32 s8, s8, s22
	s_cselect_b32 s22, -1, 0
	s_mul_hi_u32 s25, s20, s8
	s_cmp_lg_u32 s22, 0
	s_mul_i32 s22, s20, s8
	s_addc_u32 s6, s6, s23
	s_mul_i32 s21, s21, s8
	s_mul_i32 s20, s20, s6
	s_mul_hi_u32 s23, s8, s22
	s_add_i32 s20, s25, s20
	s_mul_hi_u32 s25, s6, s22
	s_add_i32 s20, s20, s21
	s_mul_i32 s21, s6, s22
	s_mul_i32 s43, s8, s20
	s_mul_hi_u32 s42, s8, s20
	s_add_u32 s23, s23, s43
	s_addc_u32 s42, 0, s42
	s_mul_hi_u32 s22, s6, s20
	s_add_u32 s21, s23, s21
	s_mul_i32 s20, s6, s20
	s_addc_u32 s21, s42, s25
	s_addc_u32 s22, s22, 0
	s_add_u32 s20, s21, s20
	s_addc_u32 s21, 0, s22
	s_add_u32 s8, s8, s20
	s_cselect_b32 s20, -1, 0
	s_mul_hi_u32 s22, s82, s8
	s_cmp_lg_u32 s20, 0
	s_mul_hi_u32 s20, s53, s8
	s_addc_u32 s6, s6, s21
	s_mul_i32 s8, s53, s8
	s_mul_i32 s23, s82, s6
	s_mul_hi_u32 s21, s82, s6
	s_add_u32 s22, s22, s23
	s_addc_u32 s21, 0, s21
	s_mul_hi_u32 s25, s53, s6
	s_add_u32 s8, s22, s8
	s_mul_i32 s6, s53, s6
	s_addc_u32 s8, s21, s20
	s_addc_u32 s20, s25, 0
	s_add_u32 s6, s8, s6
	s_addc_u32 s8, 0, s20
	s_mul_hi_u32 s20, s33, s6
	s_mul_i32 s8, s33, s8
	s_mul_i32 s6, s33, s6
	s_add_i32 s20, s20, s8
	s_sub_u32 s6, s82, s6
	s_cselect_b32 s8, -1, 0
	s_cmp_lg_u32 s8, 0
	s_subb_u32 s8, s53, s20
	s_sub_u32 s20, s6, s33
	s_cselect_b32 s21, -1, 0
	s_cmp_lg_u32 s21, 0
	s_subb_u32 s21, s8, 0
	;; [unrolled: 4-line block ×3, first 2 shown]
	s_cmp_ge_u32 s20, s33
	s_cselect_b32 s25, -1, 0
	s_cmp_eq_u32 s21, 0
	s_cselect_b32 s25, s25, -1
	s_cmp_lg_u32 s25, 0
	s_cselect_b32 s21, s23, s21
	s_cselect_b32 s20, s22, s20
	s_cmp_ge_u32 s6, s33
	s_cselect_b32 s22, -1, 0
	s_cmp_eq_u32 s8, 0
	s_cselect_b32 s22, s22, -1
	s_cmp_lg_u32 s22, 0
	s_cselect_b32 s21, s21, s8
	s_cselect_b32 s20, s20, s6
	s_mov_b32 s6, 0
	s_branch .LBB120_238
.LBB120_237:                            ;   in Loop: Header=BB120_6 Depth=1
	s_mov_b32 s6, -1
                                        ; implicit-def: $sgpr20_sgpr21
.LBB120_238:                            ;   in Loop: Header=BB120_6 Depth=1
	s_andn2_b32 vcc_lo, exec_lo, s6
	s_cbranch_vccnz .LBB120_240
; %bb.239:                              ;   in Loop: Header=BB120_6 Depth=1
	v_cvt_f32_u32_e32 v6, s33
	s_sub_i32 s8, 0, s33
	v_rcp_iflag_f32_e32 v6, v6
	v_mul_f32_e32 v6, 0x4f7ffffe, v6
	v_cvt_u32_f32_e32 v6, v6
	v_readfirstlane_b32 s6, v6
	s_mul_i32 s8, s8, s6
	s_mul_hi_u32 s8, s6, s8
	s_add_i32 s6, s6, s8
	s_mul_hi_u32 s6, s82, s6
	s_mul_i32 s6, s6, s33
	s_sub_i32 s6, s82, s6
	s_sub_i32 s8, s6, s33
	s_cmp_ge_u32 s6, s33
	s_cselect_b32 s6, s8, s6
	s_sub_i32 s8, s6, s33
	s_cmp_ge_u32 s6, s33
	s_cselect_b32 s48, s8, s6
	s_mov_b64 s[20:21], s[48:49]
.LBB120_240:                            ;   in Loop: Header=BB120_6 Depth=1
	s_sub_u32 s20, s82, s20
	s_subb_u32 s21, s53, s21
	s_mov_b32 s22, exec_lo
                                        ; implicit-def: $vgpr8
	v_cmpx_gt_u64_e64 s[20:21], v[0:1]
	s_cbranch_execz .LBB120_249
; %bb.241:                              ;   in Loop: Header=BB120_6 Depth=1
	v_mov_b32_e32 v6, v12
	v_mov_b32_e32 v9, v1
	;; [unrolled: 1-line block ×4, first 2 shown]
	s_mov_b32 s23, 0
                                        ; implicit-def: $sgpr25
	s_inst_prefetch 0x1
	s_branch .LBB120_244
	.p2align	6
.LBB120_242:                            ;   in Loop: Header=BB120_244 Depth=2
	s_or_b32 exec_lo, exec_lo, s6
	s_waitcnt lgkmcnt(0)
	s_barrier
	buffer_gl0_inv
	ds_read_u16 v28, v3 offset:3072
	s_mov_b32 s6, -1
	s_mov_b32 s42, -1
	s_waitcnt lgkmcnt(0)
	s_barrier
	buffer_gl0_inv
	v_cmp_eq_u32_sdwa s8, v28, v3 src0_sel:BYTE_0 src1_sel:DWORD
	s_and_b32 vcc_lo, exec_lo, s8
	s_cbranch_vccnz .LBB120_247
.LBB120_243:                            ;   in Loop: Header=BB120_244 Depth=2
	s_and_b32 s6, exec_lo, s6
	s_or_b32 s23, s6, s23
	s_andn2_b32 s6, s25, exec_lo
	s_and_b32 s8, s42, exec_lo
	s_or_b32 s25, s6, s8
	s_andn2_b32 exec_lo, exec_lo, s23
	s_cbranch_execz .LBB120_248
.LBB120_244:                            ;   Parent Loop BB120_6 Depth=1
                                        ; =>  This Inner Loop Header: Depth=2
	s_mov_b32 s6, exec_lo
	v_cmpx_gt_u64_e64 s[28:29], v[8:9]
	s_cbranch_execz .LBB120_242
; %bb.245:                              ;   in Loop: Header=BB120_244 Depth=2
	global_load_ubyte v28, v[6:7], off
	s_waitcnt vmcnt(0)
	v_and_b32_e32 v29, v28, v11
	v_cmp_eq_u32_sdwa s8, v29, v10 src0_sel:BYTE_0 src1_sel:DWORD
	s_and_b32 exec_lo, exec_lo, s8
	s_cbranch_execz .LBB120_242
; %bb.246:                              ;   in Loop: Header=BB120_244 Depth=2
	v_lshlrev_b16 v28, 8, v28
	v_or_b32_e32 v28, 1, v28
	ds_write_b16 v3, v28 offset:3072
	s_branch .LBB120_242
.LBB120_247:                            ;   in Loop: Header=BB120_244 Depth=2
	v_add_co_u32 v8, vcc_lo, v8, s33
	v_add_co_ci_u32_e64 v9, null, 0, v9, vcc_lo
	v_add_co_u32 v6, s6, v6, s72
	v_add_co_ci_u32_e64 v7, null, s41, v7, s6
	v_cmp_le_u64_e32 vcc_lo, s[20:21], v[8:9]
	s_mov_b32 s42, 0
	s_orn2_b32 s6, vcc_lo, exec_lo
	s_branch .LBB120_243
.LBB120_248:                            ;   in Loop: Header=BB120_6 Depth=1
	s_inst_prefetch 0x2
	s_or_b32 exec_lo, exec_lo, s23
	v_lshrrev_b32_sdwa v8, v36, v28 dst_sel:DWORD dst_unused:UNUSED_PAD src0_sel:DWORD src1_sel:WORD_0
	s_andn2_b32 s6, s24, exec_lo
	s_and_b32 s8, s25, exec_lo
	s_or_b32 s24, s6, s8
.LBB120_249:                            ;   in Loop: Header=BB120_6 Depth=1
	s_or_b32 exec_lo, exec_lo, s22
	s_mov_b32 s6, 0
	s_mov_b32 s52, -1
.LBB120_250:                            ;   in Loop: Header=BB120_6 Depth=1
	s_orn2_b32 s21, s24, exec_lo
.LBB120_251:                            ;   in Loop: Header=BB120_6 Depth=1
	s_or_b32 exec_lo, exec_lo, s71
	s_mov_b32 s22, 0
	s_and_saveexec_b32 s20, s21
	s_cbranch_execz .LBB120_262
; %bb.252:                              ;   in Loop: Header=BB120_6 Depth=1
	v_mov_b32_e32 v6, 1
	v_mov_b32_e32 v7, 0
	;; [unrolled: 1-line block ×3, first 2 shown]
	s_xor_b32 s8, s70, -1
	s_and_saveexec_b32 s21, s8
	s_cbranch_execz .LBB120_261
; %bb.253:                              ;   in Loop: Header=BB120_6 Depth=1
	s_mov_b32 s8, exec_lo
	v_cmpx_ge_u64_e64 s[18:19], v[4:5]
	s_xor_b32 s22, exec_lo, s8
	s_cbranch_execz .LBB120_258
; %bb.254:                              ;   in Loop: Header=BB120_6 Depth=1
	ds_read_b64 v[6:7], v3 offset:5120
	v_or_b32_e32 v10, s11, v10
	v_or_b32_e32 v11, s11, v11
	s_waitcnt lgkmcnt(0)
	v_cmp_ne_u64_e32 vcc_lo, 0, v[6:7]
	s_cbranch_vccnz .LBB120_258
; %bb.255:                              ;   in Loop: Header=BB120_6 Depth=1
	s_and_saveexec_b32 s23, s3
; %bb.256:                              ;   in Loop: Header=BB120_6 Depth=1
	v_mov_b32_e32 v6, s18
	v_mov_b32_e32 v7, s19
	ds_write_b64 v3, v[6:7] offset:5128
; %bb.257:                              ;   in Loop: Header=BB120_6 Depth=1
	s_or_b32 exec_lo, exec_lo, s23
	s_waitcnt lgkmcnt(0)
	s_barrier
	buffer_gl0_inv
.LBB120_258:                            ;   in Loop: Header=BB120_6 Depth=1
	s_andn2_saveexec_b32 s22, s22
; %bb.259:                              ;   in Loop: Header=BB120_6 Depth=1
	v_sub_co_u32 v4, vcc_lo, v4, s18
	v_subrev_co_ci_u32_e64 v5, null, s19, v5, vcc_lo
; %bb.260:                              ;   in Loop: Header=BB120_6 Depth=1
	s_or_b32 exec_lo, exec_lo, s22
	v_mov_b32_e32 v7, v5
	v_mov_b32_e32 v2, 8
	;; [unrolled: 1-line block ×3, first 2 shown]
.LBB120_261:                            ;   in Loop: Header=BB120_6 Depth=1
	s_or_b32 exec_lo, exec_lo, s21
	v_mov_b32_e32 v4, v6
	v_mov_b32_e32 v5, v7
	s_mov_b32 s22, exec_lo
.LBB120_262:                            ;   in Loop: Header=BB120_6 Depth=1
	s_or_b32 exec_lo, exec_lo, s20
	s_orn2_b32 s20, s22, exec_lo
.LBB120_263:                            ;   in Loop: Header=BB120_6 Depth=1
	s_or_b32 exec_lo, exec_lo, s69
	v_mov_b32_e32 v7, v5
	v_mov_b32_e32 v6, v4
	s_andn2_b32 s21, s67, exec_lo
	s_and_b32 s22, s52, exec_lo
	s_andn2_b32 s23, s66, exec_lo
	s_and_b32 s6, s6, exec_lo
	s_or_b32 s67, s21, s22
	s_or_b32 s66, s23, s6
	s_and_b32 s20, s20, exec_lo
.LBB120_264:                            ;   in Loop: Header=BB120_6 Depth=1
	s_or_b32 exec_lo, exec_lo, s68
	s_orn2_b32 s6, s20, exec_lo
.LBB120_265:                            ;   in Loop: Header=BB120_6 Depth=1
	s_or_b32 exec_lo, exec_lo, s65
	v_mov_b32_e32 v4, v6
	v_mov_b32_e32 v5, v7
	s_andn2_b32 s20, s63, exec_lo
	s_and_b32 s21, s67, exec_lo
	s_andn2_b32 s22, s58, exec_lo
	s_and_b32 s23, s66, exec_lo
	s_or_b32 s63, s20, s21
	s_or_b32 s58, s22, s23
	s_and_b32 s20, s6, exec_lo
.LBB120_266:                            ;   in Loop: Header=BB120_6 Depth=1
	s_or_b32 exec_lo, exec_lo, s64
	s_orn2_b32 s6, s20, exec_lo
.LBB120_267:                            ;   in Loop: Header=BB120_6 Depth=1
	s_or_b32 exec_lo, exec_lo, s45
	s_mov_b32 s20, 0
	s_mov_b32 s21, 0
	s_and_saveexec_b32 s22, s6
	s_xor_b32 s22, exec_lo, s22
; %bb.268:                              ;   in Loop: Header=BB120_6 Depth=1
	v_cmp_ne_u32_e32 vcc_lo, 8, v2
	v_cmp_eq_u32_e64 s6, 8, v2
	s_and_b32 s21, vcc_lo, exec_lo
	s_and_b32 s20, s6, exec_lo
; %bb.269:                              ;   in Loop: Header=BB120_6 Depth=1
	s_or_b32 exec_lo, exec_lo, s22
	s_andn2_b32 s6, s60, exec_lo
	s_and_b32 s22, s63, exec_lo
	s_andn2_b32 s23, s59, exec_lo
	s_and_b32 s24, s58, exec_lo
	s_or_b32 s60, s6, s22
	s_or_b32 s59, s23, s24
	s_and_b32 s45, s21, exec_lo
	s_and_b32 s58, s20, exec_lo
.LBB120_270:                            ;   in Loop: Header=BB120_6 Depth=1
	s_or_b32 exec_lo, exec_lo, s62
.LBB120_271:                            ;   in Loop: Header=BB120_6 Depth=1
	s_and_b32 vcc_lo, exec_lo, s61
	s_cbranch_vccz .LBB120_287
; %bb.272:                              ;   in Loop: Header=BB120_6 Depth=1
	s_cmp_eq_u64 s[18:19], 1
                                        ; implicit-def: $sgpr27
	s_cselect_b32 s6, -1, 0
	s_and_b32 s59, s6, s9
	s_mov_b32 s6, -1
                                        ; implicit-def: $sgpr9
	s_and_saveexec_b32 s60, s59
	s_cbranch_execz .LBB120_305
; %bb.273:                              ;   in Loop: Header=BB120_6 Depth=1
	ds_read_b64 v[4:5], v3 offset:5120
	s_waitcnt lgkmcnt(0)
	s_barrier
	buffer_gl0_inv
	v_readfirstlane_b32 s20, v4
	v_readfirstlane_b32 s21, v5
	s_and_saveexec_b32 s6, s10
; %bb.274:                              ;   in Loop: Header=BB120_6 Depth=1
	ds_write_b8 v0, v3 offset:3072
; %bb.275:                              ;   in Loop: Header=BB120_6 Depth=1
	s_or_b32 exec_lo, exec_lo, s6
	v_or_b32_e32 v20, s11, v20
	v_or_b32_e32 v37, s11, v37
	s_mov_b32 s27, -1
	s_mov_b32 s9, 0
	s_cmp_eq_u64 s[20:21], 0
	s_mov_b32 s24, 0
	s_mov_b32 s6, -1
	s_waitcnt lgkmcnt(0)
	s_barrier
	buffer_gl0_inv
                                        ; implicit-def: $vgpr38
	s_cbranch_scc1 .LBB120_290
; %bb.276:                              ;   in Loop: Header=BB120_6 Depth=1
	s_add_u32 s6, s20, s80
	s_addc_u32 s23, s21, s81
	s_mov_b32 s22, s49
	s_cmp_lg_u64 s[22:23], 0
	s_cbranch_scc0 .LBB120_331
; %bb.277:                              ;   in Loop: Header=BB120_6 Depth=1
	v_cvt_f32_u32_e32 v2, s33
	s_sub_u32 s25, 0, s33
	s_subb_u32 s42, 0, 0
	v_fmac_f32_e64 v2, 0x4f800000, 0
	v_rcp_f32_e32 v2, v2
	v_mul_f32_e32 v2, 0x5f7ffffc, v2
	v_mul_f32_e32 v4, 0x2f800000, v2
	v_trunc_f32_e32 v4, v4
	v_fmac_f32_e32 v2, 0xcf800000, v4
	v_cvt_u32_f32_e32 v4, v4
	v_cvt_u32_f32_e32 v2, v2
	v_readfirstlane_b32 s22, v4
	v_readfirstlane_b32 s24, v2
	s_mul_i32 s43, s25, s22
	s_mul_hi_u32 s47, s25, s24
	s_mul_i32 s46, s42, s24
	s_add_i32 s43, s47, s43
	s_mul_i32 s48, s25, s24
	s_add_i32 s43, s43, s46
	s_mul_hi_u32 s47, s24, s48
	s_mul_i32 s61, s24, s43
	s_mul_hi_u32 s52, s22, s48
	s_mul_i32 s46, s22, s48
	s_mul_hi_u32 s48, s24, s43
	s_add_u32 s47, s47, s61
	s_addc_u32 s48, 0, s48
	s_mul_hi_u32 s62, s22, s43
	s_add_u32 s46, s47, s46
	s_mul_i32 s43, s22, s43
	s_addc_u32 s46, s48, s52
	s_addc_u32 s47, s62, 0
	s_add_u32 s43, s46, s43
	s_addc_u32 s46, 0, s47
	s_add_u32 s24, s24, s43
	s_cselect_b32 s43, -1, 0
	s_mul_hi_u32 s47, s25, s24
	s_cmp_lg_u32 s43, 0
	s_mul_i32 s43, s25, s24
	s_addc_u32 s22, s22, s46
	s_mul_i32 s42, s42, s24
	s_mul_i32 s25, s25, s22
	s_mul_hi_u32 s46, s24, s43
	s_add_i32 s25, s47, s25
	s_mul_hi_u32 s47, s22, s43
	s_add_i32 s25, s25, s42
	s_mul_i32 s42, s22, s43
	s_mul_i32 s52, s24, s25
	s_mul_hi_u32 s48, s24, s25
	s_add_u32 s46, s46, s52
	s_addc_u32 s48, 0, s48
	s_mul_hi_u32 s43, s22, s25
	s_add_u32 s42, s46, s42
	s_mul_i32 s25, s22, s25
	s_addc_u32 s42, s48, s47
	s_addc_u32 s43, s43, 0
	s_add_u32 s25, s42, s25
	s_addc_u32 s42, 0, s43
	s_add_u32 s24, s24, s25
	s_cselect_b32 s25, -1, 0
	s_mul_hi_u32 s43, s6, s24
	s_cmp_lg_u32 s25, 0
	s_mul_hi_u32 s25, s23, s24
	s_addc_u32 s22, s22, s42
	s_mul_i32 s24, s23, s24
	s_mul_i32 s46, s6, s22
	s_mul_hi_u32 s42, s6, s22
	s_add_u32 s43, s43, s46
	s_addc_u32 s42, 0, s42
	s_mul_hi_u32 s47, s23, s22
	s_add_u32 s24, s43, s24
	s_mul_i32 s22, s23, s22
	s_addc_u32 s24, s42, s25
	s_addc_u32 s25, s47, 0
	s_add_u32 s22, s24, s22
	s_addc_u32 s24, 0, s25
	s_mul_hi_u32 s25, s33, s22
	s_mul_i32 s24, s33, s24
	s_mul_i32 s22, s33, s22
	s_add_i32 s25, s25, s24
	s_sub_u32 s22, s6, s22
	s_cselect_b32 s24, -1, 0
	s_cmp_lg_u32 s24, 0
	s_subb_u32 s24, s23, s25
	s_sub_u32 s25, s22, s33
	s_cselect_b32 s42, -1, 0
	s_cmp_lg_u32 s42, 0
	s_subb_u32 s42, s24, 0
	;; [unrolled: 4-line block ×3, first 2 shown]
	s_cmp_ge_u32 s25, s33
	s_cselect_b32 s47, -1, 0
	s_cmp_eq_u32 s42, 0
	s_cselect_b32 s47, s47, -1
	s_cmp_lg_u32 s47, 0
	s_cselect_b32 s42, s46, s42
	s_cselect_b32 s43, s43, s25
	s_cmp_ge_u32 s22, s33
	s_cselect_b32 s25, -1, 0
	s_cmp_eq_u32 s24, 0
	s_cselect_b32 s25, s25, -1
	s_cmp_lg_u32 s25, 0
	s_cselect_b32 s25, s42, s24
	s_cselect_b32 s24, s43, s22
	s_cbranch_execnz .LBB120_279
.LBB120_278:                            ;   in Loop: Header=BB120_6 Depth=1
	v_cvt_f32_u32_e32 v2, s33
	s_sub_i32 s24, 0, s33
	v_rcp_iflag_f32_e32 v2, v2
	v_mul_f32_e32 v2, 0x4f7ffffe, v2
	v_cvt_u32_f32_e32 v2, v2
	v_readfirstlane_b32 s22, v2
	s_mul_i32 s24, s24, s22
	s_mul_hi_u32 s24, s22, s24
	s_add_i32 s22, s22, s24
	s_mul_hi_u32 s22, s6, s22
	s_mul_i32 s22, s22, s33
	s_sub_i32 s22, s6, s22
	s_sub_i32 s24, s22, s33
	s_cmp_ge_u32 s22, s33
	s_cselect_b32 s22, s24, s22
	s_sub_i32 s24, s22, s33
	s_cmp_ge_u32 s22, s33
	s_cselect_b32 s48, s24, s22
	s_mov_b64 s[24:25], s[48:49]
.LBB120_279:                            ;   in Loop: Header=BB120_6 Depth=1
	s_sub_u32 s22, s6, s24
	s_subb_u32 s23, s23, s25
	s_mov_b32 s6, 0
	s_mov_b32 s24, 0
	s_mov_b32 s25, exec_lo
                                        ; implicit-def: $vgpr38
	v_cmpx_gt_u64_e64 s[22:23], v[0:1]
	s_cbranch_execz .LBB120_289
; %bb.280:                              ;   in Loop: Header=BB120_6 Depth=1
	v_mov_b32_e32 v5, v1
	v_mov_b32_e32 v2, v0
	;; [unrolled: 1-line block ×3, first 2 shown]
                                        ; implicit-def: $sgpr42
	s_inst_prefetch 0x1
	s_branch .LBB120_283
	.p2align	6
.LBB120_281:                            ;   in Loop: Header=BB120_283 Depth=2
	s_or_b32 exec_lo, exec_lo, s43
	s_waitcnt lgkmcnt(0)
	s_barrier
	buffer_gl0_inv
	ds_read_u16 v6, v3 offset:3072
	s_mov_b32 s43, -1
	s_waitcnt lgkmcnt(0)
	s_barrier
	buffer_gl0_inv
	v_cmp_ne_u32_sdwa s46, v6, v3 src0_sel:BYTE_0 src1_sel:DWORD
	s_and_b32 vcc_lo, exec_lo, s46
	s_mov_b32 s46, -1
	s_cbranch_vccz .LBB120_286
.LBB120_282:                            ;   in Loop: Header=BB120_283 Depth=2
	s_and_b32 s8, exec_lo, s43
	s_or_b32 s24, s8, s24
	s_andn2_b32 s8, s42, exec_lo
	s_and_b32 s42, s46, exec_lo
	s_or_b32 s42, s8, s42
	s_andn2_b32 exec_lo, exec_lo, s24
	s_cbranch_execz .LBB120_288
.LBB120_283:                            ;   Parent Loop BB120_6 Depth=1
                                        ; =>  This Inner Loop Header: Depth=2
	s_mov_b32 s43, exec_lo
	v_cmpx_gt_u64_e64 s[20:21], v[4:5]
	s_cbranch_execz .LBB120_281
; %bb.284:                              ;   in Loop: Header=BB120_283 Depth=2
	ds_read_u8 v6, v2
	s_waitcnt lgkmcnt(0)
	v_and_b32_e32 v7, v6, v37
	v_cmp_eq_u32_sdwa s46, v7, v20 src0_sel:BYTE_0 src1_sel:DWORD
	s_and_b32 exec_lo, exec_lo, s46
	s_cbranch_execz .LBB120_281
; %bb.285:                              ;   in Loop: Header=BB120_283 Depth=2
	v_lshlrev_b16 v6, 8, v6
	v_or_b32_e32 v6, 1, v6
	ds_write_b16 v3, v6 offset:3072
	s_branch .LBB120_281
.LBB120_286:                            ;   in Loop: Header=BB120_283 Depth=2
	v_add_co_u32 v4, vcc_lo, v4, s33
	v_add_co_ci_u32_e64 v5, null, 0, v5, vcc_lo
	v_add_nc_u32_e32 v2, s33, v2
	s_mov_b32 s46, 0
	v_cmp_le_u64_e32 vcc_lo, s[22:23], v[4:5]
	s_orn2_b32 s43, vcc_lo, exec_lo
	s_branch .LBB120_282
.LBB120_287:                            ;   in Loop: Header=BB120_6 Depth=1
	v_mov_b32_e32 v20, v10
	v_mov_b32_e32 v37, v11
	;; [unrolled: 1-line block ×3, first 2 shown]
	s_mov_b32 s9, 0
	s_and_saveexec_b32 s6, s58
	s_cbranch_execnz .LBB120_464
	s_branch .LBB120_465
.LBB120_288:                            ;   in Loop: Header=BB120_6 Depth=1
	s_inst_prefetch 0x2
	s_or_b32 exec_lo, exec_lo, s24
	v_lshrrev_b32_sdwa v38, v36, v6 dst_sel:DWORD dst_unused:UNUSED_PAD src0_sel:DWORD src1_sel:WORD_0
	s_and_b32 s24, s42, exec_lo
.LBB120_289:                            ;   in Loop: Header=BB120_6 Depth=1
	s_or_b32 exec_lo, exec_lo, s25
.LBB120_290:                            ;   in Loop: Header=BB120_6 Depth=1
	s_and_b32 vcc_lo, exec_lo, s6
	s_cbranch_vccz .LBB120_304
; %bb.291:                              ;   in Loop: Header=BB120_6 Depth=1
	s_mov_b32 s52, s49
	s_cmp_lg_u64 s[52:53], 0
	s_cbranch_scc0 .LBB120_332
; %bb.292:                              ;   in Loop: Header=BB120_6 Depth=1
	v_cvt_f32_u32_e32 v2, s33
	s_sub_u32 s20, 0, s33
	s_subb_u32 s21, 0, 0
	v_fmac_f32_e64 v2, 0x4f800000, 0
	v_rcp_f32_e32 v2, v2
	v_mul_f32_e32 v2, 0x5f7ffffc, v2
	v_mul_f32_e32 v4, 0x2f800000, v2
	v_trunc_f32_e32 v4, v4
	v_fmac_f32_e32 v2, 0xcf800000, v4
	v_cvt_u32_f32_e32 v4, v4
	v_cvt_u32_f32_e32 v2, v2
	v_readfirstlane_b32 s6, v4
	v_readfirstlane_b32 s9, v2
	s_mul_i32 s22, s20, s6
	s_mul_hi_u32 s25, s20, s9
	s_mul_i32 s23, s21, s9
	s_add_i32 s22, s25, s22
	s_mul_i32 s27, s20, s9
	s_add_i32 s22, s22, s23
	s_mul_hi_u32 s25, s9, s27
	s_mul_i32 s43, s9, s22
	s_mul_hi_u32 s42, s6, s27
	s_mul_i32 s23, s6, s27
	s_mul_hi_u32 s27, s9, s22
	s_add_u32 s25, s25, s43
	s_addc_u32 s27, 0, s27
	s_mul_hi_u32 s46, s6, s22
	s_add_u32 s23, s25, s23
	s_mul_i32 s22, s6, s22
	s_addc_u32 s23, s27, s42
	s_addc_u32 s25, s46, 0
	s_add_u32 s22, s23, s22
	s_addc_u32 s23, 0, s25
	s_add_u32 s9, s9, s22
	s_cselect_b32 s22, -1, 0
	s_mul_hi_u32 s25, s20, s9
	s_cmp_lg_u32 s22, 0
	s_mul_i32 s22, s20, s9
	s_addc_u32 s6, s6, s23
	s_mul_i32 s21, s21, s9
	s_mul_i32 s20, s20, s6
	s_mul_hi_u32 s23, s9, s22
	s_add_i32 s20, s25, s20
	s_mul_hi_u32 s25, s6, s22
	s_add_i32 s20, s20, s21
	s_mul_i32 s21, s6, s22
	s_mul_i32 s42, s9, s20
	s_mul_hi_u32 s27, s9, s20
	s_add_u32 s23, s23, s42
	s_addc_u32 s27, 0, s27
	s_mul_hi_u32 s22, s6, s20
	s_add_u32 s21, s23, s21
	s_mul_i32 s20, s6, s20
	s_addc_u32 s21, s27, s25
	s_addc_u32 s22, s22, 0
	s_add_u32 s20, s21, s20
	s_addc_u32 s21, 0, s22
	s_add_u32 s9, s9, s20
	s_cselect_b32 s20, -1, 0
	s_mul_hi_u32 s22, s82, s9
	s_cmp_lg_u32 s20, 0
	s_mul_hi_u32 s20, s53, s9
	s_addc_u32 s6, s6, s21
	s_mul_i32 s9, s53, s9
	s_mul_i32 s23, s82, s6
	s_mul_hi_u32 s21, s82, s6
	s_add_u32 s22, s22, s23
	s_addc_u32 s21, 0, s21
	s_mul_hi_u32 s25, s53, s6
	s_add_u32 s9, s22, s9
	s_mul_i32 s6, s53, s6
	s_addc_u32 s9, s21, s20
	s_addc_u32 s20, s25, 0
	s_add_u32 s6, s9, s6
	s_addc_u32 s9, 0, s20
	s_mul_hi_u32 s20, s33, s6
	s_mul_i32 s9, s33, s9
	s_mul_i32 s6, s33, s6
	s_add_i32 s20, s20, s9
	s_sub_u32 s6, s82, s6
	s_cselect_b32 s9, -1, 0
	s_cmp_lg_u32 s9, 0
	s_subb_u32 s9, s53, s20
	s_sub_u32 s20, s6, s33
	s_cselect_b32 s21, -1, 0
	s_cmp_lg_u32 s21, 0
	s_subb_u32 s21, s9, 0
	;; [unrolled: 4-line block ×3, first 2 shown]
	s_cmp_ge_u32 s20, s33
	s_cselect_b32 s25, -1, 0
	s_cmp_eq_u32 s21, 0
	s_cselect_b32 s25, s25, -1
	s_cmp_lg_u32 s25, 0
	s_cselect_b32 s21, s23, s21
	s_cselect_b32 s20, s22, s20
	s_cmp_ge_u32 s6, s33
	s_cselect_b32 s22, -1, 0
	s_cmp_eq_u32 s9, 0
	s_cselect_b32 s22, s22, -1
	s_cmp_lg_u32 s22, 0
	s_cselect_b32 s21, s21, s9
	s_cselect_b32 s20, s20, s6
	s_cbranch_execnz .LBB120_294
.LBB120_293:                            ;   in Loop: Header=BB120_6 Depth=1
	v_cvt_f32_u32_e32 v2, s33
	s_sub_i32 s9, 0, s33
	v_rcp_iflag_f32_e32 v2, v2
	v_mul_f32_e32 v2, 0x4f7ffffe, v2
	v_cvt_u32_f32_e32 v2, v2
	v_readfirstlane_b32 s6, v2
	s_mul_i32 s9, s9, s6
	s_mul_hi_u32 s9, s6, s9
	s_add_i32 s6, s6, s9
	s_mul_hi_u32 s6, s82, s6
	s_mul_i32 s6, s6, s33
	s_sub_i32 s6, s82, s6
	s_sub_i32 s9, s6, s33
	s_cmp_ge_u32 s6, s33
	s_cselect_b32 s6, s9, s6
	s_sub_i32 s9, s6, s33
	s_cmp_ge_u32 s6, s33
	s_cselect_b32 s48, s9, s6
	s_mov_b64 s[20:21], s[48:49]
.LBB120_294:                            ;   in Loop: Header=BB120_6 Depth=1
	s_sub_u32 s20, s82, s20
	s_subb_u32 s21, s53, s21
	s_mov_b32 s9, exec_lo
                                        ; implicit-def: $vgpr38
	v_cmpx_gt_u64_e64 s[20:21], v[0:1]
	s_cbranch_execz .LBB120_303
; %bb.295:                              ;   in Loop: Header=BB120_6 Depth=1
	v_mov_b32_e32 v4, v12
	v_mov_b32_e32 v7, v1
	v_mov_b32_e32 v5, v13
	v_mov_b32_e32 v6, v0
	s_mov_b32 s22, 0
                                        ; implicit-def: $sgpr23
	s_inst_prefetch 0x1
	s_branch .LBB120_298
	.p2align	6
.LBB120_296:                            ;   in Loop: Header=BB120_298 Depth=2
	s_or_b32 exec_lo, exec_lo, s6
	s_waitcnt lgkmcnt(0)
	s_barrier
	buffer_gl0_inv
	ds_read_u16 v2, v3 offset:3072
	s_mov_b32 s6, -1
	s_waitcnt lgkmcnt(0)
	s_barrier
	buffer_gl0_inv
	v_cmp_ne_u32_sdwa s25, v2, v3 src0_sel:BYTE_0 src1_sel:DWORD
	s_and_b32 vcc_lo, exec_lo, s25
	s_mov_b32 s25, -1
	s_cbranch_vccz .LBB120_301
.LBB120_297:                            ;   in Loop: Header=BB120_298 Depth=2
	s_and_b32 s6, exec_lo, s6
	s_or_b32 s22, s6, s22
	s_andn2_b32 s6, s23, exec_lo
	s_and_b32 s8, s25, exec_lo
	s_or_b32 s23, s6, s8
	s_andn2_b32 exec_lo, exec_lo, s22
	s_cbranch_execz .LBB120_302
.LBB120_298:                            ;   Parent Loop BB120_6 Depth=1
                                        ; =>  This Inner Loop Header: Depth=2
	s_mov_b32 s6, exec_lo
	v_cmpx_gt_u64_e64 s[28:29], v[6:7]
	s_cbranch_execz .LBB120_296
; %bb.299:                              ;   in Loop: Header=BB120_298 Depth=2
	global_load_ubyte v2, v[4:5], off
	s_waitcnt vmcnt(0)
	v_and_b32_e32 v8, v2, v37
	v_cmp_eq_u32_sdwa s25, v8, v20 src0_sel:BYTE_0 src1_sel:DWORD
	s_and_b32 exec_lo, exec_lo, s25
	s_cbranch_execz .LBB120_296
; %bb.300:                              ;   in Loop: Header=BB120_298 Depth=2
	v_lshlrev_b16 v2, 8, v2
	v_or_b32_e32 v2, 1, v2
	ds_write_b16 v3, v2 offset:3072
	s_branch .LBB120_296
.LBB120_301:                            ;   in Loop: Header=BB120_298 Depth=2
	v_add_co_u32 v6, vcc_lo, v6, s33
	v_add_co_ci_u32_e64 v7, null, 0, v7, vcc_lo
	v_add_co_u32 v4, s6, v4, s72
	v_add_co_ci_u32_e64 v5, null, s41, v5, s6
	v_cmp_le_u64_e32 vcc_lo, s[20:21], v[6:7]
	s_mov_b32 s25, 0
	s_orn2_b32 s6, vcc_lo, exec_lo
	s_branch .LBB120_297
.LBB120_302:                            ;   in Loop: Header=BB120_6 Depth=1
	s_inst_prefetch 0x2
	s_or_b32 exec_lo, exec_lo, s22
	v_lshrrev_b32_sdwa v38, v36, v2 dst_sel:DWORD dst_unused:UNUSED_PAD src0_sel:DWORD src1_sel:WORD_0
	s_andn2_b32 s6, s24, exec_lo
	s_and_b32 s8, s23, exec_lo
	s_or_b32 s24, s6, s8
.LBB120_303:                            ;   in Loop: Header=BB120_6 Depth=1
	s_or_b32 exec_lo, exec_lo, s9
	s_mov_b32 s27, 0
	s_mov_b32 s9, -1
.LBB120_304:                            ;   in Loop: Header=BB120_6 Depth=1
	s_orn2_b32 s6, s24, exec_lo
.LBB120_305:                            ;   in Loop: Header=BB120_6 Depth=1
	s_or_b32 exec_lo, exec_lo, s60
                                        ; implicit-def: $vgpr4_vgpr5
                                        ; implicit-def: $vgpr2
	s_and_saveexec_b32 s24, s6
	s_cbranch_execz .LBB120_463
; %bb.306:                              ;   in Loop: Header=BB120_6 Depth=1
	v_mov_b32_e32 v4, 1
	v_mov_b32_e32 v5, 0
	;; [unrolled: 1-line block ×3, first 2 shown]
	s_xor_b32 s21, s59, -1
	s_mov_b32 s20, 0
	s_and_saveexec_b32 s6, s21
	s_cbranch_execz .LBB120_315
; %bb.307:                              ;   in Loop: Header=BB120_6 Depth=1
	s_mov_b32 s20, exec_lo
	v_cmpx_ge_u64_e64 s[18:19], v[26:27]
	s_xor_b32 s20, exec_lo, s20
	s_cbranch_execz .LBB120_312
; %bb.308:                              ;   in Loop: Header=BB120_6 Depth=1
	ds_read_b64 v[4:5], v3 offset:5120
	v_or_b32_e32 v20, s11, v20
	v_or_b32_e32 v37, s11, v37
	s_waitcnt lgkmcnt(0)
	v_cmp_ne_u64_e32 vcc_lo, 0, v[4:5]
	s_cbranch_vccnz .LBB120_312
; %bb.309:                              ;   in Loop: Header=BB120_6 Depth=1
	s_and_saveexec_b32 s21, s3
; %bb.310:                              ;   in Loop: Header=BB120_6 Depth=1
	v_mov_b32_e32 v4, s18
	v_mov_b32_e32 v5, s19
	ds_write_b64 v3, v[4:5] offset:5128
; %bb.311:                              ;   in Loop: Header=BB120_6 Depth=1
	s_or_b32 exec_lo, exec_lo, s21
	s_waitcnt lgkmcnt(0)
	s_barrier
	buffer_gl0_inv
.LBB120_312:                            ;   in Loop: Header=BB120_6 Depth=1
	s_or_saveexec_b32 s20, s20
	v_mov_b32_e32 v2, 5
	s_mov_b32 s21, 0
	s_xor_b32 exec_lo, exec_lo, s20
; %bb.313:                              ;   in Loop: Header=BB120_6 Depth=1
	v_sub_co_u32 v26, vcc_lo, v26, s18
	v_subrev_co_ci_u32_e64 v27, null, s19, v27, vcc_lo
	v_mov_b32_e32 v2, 0
	s_mov_b32 s21, exec_lo
; %bb.314:                              ;   in Loop: Header=BB120_6 Depth=1
	s_or_b32 exec_lo, exec_lo, s20
	v_mov_b32_e32 v4, v26
	v_mov_b32_e32 v5, v27
	s_and_b32 s20, s21, exec_lo
.LBB120_315:                            ;   in Loop: Header=BB120_6 Depth=1
	s_or_b32 exec_lo, exec_lo, s6
	s_mov_b32 s6, -1
                                        ; implicit-def: $sgpr59
                                        ; implicit-def: $sgpr60
	s_and_saveexec_b32 s18, s20
	s_xor_b32 s25, exec_lo, s18
	s_cbranch_execz .LBB120_460
; %bb.316:                              ;   in Loop: Header=BB120_6 Depth=1
	v_cmp_eq_u64_e32 vcc_lo, 1, v[4:5]
	s_cmp_eq_u64 s[16:17], 1
                                        ; implicit-def: $sgpr60
                                        ; implicit-def: $sgpr59
	s_cselect_b32 s6, -1, 0
	s_and_b32 s61, s6, vcc_lo
	s_mov_b32 s6, -1
	s_and_saveexec_b32 s62, s61
	s_cbranch_execz .LBB120_350
; %bb.317:                              ;   in Loop: Header=BB120_6 Depth=1
	ds_read_b64 v[6:7], v3 offset:5120
	s_waitcnt lgkmcnt(0)
	s_barrier
	buffer_gl0_inv
	v_readfirstlane_b32 s18, v6
	v_readfirstlane_b32 s19, v7
	s_and_saveexec_b32 s6, s10
; %bb.318:                              ;   in Loop: Header=BB120_6 Depth=1
	ds_write_b8 v0, v3 offset:3072
; %bb.319:                              ;   in Loop: Header=BB120_6 Depth=1
	s_or_b32 exec_lo, exec_lo, s6
	s_lshl_b32 s6, 2, s92
	v_or_b32_e32 v37, s11, v37
	v_and_or_b32 v20, v20, s26, s6
	s_mov_b32 s59, -1
	s_mov_b32 s60, 0
	s_cmp_eq_u64 s[18:19], 0
	s_mov_b32 s22, 0
	s_mov_b32 s6, -1
	s_waitcnt lgkmcnt(0)
	s_barrier
	buffer_gl0_inv
                                        ; implicit-def: $vgpr38
	s_cbranch_scc1 .LBB120_335
; %bb.320:                              ;   in Loop: Header=BB120_6 Depth=1
	s_add_u32 s6, s18, s80
	s_addc_u32 s21, s19, s81
	s_mov_b32 s20, s49
	s_cmp_lg_u64 s[20:21], 0
	s_cbranch_scc0 .LBB120_376
; %bb.321:                              ;   in Loop: Header=BB120_6 Depth=1
	v_cvt_f32_u32_e32 v6, s33
	s_sub_u32 s23, 0, s33
	s_subb_u32 s42, 0, 0
	v_fmac_f32_e64 v6, 0x4f800000, 0
	v_rcp_f32_e32 v6, v6
	v_mul_f32_e32 v6, 0x5f7ffffc, v6
	v_mul_f32_e32 v7, 0x2f800000, v6
	v_trunc_f32_e32 v7, v7
	v_fmac_f32_e32 v6, 0xcf800000, v7
	v_cvt_u32_f32_e32 v7, v7
	v_cvt_u32_f32_e32 v6, v6
	v_readfirstlane_b32 s20, v7
	v_readfirstlane_b32 s22, v6
	s_mul_i32 s43, s23, s20
	s_mul_hi_u32 s47, s23, s22
	s_mul_i32 s46, s42, s22
	s_add_i32 s43, s47, s43
	s_mul_i32 s48, s23, s22
	s_add_i32 s43, s43, s46
	s_mul_hi_u32 s47, s22, s48
	s_mul_i32 s63, s22, s43
	s_mul_hi_u32 s52, s20, s48
	s_mul_i32 s46, s20, s48
	s_mul_hi_u32 s48, s22, s43
	s_add_u32 s47, s47, s63
	s_addc_u32 s48, 0, s48
	s_mul_hi_u32 s64, s20, s43
	s_add_u32 s46, s47, s46
	s_mul_i32 s43, s20, s43
	s_addc_u32 s46, s48, s52
	s_addc_u32 s47, s64, 0
	s_add_u32 s43, s46, s43
	s_addc_u32 s46, 0, s47
	s_add_u32 s22, s22, s43
	s_cselect_b32 s43, -1, 0
	s_mul_hi_u32 s47, s23, s22
	s_cmp_lg_u32 s43, 0
	s_mul_i32 s43, s23, s22
	s_addc_u32 s20, s20, s46
	s_mul_i32 s42, s42, s22
	s_mul_i32 s23, s23, s20
	s_mul_hi_u32 s46, s22, s43
	s_add_i32 s23, s47, s23
	s_mul_hi_u32 s47, s20, s43
	s_add_i32 s23, s23, s42
	s_mul_i32 s42, s20, s43
	s_mul_i32 s52, s22, s23
	s_mul_hi_u32 s48, s22, s23
	s_add_u32 s46, s46, s52
	s_addc_u32 s48, 0, s48
	s_mul_hi_u32 s43, s20, s23
	s_add_u32 s42, s46, s42
	s_mul_i32 s23, s20, s23
	s_addc_u32 s42, s48, s47
	s_addc_u32 s43, s43, 0
	s_add_u32 s23, s42, s23
	s_addc_u32 s42, 0, s43
	s_add_u32 s22, s22, s23
	s_cselect_b32 s23, -1, 0
	s_mul_hi_u32 s43, s6, s22
	s_cmp_lg_u32 s23, 0
	s_mul_hi_u32 s23, s21, s22
	s_addc_u32 s20, s20, s42
	s_mul_i32 s22, s21, s22
	s_mul_i32 s46, s6, s20
	s_mul_hi_u32 s42, s6, s20
	s_add_u32 s43, s43, s46
	s_addc_u32 s42, 0, s42
	s_mul_hi_u32 s47, s21, s20
	s_add_u32 s22, s43, s22
	s_mul_i32 s20, s21, s20
	s_addc_u32 s22, s42, s23
	s_addc_u32 s23, s47, 0
	s_add_u32 s20, s22, s20
	s_addc_u32 s22, 0, s23
	s_mul_hi_u32 s23, s33, s20
	s_mul_i32 s22, s33, s22
	s_mul_i32 s20, s33, s20
	s_add_i32 s23, s23, s22
	s_sub_u32 s20, s6, s20
	s_cselect_b32 s22, -1, 0
	s_cmp_lg_u32 s22, 0
	s_subb_u32 s22, s21, s23
	s_sub_u32 s23, s20, s33
	s_cselect_b32 s42, -1, 0
	s_cmp_lg_u32 s42, 0
	s_subb_u32 s42, s22, 0
	;; [unrolled: 4-line block ×3, first 2 shown]
	s_cmp_ge_u32 s23, s33
	s_cselect_b32 s47, -1, 0
	s_cmp_eq_u32 s42, 0
	s_cselect_b32 s47, s47, -1
	s_cmp_lg_u32 s47, 0
	s_cselect_b32 s42, s46, s42
	s_cselect_b32 s43, s43, s23
	s_cmp_ge_u32 s20, s33
	s_cselect_b32 s23, -1, 0
	s_cmp_eq_u32 s22, 0
	s_cselect_b32 s23, s23, -1
	s_cmp_lg_u32 s23, 0
	s_cselect_b32 s23, s42, s22
	s_cselect_b32 s22, s43, s20
	s_cbranch_execnz .LBB120_323
.LBB120_322:                            ;   in Loop: Header=BB120_6 Depth=1
	v_cvt_f32_u32_e32 v6, s33
	s_sub_i32 s22, 0, s33
	v_rcp_iflag_f32_e32 v6, v6
	v_mul_f32_e32 v6, 0x4f7ffffe, v6
	v_cvt_u32_f32_e32 v6, v6
	v_readfirstlane_b32 s20, v6
	s_mul_i32 s22, s22, s20
	s_mul_hi_u32 s22, s20, s22
	s_add_i32 s20, s20, s22
	s_mul_hi_u32 s20, s6, s20
	s_mul_i32 s20, s20, s33
	s_sub_i32 s20, s6, s20
	s_sub_i32 s22, s20, s33
	s_cmp_ge_u32 s20, s33
	s_cselect_b32 s20, s22, s20
	s_sub_i32 s22, s20, s33
	s_cmp_ge_u32 s20, s33
	s_cselect_b32 s48, s22, s20
	s_mov_b64 s[22:23], s[48:49]
.LBB120_323:                            ;   in Loop: Header=BB120_6 Depth=1
	s_sub_u32 s20, s6, s22
	s_subb_u32 s21, s21, s23
	s_mov_b32 s6, 0
	s_mov_b32 s22, 0
	s_mov_b32 s23, exec_lo
                                        ; implicit-def: $vgpr38
	v_cmpx_gt_u64_e64 s[20:21], v[0:1]
	s_cbranch_execz .LBB120_334
; %bb.324:                              ;   in Loop: Header=BB120_6 Depth=1
	v_mov_b32_e32 v7, v1
	v_mov_b32_e32 v8, v0
	;; [unrolled: 1-line block ×3, first 2 shown]
                                        ; implicit-def: $sgpr42
	s_inst_prefetch 0x1
	s_branch .LBB120_327
	.p2align	6
.LBB120_325:                            ;   in Loop: Header=BB120_327 Depth=2
	s_or_b32 exec_lo, exec_lo, s43
	s_waitcnt lgkmcnt(0)
	s_barrier
	buffer_gl0_inv
	ds_read_u16 v9, v3 offset:3072
	s_mov_b32 s43, -1
	s_waitcnt lgkmcnt(0)
	s_barrier
	buffer_gl0_inv
	v_cmp_ne_u32_sdwa s46, v9, v3 src0_sel:BYTE_0 src1_sel:DWORD
	s_and_b32 vcc_lo, exec_lo, s46
	s_mov_b32 s46, -1
	s_cbranch_vccz .LBB120_330
.LBB120_326:                            ;   in Loop: Header=BB120_327 Depth=2
	s_and_b32 s8, exec_lo, s43
	s_or_b32 s22, s8, s22
	s_andn2_b32 s8, s42, exec_lo
	s_and_b32 s42, s46, exec_lo
	s_or_b32 s42, s8, s42
	s_andn2_b32 exec_lo, exec_lo, s22
	s_cbranch_execz .LBB120_333
.LBB120_327:                            ;   Parent Loop BB120_6 Depth=1
                                        ; =>  This Inner Loop Header: Depth=2
	s_mov_b32 s43, exec_lo
	v_cmpx_gt_u64_e64 s[18:19], v[6:7]
	s_cbranch_execz .LBB120_325
; %bb.328:                              ;   in Loop: Header=BB120_327 Depth=2
	ds_read_u8 v9, v8
	s_waitcnt lgkmcnt(0)
	v_and_b32_e32 v10, v9, v37
	v_cmp_eq_u32_sdwa s46, v10, v20 src0_sel:BYTE_0 src1_sel:DWORD
	s_and_b32 exec_lo, exec_lo, s46
	s_cbranch_execz .LBB120_325
; %bb.329:                              ;   in Loop: Header=BB120_327 Depth=2
	v_lshlrev_b16 v9, 8, v9
	v_or_b32_e32 v9, 1, v9
	ds_write_b16 v3, v9 offset:3072
	s_branch .LBB120_325
.LBB120_330:                            ;   in Loop: Header=BB120_327 Depth=2
	v_add_co_u32 v6, vcc_lo, v6, s33
	v_add_co_ci_u32_e64 v7, null, 0, v7, vcc_lo
	v_add_nc_u32_e32 v8, s33, v8
	s_mov_b32 s46, 0
	v_cmp_le_u64_e32 vcc_lo, s[20:21], v[6:7]
	s_orn2_b32 s43, vcc_lo, exec_lo
	s_branch .LBB120_326
.LBB120_331:                            ;   in Loop: Header=BB120_6 Depth=1
                                        ; implicit-def: $sgpr24_sgpr25
	s_branch .LBB120_278
.LBB120_332:                            ;   in Loop: Header=BB120_6 Depth=1
                                        ; implicit-def: $sgpr20_sgpr21
	s_branch .LBB120_293
.LBB120_333:                            ;   in Loop: Header=BB120_6 Depth=1
	s_inst_prefetch 0x2
	s_or_b32 exec_lo, exec_lo, s22
	v_lshrrev_b32_sdwa v38, v36, v9 dst_sel:DWORD dst_unused:UNUSED_PAD src0_sel:DWORD src1_sel:WORD_0
	s_and_b32 s22, s42, exec_lo
.LBB120_334:                            ;   in Loop: Header=BB120_6 Depth=1
	s_or_b32 exec_lo, exec_lo, s23
.LBB120_335:                            ;   in Loop: Header=BB120_6 Depth=1
	s_and_b32 vcc_lo, exec_lo, s6
	s_cbranch_vccz .LBB120_349
; %bb.336:                              ;   in Loop: Header=BB120_6 Depth=1
	s_mov_b32 s52, s49
	s_cmp_lg_u64 s[52:53], 0
	s_cbranch_scc0 .LBB120_377
; %bb.337:                              ;   in Loop: Header=BB120_6 Depth=1
	v_cvt_f32_u32_e32 v6, s33
	s_sub_u32 s19, 0, s33
	s_subb_u32 s20, 0, 0
	v_fmac_f32_e64 v6, 0x4f800000, 0
	v_rcp_f32_e32 v6, v6
	v_mul_f32_e32 v6, 0x5f7ffffc, v6
	v_mul_f32_e32 v7, 0x2f800000, v6
	v_trunc_f32_e32 v7, v7
	v_fmac_f32_e32 v6, 0xcf800000, v7
	v_cvt_u32_f32_e32 v7, v7
	v_cvt_u32_f32_e32 v6, v6
	v_readfirstlane_b32 s6, v7
	v_readfirstlane_b32 s18, v6
	s_mul_i32 s21, s19, s6
	s_mul_hi_u32 s42, s19, s18
	s_mul_i32 s23, s20, s18
	s_add_i32 s21, s42, s21
	s_mul_i32 s43, s19, s18
	s_add_i32 s21, s21, s23
	s_mul_hi_u32 s42, s18, s43
	s_mul_i32 s47, s18, s21
	s_mul_hi_u32 s46, s6, s43
	s_mul_i32 s23, s6, s43
	s_mul_hi_u32 s43, s18, s21
	s_add_u32 s42, s42, s47
	s_addc_u32 s43, 0, s43
	s_mul_hi_u32 s48, s6, s21
	s_add_u32 s23, s42, s23
	s_mul_i32 s21, s6, s21
	s_addc_u32 s23, s43, s46
	s_addc_u32 s42, s48, 0
	s_add_u32 s21, s23, s21
	s_addc_u32 s23, 0, s42
	s_add_u32 s18, s18, s21
	s_cselect_b32 s21, -1, 0
	s_mul_hi_u32 s42, s19, s18
	s_cmp_lg_u32 s21, 0
	s_mul_i32 s21, s19, s18
	s_addc_u32 s6, s6, s23
	s_mul_i32 s20, s20, s18
	s_mul_i32 s19, s19, s6
	s_mul_hi_u32 s23, s18, s21
	s_add_i32 s19, s42, s19
	s_mul_hi_u32 s42, s6, s21
	s_add_i32 s19, s19, s20
	s_mul_i32 s20, s6, s21
	s_mul_i32 s46, s18, s19
	s_mul_hi_u32 s43, s18, s19
	s_add_u32 s23, s23, s46
	s_addc_u32 s43, 0, s43
	s_mul_hi_u32 s21, s6, s19
	s_add_u32 s20, s23, s20
	s_mul_i32 s19, s6, s19
	s_addc_u32 s20, s43, s42
	s_addc_u32 s21, s21, 0
	s_add_u32 s19, s20, s19
	s_addc_u32 s20, 0, s21
	s_add_u32 s18, s18, s19
	s_cselect_b32 s19, -1, 0
	s_mul_hi_u32 s21, s82, s18
	s_cmp_lg_u32 s19, 0
	s_mul_hi_u32 s19, s53, s18
	s_addc_u32 s6, s6, s20
	s_mul_i32 s18, s53, s18
	s_mul_i32 s23, s82, s6
	s_mul_hi_u32 s20, s82, s6
	s_add_u32 s21, s21, s23
	s_addc_u32 s20, 0, s20
	s_mul_hi_u32 s42, s53, s6
	s_add_u32 s18, s21, s18
	s_mul_i32 s6, s53, s6
	s_addc_u32 s18, s20, s19
	s_addc_u32 s19, s42, 0
	s_add_u32 s6, s18, s6
	s_addc_u32 s18, 0, s19
	s_mul_hi_u32 s19, s33, s6
	s_mul_i32 s18, s33, s18
	s_mul_i32 s6, s33, s6
	s_add_i32 s19, s19, s18
	s_sub_u32 s6, s82, s6
	s_cselect_b32 s18, -1, 0
	s_cmp_lg_u32 s18, 0
	s_subb_u32 s18, s53, s19
	s_sub_u32 s19, s6, s33
	s_cselect_b32 s20, -1, 0
	s_cmp_lg_u32 s20, 0
	s_subb_u32 s20, s18, 0
	;; [unrolled: 4-line block ×3, first 2 shown]
	s_cmp_ge_u32 s19, s33
	s_cselect_b32 s42, -1, 0
	s_cmp_eq_u32 s20, 0
	s_cselect_b32 s42, s42, -1
	s_cmp_lg_u32 s42, 0
	s_cselect_b32 s20, s23, s20
	s_cselect_b32 s21, s21, s19
	s_cmp_ge_u32 s6, s33
	s_cselect_b32 s19, -1, 0
	s_cmp_eq_u32 s18, 0
	s_cselect_b32 s19, s19, -1
	s_cmp_lg_u32 s19, 0
	s_cselect_b32 s19, s20, s18
	s_cselect_b32 s18, s21, s6
	s_cbranch_execnz .LBB120_339
.LBB120_338:                            ;   in Loop: Header=BB120_6 Depth=1
	v_cvt_f32_u32_e32 v6, s33
	s_sub_i32 s18, 0, s33
	v_rcp_iflag_f32_e32 v6, v6
	v_mul_f32_e32 v6, 0x4f7ffffe, v6
	v_cvt_u32_f32_e32 v6, v6
	v_readfirstlane_b32 s6, v6
	s_mul_i32 s18, s18, s6
	s_mul_hi_u32 s18, s6, s18
	s_add_i32 s6, s6, s18
	s_mul_hi_u32 s6, s82, s6
	s_mul_i32 s6, s6, s33
	s_sub_i32 s6, s82, s6
	s_sub_i32 s18, s6, s33
	s_cmp_ge_u32 s6, s33
	s_cselect_b32 s6, s18, s6
	s_sub_i32 s18, s6, s33
	s_cmp_ge_u32 s6, s33
	s_cselect_b32 s48, s18, s6
	s_mov_b64 s[18:19], s[48:49]
.LBB120_339:                            ;   in Loop: Header=BB120_6 Depth=1
	s_sub_u32 s18, s82, s18
	s_subb_u32 s19, s53, s19
	s_mov_b32 s20, exec_lo
                                        ; implicit-def: $vgpr38
	v_cmpx_gt_u64_e64 s[18:19], v[0:1]
	s_cbranch_execz .LBB120_348
; %bb.340:                              ;   in Loop: Header=BB120_6 Depth=1
	v_mov_b32_e32 v6, v12
	v_mov_b32_e32 v9, v1
	;; [unrolled: 1-line block ×4, first 2 shown]
	s_mov_b32 s21, 0
                                        ; implicit-def: $sgpr23
	s_inst_prefetch 0x1
	s_branch .LBB120_343
	.p2align	6
.LBB120_341:                            ;   in Loop: Header=BB120_343 Depth=2
	s_or_b32 exec_lo, exec_lo, s6
	s_waitcnt lgkmcnt(0)
	s_barrier
	buffer_gl0_inv
	ds_read_u16 v10, v3 offset:3072
	s_mov_b32 s6, -1
	s_waitcnt lgkmcnt(0)
	s_barrier
	buffer_gl0_inv
	v_cmp_eq_u32_sdwa s42, v10, v3 src0_sel:BYTE_0 src1_sel:DWORD
	s_and_b32 vcc_lo, exec_lo, s42
	s_mov_b32 s42, -1
	s_cbranch_vccnz .LBB120_346
.LBB120_342:                            ;   in Loop: Header=BB120_343 Depth=2
	s_and_b32 s6, exec_lo, s6
	s_or_b32 s21, s6, s21
	s_andn2_b32 s6, s23, exec_lo
	s_and_b32 s8, s42, exec_lo
	s_or_b32 s23, s6, s8
	s_andn2_b32 exec_lo, exec_lo, s21
	s_cbranch_execz .LBB120_347
.LBB120_343:                            ;   Parent Loop BB120_6 Depth=1
                                        ; =>  This Inner Loop Header: Depth=2
	s_mov_b32 s6, exec_lo
	v_cmpx_gt_u64_e64 s[28:29], v[8:9]
	s_cbranch_execz .LBB120_341
; %bb.344:                              ;   in Loop: Header=BB120_343 Depth=2
	global_load_ubyte v10, v[6:7], off
	s_waitcnt vmcnt(0)
	v_and_b32_e32 v11, v10, v37
	v_cmp_eq_u32_sdwa s42, v11, v20 src0_sel:BYTE_0 src1_sel:DWORD
	s_and_b32 exec_lo, exec_lo, s42
	s_cbranch_execz .LBB120_341
; %bb.345:                              ;   in Loop: Header=BB120_343 Depth=2
	v_lshlrev_b16 v10, 8, v10
	v_or_b32_e32 v10, 1, v10
	ds_write_b16 v3, v10 offset:3072
	s_branch .LBB120_341
.LBB120_346:                            ;   in Loop: Header=BB120_343 Depth=2
	v_add_co_u32 v8, vcc_lo, v8, s33
	v_add_co_ci_u32_e64 v9, null, 0, v9, vcc_lo
	v_add_co_u32 v6, s6, v6, s72
	v_add_co_ci_u32_e64 v7, null, s41, v7, s6
	v_cmp_le_u64_e32 vcc_lo, s[18:19], v[8:9]
	s_mov_b32 s42, 0
	s_orn2_b32 s6, vcc_lo, exec_lo
	s_branch .LBB120_342
.LBB120_347:                            ;   in Loop: Header=BB120_6 Depth=1
	s_inst_prefetch 0x2
	s_or_b32 exec_lo, exec_lo, s21
	v_lshrrev_b32_sdwa v38, v36, v10 dst_sel:DWORD dst_unused:UNUSED_PAD src0_sel:DWORD src1_sel:WORD_0
	s_andn2_b32 s6, s22, exec_lo
	s_and_b32 s8, s23, exec_lo
	s_or_b32 s22, s6, s8
.LBB120_348:                            ;   in Loop: Header=BB120_6 Depth=1
	s_or_b32 exec_lo, exec_lo, s20
	s_mov_b32 s59, 0
	s_mov_b32 s60, -1
.LBB120_349:                            ;   in Loop: Header=BB120_6 Depth=1
	s_orn2_b32 s6, s22, exec_lo
.LBB120_350:                            ;   in Loop: Header=BB120_6 Depth=1
	s_or_b32 exec_lo, exec_lo, s62
	s_mov_b32 s18, 0
	s_and_saveexec_b32 s22, s6
	s_cbranch_execz .LBB120_459
; %bb.351:                              ;   in Loop: Header=BB120_6 Depth=1
	v_mov_b32_e32 v6, 1
	v_mov_b32_e32 v7, 0
	;; [unrolled: 1-line block ×3, first 2 shown]
	s_xor_b32 s19, s61, -1
	s_and_saveexec_b32 s6, s19
	s_cbranch_execz .LBB120_360
; %bb.352:                              ;   in Loop: Header=BB120_6 Depth=1
	s_mov_b32 s18, exec_lo
	v_cmpx_ge_u64_e64 s[16:17], v[4:5]
	s_xor_b32 s18, exec_lo, s18
	s_cbranch_execz .LBB120_357
; %bb.353:                              ;   in Loop: Header=BB120_6 Depth=1
	ds_read_b64 v[6:7], v3 offset:5120
	s_lshl_b32 s19, 2, s92
	v_or_b32_e32 v37, s11, v37
	v_and_or_b32 v20, v20, s26, s19
	s_waitcnt lgkmcnt(0)
	v_cmp_ne_u64_e32 vcc_lo, 0, v[6:7]
	s_cbranch_vccnz .LBB120_357
; %bb.354:                              ;   in Loop: Header=BB120_6 Depth=1
	s_and_saveexec_b32 s19, s3
; %bb.355:                              ;   in Loop: Header=BB120_6 Depth=1
	v_mov_b32_e32 v6, s16
	v_mov_b32_e32 v7, s17
	ds_write_b64 v3, v[6:7] offset:5128
; %bb.356:                              ;   in Loop: Header=BB120_6 Depth=1
	s_or_b32 exec_lo, exec_lo, s19
	s_waitcnt lgkmcnt(0)
	s_barrier
	buffer_gl0_inv
.LBB120_357:                            ;   in Loop: Header=BB120_6 Depth=1
	s_or_saveexec_b32 s18, s18
	v_mov_b32_e32 v2, 5
	s_mov_b32 s19, 0
	s_xor_b32 exec_lo, exec_lo, s18
; %bb.358:                              ;   in Loop: Header=BB120_6 Depth=1
	v_sub_co_u32 v4, vcc_lo, v4, s16
	v_subrev_co_ci_u32_e64 v5, null, s17, v5, vcc_lo
	v_mov_b32_e32 v2, 0
	s_mov_b32 s19, exec_lo
; %bb.359:                              ;   in Loop: Header=BB120_6 Depth=1
	s_or_b32 exec_lo, exec_lo, s18
	v_mov_b32_e32 v7, v5
	v_mov_b32_e32 v6, v4
	s_and_b32 s18, s19, exec_lo
.LBB120_360:                            ;   in Loop: Header=BB120_6 Depth=1
	s_or_b32 exec_lo, exec_lo, s6
	s_mov_b32 s6, -1
                                        ; implicit-def: $sgpr61
                                        ; implicit-def: $sgpr62
	s_and_saveexec_b32 s23, s18
	s_cbranch_execz .LBB120_458
; %bb.361:                              ;   in Loop: Header=BB120_6 Depth=1
	v_cmp_eq_u64_e32 vcc_lo, 1, v[6:7]
	s_cmp_eq_u64 s[14:15], 1
                                        ; implicit-def: $sgpr62
                                        ; implicit-def: $sgpr61
	s_cselect_b32 s6, -1, 0
	s_and_b32 s63, s6, vcc_lo
	s_mov_b32 s6, -1
	s_and_saveexec_b32 s64, s63
	s_cbranch_execz .LBB120_395
; %bb.362:                              ;   in Loop: Header=BB120_6 Depth=1
	ds_read_b64 v[4:5], v3 offset:5120
	s_waitcnt lgkmcnt(0)
	s_barrier
	buffer_gl0_inv
	v_readfirstlane_b32 s16, v4
	v_readfirstlane_b32 s17, v5
	s_and_saveexec_b32 s6, s10
; %bb.363:                              ;   in Loop: Header=BB120_6 Depth=1
	ds_write_b8 v0, v3 offset:3072
; %bb.364:                              ;   in Loop: Header=BB120_6 Depth=1
	s_or_b32 exec_lo, exec_lo, s6
	s_lshl_b32 s6, 1, s92
	v_or_b32_e32 v37, s11, v37
	v_and_or_b32 v20, v20, s26, s6
	s_mov_b32 s61, -1
	s_mov_b32 s62, 0
	s_cmp_eq_u64 s[16:17], 0
	s_mov_b32 s20, 0
	s_mov_b32 s6, -1
	s_waitcnt lgkmcnt(0)
	s_barrier
	buffer_gl0_inv
                                        ; implicit-def: $vgpr38
	s_cbranch_scc1 .LBB120_380
; %bb.365:                              ;   in Loop: Header=BB120_6 Depth=1
	s_add_u32 s6, s16, s80
	s_addc_u32 s19, s17, s81
	s_mov_b32 s18, s49
	s_cmp_lg_u64 s[18:19], 0
	s_cbranch_scc0 .LBB120_412
; %bb.366:                              ;   in Loop: Header=BB120_6 Depth=1
	v_cvt_f32_u32_e32 v4, s33
	s_sub_u32 s21, 0, s33
	s_subb_u32 s42, 0, 0
	v_fmac_f32_e64 v4, 0x4f800000, 0
	v_rcp_f32_e32 v4, v4
	v_mul_f32_e32 v4, 0x5f7ffffc, v4
	v_mul_f32_e32 v5, 0x2f800000, v4
	v_trunc_f32_e32 v5, v5
	v_fmac_f32_e32 v4, 0xcf800000, v5
	v_cvt_u32_f32_e32 v5, v5
	v_cvt_u32_f32_e32 v4, v4
	v_readfirstlane_b32 s18, v5
	v_readfirstlane_b32 s20, v4
	s_mul_i32 s43, s21, s18
	s_mul_hi_u32 s47, s21, s20
	s_mul_i32 s46, s42, s20
	s_add_i32 s43, s47, s43
	s_mul_i32 s48, s21, s20
	s_add_i32 s43, s43, s46
	s_mul_hi_u32 s47, s20, s48
	s_mul_i32 s65, s20, s43
	s_mul_hi_u32 s52, s18, s48
	s_mul_i32 s46, s18, s48
	s_mul_hi_u32 s48, s20, s43
	s_add_u32 s47, s47, s65
	s_addc_u32 s48, 0, s48
	s_mul_hi_u32 s66, s18, s43
	s_add_u32 s46, s47, s46
	s_mul_i32 s43, s18, s43
	s_addc_u32 s46, s48, s52
	s_addc_u32 s47, s66, 0
	s_add_u32 s43, s46, s43
	s_addc_u32 s46, 0, s47
	s_add_u32 s20, s20, s43
	s_cselect_b32 s43, -1, 0
	s_mul_hi_u32 s47, s21, s20
	s_cmp_lg_u32 s43, 0
	s_mul_i32 s43, s21, s20
	s_addc_u32 s18, s18, s46
	s_mul_i32 s42, s42, s20
	s_mul_i32 s21, s21, s18
	s_mul_hi_u32 s46, s20, s43
	s_add_i32 s21, s47, s21
	s_mul_hi_u32 s47, s18, s43
	s_add_i32 s21, s21, s42
	s_mul_i32 s42, s18, s43
	s_mul_i32 s52, s20, s21
	s_mul_hi_u32 s48, s20, s21
	s_add_u32 s46, s46, s52
	s_addc_u32 s48, 0, s48
	s_mul_hi_u32 s43, s18, s21
	s_add_u32 s42, s46, s42
	s_mul_i32 s21, s18, s21
	s_addc_u32 s42, s48, s47
	s_addc_u32 s43, s43, 0
	s_add_u32 s21, s42, s21
	s_addc_u32 s42, 0, s43
	s_add_u32 s20, s20, s21
	s_cselect_b32 s21, -1, 0
	s_mul_hi_u32 s43, s6, s20
	s_cmp_lg_u32 s21, 0
	s_mul_hi_u32 s21, s19, s20
	s_addc_u32 s18, s18, s42
	s_mul_i32 s20, s19, s20
	s_mul_i32 s46, s6, s18
	s_mul_hi_u32 s42, s6, s18
	s_add_u32 s43, s43, s46
	s_addc_u32 s42, 0, s42
	s_mul_hi_u32 s47, s19, s18
	s_add_u32 s20, s43, s20
	s_mul_i32 s18, s19, s18
	s_addc_u32 s20, s42, s21
	s_addc_u32 s21, s47, 0
	s_add_u32 s18, s20, s18
	s_addc_u32 s20, 0, s21
	s_mul_hi_u32 s21, s33, s18
	s_mul_i32 s20, s33, s20
	s_mul_i32 s18, s33, s18
	s_add_i32 s21, s21, s20
	s_sub_u32 s18, s6, s18
	s_cselect_b32 s20, -1, 0
	s_cmp_lg_u32 s20, 0
	s_subb_u32 s20, s19, s21
	s_sub_u32 s21, s18, s33
	s_cselect_b32 s42, -1, 0
	s_cmp_lg_u32 s42, 0
	s_subb_u32 s42, s20, 0
	;; [unrolled: 4-line block ×3, first 2 shown]
	s_cmp_ge_u32 s21, s33
	s_cselect_b32 s47, -1, 0
	s_cmp_eq_u32 s42, 0
	s_cselect_b32 s47, s47, -1
	s_cmp_lg_u32 s47, 0
	s_cselect_b32 s42, s46, s42
	s_cselect_b32 s43, s43, s21
	s_cmp_ge_u32 s18, s33
	s_cselect_b32 s21, -1, 0
	s_cmp_eq_u32 s20, 0
	s_cselect_b32 s21, s21, -1
	s_cmp_lg_u32 s21, 0
	s_cselect_b32 s21, s42, s20
	s_cselect_b32 s20, s43, s18
	s_cbranch_execnz .LBB120_368
.LBB120_367:                            ;   in Loop: Header=BB120_6 Depth=1
	v_cvt_f32_u32_e32 v4, s33
	s_sub_i32 s20, 0, s33
	v_rcp_iflag_f32_e32 v4, v4
	v_mul_f32_e32 v4, 0x4f7ffffe, v4
	v_cvt_u32_f32_e32 v4, v4
	v_readfirstlane_b32 s18, v4
	s_mul_i32 s20, s20, s18
	s_mul_hi_u32 s20, s18, s20
	s_add_i32 s18, s18, s20
	s_mul_hi_u32 s18, s6, s18
	s_mul_i32 s18, s18, s33
	s_sub_i32 s18, s6, s18
	s_sub_i32 s20, s18, s33
	s_cmp_ge_u32 s18, s33
	s_cselect_b32 s18, s20, s18
	s_sub_i32 s20, s18, s33
	s_cmp_ge_u32 s18, s33
	s_cselect_b32 s48, s20, s18
	s_mov_b64 s[20:21], s[48:49]
.LBB120_368:                            ;   in Loop: Header=BB120_6 Depth=1
	s_sub_u32 s18, s6, s20
	s_subb_u32 s19, s19, s21
	s_mov_b32 s6, 0
	s_mov_b32 s20, 0
	s_mov_b32 s21, exec_lo
                                        ; implicit-def: $vgpr38
	v_cmpx_gt_u64_e64 s[18:19], v[0:1]
	s_cbranch_execz .LBB120_379
; %bb.369:                              ;   in Loop: Header=BB120_6 Depth=1
	v_mov_b32_e32 v5, v1
	v_mov_b32_e32 v8, v0
	;; [unrolled: 1-line block ×3, first 2 shown]
                                        ; implicit-def: $sgpr42
	s_inst_prefetch 0x1
	s_branch .LBB120_372
	.p2align	6
.LBB120_370:                            ;   in Loop: Header=BB120_372 Depth=2
	s_or_b32 exec_lo, exec_lo, s43
	s_waitcnt lgkmcnt(0)
	s_barrier
	buffer_gl0_inv
	ds_read_u16 v9, v3 offset:3072
	s_mov_b32 s43, -1
	s_waitcnt lgkmcnt(0)
	s_barrier
	buffer_gl0_inv
	v_cmp_ne_u32_sdwa s46, v9, v3 src0_sel:BYTE_0 src1_sel:DWORD
	s_and_b32 vcc_lo, exec_lo, s46
	s_mov_b32 s46, -1
	s_cbranch_vccz .LBB120_375
.LBB120_371:                            ;   in Loop: Header=BB120_372 Depth=2
	s_and_b32 s8, exec_lo, s43
	s_or_b32 s20, s8, s20
	s_andn2_b32 s8, s42, exec_lo
	s_and_b32 s42, s46, exec_lo
	s_or_b32 s42, s8, s42
	s_andn2_b32 exec_lo, exec_lo, s20
	s_cbranch_execz .LBB120_378
.LBB120_372:                            ;   Parent Loop BB120_6 Depth=1
                                        ; =>  This Inner Loop Header: Depth=2
	s_mov_b32 s43, exec_lo
	v_cmpx_gt_u64_e64 s[16:17], v[4:5]
	s_cbranch_execz .LBB120_370
; %bb.373:                              ;   in Loop: Header=BB120_372 Depth=2
	ds_read_u8 v9, v8
	s_waitcnt lgkmcnt(0)
	v_and_b32_e32 v10, v9, v37
	v_cmp_eq_u32_sdwa s46, v10, v20 src0_sel:BYTE_0 src1_sel:DWORD
	s_and_b32 exec_lo, exec_lo, s46
	s_cbranch_execz .LBB120_370
; %bb.374:                              ;   in Loop: Header=BB120_372 Depth=2
	v_lshlrev_b16 v9, 8, v9
	v_or_b32_e32 v9, 1, v9
	ds_write_b16 v3, v9 offset:3072
	s_branch .LBB120_370
.LBB120_375:                            ;   in Loop: Header=BB120_372 Depth=2
	v_add_co_u32 v4, vcc_lo, v4, s33
	v_add_co_ci_u32_e64 v5, null, 0, v5, vcc_lo
	v_add_nc_u32_e32 v8, s33, v8
	s_mov_b32 s46, 0
	v_cmp_le_u64_e32 vcc_lo, s[18:19], v[4:5]
	s_orn2_b32 s43, vcc_lo, exec_lo
	s_branch .LBB120_371
.LBB120_376:                            ;   in Loop: Header=BB120_6 Depth=1
                                        ; implicit-def: $sgpr22_sgpr23
	s_branch .LBB120_322
.LBB120_377:                            ;   in Loop: Header=BB120_6 Depth=1
                                        ; implicit-def: $sgpr18_sgpr19
	s_branch .LBB120_338
.LBB120_378:                            ;   in Loop: Header=BB120_6 Depth=1
	s_inst_prefetch 0x2
	s_or_b32 exec_lo, exec_lo, s20
	v_lshrrev_b32_sdwa v38, v36, v9 dst_sel:DWORD dst_unused:UNUSED_PAD src0_sel:DWORD src1_sel:WORD_0
	s_and_b32 s20, s42, exec_lo
.LBB120_379:                            ;   in Loop: Header=BB120_6 Depth=1
	s_or_b32 exec_lo, exec_lo, s21
.LBB120_380:                            ;   in Loop: Header=BB120_6 Depth=1
	s_and_b32 vcc_lo, exec_lo, s6
	s_cbranch_vccz .LBB120_394
; %bb.381:                              ;   in Loop: Header=BB120_6 Depth=1
	s_mov_b32 s52, s49
	s_cmp_lg_u64 s[52:53], 0
	s_cbranch_scc0 .LBB120_413
; %bb.382:                              ;   in Loop: Header=BB120_6 Depth=1
	v_cvt_f32_u32_e32 v4, s33
	s_sub_u32 s17, 0, s33
	s_subb_u32 s18, 0, 0
	v_fmac_f32_e64 v4, 0x4f800000, 0
	v_rcp_f32_e32 v4, v4
	v_mul_f32_e32 v4, 0x5f7ffffc, v4
	v_mul_f32_e32 v5, 0x2f800000, v4
	v_trunc_f32_e32 v5, v5
	v_fmac_f32_e32 v4, 0xcf800000, v5
	v_cvt_u32_f32_e32 v5, v5
	v_cvt_u32_f32_e32 v4, v4
	v_readfirstlane_b32 s6, v5
	v_readfirstlane_b32 s16, v4
	s_mul_i32 s19, s17, s6
	s_mul_hi_u32 s42, s17, s16
	s_mul_i32 s21, s18, s16
	s_add_i32 s19, s42, s19
	s_mul_i32 s43, s17, s16
	s_add_i32 s19, s19, s21
	s_mul_hi_u32 s42, s16, s43
	s_mul_i32 s47, s16, s19
	s_mul_hi_u32 s46, s6, s43
	s_mul_i32 s21, s6, s43
	s_mul_hi_u32 s43, s16, s19
	s_add_u32 s42, s42, s47
	s_addc_u32 s43, 0, s43
	s_mul_hi_u32 s48, s6, s19
	s_add_u32 s21, s42, s21
	s_mul_i32 s19, s6, s19
	s_addc_u32 s21, s43, s46
	s_addc_u32 s42, s48, 0
	s_add_u32 s19, s21, s19
	s_addc_u32 s21, 0, s42
	s_add_u32 s16, s16, s19
	s_cselect_b32 s19, -1, 0
	s_mul_hi_u32 s42, s17, s16
	s_cmp_lg_u32 s19, 0
	s_mul_i32 s19, s17, s16
	s_addc_u32 s6, s6, s21
	s_mul_i32 s18, s18, s16
	s_mul_i32 s17, s17, s6
	s_mul_hi_u32 s21, s16, s19
	s_add_i32 s17, s42, s17
	s_mul_hi_u32 s42, s6, s19
	s_add_i32 s17, s17, s18
	s_mul_i32 s18, s6, s19
	s_mul_i32 s46, s16, s17
	s_mul_hi_u32 s43, s16, s17
	s_add_u32 s21, s21, s46
	s_addc_u32 s43, 0, s43
	s_mul_hi_u32 s19, s6, s17
	s_add_u32 s18, s21, s18
	s_mul_i32 s17, s6, s17
	s_addc_u32 s18, s43, s42
	s_addc_u32 s19, s19, 0
	s_add_u32 s17, s18, s17
	s_addc_u32 s18, 0, s19
	s_add_u32 s16, s16, s17
	s_cselect_b32 s17, -1, 0
	s_mul_hi_u32 s19, s82, s16
	s_cmp_lg_u32 s17, 0
	s_mul_hi_u32 s17, s53, s16
	s_addc_u32 s6, s6, s18
	s_mul_i32 s16, s53, s16
	s_mul_i32 s21, s82, s6
	s_mul_hi_u32 s18, s82, s6
	s_add_u32 s19, s19, s21
	s_addc_u32 s18, 0, s18
	s_mul_hi_u32 s42, s53, s6
	s_add_u32 s16, s19, s16
	s_mul_i32 s6, s53, s6
	s_addc_u32 s16, s18, s17
	s_addc_u32 s17, s42, 0
	s_add_u32 s6, s16, s6
	s_addc_u32 s16, 0, s17
	s_mul_hi_u32 s17, s33, s6
	s_mul_i32 s16, s33, s16
	s_mul_i32 s6, s33, s6
	s_add_i32 s17, s17, s16
	s_sub_u32 s6, s82, s6
	s_cselect_b32 s16, -1, 0
	s_cmp_lg_u32 s16, 0
	s_subb_u32 s16, s53, s17
	s_sub_u32 s17, s6, s33
	s_cselect_b32 s18, -1, 0
	s_cmp_lg_u32 s18, 0
	s_subb_u32 s18, s16, 0
	;; [unrolled: 4-line block ×3, first 2 shown]
	s_cmp_ge_u32 s17, s33
	s_cselect_b32 s42, -1, 0
	s_cmp_eq_u32 s18, 0
	s_cselect_b32 s42, s42, -1
	s_cmp_lg_u32 s42, 0
	s_cselect_b32 s18, s21, s18
	s_cselect_b32 s19, s19, s17
	s_cmp_ge_u32 s6, s33
	s_cselect_b32 s17, -1, 0
	s_cmp_eq_u32 s16, 0
	s_cselect_b32 s17, s17, -1
	s_cmp_lg_u32 s17, 0
	s_cselect_b32 s17, s18, s16
	s_cselect_b32 s16, s19, s6
	s_cbranch_execnz .LBB120_384
.LBB120_383:                            ;   in Loop: Header=BB120_6 Depth=1
	v_cvt_f32_u32_e32 v4, s33
	s_sub_i32 s16, 0, s33
	v_rcp_iflag_f32_e32 v4, v4
	v_mul_f32_e32 v4, 0x4f7ffffe, v4
	v_cvt_u32_f32_e32 v4, v4
	v_readfirstlane_b32 s6, v4
	s_mul_i32 s16, s16, s6
	s_mul_hi_u32 s16, s6, s16
	s_add_i32 s6, s6, s16
	s_mul_hi_u32 s6, s82, s6
	s_mul_i32 s6, s6, s33
	s_sub_i32 s6, s82, s6
	s_sub_i32 s16, s6, s33
	s_cmp_ge_u32 s6, s33
	s_cselect_b32 s6, s16, s6
	s_sub_i32 s16, s6, s33
	s_cmp_ge_u32 s6, s33
	s_cselect_b32 s48, s16, s6
	s_mov_b64 s[16:17], s[48:49]
.LBB120_384:                            ;   in Loop: Header=BB120_6 Depth=1
	s_sub_u32 s16, s82, s16
	s_subb_u32 s17, s53, s17
	s_mov_b32 s18, exec_lo
                                        ; implicit-def: $vgpr38
	v_cmpx_gt_u64_e64 s[16:17], v[0:1]
	s_cbranch_execz .LBB120_393
; %bb.385:                              ;   in Loop: Header=BB120_6 Depth=1
	v_mov_b32_e32 v4, v12
	v_mov_b32_e32 v9, v1
	;; [unrolled: 1-line block ×4, first 2 shown]
	s_mov_b32 s19, 0
                                        ; implicit-def: $sgpr21
	s_inst_prefetch 0x1
	s_branch .LBB120_388
	.p2align	6
.LBB120_386:                            ;   in Loop: Header=BB120_388 Depth=2
	s_or_b32 exec_lo, exec_lo, s6
	s_waitcnt lgkmcnt(0)
	s_barrier
	buffer_gl0_inv
	ds_read_u16 v10, v3 offset:3072
	s_mov_b32 s6, -1
	s_waitcnt lgkmcnt(0)
	s_barrier
	buffer_gl0_inv
	v_cmp_eq_u32_sdwa s42, v10, v3 src0_sel:BYTE_0 src1_sel:DWORD
	s_and_b32 vcc_lo, exec_lo, s42
	s_mov_b32 s42, -1
	s_cbranch_vccnz .LBB120_391
.LBB120_387:                            ;   in Loop: Header=BB120_388 Depth=2
	s_and_b32 s6, exec_lo, s6
	s_or_b32 s19, s6, s19
	s_andn2_b32 s6, s21, exec_lo
	s_and_b32 s8, s42, exec_lo
	s_or_b32 s21, s6, s8
	s_andn2_b32 exec_lo, exec_lo, s19
	s_cbranch_execz .LBB120_392
.LBB120_388:                            ;   Parent Loop BB120_6 Depth=1
                                        ; =>  This Inner Loop Header: Depth=2
	s_mov_b32 s6, exec_lo
	v_cmpx_gt_u64_e64 s[28:29], v[8:9]
	s_cbranch_execz .LBB120_386
; %bb.389:                              ;   in Loop: Header=BB120_388 Depth=2
	global_load_ubyte v10, v[4:5], off
	s_waitcnt vmcnt(0)
	v_and_b32_e32 v11, v10, v37
	v_cmp_eq_u32_sdwa s42, v11, v20 src0_sel:BYTE_0 src1_sel:DWORD
	s_and_b32 exec_lo, exec_lo, s42
	s_cbranch_execz .LBB120_386
; %bb.390:                              ;   in Loop: Header=BB120_388 Depth=2
	v_lshlrev_b16 v10, 8, v10
	v_or_b32_e32 v10, 1, v10
	ds_write_b16 v3, v10 offset:3072
	s_branch .LBB120_386
.LBB120_391:                            ;   in Loop: Header=BB120_388 Depth=2
	v_add_co_u32 v8, vcc_lo, v8, s33
	v_add_co_ci_u32_e64 v9, null, 0, v9, vcc_lo
	v_add_co_u32 v4, s6, v4, s72
	v_add_co_ci_u32_e64 v5, null, s41, v5, s6
	v_cmp_le_u64_e32 vcc_lo, s[16:17], v[8:9]
	s_mov_b32 s42, 0
	s_orn2_b32 s6, vcc_lo, exec_lo
	s_branch .LBB120_387
.LBB120_392:                            ;   in Loop: Header=BB120_6 Depth=1
	s_inst_prefetch 0x2
	s_or_b32 exec_lo, exec_lo, s19
	v_lshrrev_b32_sdwa v38, v36, v10 dst_sel:DWORD dst_unused:UNUSED_PAD src0_sel:DWORD src1_sel:WORD_0
	s_andn2_b32 s6, s20, exec_lo
	s_and_b32 s8, s21, exec_lo
	s_or_b32 s20, s6, s8
.LBB120_393:                            ;   in Loop: Header=BB120_6 Depth=1
	s_or_b32 exec_lo, exec_lo, s18
	s_mov_b32 s61, 0
	s_mov_b32 s62, -1
.LBB120_394:                            ;   in Loop: Header=BB120_6 Depth=1
	s_orn2_b32 s6, s20, exec_lo
.LBB120_395:                            ;   in Loop: Header=BB120_6 Depth=1
	s_or_b32 exec_lo, exec_lo, s64
	s_mov_b32 s16, 0
	s_and_saveexec_b32 s20, s6
	s_cbranch_execz .LBB120_457
; %bb.396:                              ;   in Loop: Header=BB120_6 Depth=1
	v_mov_b32_e32 v4, 1
	v_mov_b32_e32 v5, 0
	;; [unrolled: 1-line block ×3, first 2 shown]
	s_xor_b32 s17, s63, -1
	s_and_saveexec_b32 s6, s17
	s_cbranch_execz .LBB120_405
; %bb.397:                              ;   in Loop: Header=BB120_6 Depth=1
	s_mov_b32 s16, exec_lo
	v_cmpx_ge_u64_e64 s[14:15], v[6:7]
	s_xor_b32 s16, exec_lo, s16
	s_cbranch_execz .LBB120_402
; %bb.398:                              ;   in Loop: Header=BB120_6 Depth=1
	ds_read_b64 v[4:5], v3 offset:5120
	s_lshl_b32 s17, 1, s92
	v_or_b32_e32 v37, s11, v37
	v_and_or_b32 v20, v20, s26, s17
	s_waitcnt lgkmcnt(0)
	v_cmp_ne_u64_e32 vcc_lo, 0, v[4:5]
	s_cbranch_vccnz .LBB120_402
; %bb.399:                              ;   in Loop: Header=BB120_6 Depth=1
	s_and_saveexec_b32 s17, s3
; %bb.400:                              ;   in Loop: Header=BB120_6 Depth=1
	v_mov_b32_e32 v4, s14
	v_mov_b32_e32 v5, s15
	ds_write_b64 v3, v[4:5] offset:5128
; %bb.401:                              ;   in Loop: Header=BB120_6 Depth=1
	s_or_b32 exec_lo, exec_lo, s17
	s_waitcnt lgkmcnt(0)
	s_barrier
	buffer_gl0_inv
.LBB120_402:                            ;   in Loop: Header=BB120_6 Depth=1
	s_or_saveexec_b32 s16, s16
	v_mov_b32_e32 v2, 5
	s_mov_b32 s17, 0
	s_xor_b32 exec_lo, exec_lo, s16
; %bb.403:                              ;   in Loop: Header=BB120_6 Depth=1
	v_sub_co_u32 v6, vcc_lo, v6, s14
	v_subrev_co_ci_u32_e64 v7, null, s15, v7, vcc_lo
	v_mov_b32_e32 v2, 0
	s_mov_b32 s17, exec_lo
; %bb.404:                              ;   in Loop: Header=BB120_6 Depth=1
	s_or_b32 exec_lo, exec_lo, s16
	v_mov_b32_e32 v4, v6
	v_mov_b32_e32 v5, v7
	s_and_b32 s16, s17, exec_lo
.LBB120_405:                            ;   in Loop: Header=BB120_6 Depth=1
	s_or_b32 exec_lo, exec_lo, s6
	s_mov_b32 s14, -1
                                        ; implicit-def: $sgpr52
                                        ; implicit-def: $sgpr6
	s_and_saveexec_b32 s21, s16
	s_cbranch_execz .LBB120_456
; %bb.406:                              ;   in Loop: Header=BB120_6 Depth=1
	v_cmp_eq_u64_e32 vcc_lo, 1, v[4:5]
	s_cmp_eq_u64 s[12:13], 1
	s_mov_b32 s15, -1
	s_cselect_b32 s6, -1, 0
                                        ; implicit-def: $sgpr52
	s_and_b32 s63, s6, vcc_lo
                                        ; implicit-def: $sgpr6
	s_and_saveexec_b32 s64, s63
	s_cbranch_execz .LBB120_444
; %bb.407:                              ;   in Loop: Header=BB120_6 Depth=1
	ds_read_b64 v[6:7], v3 offset:5120
	s_waitcnt lgkmcnt(0)
	s_barrier
	buffer_gl0_inv
	v_readfirstlane_b32 s14, v6
	v_readfirstlane_b32 s15, v7
	s_and_saveexec_b32 s6, s10
; %bb.408:                              ;   in Loop: Header=BB120_6 Depth=1
	ds_write_b8 v0, v3 offset:3072
; %bb.409:                              ;   in Loop: Header=BB120_6 Depth=1
	s_or_b32 exec_lo, exec_lo, s6
	v_and_b32_e32 v20, s26, v20
	v_or_b32_e32 v37, s11, v37
	s_mov_b32 s6, -1
	s_mov_b32 s52, 0
	s_cmp_eq_u64 s[14:15], 0
	s_mov_b32 s18, 0
	s_mov_b32 s19, -1
	s_waitcnt lgkmcnt(0)
	s_barrier
	buffer_gl0_inv
                                        ; implicit-def: $vgpr38
	s_cbranch_scc1 .LBB120_427
; %bb.410:                              ;   in Loop: Header=BB120_6 Depth=1
	s_add_u32 s42, s14, s80
	s_addc_u32 s17, s15, s81
	s_mov_b32 s16, s49
	s_cmp_lg_u64 s[16:17], 0
	s_cbranch_scc0 .LBB120_414
; %bb.411:                              ;   in Loop: Header=BB120_6 Depth=1
	v_cvt_f32_u32_e32 v6, s33
	s_sub_u32 s19, 0, s33
	s_subb_u32 s43, 0, 0
	v_fmac_f32_e64 v6, 0x4f800000, 0
	v_rcp_f32_e32 v6, v6
	v_mul_f32_e32 v6, 0x5f7ffffc, v6
	v_mul_f32_e32 v7, 0x2f800000, v6
	v_trunc_f32_e32 v7, v7
	v_fmac_f32_e32 v6, 0xcf800000, v7
	v_cvt_u32_f32_e32 v7, v7
	v_cvt_u32_f32_e32 v6, v6
	v_readfirstlane_b32 s16, v7
	v_readfirstlane_b32 s18, v6
	s_mul_i32 s46, s19, s16
	s_mul_hi_u32 s48, s19, s18
	s_mul_i32 s47, s43, s18
	s_add_i32 s46, s48, s46
	s_mul_i32 s65, s19, s18
	s_add_i32 s46, s46, s47
	s_mul_hi_u32 s48, s18, s65
	s_mul_i32 s67, s18, s46
	s_mul_hi_u32 s66, s16, s65
	s_mul_i32 s47, s16, s65
	s_mul_hi_u32 s65, s18, s46
	s_add_u32 s48, s48, s67
	s_addc_u32 s65, 0, s65
	s_mul_hi_u32 s68, s16, s46
	s_add_u32 s47, s48, s47
	s_mul_i32 s46, s16, s46
	s_addc_u32 s47, s65, s66
	s_addc_u32 s48, s68, 0
	s_add_u32 s46, s47, s46
	s_addc_u32 s47, 0, s48
	s_add_u32 s18, s18, s46
	s_cselect_b32 s46, -1, 0
	s_mul_hi_u32 s48, s19, s18
	s_cmp_lg_u32 s46, 0
	s_mul_i32 s46, s19, s18
	s_addc_u32 s16, s16, s47
	s_mul_i32 s43, s43, s18
	s_mul_i32 s19, s19, s16
	s_mul_hi_u32 s47, s18, s46
	s_add_i32 s19, s48, s19
	s_mul_hi_u32 s48, s16, s46
	s_add_i32 s19, s19, s43
	s_mul_i32 s43, s16, s46
	s_mul_i32 s66, s18, s19
	s_mul_hi_u32 s65, s18, s19
	s_add_u32 s47, s47, s66
	s_addc_u32 s65, 0, s65
	s_mul_hi_u32 s46, s16, s19
	s_add_u32 s43, s47, s43
	s_mul_i32 s19, s16, s19
	s_addc_u32 s43, s65, s48
	s_addc_u32 s46, s46, 0
	s_add_u32 s19, s43, s19
	s_addc_u32 s43, 0, s46
	s_add_u32 s18, s18, s19
	s_cselect_b32 s19, -1, 0
	s_mul_hi_u32 s46, s42, s18
	s_cmp_lg_u32 s19, 0
	s_mul_hi_u32 s19, s17, s18
	s_addc_u32 s16, s16, s43
	s_mul_i32 s18, s17, s18
	s_mul_i32 s47, s42, s16
	s_mul_hi_u32 s43, s42, s16
	s_add_u32 s46, s46, s47
	s_addc_u32 s43, 0, s43
	s_mul_hi_u32 s48, s17, s16
	s_add_u32 s18, s46, s18
	s_mul_i32 s16, s17, s16
	s_addc_u32 s18, s43, s19
	s_addc_u32 s19, s48, 0
	s_add_u32 s16, s18, s16
	s_addc_u32 s18, 0, s19
	s_mul_hi_u32 s19, s33, s16
	s_mul_i32 s18, s33, s18
	s_mul_i32 s16, s33, s16
	s_add_i32 s19, s19, s18
	s_sub_u32 s16, s42, s16
	s_cselect_b32 s18, -1, 0
	s_cmp_lg_u32 s18, 0
	s_subb_u32 s18, s17, s19
	s_sub_u32 s19, s16, s33
	s_cselect_b32 s43, -1, 0
	s_cmp_lg_u32 s43, 0
	s_subb_u32 s43, s18, 0
	;; [unrolled: 4-line block ×3, first 2 shown]
	s_cmp_ge_u32 s19, s33
	s_cselect_b32 s48, -1, 0
	s_cmp_eq_u32 s43, 0
	s_cselect_b32 s48, s48, -1
	s_cmp_lg_u32 s48, 0
	s_cselect_b32 s43, s47, s43
	s_cselect_b32 s46, s46, s19
	s_cmp_ge_u32 s16, s33
	s_cselect_b32 s19, -1, 0
	s_cmp_eq_u32 s18, 0
	s_cselect_b32 s19, s19, -1
	s_cmp_lg_u32 s19, 0
	s_cselect_b32 s19, s43, s18
	s_cselect_b32 s18, s46, s16
	s_mov_b32 s16, 0
	s_branch .LBB120_415
.LBB120_412:                            ;   in Loop: Header=BB120_6 Depth=1
                                        ; implicit-def: $sgpr20_sgpr21
	s_branch .LBB120_367
.LBB120_413:                            ;   in Loop: Header=BB120_6 Depth=1
                                        ; implicit-def: $sgpr16_sgpr17
	s_branch .LBB120_383
.LBB120_414:                            ;   in Loop: Header=BB120_6 Depth=1
	s_mov_b32 s16, -1
                                        ; implicit-def: $sgpr18_sgpr19
.LBB120_415:                            ;   in Loop: Header=BB120_6 Depth=1
	s_andn2_b32 vcc_lo, exec_lo, s16
	s_cbranch_vccnz .LBB120_417
; %bb.416:                              ;   in Loop: Header=BB120_6 Depth=1
	v_cvt_f32_u32_e32 v6, s33
	s_sub_i32 s18, 0, s33
	v_rcp_iflag_f32_e32 v6, v6
	v_mul_f32_e32 v6, 0x4f7ffffe, v6
	v_cvt_u32_f32_e32 v6, v6
	v_readfirstlane_b32 s16, v6
	s_mul_i32 s18, s18, s16
	s_mul_hi_u32 s18, s16, s18
	s_add_i32 s16, s16, s18
	s_mul_hi_u32 s16, s42, s16
	s_mul_i32 s16, s16, s33
	s_sub_i32 s16, s42, s16
	s_sub_i32 s18, s16, s33
	s_cmp_ge_u32 s16, s33
	s_cselect_b32 s16, s18, s16
	s_sub_i32 s18, s16, s33
	s_cmp_ge_u32 s16, s33
	s_cselect_b32 s48, s18, s16
	s_mov_b64 s[18:19], s[48:49]
.LBB120_417:                            ;   in Loop: Header=BB120_6 Depth=1
	s_sub_u32 s16, s42, s18
	s_subb_u32 s17, s17, s19
	s_mov_b32 s19, 0
	s_mov_b32 s18, 0
	s_mov_b32 s42, exec_lo
                                        ; implicit-def: $vgpr38
	v_cmpx_gt_u64_e64 s[16:17], v[0:1]
	s_cbranch_execz .LBB120_426
; %bb.418:                              ;   in Loop: Header=BB120_6 Depth=1
	v_mov_b32_e32 v7, v1
	v_mov_b32_e32 v8, v0
	;; [unrolled: 1-line block ×3, first 2 shown]
                                        ; implicit-def: $sgpr43
	s_inst_prefetch 0x1
	s_branch .LBB120_421
	.p2align	6
.LBB120_419:                            ;   in Loop: Header=BB120_421 Depth=2
	s_or_b32 exec_lo, exec_lo, s48
	s_waitcnt lgkmcnt(0)
	s_barrier
	buffer_gl0_inv
	ds_read_u16 v9, v3 offset:3072
	s_mov_b32 s46, -1
	s_waitcnt lgkmcnt(0)
	s_barrier
	buffer_gl0_inv
	v_cmp_ne_u32_sdwa s47, v9, v3 src0_sel:BYTE_0 src1_sel:DWORD
	s_and_b32 vcc_lo, exec_lo, s47
	s_mov_b32 s47, -1
	s_cbranch_vccz .LBB120_424
.LBB120_420:                            ;   in Loop: Header=BB120_421 Depth=2
	s_and_b32 s8, exec_lo, s46
	s_or_b32 s18, s8, s18
	s_andn2_b32 s8, s43, exec_lo
	s_and_b32 s43, s47, exec_lo
	s_or_b32 s43, s8, s43
	s_andn2_b32 exec_lo, exec_lo, s18
	s_cbranch_execz .LBB120_425
.LBB120_421:                            ;   Parent Loop BB120_6 Depth=1
                                        ; =>  This Inner Loop Header: Depth=2
	s_mov_b32 s48, exec_lo
	v_cmpx_gt_u64_e64 s[14:15], v[6:7]
	s_cbranch_execz .LBB120_419
; %bb.422:                              ;   in Loop: Header=BB120_421 Depth=2
	ds_read_u8 v9, v8
	s_waitcnt lgkmcnt(0)
	v_and_b32_e32 v10, v9, v37
	v_cmp_eq_u32_sdwa s46, v10, v20 src0_sel:BYTE_0 src1_sel:DWORD
	s_and_b32 exec_lo, exec_lo, s46
	s_cbranch_execz .LBB120_419
; %bb.423:                              ;   in Loop: Header=BB120_421 Depth=2
	v_lshlrev_b16 v9, 8, v9
	v_or_b32_e32 v9, 1, v9
	ds_write_b16 v3, v9 offset:3072
	s_branch .LBB120_419
.LBB120_424:                            ;   in Loop: Header=BB120_421 Depth=2
	v_add_co_u32 v6, vcc_lo, v6, s33
	v_add_co_ci_u32_e64 v7, null, 0, v7, vcc_lo
	v_add_nc_u32_e32 v8, s33, v8
	s_mov_b32 s47, 0
	v_cmp_le_u64_e32 vcc_lo, s[16:17], v[6:7]
	s_orn2_b32 s46, vcc_lo, exec_lo
	s_branch .LBB120_420
.LBB120_425:                            ;   in Loop: Header=BB120_6 Depth=1
	s_inst_prefetch 0x2
	s_or_b32 exec_lo, exec_lo, s18
	v_lshrrev_b32_sdwa v38, v36, v9 dst_sel:DWORD dst_unused:UNUSED_PAD src0_sel:DWORD src1_sel:WORD_0
	s_and_b32 s18, s43, exec_lo
.LBB120_426:                            ;   in Loop: Header=BB120_6 Depth=1
	s_or_b32 exec_lo, exec_lo, s42
.LBB120_427:                            ;   in Loop: Header=BB120_6 Depth=1
	s_and_b32 vcc_lo, exec_lo, s19
	s_cbranch_vccz .LBB120_443
; %bb.428:                              ;   in Loop: Header=BB120_6 Depth=1
	s_mov_b32 s52, s49
	s_cmp_lg_u64 s[52:53], 0
	s_cbranch_scc0 .LBB120_430
; %bb.429:                              ;   in Loop: Header=BB120_6 Depth=1
	v_cvt_f32_u32_e32 v6, s33
	s_sub_u32 s15, 0, s33
	s_subb_u32 s16, 0, 0
	v_fmac_f32_e64 v6, 0x4f800000, 0
	v_rcp_f32_e32 v6, v6
	v_mul_f32_e32 v6, 0x5f7ffffc, v6
	v_mul_f32_e32 v7, 0x2f800000, v6
	v_trunc_f32_e32 v7, v7
	v_fmac_f32_e32 v6, 0xcf800000, v7
	v_cvt_u32_f32_e32 v7, v7
	v_cvt_u32_f32_e32 v6, v6
	v_readfirstlane_b32 s6, v7
	v_readfirstlane_b32 s14, v6
	s_mul_i32 s17, s15, s6
	s_mul_hi_u32 s42, s15, s14
	s_mul_i32 s19, s16, s14
	s_add_i32 s17, s42, s17
	s_mul_i32 s43, s15, s14
	s_add_i32 s17, s17, s19
	s_mul_hi_u32 s42, s14, s43
	s_mul_i32 s47, s14, s17
	s_mul_hi_u32 s46, s6, s43
	s_mul_i32 s19, s6, s43
	s_mul_hi_u32 s43, s14, s17
	s_add_u32 s42, s42, s47
	s_addc_u32 s43, 0, s43
	s_mul_hi_u32 s48, s6, s17
	s_add_u32 s19, s42, s19
	s_mul_i32 s17, s6, s17
	s_addc_u32 s19, s43, s46
	s_addc_u32 s42, s48, 0
	s_add_u32 s17, s19, s17
	s_addc_u32 s19, 0, s42
	s_add_u32 s14, s14, s17
	s_cselect_b32 s17, -1, 0
	s_mul_hi_u32 s42, s15, s14
	s_cmp_lg_u32 s17, 0
	s_mul_i32 s17, s15, s14
	s_addc_u32 s6, s6, s19
	s_mul_i32 s16, s16, s14
	s_mul_i32 s15, s15, s6
	s_mul_hi_u32 s19, s14, s17
	s_add_i32 s15, s42, s15
	s_mul_hi_u32 s42, s6, s17
	s_add_i32 s15, s15, s16
	s_mul_i32 s16, s6, s17
	s_mul_i32 s46, s14, s15
	s_mul_hi_u32 s43, s14, s15
	s_add_u32 s19, s19, s46
	s_addc_u32 s43, 0, s43
	s_mul_hi_u32 s17, s6, s15
	s_add_u32 s16, s19, s16
	s_mul_i32 s15, s6, s15
	s_addc_u32 s16, s43, s42
	s_addc_u32 s17, s17, 0
	s_add_u32 s15, s16, s15
	s_addc_u32 s16, 0, s17
	s_add_u32 s14, s14, s15
	s_cselect_b32 s15, -1, 0
	s_mul_hi_u32 s17, s82, s14
	s_cmp_lg_u32 s15, 0
	s_mul_hi_u32 s15, s53, s14
	s_addc_u32 s6, s6, s16
	s_mul_i32 s14, s53, s14
	s_mul_i32 s19, s82, s6
	s_mul_hi_u32 s16, s82, s6
	s_add_u32 s17, s17, s19
	s_addc_u32 s16, 0, s16
	s_mul_hi_u32 s42, s53, s6
	s_add_u32 s14, s17, s14
	s_mul_i32 s6, s53, s6
	s_addc_u32 s14, s16, s15
	s_addc_u32 s15, s42, 0
	s_add_u32 s6, s14, s6
	s_addc_u32 s14, 0, s15
	s_mul_hi_u32 s15, s33, s6
	s_mul_i32 s14, s33, s14
	s_mul_i32 s6, s33, s6
	s_add_i32 s15, s15, s14
	s_sub_u32 s6, s82, s6
	s_cselect_b32 s14, -1, 0
	s_cmp_lg_u32 s14, 0
	s_subb_u32 s14, s53, s15
	s_sub_u32 s15, s6, s33
	s_cselect_b32 s16, -1, 0
	s_cmp_lg_u32 s16, 0
	s_subb_u32 s16, s14, 0
	;; [unrolled: 4-line block ×3, first 2 shown]
	s_cmp_ge_u32 s15, s33
	s_cselect_b32 s42, -1, 0
	s_cmp_eq_u32 s16, 0
	s_cselect_b32 s42, s42, -1
	s_cmp_lg_u32 s42, 0
	s_cselect_b32 s16, s19, s16
	s_cselect_b32 s17, s17, s15
	s_cmp_ge_u32 s6, s33
	s_cselect_b32 s15, -1, 0
	s_cmp_eq_u32 s14, 0
	s_cselect_b32 s15, s15, -1
	s_cmp_lg_u32 s15, 0
	s_cselect_b32 s15, s16, s14
	s_cselect_b32 s14, s17, s6
	s_mov_b32 s6, 0
	s_branch .LBB120_431
.LBB120_430:                            ;   in Loop: Header=BB120_6 Depth=1
	s_mov_b32 s6, -1
                                        ; implicit-def: $sgpr14_sgpr15
.LBB120_431:                            ;   in Loop: Header=BB120_6 Depth=1
	s_andn2_b32 vcc_lo, exec_lo, s6
	s_cbranch_vccnz .LBB120_433
; %bb.432:                              ;   in Loop: Header=BB120_6 Depth=1
	v_cvt_f32_u32_e32 v6, s33
	s_sub_i32 s14, 0, s33
	v_rcp_iflag_f32_e32 v6, v6
	v_mul_f32_e32 v6, 0x4f7ffffe, v6
	v_cvt_u32_f32_e32 v6, v6
	v_readfirstlane_b32 s6, v6
	s_mul_i32 s14, s14, s6
	s_mul_hi_u32 s14, s6, s14
	s_add_i32 s6, s6, s14
	s_mul_hi_u32 s6, s82, s6
	s_mul_i32 s6, s6, s33
	s_sub_i32 s6, s82, s6
	s_sub_i32 s14, s6, s33
	s_cmp_ge_u32 s6, s33
	s_cselect_b32 s6, s14, s6
	s_sub_i32 s14, s6, s33
	s_cmp_ge_u32 s6, s33
	s_cselect_b32 s48, s14, s6
	s_mov_b64 s[14:15], s[48:49]
.LBB120_433:                            ;   in Loop: Header=BB120_6 Depth=1
	s_sub_u32 s14, s82, s14
	s_subb_u32 s15, s53, s15
	s_mov_b32 s16, exec_lo
                                        ; implicit-def: $vgpr38
	v_cmpx_gt_u64_e64 s[14:15], v[0:1]
	s_cbranch_execz .LBB120_442
; %bb.434:                              ;   in Loop: Header=BB120_6 Depth=1
	v_mov_b32_e32 v6, v12
	v_mov_b32_e32 v9, v1
	;; [unrolled: 1-line block ×4, first 2 shown]
	s_mov_b32 s17, 0
                                        ; implicit-def: $sgpr19
	s_inst_prefetch 0x1
	s_branch .LBB120_437
	.p2align	6
.LBB120_435:                            ;   in Loop: Header=BB120_437 Depth=2
	s_or_b32 exec_lo, exec_lo, s6
	s_waitcnt lgkmcnt(0)
	s_barrier
	buffer_gl0_inv
	ds_read_u16 v10, v3 offset:3072
	s_mov_b32 s6, -1
	s_waitcnt lgkmcnt(0)
	s_barrier
	buffer_gl0_inv
	v_cmp_eq_u32_sdwa s42, v10, v3 src0_sel:BYTE_0 src1_sel:DWORD
	s_and_b32 vcc_lo, exec_lo, s42
	s_mov_b32 s42, -1
	s_cbranch_vccnz .LBB120_440
.LBB120_436:                            ;   in Loop: Header=BB120_437 Depth=2
	s_and_b32 s6, exec_lo, s6
	s_or_b32 s17, s6, s17
	s_andn2_b32 s6, s19, exec_lo
	s_and_b32 s8, s42, exec_lo
	s_or_b32 s19, s6, s8
	s_andn2_b32 exec_lo, exec_lo, s17
	s_cbranch_execz .LBB120_441
.LBB120_437:                            ;   Parent Loop BB120_6 Depth=1
                                        ; =>  This Inner Loop Header: Depth=2
	s_mov_b32 s6, exec_lo
	v_cmpx_gt_u64_e64 s[28:29], v[8:9]
	s_cbranch_execz .LBB120_435
; %bb.438:                              ;   in Loop: Header=BB120_437 Depth=2
	global_load_ubyte v10, v[6:7], off
	s_waitcnt vmcnt(0)
	v_and_b32_e32 v11, v10, v37
	v_cmp_eq_u32_sdwa s42, v11, v20 src0_sel:BYTE_0 src1_sel:DWORD
	s_and_b32 exec_lo, exec_lo, s42
	s_cbranch_execz .LBB120_435
; %bb.439:                              ;   in Loop: Header=BB120_437 Depth=2
	v_lshlrev_b16 v10, 8, v10
	v_or_b32_e32 v10, 1, v10
	ds_write_b16 v3, v10 offset:3072
	s_branch .LBB120_435
.LBB120_440:                            ;   in Loop: Header=BB120_437 Depth=2
	v_add_co_u32 v8, vcc_lo, v8, s33
	v_add_co_ci_u32_e64 v9, null, 0, v9, vcc_lo
	v_add_co_u32 v6, s6, v6, s72
	v_add_co_ci_u32_e64 v7, null, s41, v7, s6
	v_cmp_le_u64_e32 vcc_lo, s[14:15], v[8:9]
	s_mov_b32 s42, 0
	s_orn2_b32 s6, vcc_lo, exec_lo
	s_branch .LBB120_436
.LBB120_441:                            ;   in Loop: Header=BB120_6 Depth=1
	s_inst_prefetch 0x2
	s_or_b32 exec_lo, exec_lo, s17
	v_lshrrev_b32_sdwa v38, v36, v10 dst_sel:DWORD dst_unused:UNUSED_PAD src0_sel:DWORD src1_sel:WORD_0
	s_andn2_b32 s6, s18, exec_lo
	s_and_b32 s8, s19, exec_lo
	s_or_b32 s18, s6, s8
.LBB120_442:                            ;   in Loop: Header=BB120_6 Depth=1
	s_or_b32 exec_lo, exec_lo, s16
	s_mov_b32 s6, 0
	s_mov_b32 s52, -1
.LBB120_443:                            ;   in Loop: Header=BB120_6 Depth=1
	s_orn2_b32 s15, s18, exec_lo
.LBB120_444:                            ;   in Loop: Header=BB120_6 Depth=1
	s_or_b32 exec_lo, exec_lo, s64
	s_mov_b32 s16, 0
	s_and_saveexec_b32 s14, s15
	s_cbranch_execz .LBB120_455
; %bb.445:                              ;   in Loop: Header=BB120_6 Depth=1
	v_mov_b32_e32 v6, 1
	v_mov_b32_e32 v7, 0
	;; [unrolled: 1-line block ×3, first 2 shown]
	s_xor_b32 s16, s63, -1
	s_and_saveexec_b32 s15, s16
	s_cbranch_execz .LBB120_454
; %bb.446:                              ;   in Loop: Header=BB120_6 Depth=1
	s_mov_b32 s16, exec_lo
	v_cmpx_ge_u64_e64 s[12:13], v[4:5]
	s_xor_b32 s16, exec_lo, s16
	s_cbranch_execz .LBB120_451
; %bb.447:                              ;   in Loop: Header=BB120_6 Depth=1
	ds_read_b64 v[6:7], v3 offset:5120
	v_and_b32_e32 v20, s26, v20
	v_or_b32_e32 v37, s11, v37
	s_waitcnt lgkmcnt(0)
	v_cmp_ne_u64_e32 vcc_lo, 0, v[6:7]
	s_cbranch_vccnz .LBB120_451
; %bb.448:                              ;   in Loop: Header=BB120_6 Depth=1
	s_and_saveexec_b32 s11, s3
; %bb.449:                              ;   in Loop: Header=BB120_6 Depth=1
	v_mov_b32_e32 v6, s12
	v_mov_b32_e32 v7, s13
	ds_write_b64 v3, v[6:7] offset:5128
; %bb.450:                              ;   in Loop: Header=BB120_6 Depth=1
	s_or_b32 exec_lo, exec_lo, s11
	s_waitcnt lgkmcnt(0)
	s_barrier
	buffer_gl0_inv
.LBB120_451:                            ;   in Loop: Header=BB120_6 Depth=1
	s_andn2_saveexec_b32 s11, s16
; %bb.452:                              ;   in Loop: Header=BB120_6 Depth=1
	v_sub_co_u32 v4, vcc_lo, v4, s12
	v_subrev_co_ci_u32_e64 v5, null, s13, v5, vcc_lo
; %bb.453:                              ;   in Loop: Header=BB120_6 Depth=1
	s_or_b32 exec_lo, exec_lo, s11
	v_mov_b32_e32 v7, v5
	v_mov_b32_e32 v2, 5
	;; [unrolled: 1-line block ×3, first 2 shown]
.LBB120_454:                            ;   in Loop: Header=BB120_6 Depth=1
	s_or_b32 exec_lo, exec_lo, s15
	v_mov_b32_e32 v4, v6
	v_mov_b32_e32 v5, v7
	s_mov_b32 s16, exec_lo
.LBB120_455:                            ;   in Loop: Header=BB120_6 Depth=1
	s_or_b32 exec_lo, exec_lo, s14
	s_orn2_b32 s14, s16, exec_lo
.LBB120_456:                            ;   in Loop: Header=BB120_6 Depth=1
	s_or_b32 exec_lo, exec_lo, s21
	v_mov_b32_e32 v7, v5
	v_mov_b32_e32 v6, v4
	s_andn2_b32 s11, s62, exec_lo
	s_and_b32 s12, s52, exec_lo
	s_andn2_b32 s13, s61, exec_lo
	s_and_b32 s6, s6, exec_lo
	s_or_b32 s62, s11, s12
	s_or_b32 s61, s13, s6
	s_and_b32 s16, s14, exec_lo
.LBB120_457:                            ;   in Loop: Header=BB120_6 Depth=1
	s_or_b32 exec_lo, exec_lo, s20
	s_orn2_b32 s6, s16, exec_lo
.LBB120_458:                            ;   in Loop: Header=BB120_6 Depth=1
	s_or_b32 exec_lo, exec_lo, s23
	v_mov_b32_e32 v4, v6
	v_mov_b32_e32 v5, v7
	s_andn2_b32 s11, s60, exec_lo
	s_and_b32 s12, s62, exec_lo
	s_andn2_b32 s13, s59, exec_lo
	s_and_b32 s14, s61, exec_lo
	s_or_b32 s60, s11, s12
	s_or_b32 s59, s13, s14
	s_and_b32 s18, s6, exec_lo
.LBB120_459:                            ;   in Loop: Header=BB120_6 Depth=1
	s_or_b32 exec_lo, exec_lo, s22
	s_orn2_b32 s6, s18, exec_lo
.LBB120_460:                            ;   in Loop: Header=BB120_6 Depth=1
	s_or_b32 exec_lo, exec_lo, s25
	s_mov_b32 s11, s58
	s_mov_b32 s12, s45
	s_and_saveexec_b32 s13, s6
; %bb.461:                              ;   in Loop: Header=BB120_6 Depth=1
	v_cmp_ne_u32_e32 vcc_lo, 5, v2
	v_cmp_eq_u32_e64 s6, 5, v2
	s_andn2_b32 s11, s45, exec_lo
	s_andn2_b32 s14, s58, exec_lo
	s_and_b32 s12, vcc_lo, exec_lo
	s_and_b32 s6, s6, exec_lo
	s_or_b32 s12, s11, s12
	s_or_b32 s11, s14, s6
; %bb.462:                              ;   in Loop: Header=BB120_6 Depth=1
	s_or_b32 exec_lo, exec_lo, s13
	s_andn2_b32 s6, s9, exec_lo
	s_and_b32 s8, s60, exec_lo
	s_andn2_b32 s13, s27, exec_lo
	s_and_b32 s14, s59, exec_lo
	s_or_b32 s9, s6, s8
	s_andn2_b32 s6, s45, exec_lo
	s_and_b32 s8, s12, exec_lo
	s_andn2_b32 s12, s58, exec_lo
	s_and_b32 s11, s11, exec_lo
	s_or_b32 s27, s13, s14
	s_or_b32 s45, s6, s8
	;; [unrolled: 1-line block ×3, first 2 shown]
.LBB120_463:                            ;   in Loop: Header=BB120_6 Depth=1
	s_or_b32 exec_lo, exec_lo, s24
	s_mov_b32 s59, 0
	s_mov_b32 s60, 0
	s_and_saveexec_b32 s6, s58
.LBB120_464:                            ;   in Loop: Header=BB120_6 Depth=1
	v_mov_b32_e32 v2, 0
	s_or_b32 s45, s45, exec_lo
.LBB120_465:                            ;   in Loop: Header=BB120_6 Depth=1
	s_or_b32 exec_lo, exec_lo, s6
	s_andn2_b32 s6, s36, exec_lo
	s_and_b32 s8, s9, exec_lo
	s_andn2_b32 s9, s104, exec_lo
	s_and_b32 s12, s27, exec_lo
	v_mov_b32_e32 v27, v5
	v_mov_b32_e32 v26, v4
	s_or_b32 s36, s6, s8
	s_or_b32 s104, s9, s12
	s_andn2_b32 s6, s44, exec_lo
	s_and_b32 s8, s60, exec_lo
	s_andn2_b32 s9, s37, exec_lo
	s_and_b32 s12, s59, exec_lo
	s_mov_b32 s11, -1
	s_andn2_b32 vcc_hi, vcc_hi, exec_lo
	s_or_b32 s44, s6, s8
	s_or_b32 s37, s9, s12
	s_and_saveexec_b32 s6, s45
	s_xor_b32 s6, exec_lo, s6
	s_cbranch_execz .LBB120_5
; %bb.466:                              ;   in Loop: Header=BB120_6 Depth=1
	s_mov_b32 s9, -1
	s_mov_b32 s12, exec_lo
	v_cmpx_eq_u32_e32 0, v2
	s_cbranch_execz .LBB120_4
; %bb.467:                              ;   in Loop: Header=BB120_6 Depth=1
	s_xor_b32 s95, s95, 1
	s_add_i32 s13, s92, -2
	s_cmp_eq_u32 s92, 0
	s_mov_b32 s92, s13
	s_cselect_b32 s9, -1, 0
	s_xor_b32 s11, exec_lo, -1
	s_orn2_b32 s9, s9, exec_lo
	s_branch .LBB120_4
.LBB120_468:
	s_or_b32 exec_lo, exec_lo, s93
	s_xor_b32 s7, s99, -1
	s_xor_b32 s9, s97, -1
	;; [unrolled: 1-line block ×5, first 2 shown]
	s_mov_b32 s8, 0
	s_and_saveexec_b32 s12, s11
	s_xor_b32 s14, exec_lo, s12
	s_cbranch_execnz .LBB120_473
; %bb.469:
	s_andn2_saveexec_b32 s0, s14
	s_cbranch_execnz .LBB120_492
.LBB120_470:
	s_or_b32 exec_lo, exec_lo, s0
	s_and_saveexec_b32 s0, s8
.LBB120_471:
	; divergent unreachable
.LBB120_472:
	s_endpgm
.LBB120_473:
	s_and_saveexec_b32 s11, s10
	s_xor_b32 s15, exec_lo, s11
	s_cbranch_execz .LBB120_490
; %bb.474:
	s_and_saveexec_b32 s10, s9
	s_xor_b32 s16, exec_lo, s10
	s_cbranch_execz .LBB120_488
; %bb.475:
	;; [unrolled: 4-line block ×3, first 2 shown]
	s_and_saveexec_b32 s7, s6
	s_xor_b32 s6, exec_lo, s7
; %bb.477:
	v_mov_b32_e32 v38, v20
; %bb.478:
	s_or_b32 exec_lo, exec_lo, s6
	s_and_saveexec_b32 s6, s3
; %bb.479:
	v_mov_b32_e32 v2, 0
	v_mov_b32_e32 v3, v2
	ds_write_b64 v2, v[2:3] offset:5136
; %bb.480:
	s_or_b32 exec_lo, exec_lo, s6
	v_mov_b32_e32 v16, 0
	s_waitcnt lgkmcnt(0)
	s_barrier
	buffer_gl0_inv
	s_and_saveexec_b32 s3, s1
	s_cbranch_execz .LBB120_482
; %bb.481:
	global_load_ubyte v16, v[12:13], off
.LBB120_482:
	s_or_b32 exec_lo, exec_lo, s3
	s_clause 0x2
	s_load_dwordx2 s[20:21], s[4:5], 0x298
	s_load_dwordx2 s[8:9], s[4:5], 0x368
	;; [unrolled: 1-line block ×3, first 2 shown]
	v_readlane_b32 s18, v57, 0
	v_readlane_b32 s19, v57, 1
	s_add_u32 s3, s28, 31
	s_addc_u32 s7, s29, 0
	s_and_b32 s6, s3, 0xffffffe0
	s_mul_hi_u32 s5, s18, s40
	v_cmp_gt_u64_e32 vcc_lo, s[6:7], v[0:1]
	s_waitcnt lgkmcnt(0)
	s_mul_i32 s12, s21, s40
	s_mul_hi_u32 s4, s20, s40
	s_add_i32 s3, s4, s12
	s_mul_i32 s4, s19, s40
	s_mul_i32 s12, s20, s40
	s_add_i32 s5, s5, s4
	s_mul_i32 s4, s18, s40
	v_readlane_b32 s18, v57, 4
	v_readlane_b32 s19, v57, 5
	;; [unrolled: 1-line block ×4, first 2 shown]
	s_add_u32 s12, s18, s12
	s_addc_u32 s13, s19, s3
	s_lshl_b64 s[18:19], s[4:5], 3
	s_mov_b32 s4, -1
	s_add_u32 s5, s20, s18
	s_addc_u32 s18, s21, s19
	s_mov_b32 s19, 0
	s_mov_b32 s3, 0
	s_and_saveexec_b32 s20, vcc_lo
	s_cbranch_execnz .LBB120_493
; %bb.483:
	s_or_b32 exec_lo, exec_lo, s20
	s_and_saveexec_b32 s2, s4
	s_cbranch_execnz .LBB120_508
.LBB120_484:
	s_or_b32 exec_lo, exec_lo, s2
	s_and_saveexec_b32 s0, s3
	s_xor_b32 s0, exec_lo, s0
	s_cbranch_execnz .LBB120_531
.LBB120_485:
	s_or_b32 exec_lo, exec_lo, s0
	s_and_b32 s8, s19, exec_lo
.LBB120_486:
	s_andn2_saveexec_b32 s0, s17
	s_cbranch_execnz .LBB120_533
.LBB120_487:
	s_or_b32 exec_lo, exec_lo, s0
	s_and_b32 s8, s8, exec_lo
.LBB120_488:
	s_andn2_saveexec_b32 s0, s16
	s_cbranch_execnz .LBB120_532
.LBB120_489:
	s_or_b32 exec_lo, exec_lo, s0
	s_and_b32 s8, s8, exec_lo
.LBB120_490:
	s_andn2_saveexec_b32 s0, s15
	s_cbranch_execnz .LBB120_527
.LBB120_491:
	s_or_b32 exec_lo, exec_lo, s0
	s_and_b32 s8, s8, exec_lo
	s_andn2_saveexec_b32 s0, s14
	s_cbranch_execz .LBB120_470
.LBB120_492:
	s_or_b32 s8, s8, exec_lo
	s_trap 2
	s_or_b32 exec_lo, exec_lo, s0
	s_and_saveexec_b32 s0, s8
	s_cbranch_execnz .LBB120_471
	s_branch .LBB120_472
.LBB120_493:
	v_add_co_u32 v4, s3, v0, s33
	v_add_co_ci_u32_e64 v5, null, 0, 0, s3
	s_add_u32 s22, s34, s73
	s_addc_u32 s23, s35, s74
	v_mov_b32_e32 v11, v1
	v_mad_u64_u32 v[2:3], null, s38, v4, s[22:23]
	v_mul_lo_u32 v6, s38, v5
	v_mul_lo_u32 v4, s39, v4
	v_mov_b32_e32 v5, 0
	v_mov_b32_e32 v10, v0
	s_mov_b32 s21, 0
                                        ; implicit-def: $sgpr22
                                        ; implicit-def: $vgpr8_vgpr9
	v_add3_u32 v3, v4, v3, v6
	s_branch .LBB120_495
.LBB120_494:                            ;   in Loop: Header=BB120_495 Depth=1
	s_or_b32 exec_lo, exec_lo, s23
	s_xor_b32 s3, s24, -1
	s_and_b32 s4, exec_lo, s4
	v_mov_b32_e32 v11, v7
	v_mov_b32_e32 v16, v17
	s_or_b32 s21, s4, s21
	v_mov_b32_e32 v10, v6
	s_andn2_b32 s4, s22, exec_lo
	s_and_b32 s3, s3, exec_lo
	s_or_b32 s22, s4, s3
	s_andn2_b32 exec_lo, exec_lo, s21
	s_cbranch_execz .LBB120_507
.LBB120_495:                            ; =>This Inner Loop Header: Depth=1
	v_add_co_u32 v6, s3, v10, s33
	v_add_co_ci_u32_e64 v7, null, 0, v11, s3
	v_mov_b32_e32 v17, 0
	s_mov_b32 s4, exec_lo
	v_cmpx_gt_u64_e64 s[28:29], v[6:7]
	s_cbranch_execz .LBB120_497
; %bb.496:                              ;   in Loop: Header=BB120_495 Depth=1
	global_load_ubyte v17, v[2:3], off
.LBB120_497:                            ;   in Loop: Header=BB120_495 Depth=1
	s_or_b32 exec_lo, exec_lo, s4
	s_waitcnt vmcnt(0)
	v_cmp_gt_u16_sdwa s3, v16, v38 src0_sel:BYTE_0 src1_sel:BYTE_0
	v_cndmask_b32_e64 v4, 0, 1, s3
	v_cmp_lt_u16_sdwa s3, v16, v38 src0_sel:BYTE_0 src1_sel:BYTE_0
	v_cndmask_b32_e64 v14, 0, 1, s3
	v_cmp_gt_u64_e64 s3, s[28:29], v[10:11]
	v_cndmask_b32_e64 v4, v14, v4, s2
	v_and_b32_e32 v4, 1, v4
	v_cmp_eq_u32_e64 s4, 1, v4
	s_and_b32 s23, s3, s4
	v_cndmask_b32_e64 v4, 0, 1, s23
	v_cmp_ne_u32_e64 s3, 0, v4
	s_cmp_lg_u32 s3, 0
	s_cselect_b32 s4, -1, 0
	s_and_b32 s4, s0, s4
	s_and_saveexec_b32 s24, s4
	s_cbranch_execz .LBB120_501
; %bb.498:                              ;   in Loop: Header=BB120_495 Depth=1
	s_mov_b32 s27, exec_lo
	s_bcnt1_i32_b32 s25, s3
	v_mbcnt_lo_u32_b32 v14, s27, 0
	s_mov_b32 s26, exec_lo
                                        ; implicit-def: $vgpr8_vgpr9
	v_cmpx_eq_u32_e32 0, v14
	s_cbranch_execz .LBB120_500
; %bb.499:                              ;   in Loop: Header=BB120_495 Depth=1
	s_bcnt1_i32_b32 s4, s27
	s_mul_i32 s4, s25, s4
	v_mov_b32_e32 v4, s4
	s_waitcnt lgkmcnt(0)
	ds_add_rtn_u64 v[8:9], v5, v[4:5] offset:5136
.LBB120_500:                            ;   in Loop: Header=BB120_495 Depth=1
	s_or_b32 exec_lo, exec_lo, s26
	s_waitcnt lgkmcnt(0)
	v_readfirstlane_b32 s27, v9
	v_readfirstlane_b32 s26, v8
	v_mad_u64_u32 v[8:9], null, s25, v14, s[26:27]
.LBB120_501:                            ;   in Loop: Header=BB120_495 Depth=1
	s_or_b32 exec_lo, exec_lo, s24
	s_waitcnt lgkmcnt(1)
	ds_bpermute_b32 v8, v5, v8
	s_waitcnt lgkmcnt(1)
	ds_bpermute_b32 v9, v5, v9
	s_mov_b32 s4, -1
	s_mov_b32 s25, -1
	s_and_saveexec_b32 s24, s23
	s_cbranch_execz .LBB120_505
; %bb.502:                              ;   in Loop: Header=BB120_495 Depth=1
	v_and_b32_e32 v4, s3, v30
	s_mov_b32 s23, 0
	s_mov_b32 s25, exec_lo
	v_bcnt_u32_b32 v4, v4, 0
	s_waitcnt lgkmcnt(1)
	v_add_co_u32 v14, s3, v8, v4
	s_waitcnt lgkmcnt(0)
	v_add_co_ci_u32_e64 v15, null, 0, v9, s3
	v_cmpx_gt_u64_e64 s[30:31], v[14:15]
; %bb.503:                              ;   in Loop: Header=BB120_495 Depth=1
	v_mul_lo_u32 v4, v15, s10
	v_mul_lo_u32 v22, v14, s11
	v_mad_u64_u32 v[18:19], null, v14, s10, 0
	v_mad_u64_u32 v[20:21], null, v14, s8, s[12:13]
	v_mul_lo_u32 v23, v14, s9
	s_mov_b32 s23, exec_lo
	v_add3_u32 v19, v19, v22, v4
	v_mul_lo_u32 v4, v15, s8
	v_lshlrev_b64 v[14:15], 3, v[18:19]
	v_add3_u32 v21, v4, v21, v23
	v_add_co_u32 v14, s3, s5, v14
	v_add_co_ci_u32_e64 v15, null, s18, v15, s3
	global_store_byte v[20:21], v16, off
	global_store_dwordx2 v[14:15], v[10:11], off
; %bb.504:                              ;   in Loop: Header=BB120_495 Depth=1
	s_or_b32 exec_lo, exec_lo, s25
	s_orn2_b32 s25, s23, exec_lo
.LBB120_505:                            ;   in Loop: Header=BB120_495 Depth=1
	s_or_b32 exec_lo, exec_lo, s24
	s_mov_b32 s24, -1
	s_and_saveexec_b32 s23, s25
	s_cbranch_execz .LBB120_494
; %bb.506:                              ;   in Loop: Header=BB120_495 Depth=1
	v_cmp_le_u64_e64 s3, s[6:7], v[6:7]
	v_add_co_u32 v2, s4, v2, s72
	v_add_co_ci_u32_e64 v3, null, s41, v3, s4
	s_xor_b32 s24, exec_lo, -1
	s_orn2_b32 s4, s3, exec_lo
	s_branch .LBB120_494
.LBB120_507:
	s_or_b32 exec_lo, exec_lo, s21
	s_mov_b32 s3, exec_lo
	s_orn2_b32 s4, s22, exec_lo
	s_or_b32 exec_lo, exec_lo, s20
	s_and_saveexec_b32 s2, s4
	s_cbranch_execz .LBB120_484
.LBB120_508:
	v_mov_b32_e32 v4, 0
	s_waitcnt vmcnt(0) lgkmcnt(0)
	s_waitcnt_vscnt null, 0x0
	s_barrier
	buffer_gl0_inv
	s_and_saveexec_b32 s4, s1
	s_cbranch_execz .LBB120_510
; %bb.509:
	global_load_ubyte v4, v[12:13], off
.LBB120_510:
	s_or_b32 exec_lo, exec_lo, s4
	s_mov_b32 s1, 0
	s_and_saveexec_b32 s4, vcc_lo
	s_cbranch_execz .LBB120_530
; %bb.511:
	v_add_co_u32 v5, s1, v0, s33
	v_add_co_ci_u32_e64 v6, null, 0, 0, s1
	s_add_u32 s20, s34, s73
	s_addc_u32 s21, s35, s74
	s_mov_b32 s19, 0
	v_mad_u64_u32 v[2:3], null, s38, v5, s[20:21]
	v_mul_lo_u32 v6, s38, v6
	v_mul_lo_u32 v5, s39, v5
                                        ; implicit-def: $sgpr20
                                        ; implicit-def: $vgpr8_vgpr9
	v_add3_u32 v3, v5, v3, v6
	v_mov_b32_e32 v5, 0
	s_branch .LBB120_514
.LBB120_512:                            ;   in Loop: Header=BB120_514 Depth=1
	s_or_b32 exec_lo, exec_lo, s22
	s_orn2_b32 s24, s23, exec_lo
	s_orn2_b32 s23, s1, exec_lo
.LBB120_513:                            ;   in Loop: Header=BB120_514 Depth=1
	s_or_b32 exec_lo, exec_lo, s21
	s_xor_b32 s1, s24, -1
	s_and_b32 s21, exec_lo, s23
	v_mov_b32_e32 v0, v6
	v_mov_b32_e32 v1, v7
	s_or_b32 s19, s21, s19
	v_mov_b32_e32 v4, v12
	s_andn2_b32 s20, s20, exec_lo
	s_and_b32 s1, s1, exec_lo
	s_or_b32 s20, s20, s1
	s_andn2_b32 exec_lo, exec_lo, s19
	s_cbranch_execz .LBB120_528
.LBB120_514:                            ; =>This Inner Loop Header: Depth=1
	v_add_co_u32 v6, vcc_lo, v0, s33
	v_add_co_ci_u32_e64 v7, null, 0, v1, vcc_lo
	v_mov_b32_e32 v12, 0
	s_mov_b32 s1, exec_lo
	v_cmpx_gt_u64_e64 s[28:29], v[6:7]
	s_cbranch_execz .LBB120_516
; %bb.515:                              ;   in Loop: Header=BB120_514 Depth=1
	global_load_ubyte v12, v[2:3], off
.LBB120_516:                            ;   in Loop: Header=BB120_514 Depth=1
	s_or_b32 exec_lo, exec_lo, s1
	v_cmp_gt_u64_e32 vcc_lo, s[28:29], v[0:1]
	s_waitcnt vmcnt(0)
	v_cmp_eq_u16_sdwa s1, v4, v38 src0_sel:BYTE_0 src1_sel:BYTE_0
	s_and_b32 s22, vcc_lo, s1
	v_cndmask_b32_e64 v4, 0, 1, s22
	v_cmp_ne_u32_e32 vcc_lo, 0, v4
	s_cmp_lg_u32 vcc_lo, 0
	s_cselect_b32 s1, -1, 0
	s_and_b32 s1, s0, s1
	s_and_saveexec_b32 s21, s1
	s_cbranch_execz .LBB120_520
; %bb.517:                              ;   in Loop: Header=BB120_514 Depth=1
	s_mov_b32 s25, exec_lo
	s_bcnt1_i32_b32 s23, vcc_lo
	v_mbcnt_lo_u32_b32 v10, s25, 0
	s_mov_b32 s24, exec_lo
                                        ; implicit-def: $vgpr8_vgpr9
	v_cmpx_eq_u32_e32 0, v10
; %bb.518:                              ;   in Loop: Header=BB120_514 Depth=1
	s_bcnt1_i32_b32 s1, s25
	s_mul_i32 s1, s23, s1
	v_mov_b32_e32 v4, s1
	ds_add_rtn_u64 v[8:9], v5, v[4:5] offset:5136
; %bb.519:                              ;   in Loop: Header=BB120_514 Depth=1
	s_or_b32 exec_lo, exec_lo, s24
	s_waitcnt lgkmcnt(0)
	v_readfirstlane_b32 s25, v9
	v_readfirstlane_b32 s24, v8
	v_mad_u64_u32 v[8:9], null, s23, v10, s[24:25]
.LBB120_520:                            ;   in Loop: Header=BB120_514 Depth=1
	s_or_b32 exec_lo, exec_lo, s21
	ds_bpermute_b32 v8, v5, v8
	ds_bpermute_b32 v9, v5, v9
	s_cmp_eq_u32 vcc_lo, 0
	s_mov_b32 s23, -1
	s_cselect_b32 s21, -1, 0
	s_mov_b32 s24, -1
	s_waitcnt lgkmcnt(0)
	v_cmp_gt_u64_e64 s1, s[30:31], v[8:9]
	s_or_b32 s1, s21, s1
	s_and_saveexec_b32 s21, s1
	s_cbranch_execz .LBB120_513
; %bb.521:                              ;   in Loop: Header=BB120_514 Depth=1
	v_and_b32_e32 v4, vcc_lo, v30
	v_sub_co_u32 v10, vcc_lo, s30, v8
	v_sub_co_ci_u32_e64 v11, null, s31, v9, vcc_lo
	v_bcnt_u32_b32 v4, v4, 0
	s_mov_b32 s1, -1
	v_bcnt_u32_b32 v4, 0, v4
	v_cmp_gt_u64_e32 vcc_lo, v[10:11], v[4:5]
	s_and_b32 s25, s22, vcc_lo
	s_and_saveexec_b32 s22, s25
	s_cbranch_execz .LBB120_525
; %bb.522:                              ;   in Loop: Header=BB120_514 Depth=1
	v_add_co_u32 v10, vcc_lo, v8, v4
	v_add_co_ci_u32_e64 v11, null, 0, v9, vcc_lo
	s_mov_b32 s24, 0
	s_mov_b32 s23, exec_lo
	v_cmpx_gt_u64_e64 s[30:31], v[10:11]
; %bb.523:                              ;   in Loop: Header=BB120_514 Depth=1
	v_mul_lo_u32 v4, v11, s10
	v_mul_lo_u32 v17, v10, s11
	v_mad_u64_u32 v[13:14], null, v10, s10, 0
	v_mad_u64_u32 v[15:16], null, v10, s8, s[12:13]
	v_mul_lo_u32 v18, v10, s9
	s_mov_b32 s24, exec_lo
	v_add3_u32 v14, v14, v17, v4
	v_mul_lo_u32 v4, v11, s8
	v_lshlrev_b64 v[10:11], 3, v[13:14]
	v_add3_u32 v16, v4, v16, v18
	v_add_co_u32 v10, vcc_lo, s5, v10
	v_add_co_ci_u32_e64 v11, null, s18, v11, vcc_lo
	global_store_byte v[15:16], v38, off
	global_store_dwordx2 v[10:11], v[0:1], off
; %bb.524:                              ;   in Loop: Header=BB120_514 Depth=1
	s_or_b32 exec_lo, exec_lo, s23
	s_xor_b32 s23, exec_lo, -1
	s_orn2_b32 s24, s24, exec_lo
.LBB120_525:                            ;   in Loop: Header=BB120_514 Depth=1
	s_or_b32 exec_lo, exec_lo, s22
	s_and_saveexec_b32 s22, s24
	s_cbranch_execz .LBB120_512
; %bb.526:                              ;   in Loop: Header=BB120_514 Depth=1
	v_cmp_le_u64_e32 vcc_lo, s[6:7], v[6:7]
	v_add_co_u32 v2, s1, v2, s72
	v_add_co_ci_u32_e64 v3, null, s41, v3, s1
	s_or_b32 s23, s23, exec_lo
	s_orn2_b32 s1, vcc_lo, exec_lo
	s_branch .LBB120_512
.LBB120_527:
	s_or_b32 s8, s8, exec_lo
	s_trap 2
	s_branch .LBB120_491
.LBB120_528:
	s_or_b32 exec_lo, exec_lo, s19
	s_mov_b32 s0, 0
	s_and_saveexec_b32 s1, s20
	s_xor_b32 s1, exec_lo, s1
	s_cbranch_execnz .LBB120_534
.LBB120_529:
	s_or_b32 exec_lo, exec_lo, s1
	s_and_b32 s1, s0, exec_lo
.LBB120_530:
	s_or_b32 exec_lo, exec_lo, s4
	s_and_b32 s19, s1, exec_lo
	s_andn2_b32 s3, s3, exec_lo
	s_or_b32 exec_lo, exec_lo, s2
	s_and_saveexec_b32 s0, s3
	s_xor_b32 s0, exec_lo, s0
	s_cbranch_execz .LBB120_485
.LBB120_531:
	s_or_b32 s19, s19, exec_lo
	s_trap 2
	s_branch .LBB120_485
.LBB120_532:
	s_or_b32 s8, s8, exec_lo
	s_trap 2
	s_branch .LBB120_489
.LBB120_533:
	s_or_b32 s8, s8, exec_lo
	s_trap 2
	s_branch .LBB120_487
.LBB120_534:
	s_mov_b32 s0, exec_lo
	s_trap 2
	s_branch .LBB120_529
	.section	.rodata,"a",@progbits
	.p2align	6, 0x0
	.amdhsa_kernel _ZN2at6native6sbtopk10gatherTopKIhmLi1ELb0EEEvNS_4cuda6detail10TensorInfoIKT_T0_EES8_S8_bS8_S8_NS5_IS6_S8_EES8_NS5_IlS8_EES8_PS6_
		.amdhsa_group_segment_fixed_size 5152
		.amdhsa_private_segment_fixed_size 0
		.amdhsa_kernarg_size 1568
		.amdhsa_user_sgpr_count 6
		.amdhsa_user_sgpr_private_segment_buffer 1
		.amdhsa_user_sgpr_dispatch_ptr 0
		.amdhsa_user_sgpr_queue_ptr 0
		.amdhsa_user_sgpr_kernarg_segment_ptr 1
		.amdhsa_user_sgpr_dispatch_id 0
		.amdhsa_user_sgpr_flat_scratch_init 0
		.amdhsa_user_sgpr_private_segment_size 0
		.amdhsa_wavefront_size32 1
		.amdhsa_uses_dynamic_stack 0
		.amdhsa_system_sgpr_private_segment_wavefront_offset 0
		.amdhsa_system_sgpr_workgroup_id_x 1
		.amdhsa_system_sgpr_workgroup_id_y 1
		.amdhsa_system_sgpr_workgroup_id_z 1
		.amdhsa_system_sgpr_workgroup_info 0
		.amdhsa_system_vgpr_workitem_id 0
		.amdhsa_next_free_vgpr 58
		.amdhsa_next_free_sgpr 105
		.amdhsa_reserve_vcc 1
		.amdhsa_reserve_flat_scratch 0
		.amdhsa_float_round_mode_32 0
		.amdhsa_float_round_mode_16_64 0
		.amdhsa_float_denorm_mode_32 3
		.amdhsa_float_denorm_mode_16_64 3
		.amdhsa_dx10_clamp 1
		.amdhsa_ieee_mode 1
		.amdhsa_fp16_overflow 0
		.amdhsa_workgroup_processor_mode 1
		.amdhsa_memory_ordered 1
		.amdhsa_forward_progress 1
		.amdhsa_shared_vgpr_count 0
		.amdhsa_exception_fp_ieee_invalid_op 0
		.amdhsa_exception_fp_denorm_src 0
		.amdhsa_exception_fp_ieee_div_zero 0
		.amdhsa_exception_fp_ieee_overflow 0
		.amdhsa_exception_fp_ieee_underflow 0
		.amdhsa_exception_fp_ieee_inexact 0
		.amdhsa_exception_int_div_zero 0
	.end_amdhsa_kernel
	.section	.text._ZN2at6native6sbtopk10gatherTopKIhmLi1ELb0EEEvNS_4cuda6detail10TensorInfoIKT_T0_EES8_S8_bS8_S8_NS5_IS6_S8_EES8_NS5_IlS8_EES8_PS6_,"axG",@progbits,_ZN2at6native6sbtopk10gatherTopKIhmLi1ELb0EEEvNS_4cuda6detail10TensorInfoIKT_T0_EES8_S8_bS8_S8_NS5_IS6_S8_EES8_NS5_IlS8_EES8_PS6_,comdat
.Lfunc_end120:
	.size	_ZN2at6native6sbtopk10gatherTopKIhmLi1ELb0EEEvNS_4cuda6detail10TensorInfoIKT_T0_EES8_S8_bS8_S8_NS5_IS6_S8_EES8_NS5_IlS8_EES8_PS6_, .Lfunc_end120-_ZN2at6native6sbtopk10gatherTopKIhmLi1ELb0EEEvNS_4cuda6detail10TensorInfoIKT_T0_EES8_S8_bS8_S8_NS5_IS6_S8_EES8_NS5_IlS8_EES8_PS6_
                                        ; -- End function
	.set _ZN2at6native6sbtopk10gatherTopKIhmLi1ELb0EEEvNS_4cuda6detail10TensorInfoIKT_T0_EES8_S8_bS8_S8_NS5_IS6_S8_EES8_NS5_IlS8_EES8_PS6_.num_vgpr, 58
	.set _ZN2at6native6sbtopk10gatherTopKIhmLi1ELb0EEEvNS_4cuda6detail10TensorInfoIKT_T0_EES8_S8_bS8_S8_NS5_IS6_S8_EES8_NS5_IlS8_EES8_PS6_.num_agpr, 0
	.set _ZN2at6native6sbtopk10gatherTopKIhmLi1ELb0EEEvNS_4cuda6detail10TensorInfoIKT_T0_EES8_S8_bS8_S8_NS5_IS6_S8_EES8_NS5_IlS8_EES8_PS6_.numbered_sgpr, 105
	.set _ZN2at6native6sbtopk10gatherTopKIhmLi1ELb0EEEvNS_4cuda6detail10TensorInfoIKT_T0_EES8_S8_bS8_S8_NS5_IS6_S8_EES8_NS5_IlS8_EES8_PS6_.num_named_barrier, 0
	.set _ZN2at6native6sbtopk10gatherTopKIhmLi1ELb0EEEvNS_4cuda6detail10TensorInfoIKT_T0_EES8_S8_bS8_S8_NS5_IS6_S8_EES8_NS5_IlS8_EES8_PS6_.private_seg_size, 0
	.set _ZN2at6native6sbtopk10gatherTopKIhmLi1ELb0EEEvNS_4cuda6detail10TensorInfoIKT_T0_EES8_S8_bS8_S8_NS5_IS6_S8_EES8_NS5_IlS8_EES8_PS6_.uses_vcc, 1
	.set _ZN2at6native6sbtopk10gatherTopKIhmLi1ELb0EEEvNS_4cuda6detail10TensorInfoIKT_T0_EES8_S8_bS8_S8_NS5_IS6_S8_EES8_NS5_IlS8_EES8_PS6_.uses_flat_scratch, 0
	.set _ZN2at6native6sbtopk10gatherTopKIhmLi1ELb0EEEvNS_4cuda6detail10TensorInfoIKT_T0_EES8_S8_bS8_S8_NS5_IS6_S8_EES8_NS5_IlS8_EES8_PS6_.has_dyn_sized_stack, 0
	.set _ZN2at6native6sbtopk10gatherTopKIhmLi1ELb0EEEvNS_4cuda6detail10TensorInfoIKT_T0_EES8_S8_bS8_S8_NS5_IS6_S8_EES8_NS5_IlS8_EES8_PS6_.has_recursion, 0
	.set _ZN2at6native6sbtopk10gatherTopKIhmLi1ELb0EEEvNS_4cuda6detail10TensorInfoIKT_T0_EES8_S8_bS8_S8_NS5_IS6_S8_EES8_NS5_IlS8_EES8_PS6_.has_indirect_call, 0
	.section	.AMDGPU.csdata,"",@progbits
; Kernel info:
; codeLenInByte = 25468
; TotalNumSgprs: 107
; NumVgprs: 58
; ScratchSize: 0
; MemoryBound: 0
; FloatMode: 240
; IeeeMode: 1
; LDSByteSize: 5152 bytes/workgroup (compile time only)
; SGPRBlocks: 0
; VGPRBlocks: 7
; NumSGPRsForWavesPerEU: 107
; NumVGPRsForWavesPerEU: 58
; Occupancy: 16
; WaveLimiterHint : 1
; COMPUTE_PGM_RSRC2:SCRATCH_EN: 0
; COMPUTE_PGM_RSRC2:USER_SGPR: 6
; COMPUTE_PGM_RSRC2:TRAP_HANDLER: 0
; COMPUTE_PGM_RSRC2:TGID_X_EN: 1
; COMPUTE_PGM_RSRC2:TGID_Y_EN: 1
; COMPUTE_PGM_RSRC2:TGID_Z_EN: 1
; COMPUTE_PGM_RSRC2:TIDIG_COMP_CNT: 0
	.section	.text._ZN2at6native6mbtopk23computeBlockDigitCountsIhmjLi2EEEvNS_4cuda6detail10TensorInfoIKT_T0_EEjPjjS8_iijT1_PSB_Ps,"axG",@progbits,_ZN2at6native6mbtopk23computeBlockDigitCountsIhmjLi2EEEvNS_4cuda6detail10TensorInfoIKT_T0_EEjPjjS8_iijT1_PSB_Ps,comdat
	.protected	_ZN2at6native6mbtopk23computeBlockDigitCountsIhmjLi2EEEvNS_4cuda6detail10TensorInfoIKT_T0_EEjPjjS8_iijT1_PSB_Ps ; -- Begin function _ZN2at6native6mbtopk23computeBlockDigitCountsIhmjLi2EEEvNS_4cuda6detail10TensorInfoIKT_T0_EEjPjjS8_iijT1_PSB_Ps
	.globl	_ZN2at6native6mbtopk23computeBlockDigitCountsIhmjLi2EEEvNS_4cuda6detail10TensorInfoIKT_T0_EEjPjjS8_iijT1_PSB_Ps
	.p2align	8
	.type	_ZN2at6native6mbtopk23computeBlockDigitCountsIhmjLi2EEEvNS_4cuda6detail10TensorInfoIKT_T0_EEjPjjS8_iijT1_PSB_Ps,@function
_ZN2at6native6mbtopk23computeBlockDigitCountsIhmjLi2EEEvNS_4cuda6detail10TensorInfoIKT_T0_EEjPjjS8_iijT1_PSB_Ps: ; @_ZN2at6native6mbtopk23computeBlockDigitCountsIhmjLi2EEEvNS_4cuda6detail10TensorInfoIKT_T0_EEjPjjS8_iijT1_PSB_Ps
; %bb.0:
	s_clause 0x2
	s_load_dwordx4 s[0:3], s[4:5], 0x1c0
	s_load_dword s12, s[4:5], 0x1b0
	s_load_dwordx2 s[10:11], s[4:5], 0x1e0
	s_waitcnt lgkmcnt(0)
	v_cvt_f32_u32_e32 v1, s2
	s_mul_i32 s8, s11, s8
	s_sub_i32 s11, 0, s2
	s_add_i32 s7, s8, s7
	v_rcp_iflag_f32_e32 v1, v1
	s_mul_i32 s16, s7, s10
	s_add_i32 s16, s16, s6
	v_mul_f32_e32 v1, 0x4f7ffffe, v1
	v_cvt_u32_f32_e32 v1, v1
	v_readfirstlane_b32 s9, v1
	s_mul_i32 s11, s11, s9
	s_mul_hi_u32 s7, s9, s11
	s_add_i32 s9, s9, s7
	s_mul_hi_u32 s6, s16, s9
	s_mul_i32 s7, s6, s2
	s_add_i32 s8, s6, 1
	s_sub_i32 s7, s16, s7
	s_sub_i32 s9, s7, s2
	s_cmp_ge_u32 s7, s2
	s_cselect_b32 s6, s8, s6
	s_cselect_b32 s7, s9, s7
	s_add_i32 s8, s6, 1
	s_cmp_ge_u32 s7, s2
	s_mov_b32 s7, 0
	s_cselect_b32 s6, s8, s6
	s_cmp_ge_u32 s6, s12
	s_cbranch_scc1 .LBB121_29
; %bb.1:
	s_clause 0x1
	s_load_dwordx2 s[12:13], s[4:5], 0x10
	s_load_dwordx4 s[8:11], s[4:5], 0x1d0
	s_lshl_b64 s[14:15], s[6:7], 2
	s_waitcnt lgkmcnt(0)
	v_cmp_lt_u64_e64 s17, s[6:7], s[12:13]
	s_add_u32 s14, s8, s14
	s_addc_u32 s15, s9, s15
	s_mov_b64 s[8:9], 0
	s_and_b32 vcc_lo, exec_lo, s17
	s_cbranch_vccnz .LBB121_3
; %bb.2:
	v_cvt_f32_u32_e32 v1, s12
	s_sub_i32 s8, 0, s12
	v_rcp_iflag_f32_e32 v1, v1
	v_mul_f32_e32 v1, 0x4f7ffffe, v1
	v_cvt_u32_f32_e32 v1, v1
	v_readfirstlane_b32 s7, v1
	s_mul_i32 s8, s8, s7
	s_mul_hi_u32 s8, s7, s8
	s_add_i32 s7, s7, s8
	s_mul_hi_u32 s7, s6, s7
	s_mul_i32 s8, s7, s12
	s_add_i32 s9, s7, 1
	s_sub_i32 s8, s6, s8
	s_sub_i32 s17, s8, s12
	s_cmp_ge_u32 s8, s12
	s_cselect_b32 s7, s9, s7
	s_cselect_b32 s8, s17, s8
	s_add_i32 s9, s7, 1
	s_cmp_ge_u32 s8, s12
	s_cselect_b32 s8, s9, s7
.LBB121_3:
	v_cmp_gt_u32_e32 vcc_lo, 0x100, v0
	v_lshlrev_b32_e32 v1, 2, v0
	s_and_saveexec_b32 s7, vcc_lo
; %bb.4:
	v_mov_b32_e32 v2, 0
	ds_write_b32 v1, v2
; %bb.5:
	s_or_b32 exec_lo, exec_lo, s7
	s_load_dword s9, s[4:5], 0x1a0
	s_mul_i32 s7, s6, s2
	s_waitcnt lgkmcnt(0)
	s_sub_i32 s7, s16, s7
	s_barrier
	s_mul_i32 s17, s1, s7
	s_add_i32 s7, s7, 1
	s_lshl_b32 s17, s17, 8
	buffer_gl0_inv
	s_sub_i32 s18, s9, s17
	s_add_u32 s18, s18, 0xff
	s_addc_u32 s19, 0, 0
	s_lshr_b64 s[18:19], s[18:19], 8
	s_cmp_lt_u32 s7, s2
	s_cselect_b32 s2, s1, s18
	s_mov_b32 s18, 0
	s_cmp_lt_i32 s2, 1
	s_cbranch_scc1 .LBB121_27
; %bb.6:
	s_clause 0x1
	s_load_dwordx4 s[20:23], s[4:5], 0xd0
	s_load_dwordx2 s[24:25], s[4:5], 0x0
	s_load_dword s1, s[14:15], 0x0
	s_load_dwordx2 s[4:5], s[4:5], 0x1b8
	s_mul_i32 s7, s8, s13
	s_mul_hi_u32 s13, s8, s12
	s_mul_i32 s12, s8, s12
	s_add_i32 s13, s13, s7
	s_sub_u32 s6, s6, s12
	s_subb_u32 s7, 0, s13
	s_waitcnt lgkmcnt(0)
	s_mul_i32 s12, s6, s23
	s_mul_hi_u32 s13, s6, s22
	s_mul_i32 s7, s7, s22
	s_mul_i32 s14, s8, s21
	s_mul_hi_u32 s15, s8, s20
	s_add_i32 s12, s13, s12
	s_mul_i32 s8, s8, s20
	s_add_i32 s15, s15, s14
	s_add_i32 s12, s12, s7
	s_mul_i32 s6, s6, s22
	s_add_u32 s7, s24, s8
	s_addc_u32 s8, s25, s15
	s_add_u32 s6, s7, s6
	s_addc_u32 s7, s8, s12
	s_and_b32 s8, s0, 0xff
	s_cmp_lt_u32 s2, 4
	s_cbranch_scc1 .LBB121_21
; %bb.7:
	v_add_nc_u32_e32 v2, s17, v0
	v_mov_b32_e32 v3, 1
	s_and_b32 s18, s2, 0x7ffffffc
	s_mov_b32 s12, 0
	s_branch .LBB121_9
.LBB121_8:                              ;   in Loop: Header=BB121_9 Depth=1
	s_or_b32 exec_lo, exec_lo, s13
	v_add_nc_u32_e32 v2, 0x400, v2
	s_add_i32 s12, s12, 4
	s_cmp_eq_u32 s18, s12
	s_cbranch_scc1 .LBB121_21
.LBB121_9:                              ; =>This Inner Loop Header: Depth=1
	s_mov_b32 s13, exec_lo
	v_cmpx_gt_u32_e64 s9, v2
	s_cbranch_execz .LBB121_12
; %bb.10:                               ;   in Loop: Header=BB121_9 Depth=1
	v_mad_u64_u32 v[4:5], null, s4, v2, s[6:7]
	v_mad_u64_u32 v[5:6], null, s5, v2, v[5:6]
	global_load_ubyte v4, v[4:5], off
	s_waitcnt vmcnt(0)
	v_xor_b32_e32 v5, s1, v4
	v_and_b32_e32 v5, s3, v5
	v_cmp_eq_u32_e64 s0, 0, v5
	s_and_b32 exec_lo, exec_lo, s0
; %bb.11:                               ;   in Loop: Header=BB121_9 Depth=1
	v_lshrrev_b32_e32 v4, s8, v4
	v_lshlrev_b32_e32 v4, 2, v4
	ds_add_u32 v4, v3
.LBB121_12:                             ;   in Loop: Header=BB121_9 Depth=1
	s_or_b32 exec_lo, exec_lo, s13
	v_add_nc_u32_e32 v4, 0x100, v2
	s_mov_b32 s13, exec_lo
	v_cmpx_gt_u32_e64 s9, v4
	s_cbranch_execz .LBB121_15
; %bb.13:                               ;   in Loop: Header=BB121_9 Depth=1
	v_mad_u64_u32 v[5:6], null, s4, v4, s[6:7]
	v_mad_u64_u32 v[6:7], null, s5, v4, v[6:7]
	global_load_ubyte v4, v[5:6], off
	s_waitcnt vmcnt(0)
	v_xor_b32_e32 v5, s1, v4
	v_and_b32_e32 v5, s3, v5
	v_cmp_eq_u32_e64 s0, 0, v5
	s_and_b32 exec_lo, exec_lo, s0
; %bb.14:                               ;   in Loop: Header=BB121_9 Depth=1
	v_lshrrev_b32_e32 v4, s8, v4
	v_lshlrev_b32_e32 v4, 2, v4
	ds_add_u32 v4, v3
.LBB121_15:                             ;   in Loop: Header=BB121_9 Depth=1
	s_or_b32 exec_lo, exec_lo, s13
	v_add_nc_u32_e32 v4, 0x200, v2
	;; [unrolled: 19-line block ×3, first 2 shown]
	s_mov_b32 s13, exec_lo
	v_cmpx_gt_u32_e64 s9, v4
	s_cbranch_execz .LBB121_8
; %bb.19:                               ;   in Loop: Header=BB121_9 Depth=1
	v_mad_u64_u32 v[5:6], null, s4, v4, s[6:7]
	v_mad_u64_u32 v[6:7], null, s5, v4, v[6:7]
	global_load_ubyte v4, v[5:6], off
	s_waitcnt vmcnt(0)
	v_xor_b32_e32 v5, s1, v4
	v_and_b32_e32 v5, s3, v5
	v_cmp_eq_u32_e64 s0, 0, v5
	s_and_b32 exec_lo, exec_lo, s0
	s_cbranch_execz .LBB121_8
; %bb.20:                               ;   in Loop: Header=BB121_9 Depth=1
	v_lshrrev_b32_e32 v4, s8, v4
	v_lshlrev_b32_e32 v4, 2, v4
	ds_add_u32 v4, v3
	s_branch .LBB121_8
.LBB121_21:
	s_and_b32 s2, s2, 3
	s_cmp_eq_u32 s2, 0
	s_cbranch_scc1 .LBB121_27
; %bb.22:
	s_lshl_b32 s0, s18, 8
	v_mov_b32_e32 v3, 1
	v_add3_u32 v2, s0, s17, v0
	s_inst_prefetch 0x1
	s_branch .LBB121_24
	.p2align	6
.LBB121_23:                             ;   in Loop: Header=BB121_24 Depth=1
	s_or_b32 exec_lo, exec_lo, s12
	v_add_nc_u32_e32 v2, 0x100, v2
	s_add_i32 s2, s2, -1
	s_cmp_lg_u32 s2, 0
	s_cbranch_scc0 .LBB121_27
.LBB121_24:                             ; =>This Inner Loop Header: Depth=1
	s_mov_b32 s12, exec_lo
	v_cmpx_gt_u32_e64 s9, v2
	s_cbranch_execz .LBB121_23
; %bb.25:                               ;   in Loop: Header=BB121_24 Depth=1
	v_mad_u64_u32 v[4:5], null, s4, v2, s[6:7]
	v_mad_u64_u32 v[5:6], null, s5, v2, v[5:6]
	global_load_ubyte v4, v[4:5], off
	s_waitcnt vmcnt(0)
	v_xor_b32_e32 v5, s1, v4
	v_and_b32_e32 v5, s3, v5
	v_cmp_eq_u32_e64 s0, 0, v5
	s_and_b32 exec_lo, exec_lo, s0
	s_cbranch_execz .LBB121_23
; %bb.26:                               ;   in Loop: Header=BB121_24 Depth=1
	v_lshrrev_b32_e32 v4, s8, v4
	v_lshlrev_b32_e32 v4, 2, v4
	ds_add_u32 v4, v3
	s_branch .LBB121_23
.LBB121_27:
	s_inst_prefetch 0x2
	s_waitcnt lgkmcnt(0)
	s_barrier
	buffer_gl0_inv
	s_and_saveexec_b32 s0, vcc_lo
	s_cbranch_execz .LBB121_29
; %bb.28:
	ds_read_b32 v2, v1
	v_lshl_or_b32 v0, s16, 8, v0
	v_mov_b32_e32 v1, 0
	v_lshlrev_b64 v[0:1], 1, v[0:1]
	v_add_co_u32 v0, vcc_lo, s10, v0
	v_add_co_ci_u32_e64 v1, null, s11, v1, vcc_lo
	s_waitcnt lgkmcnt(0)
	global_store_short v[0:1], v2, off
.LBB121_29:
	s_endpgm
	.section	.rodata,"a",@progbits
	.p2align	6, 0x0
	.amdhsa_kernel _ZN2at6native6mbtopk23computeBlockDigitCountsIhmjLi2EEEvNS_4cuda6detail10TensorInfoIKT_T0_EEjPjjS8_iijT1_PSB_Ps
		.amdhsa_group_segment_fixed_size 1024
		.amdhsa_private_segment_fixed_size 0
		.amdhsa_kernarg_size 736
		.amdhsa_user_sgpr_count 6
		.amdhsa_user_sgpr_private_segment_buffer 1
		.amdhsa_user_sgpr_dispatch_ptr 0
		.amdhsa_user_sgpr_queue_ptr 0
		.amdhsa_user_sgpr_kernarg_segment_ptr 1
		.amdhsa_user_sgpr_dispatch_id 0
		.amdhsa_user_sgpr_flat_scratch_init 0
		.amdhsa_user_sgpr_private_segment_size 0
		.amdhsa_wavefront_size32 1
		.amdhsa_uses_dynamic_stack 0
		.amdhsa_system_sgpr_private_segment_wavefront_offset 0
		.amdhsa_system_sgpr_workgroup_id_x 1
		.amdhsa_system_sgpr_workgroup_id_y 1
		.amdhsa_system_sgpr_workgroup_id_z 1
		.amdhsa_system_sgpr_workgroup_info 0
		.amdhsa_system_vgpr_workitem_id 0
		.amdhsa_next_free_vgpr 8
		.amdhsa_next_free_sgpr 26
		.amdhsa_reserve_vcc 1
		.amdhsa_reserve_flat_scratch 0
		.amdhsa_float_round_mode_32 0
		.amdhsa_float_round_mode_16_64 0
		.amdhsa_float_denorm_mode_32 3
		.amdhsa_float_denorm_mode_16_64 3
		.amdhsa_dx10_clamp 1
		.amdhsa_ieee_mode 1
		.amdhsa_fp16_overflow 0
		.amdhsa_workgroup_processor_mode 1
		.amdhsa_memory_ordered 1
		.amdhsa_forward_progress 1
		.amdhsa_shared_vgpr_count 0
		.amdhsa_exception_fp_ieee_invalid_op 0
		.amdhsa_exception_fp_denorm_src 0
		.amdhsa_exception_fp_ieee_div_zero 0
		.amdhsa_exception_fp_ieee_overflow 0
		.amdhsa_exception_fp_ieee_underflow 0
		.amdhsa_exception_fp_ieee_inexact 0
		.amdhsa_exception_int_div_zero 0
	.end_amdhsa_kernel
	.section	.text._ZN2at6native6mbtopk23computeBlockDigitCountsIhmjLi2EEEvNS_4cuda6detail10TensorInfoIKT_T0_EEjPjjS8_iijT1_PSB_Ps,"axG",@progbits,_ZN2at6native6mbtopk23computeBlockDigitCountsIhmjLi2EEEvNS_4cuda6detail10TensorInfoIKT_T0_EEjPjjS8_iijT1_PSB_Ps,comdat
.Lfunc_end121:
	.size	_ZN2at6native6mbtopk23computeBlockDigitCountsIhmjLi2EEEvNS_4cuda6detail10TensorInfoIKT_T0_EEjPjjS8_iijT1_PSB_Ps, .Lfunc_end121-_ZN2at6native6mbtopk23computeBlockDigitCountsIhmjLi2EEEvNS_4cuda6detail10TensorInfoIKT_T0_EEjPjjS8_iijT1_PSB_Ps
                                        ; -- End function
	.set _ZN2at6native6mbtopk23computeBlockDigitCountsIhmjLi2EEEvNS_4cuda6detail10TensorInfoIKT_T0_EEjPjjS8_iijT1_PSB_Ps.num_vgpr, 8
	.set _ZN2at6native6mbtopk23computeBlockDigitCountsIhmjLi2EEEvNS_4cuda6detail10TensorInfoIKT_T0_EEjPjjS8_iijT1_PSB_Ps.num_agpr, 0
	.set _ZN2at6native6mbtopk23computeBlockDigitCountsIhmjLi2EEEvNS_4cuda6detail10TensorInfoIKT_T0_EEjPjjS8_iijT1_PSB_Ps.numbered_sgpr, 26
	.set _ZN2at6native6mbtopk23computeBlockDigitCountsIhmjLi2EEEvNS_4cuda6detail10TensorInfoIKT_T0_EEjPjjS8_iijT1_PSB_Ps.num_named_barrier, 0
	.set _ZN2at6native6mbtopk23computeBlockDigitCountsIhmjLi2EEEvNS_4cuda6detail10TensorInfoIKT_T0_EEjPjjS8_iijT1_PSB_Ps.private_seg_size, 0
	.set _ZN2at6native6mbtopk23computeBlockDigitCountsIhmjLi2EEEvNS_4cuda6detail10TensorInfoIKT_T0_EEjPjjS8_iijT1_PSB_Ps.uses_vcc, 1
	.set _ZN2at6native6mbtopk23computeBlockDigitCountsIhmjLi2EEEvNS_4cuda6detail10TensorInfoIKT_T0_EEjPjjS8_iijT1_PSB_Ps.uses_flat_scratch, 0
	.set _ZN2at6native6mbtopk23computeBlockDigitCountsIhmjLi2EEEvNS_4cuda6detail10TensorInfoIKT_T0_EEjPjjS8_iijT1_PSB_Ps.has_dyn_sized_stack, 0
	.set _ZN2at6native6mbtopk23computeBlockDigitCountsIhmjLi2EEEvNS_4cuda6detail10TensorInfoIKT_T0_EEjPjjS8_iijT1_PSB_Ps.has_recursion, 0
	.set _ZN2at6native6mbtopk23computeBlockDigitCountsIhmjLi2EEEvNS_4cuda6detail10TensorInfoIKT_T0_EEjPjjS8_iijT1_PSB_Ps.has_indirect_call, 0
	.section	.AMDGPU.csdata,"",@progbits
; Kernel info:
; codeLenInByte = 1224
; TotalNumSgprs: 28
; NumVgprs: 8
; ScratchSize: 0
; MemoryBound: 0
; FloatMode: 240
; IeeeMode: 1
; LDSByteSize: 1024 bytes/workgroup (compile time only)
; SGPRBlocks: 0
; VGPRBlocks: 0
; NumSGPRsForWavesPerEU: 28
; NumVGPRsForWavesPerEU: 8
; Occupancy: 16
; WaveLimiterHint : 1
; COMPUTE_PGM_RSRC2:SCRATCH_EN: 0
; COMPUTE_PGM_RSRC2:USER_SGPR: 6
; COMPUTE_PGM_RSRC2:TRAP_HANDLER: 0
; COMPUTE_PGM_RSRC2:TGID_X_EN: 1
; COMPUTE_PGM_RSRC2:TGID_Y_EN: 1
; COMPUTE_PGM_RSRC2:TGID_Z_EN: 1
; COMPUTE_PGM_RSRC2:TIDIG_COMP_CNT: 0
	.section	.text._ZN2at6native6mbtopk10gatherTopKIhmLi2EEEvNS_4cuda6detail10TensorInfoIKT_T0_EES8_S8_bjS8_NS5_IS6_S8_EES8_NS5_IlS8_EES8_jjPS6_PjSD_j,"axG",@progbits,_ZN2at6native6mbtopk10gatherTopKIhmLi2EEEvNS_4cuda6detail10TensorInfoIKT_T0_EES8_S8_bjS8_NS5_IS6_S8_EES8_NS5_IlS8_EES8_jjPS6_PjSD_j,comdat
	.protected	_ZN2at6native6mbtopk10gatherTopKIhmLi2EEEvNS_4cuda6detail10TensorInfoIKT_T0_EES8_S8_bjS8_NS5_IS6_S8_EES8_NS5_IlS8_EES8_jjPS6_PjSD_j ; -- Begin function _ZN2at6native6mbtopk10gatherTopKIhmLi2EEEvNS_4cuda6detail10TensorInfoIKT_T0_EES8_S8_bjS8_NS5_IS6_S8_EES8_NS5_IlS8_EES8_jjPS6_PjSD_j
	.globl	_ZN2at6native6mbtopk10gatherTopKIhmLi2EEEvNS_4cuda6detail10TensorInfoIKT_T0_EES8_S8_bjS8_NS5_IS6_S8_EES8_NS5_IlS8_EES8_jjPS6_PjSD_j
	.p2align	8
	.type	_ZN2at6native6mbtopk10gatherTopKIhmLi2EEEvNS_4cuda6detail10TensorInfoIKT_T0_EES8_S8_bjS8_NS5_IS6_S8_EES8_NS5_IlS8_EES8_jjPS6_PjSD_j,@function
_ZN2at6native6mbtopk10gatherTopKIhmLi2EEEvNS_4cuda6detail10TensorInfoIKT_T0_EES8_S8_bjS8_NS5_IS6_S8_EES8_NS5_IlS8_EES8_jjPS6_PjSD_j: ; @_ZN2at6native6mbtopk10gatherTopKIhmLi2EEEvNS_4cuda6detail10TensorInfoIKT_T0_EES8_S8_bjS8_NS5_IS6_S8_EES8_NS5_IlS8_EES8_jjPS6_PjSD_j
; %bb.0:
	s_clause 0x1
	s_load_dwordx2 s[0:1], s[4:5], 0x538
	s_load_dword s2, s[4:5], 0x530
	s_waitcnt lgkmcnt(0)
	s_mul_i32 s1, s1, s8
	s_add_i32 s1, s1, s7
	s_mul_i32 s0, s1, s0
	s_add_i32 s0, s0, s6
	s_cmp_ge_u32 s0, s2
	s_cbranch_scc1 .LBB122_48
; %bb.1:
	s_clause 0x3
	s_load_dwordx2 s[6:7], s[4:5], 0x510
	s_load_dwordx2 s[38:39], s[4:5], 0x1d0
	s_load_dwordx4 s[8:11], s[4:5], 0x1a0
	s_load_dwordx2 s[36:37], s[4:5], 0x10
	s_mov_b32 s35, 0
	s_waitcnt lgkmcnt(0)
	v_cvt_f32_u32_e32 v1, s7
	s_sub_i32 s2, 0, s7
	s_lshl_b32 s33, s6, 8
	v_rcp_iflag_f32_e32 v1, v1
	v_mul_f32_e32 v1, 0x4f7ffffe, v1
	v_cvt_u32_f32_e32 v1, v1
	v_readfirstlane_b32 s1, v1
	s_mul_i32 s2, s2, s1
	s_mul_hi_u32 s2, s1, s2
	s_add_i32 s1, s1, s2
	s_mul_hi_u32 s1, s0, s1
	s_mul_i32 s2, s1, s7
	s_add_i32 s3, s1, 1
	s_sub_i32 s2, s0, s2
	s_sub_i32 s12, s2, s7
	s_cmp_ge_u32 s2, s7
	s_cselect_b32 s1, s3, s1
	s_cselect_b32 s2, s12, s2
	s_add_i32 s3, s1, 1
	s_cmp_ge_u32 s2, s7
	s_cselect_b32 s34, s3, s1
	s_mul_i32 s16, s34, s7
	s_sub_i32 s50, s0, s16
	s_add_i32 s0, s50, 1
	s_cmp_lt_u32 s0, s7
	s_cbranch_scc1 .LBB122_3
; %bb.2:
	s_mul_i32 s0, s50, s33
	s_sub_u32 s0, s8, s0
	s_subb_u32 s1, s9, 0
	s_add_u32 s0, s0, 0xff
	s_addc_u32 s1, s1, 0
	s_ashr_i32 s2, s1, 31
	s_lshr_b32 s2, s2, 24
	s_add_u32 s0, s0, s2
	s_addc_u32 s1, s1, 0
	s_lshr_b64 s[0:1], s[0:1], 8
	s_mov_b32 s6, s0
.LBB122_3:
	s_load_dwordx2 s[40:41], s[4:5], 0x378
	v_cmp_lt_u64_e64 s0, s[34:35], s[36:37]
	s_mov_b64 s[44:45], 0
	s_mov_b64 s[42:43], 0
	s_and_b32 vcc_lo, exec_lo, s0
	s_cbranch_vccz .LBB122_20
; %bb.4:
	v_cmp_lt_u64_e64 s0, s[34:35], s[38:39]
	s_and_b32 vcc_lo, exec_lo, s0
	s_cbranch_vccz .LBB122_21
.LBB122_5:
	s_waitcnt lgkmcnt(0)
	v_cmp_lt_u64_e64 s0, s[34:35], s[40:41]
	s_mov_b64 s[46:47], 0
	s_and_b32 vcc_lo, exec_lo, s0
	s_cbranch_vccnz .LBB122_7
.LBB122_6:
	v_cvt_f32_u32_e32 v1, s40
	s_sub_i32 s1, 0, s40
	v_rcp_iflag_f32_e32 v1, v1
	v_mul_f32_e32 v1, 0x4f7ffffe, v1
	v_cvt_u32_f32_e32 v1, v1
	v_readfirstlane_b32 s0, v1
	s_mul_i32 s1, s1, s0
	s_mul_hi_u32 s1, s0, s1
	s_add_i32 s0, s0, s1
	s_mul_hi_u32 s0, s34, s0
	s_mul_i32 s1, s0, s40
	s_add_i32 s2, s0, 1
	s_sub_i32 s1, s34, s1
	s_sub_i32 s3, s1, s40
	s_cmp_ge_u32 s1, s40
	s_cselect_b32 s0, s2, s0
	s_cselect_b32 s1, s3, s1
	s_add_i32 s2, s0, 1
	s_cmp_ge_u32 s1, s40
	s_cselect_b32 s46, s2, s0
.LBB122_7:
	s_clause 0x1
	s_load_dwordx4 s[0:3], s[4:5], 0x518
	s_load_dwordx2 s[48:49], s[4:5], 0x0
	v_mov_b32_e32 v1, 0
	s_mov_b32 s17, 0
	s_waitcnt lgkmcnt(0)
	s_add_u32 s0, s0, s34
	s_addc_u32 s1, s1, 0
	global_load_ubyte v8, v1, s[0:1]
	v_cmp_ne_u32_e64 s0, 0, v0
	v_cmp_eq_u32_e64 s1, 0, v0
	s_and_saveexec_b32 s24, s1
	s_cbranch_execz .LBB122_25
; %bb.8:
	s_load_dwordx2 s[18:19], s[4:5], 0x528
	s_lshl_b64 s[20:21], s[16:17], 2
	s_mov_b32 s16, 0
	s_add_u32 s12, s2, s20
	s_addc_u32 s13, s3, s21
	s_mov_b32 s25, 0
	s_waitcnt lgkmcnt(0)
	s_add_u32 s14, s18, s20
	s_addc_u32 s15, s19, s21
	s_cmp_lt_u32 s7, 4
	s_cbranch_scc1 .LBB122_22
; %bb.9:
	s_mov_b32 s26, 0
.LBB122_10:                             ; =>This Inner Loop Header: Depth=1
	s_add_u32 s12, s2, s20
	s_addc_u32 s13, s3, s21
	s_add_u32 s22, s18, s20
	s_load_dwordx4 s[12:15], s[12:13], 0x0
	s_addc_u32 s23, s19, s21
	s_cmp_ge_u32 s26, s50
	s_cbranch_scc0 .LBB122_17
; %bb.11:                               ;   in Loop: Header=BB122_10 Depth=1
	s_add_i32 s27, s26, 1
	s_cmp_ge_u32 s27, s50
	s_cbranch_scc0 .LBB122_18
.LBB122_12:                             ;   in Loop: Header=BB122_10 Depth=1
	s_add_i32 s27, s27, 1
	s_cmp_ge_u32 s27, s50
	s_cbranch_scc0 .LBB122_19
.LBB122_13:                             ;   in Loop: Header=BB122_10 Depth=1
	s_add_i32 s27, s27, 1
	s_cmp_ge_u32 s27, s50
	s_cbranch_scc1 .LBB122_15
.LBB122_14:                             ;   in Loop: Header=BB122_10 Depth=1
	s_load_dword s22, s[22:23], 0xc
	s_waitcnt lgkmcnt(0)
	s_add_i32 s17, s17, s15
	s_add_i32 s16, s22, s16
.LBB122_15:                             ;   in Loop: Header=BB122_10 Depth=1
	s_waitcnt lgkmcnt(0)
	s_add_i32 s12, s12, s25
	s_add_i32 s12, s12, s13
	;; [unrolled: 1-line block ×4, first 2 shown]
	s_add_u32 s2, s2, 16
	s_addc_u32 s3, s3, 0
	s_add_u32 s18, s18, 16
	s_addc_u32 s19, s19, 0
	s_add_i32 s23, s27, 4
	s_add_u32 s14, s18, s20
	s_addc_u32 s15, s19, s21
	s_add_u32 s12, s2, s20
	s_addc_u32 s13, s3, s21
	s_add_i32 s22, s27, 1
	s_cmp_ge_u32 s23, s7
	s_cbranch_scc1 .LBB122_23
; %bb.16:                               ;   in Loop: Header=BB122_10 Depth=1
	s_mov_b32 s26, s22
	s_branch .LBB122_10
.LBB122_17:                             ;   in Loop: Header=BB122_10 Depth=1
	s_load_dword s27, s[22:23], 0x0
	s_waitcnt lgkmcnt(0)
	s_add_i32 s17, s12, s17
	s_add_i32 s16, s27, s16
	;; [unrolled: 1-line block ×3, first 2 shown]
	s_cmp_ge_u32 s27, s50
	s_cbranch_scc1 .LBB122_12
.LBB122_18:                             ;   in Loop: Header=BB122_10 Depth=1
	s_load_dword s28, s[22:23], 0x4
	s_waitcnt lgkmcnt(0)
	s_add_i32 s17, s17, s13
	s_add_i32 s16, s28, s16
	;; [unrolled: 1-line block ×3, first 2 shown]
	s_cmp_ge_u32 s27, s50
	s_cbranch_scc1 .LBB122_13
.LBB122_19:                             ;   in Loop: Header=BB122_10 Depth=1
	s_load_dword s28, s[22:23], 0x8
	s_waitcnt lgkmcnt(0)
	s_add_i32 s17, s17, s14
	s_add_i32 s16, s28, s16
	s_add_i32 s27, s27, 1
	s_cmp_ge_u32 s27, s50
	s_cbranch_scc0 .LBB122_14
	s_branch .LBB122_15
.LBB122_20:
	v_cvt_f32_u32_e32 v1, s36
	s_sub_i32 s1, 0, s36
	v_rcp_iflag_f32_e32 v1, v1
	v_mul_f32_e32 v1, 0x4f7ffffe, v1
	v_cvt_u32_f32_e32 v1, v1
	v_readfirstlane_b32 s0, v1
	s_mul_i32 s1, s1, s0
	s_mul_hi_u32 s1, s0, s1
	s_add_i32 s0, s0, s1
	s_mul_hi_u32 s0, s34, s0
	s_mul_i32 s1, s0, s36
	s_add_i32 s2, s0, 1
	s_sub_i32 s1, s34, s1
	s_sub_i32 s3, s1, s36
	s_cmp_ge_u32 s1, s36
	s_cselect_b32 s0, s2, s0
	s_cselect_b32 s1, s3, s1
	s_add_i32 s2, s0, 1
	s_cmp_ge_u32 s1, s36
	s_cselect_b32 s42, s2, s0
	v_cmp_lt_u64_e64 s0, s[34:35], s[38:39]
	s_and_b32 vcc_lo, exec_lo, s0
	s_cbranch_vccnz .LBB122_5
.LBB122_21:
	v_cvt_f32_u32_e32 v1, s38
	s_sub_i32 s1, 0, s38
	v_rcp_iflag_f32_e32 v1, v1
	v_mul_f32_e32 v1, 0x4f7ffffe, v1
	v_cvt_u32_f32_e32 v1, v1
	v_readfirstlane_b32 s0, v1
	s_mul_i32 s1, s1, s0
	s_mul_hi_u32 s1, s0, s1
	s_add_i32 s0, s0, s1
	s_mul_hi_u32 s0, s34, s0
	s_mul_i32 s1, s0, s38
	s_add_i32 s2, s0, 1
	s_sub_i32 s1, s34, s1
	s_sub_i32 s3, s1, s38
	s_cmp_ge_u32 s1, s38
	s_cselect_b32 s0, s2, s0
	s_cselect_b32 s1, s3, s1
	s_add_i32 s2, s0, 1
	s_cmp_ge_u32 s1, s38
	s_cselect_b32 s44, s2, s0
	s_waitcnt lgkmcnt(0)
	v_cmp_lt_u64_e64 s0, s[34:35], s[40:41]
	s_mov_b64 s[46:47], 0
	s_and_b32 vcc_lo, exec_lo, s0
	s_cbranch_vccz .LBB122_6
	s_branch .LBB122_7
.LBB122_22:
	s_mov_b32 s2, 0
	s_cmp_ge_u32 s2, s7
	s_cbranch_scc0 .LBB122_46
	s_branch .LBB122_24
.LBB122_23:
	s_add_i32 s2, s26, 4
	s_cmp_ge_u32 s2, s7
	s_cbranch_scc0 .LBB122_46
.LBB122_24:
	v_mov_b32_e32 v1, s16
	v_mov_b32_e32 v2, s25
	;; [unrolled: 1-line block ×4, first 2 shown]
	ds_write_b96 v4, v[1:3] offset:1056
.LBB122_25:
	s_or_b32 exec_lo, exec_lo, s24
	s_clause 0x4
	s_load_dwordx4 s[12:15], s[4:5], 0x1b8
	s_load_dwordx4 s[24:27], s[4:5], 0xd0
	;; [unrolled: 1-line block ×5, first 2 shown]
	s_cmp_eq_u32 s6, 0
	s_waitcnt vmcnt(0) lgkmcnt(0)
	s_barrier
	buffer_gl0_inv
	s_cbranch_scc1 .LBB122_48
; %bb.26:
	s_mul_i32 s2, s44, s39
	s_mul_hi_u32 s3, s44, s38
	s_mul_i32 s7, s44, s38
	s_add_i32 s3, s3, s2
	s_sub_u32 s2, s34, s7
	s_subb_u32 s3, 0, s3
	s_mul_i32 s7, s2, s31
	s_mul_hi_u32 s31, s2, s30
	s_mul_i32 s3, s3, s30
	s_add_i32 s7, s31, s7
	s_mul_i32 s2, s2, s30
	s_add_i32 s7, s7, s3
	s_mul_i32 s3, s44, s29
	s_mul_hi_u32 s29, s44, s28
	s_mul_hi_u32 s30, s42, s36
	s_add_i32 s29, s29, s3
	s_mul_i32 s3, s42, s37
	s_mul_i32 s31, s42, s36
	s_add_i32 s30, s30, s3
	s_sub_u32 s3, s34, s31
	s_subb_u32 s30, 0, s30
	s_mul_i32 s27, s3, s27
	s_mul_hi_u32 s31, s3, s26
	s_mul_i32 s30, s30, s26
	s_add_i32 s27, s31, s27
	s_mul_i32 s25, s42, s25
	s_mul_hi_u32 s31, s42, s24
	s_add_i32 s27, s27, s30
	s_add_i32 s31, s31, s25
	s_mul_i32 s25, s46, s41
	s_mul_hi_u32 s30, s46, s40
	s_mul_i32 s35, s46, s40
	v_mov_b32_e32 v5, 0
	s_add_i32 s30, s30, s25
	s_sub_u32 s34, s34, s35
	s_mul_i32 s26, s3, s26
	s_mul_i32 s3, s34, s23
	s_mul_hi_u32 s23, s34, s22
	s_subb_u32 s25, 0, s30
	ds_read_b96 v[1:3], v5 offset:1056
	s_add_i32 s3, s23, s3
	s_mul_i32 s25, s25, s22
	s_mul_i32 s23, s42, s24
	;; [unrolled: 1-line block ×3, first 2 shown]
	s_mul_hi_u32 s24, s46, s20
	s_add_i32 s3, s3, s25
	s_add_i32 s25, s24, s21
	s_mul_i32 s24, s46, s20
	s_add_u32 s20, s48, s23
	s_addc_u32 s21, s49, s31
	s_mul_i32 s28, s44, s28
	s_add_u32 s20, s20, s26
	s_addc_u32 s21, s21, s27
	s_add_u32 s14, s14, s28
	s_addc_u32 s15, s15, s29
	;; [unrolled: 2-line block ×3, first 2 shown]
	s_lshl_b64 s[24:25], s[24:25], 3
	v_add_nc_u32_e32 v4, -1, v0
	s_add_u32 s7, s18, s24
	s_addc_u32 s18, s19, s25
	s_clause 0x1
	s_load_dword s19, s[4:5], 0x1b0
	s_load_dwordx2 s[4:5], s[4:5], 0x508
	v_lshrrev_b32_e32 v6, 3, v0
	v_lshrrev_b32_e32 v7, 3, v4
	s_waitcnt lgkmcnt(0)
	v_add_nc_u32_e32 v1, v1, v2
	s_mul_i32 s2, s34, s22
	v_and_b32_e32 v11, 0xfc, v0
	v_and_b32_e32 v2, 28, v6
	;; [unrolled: 1-line block ×3, first 2 shown]
	v_mad_u64_u32 v[6:7], null, s50, s33, v[0:1]
	v_lshlrev_b32_e32 v12, 5, v0
	v_mbcnt_lo_u32_b32 v9, -1, 0
	s_lshl_b64 s[2:3], s[2:3], 3
	v_lshl_add_u32 v10, v0, 2, v2
	s_add_u32 s7, s7, s2
	s_addc_u32 s18, s18, s3
	v_cmp_gt_u32_e64 s2, 32, v0
	v_lshl_add_u32 v0, v4, 2, v13
	v_add_nc_u32_e32 v11, v11, v12
	v_and_b32_e32 v12, 15, v9
	v_bfe_i32 v13, v9, 4, 1
	v_add_nc_u32_e32 v14, -1, v9
	v_mov_b32_e32 v4, v6
	s_bitcmp1_b32 s19, 0
                                        ; implicit-def: $vgpr15
	s_cselect_b32 s3, -1, 0
	s_branch .LBB122_29
.LBB122_27:                             ;   in Loop: Header=BB122_29 Depth=1
	s_or_b32 exec_lo, exec_lo, s19
	v_add_nc_u32_e32 v1, v2, v1
.LBB122_28:                             ;   in Loop: Header=BB122_29 Depth=1
	v_add_nc_u32_e32 v3, v16, v3
	v_add_nc_u32_e32 v4, 0x100, v4
	s_add_i32 s6, s6, -1
	s_cmp_lg_u32 s6, 0
	s_cbranch_scc0 .LBB122_48
.LBB122_29:                             ; =>This Inner Loop Header: Depth=1
	v_mov_b32_e32 v2, v5
	v_mov_b32_e32 v6, v5
	s_mov_b32 s19, exec_lo
	v_cmpx_gt_u64_e64 s[8:9], v[4:5]
	s_cbranch_execz .LBB122_31
; %bb.30:                               ;   in Loop: Header=BB122_29 Depth=1
	v_mad_u64_u32 v[6:7], null, s12, v4, s[20:21]
	v_mov_b32_e32 v2, v7
	v_mad_u64_u32 v[15:16], null, s13, v4, v[2:3]
	v_mov_b32_e32 v7, v15
	global_load_ubyte v15, v[6:7], off
	s_waitcnt vmcnt(0)
	v_cmp_gt_u16_sdwa s22, v15, v8 src0_sel:DWORD src1_sel:BYTE_0
	v_cndmask_b32_e64 v2, 0, 1, s22
	v_cmp_lt_u16_sdwa s22, v15, v8 src0_sel:DWORD src1_sel:BYTE_0
	v_cndmask_b32_e64 v6, 0, 1, s22
	v_cmp_eq_u16_sdwa s22, v15, v8 src0_sel:DWORD src1_sel:BYTE_0
	v_cndmask_b32_e64 v2, v6, v2, s3
	v_cndmask_b32_e64 v6, 0, 1, s22
	v_and_b32_e32 v2, 1, v2
.LBB122_31:                             ;   in Loop: Header=BB122_29 Depth=1
	s_or_b32 exec_lo, exec_lo, s19
	ds_write_b32 v10, v2
	s_waitcnt lgkmcnt(0)
	s_barrier
	buffer_gl0_inv
	s_and_saveexec_b32 s19, s2
	s_cbranch_execz .LBB122_33
; %bb.32:                               ;   in Loop: Header=BB122_29 Depth=1
	ds_read2_b32 v[16:17], v11 offset1:1
	ds_read2_b32 v[18:19], v11 offset0:2 offset1:3
	ds_read2_b32 v[20:21], v11 offset0:4 offset1:5
	;; [unrolled: 1-line block ×3, first 2 shown]
	v_cmp_ne_u32_e32 vcc_lo, 0, v12
	; wave barrier
	s_waitcnt lgkmcnt(3)
	v_add_nc_u32_e32 v7, v17, v16
	s_waitcnt lgkmcnt(2)
	v_add3_u32 v7, v7, v18, v19
	s_waitcnt lgkmcnt(1)
	v_add3_u32 v7, v7, v20, v21
	;; [unrolled: 2-line block ×3, first 2 shown]
	v_mov_b32_dpp v17, v7 row_shr:1 row_mask:0xf bank_mask:0xf
	v_cndmask_b32_e32 v17, 0, v17, vcc_lo
	v_cmp_lt_u32_e32 vcc_lo, 1, v12
	v_add_nc_u32_e32 v7, v17, v7
	v_mov_b32_dpp v17, v7 row_shr:2 row_mask:0xf bank_mask:0xf
	v_cndmask_b32_e32 v17, 0, v17, vcc_lo
	v_cmp_lt_u32_e32 vcc_lo, 3, v12
	v_add_nc_u32_e32 v7, v7, v17
	;; [unrolled: 4-line block ×3, first 2 shown]
	v_mov_b32_dpp v17, v7 row_shr:8 row_mask:0xf bank_mask:0xf
	v_cndmask_b32_e32 v17, 0, v17, vcc_lo
	v_cmp_gt_i32_e32 vcc_lo, 0, v14
	v_add_nc_u32_e32 v7, v7, v17
	v_cndmask_b32_e32 v18, v14, v9, vcc_lo
	ds_swizzle_b32 v17, v7 offset:swizzle(BROADCAST,32,15)
	v_lshlrev_b32_e32 v18, 2, v18
	s_waitcnt lgkmcnt(0)
	v_and_b32_e32 v17, v13, v17
	v_add_nc_u32_e32 v7, v7, v17
	ds_bpermute_b32 v7, v18, v7
	s_waitcnt lgkmcnt(0)
	v_add_nc_u32_e32 v7, v7, v16
	v_cndmask_b32_e64 v7, v7, v2, s1
	ds_write_b32 v11, v7
	; wave barrier
	ds_read2_b32 v[16:17], v11 offset0:1 offset1:2
	ds_read2_b32 v[18:19], v11 offset0:3 offset1:4
	;; [unrolled: 1-line block ×3, first 2 shown]
	ds_read_b32 v22, v11 offset:28
	s_waitcnt lgkmcnt(3)
	v_add_nc_u32_e32 v7, v16, v7
	v_add_nc_u32_e32 v16, v17, v7
	s_waitcnt lgkmcnt(2)
	v_add_nc_u32_e32 v17, v18, v16
	v_add_nc_u32_e32 v18, v19, v17
	s_waitcnt lgkmcnt(1)
	v_add_nc_u32_e32 v19, v20, v18
	v_add_nc_u32_e32 v20, v21, v19
	s_waitcnt lgkmcnt(0)
	v_add_nc_u32_e32 v21, v22, v20
	ds_write2_b32 v11, v7, v16 offset0:1 offset1:2
	ds_write2_b32 v11, v17, v18 offset0:3 offset1:4
	;; [unrolled: 1-line block ×3, first 2 shown]
	ds_write_b32 v11, v21 offset:28
.LBB122_33:                             ;   in Loop: Header=BB122_29 Depth=1
	s_or_b32 exec_lo, exec_lo, s19
	v_mov_b32_e32 v7, 0
	s_waitcnt lgkmcnt(0)
	s_barrier
	buffer_gl0_inv
	s_and_saveexec_b32 s19, s0
; %bb.34:                               ;   in Loop: Header=BB122_29 Depth=1
	ds_read_b32 v7, v0
; %bb.35:                               ;   in Loop: Header=BB122_29 Depth=1
	s_or_b32 exec_lo, exec_lo, s19
	ds_read_b32 v16, v5 offset:1048
	s_mov_b32 s19, exec_lo
	s_waitcnt lgkmcnt(0)
	s_barrier
	buffer_gl0_inv
	v_cmpx_ne_u32_e32 0, v2
	s_cbranch_execz .LBB122_37
; %bb.36:                               ;   in Loop: Header=BB122_29 Depth=1
	v_add_nc_u32_e32 v7, v7, v3
	v_mad_u64_u32 v[17:18], null, s4, v7, 0
	v_mad_u64_u32 v[19:20], null, s16, v7, s[14:15]
	v_mov_b32_e32 v2, v18
	v_mad_u64_u32 v[21:22], null, s5, v7, v[2:3]
	v_mov_b32_e32 v2, v20
	v_mov_b32_e32 v18, v21
	v_mad_u64_u32 v[20:21], null, s17, v7, v[2:3]
	v_lshlrev_b64 v[17:18], 3, v[17:18]
	v_add_co_u32 v17, vcc_lo, s7, v17
	v_add_co_ci_u32_e64 v18, null, s18, v18, vcc_lo
	global_store_byte v[19:20], v15, off
	global_store_dwordx2 v[17:18], v[4:5], off
.LBB122_37:                             ;   in Loop: Header=BB122_29 Depth=1
	s_or_b32 exec_lo, exec_lo, s19
	v_mov_b32_e32 v2, v5
	v_cmp_le_u64_e32 vcc_lo, s[10:11], v[1:2]
	s_cbranch_vccnz .LBB122_28
; %bb.38:                               ;   in Loop: Header=BB122_29 Depth=1
	ds_write_b32 v10, v6
	s_waitcnt lgkmcnt(0)
	s_waitcnt_vscnt null, 0x0
	s_barrier
	buffer_gl0_inv
	s_and_saveexec_b32 s19, s2
	s_cbranch_execz .LBB122_40
; %bb.39:                               ;   in Loop: Header=BB122_29 Depth=1
	ds_read2_b32 v[17:18], v11 offset1:1
	ds_read2_b32 v[19:20], v11 offset0:2 offset1:3
	ds_read2_b32 v[21:22], v11 offset0:4 offset1:5
	;; [unrolled: 1-line block ×3, first 2 shown]
	v_cmp_ne_u32_e32 vcc_lo, 0, v12
	; wave barrier
	s_waitcnt lgkmcnt(3)
	v_add_nc_u32_e32 v2, v18, v17
	s_waitcnt lgkmcnt(2)
	v_add3_u32 v2, v2, v19, v20
	s_waitcnt lgkmcnt(1)
	v_add3_u32 v2, v2, v21, v22
	;; [unrolled: 2-line block ×3, first 2 shown]
	v_mov_b32_dpp v7, v2 row_shr:1 row_mask:0xf bank_mask:0xf
	v_cndmask_b32_e32 v7, 0, v7, vcc_lo
	v_cmp_lt_u32_e32 vcc_lo, 1, v12
	v_add_nc_u32_e32 v2, v7, v2
	v_mov_b32_dpp v7, v2 row_shr:2 row_mask:0xf bank_mask:0xf
	v_cndmask_b32_e32 v7, 0, v7, vcc_lo
	v_cmp_lt_u32_e32 vcc_lo, 3, v12
	v_add_nc_u32_e32 v2, v2, v7
	;; [unrolled: 4-line block ×3, first 2 shown]
	v_mov_b32_dpp v7, v2 row_shr:8 row_mask:0xf bank_mask:0xf
	v_cndmask_b32_e32 v7, 0, v7, vcc_lo
	v_cmp_gt_i32_e32 vcc_lo, 0, v14
	v_add_nc_u32_e32 v2, v2, v7
	v_cndmask_b32_e32 v18, v14, v9, vcc_lo
	ds_swizzle_b32 v7, v2 offset:swizzle(BROADCAST,32,15)
	v_lshlrev_b32_e32 v18, 2, v18
	s_waitcnt lgkmcnt(0)
	v_and_b32_e32 v7, v13, v7
	v_add_nc_u32_e32 v2, v2, v7
	ds_bpermute_b32 v2, v18, v2
	s_waitcnt lgkmcnt(0)
	v_add_nc_u32_e32 v2, v2, v17
	v_cndmask_b32_e64 v2, v2, v6, s1
	ds_write_b32 v11, v2
	; wave barrier
	ds_read2_b32 v[17:18], v11 offset0:1 offset1:2
	ds_read2_b32 v[19:20], v11 offset0:3 offset1:4
	;; [unrolled: 1-line block ×3, first 2 shown]
	ds_read_b32 v7, v11 offset:28
	s_waitcnt lgkmcnt(3)
	v_add_nc_u32_e32 v2, v17, v2
	v_add_nc_u32_e32 v17, v18, v2
	s_waitcnt lgkmcnt(2)
	v_add_nc_u32_e32 v18, v19, v17
	v_add_nc_u32_e32 v19, v20, v18
	s_waitcnt lgkmcnt(1)
	v_add_nc_u32_e32 v20, v21, v19
	v_add_nc_u32_e32 v21, v22, v20
	s_waitcnt lgkmcnt(0)
	v_add_nc_u32_e32 v7, v7, v21
	ds_write2_b32 v11, v2, v17 offset0:1 offset1:2
	ds_write2_b32 v11, v18, v19 offset0:3 offset1:4
	;; [unrolled: 1-line block ×3, first 2 shown]
	ds_write_b32 v11, v7 offset:28
.LBB122_40:                             ;   in Loop: Header=BB122_29 Depth=1
	s_or_b32 exec_lo, exec_lo, s19
	v_mov_b32_e32 v7, 0
	s_waitcnt lgkmcnt(0)
	s_barrier
	buffer_gl0_inv
	s_and_saveexec_b32 s19, s0
; %bb.41:                               ;   in Loop: Header=BB122_29 Depth=1
	ds_read_b32 v7, v0
; %bb.42:                               ;   in Loop: Header=BB122_29 Depth=1
	s_or_b32 exec_lo, exec_lo, s19
	ds_read_b32 v2, v5 offset:1048
	s_mov_b32 s19, exec_lo
	s_waitcnt lgkmcnt(0)
	s_barrier
	buffer_gl0_inv
	v_cmpx_ne_u32_e32 0, v6
	s_cbranch_execz .LBB122_27
; %bb.43:                               ;   in Loop: Header=BB122_29 Depth=1
	v_add_nc_u32_e32 v6, v7, v1
	v_mov_b32_e32 v7, v5
	v_cmp_gt_u64_e32 vcc_lo, s[10:11], v[6:7]
	s_and_b32 exec_lo, exec_lo, vcc_lo
	s_cbranch_execz .LBB122_27
; %bb.44:                               ;   in Loop: Header=BB122_29 Depth=1
	v_mad_u64_u32 v[17:18], null, s4, v6, 0
	v_mad_u64_u32 v[19:20], null, s16, v6, s[14:15]
	v_mov_b32_e32 v7, v18
	v_mad_u64_u32 v[21:22], null, s5, v6, v[7:8]
	v_mov_b32_e32 v7, v20
	v_mad_u64_u32 v[6:7], null, s17, v6, v[7:8]
	v_mov_b32_e32 v18, v21
	v_lshlrev_b64 v[17:18], 3, v[17:18]
	v_mov_b32_e32 v20, v6
	v_add_co_u32 v6, vcc_lo, s7, v17
	v_add_co_ci_u32_e64 v7, null, s18, v18, vcc_lo
	global_store_byte v[19:20], v15, off
	global_store_dwordx2 v[6:7], v[4:5], off
	s_branch .LBB122_27
	.p2align	6
.LBB122_45:                             ;   in Loop: Header=BB122_46 Depth=1
	s_add_u32 s12, s12, 4
	s_addc_u32 s13, s13, 0
	s_waitcnt lgkmcnt(0)
	s_add_i32 s25, s3, s25
	s_add_u32 s14, s14, 4
	s_addc_u32 s15, s15, 0
	s_add_i32 s2, s2, 1
	s_cmp_lt_u32 s2, s7
	s_cbranch_scc0 .LBB122_24
.LBB122_46:                             ; =>This Inner Loop Header: Depth=1
	s_load_dword s3, s[12:13], 0x0
	s_cmp_ge_u32 s2, s50
	s_cbranch_scc1 .LBB122_45
; %bb.47:                               ;   in Loop: Header=BB122_46 Depth=1
	s_load_dword s18, s[14:15], 0x0
	s_waitcnt lgkmcnt(0)
	s_add_i32 s17, s3, s17
	s_add_i32 s16, s18, s16
	s_branch .LBB122_45
.LBB122_48:
	s_endpgm
	.section	.rodata,"a",@progbits
	.p2align	6, 0x0
	.amdhsa_kernel _ZN2at6native6mbtopk10gatherTopKIhmLi2EEEvNS_4cuda6detail10TensorInfoIKT_T0_EES8_S8_bjS8_NS5_IS6_S8_EES8_NS5_IlS8_EES8_jjPS6_PjSD_j
		.amdhsa_group_segment_fixed_size 1068
		.amdhsa_private_segment_fixed_size 0
		.amdhsa_kernarg_size 1592
		.amdhsa_user_sgpr_count 6
		.amdhsa_user_sgpr_private_segment_buffer 1
		.amdhsa_user_sgpr_dispatch_ptr 0
		.amdhsa_user_sgpr_queue_ptr 0
		.amdhsa_user_sgpr_kernarg_segment_ptr 1
		.amdhsa_user_sgpr_dispatch_id 0
		.amdhsa_user_sgpr_flat_scratch_init 0
		.amdhsa_user_sgpr_private_segment_size 0
		.amdhsa_wavefront_size32 1
		.amdhsa_uses_dynamic_stack 0
		.amdhsa_system_sgpr_private_segment_wavefront_offset 0
		.amdhsa_system_sgpr_workgroup_id_x 1
		.amdhsa_system_sgpr_workgroup_id_y 1
		.amdhsa_system_sgpr_workgroup_id_z 1
		.amdhsa_system_sgpr_workgroup_info 0
		.amdhsa_system_vgpr_workitem_id 0
		.amdhsa_next_free_vgpr 25
		.amdhsa_next_free_sgpr 51
		.amdhsa_reserve_vcc 1
		.amdhsa_reserve_flat_scratch 0
		.amdhsa_float_round_mode_32 0
		.amdhsa_float_round_mode_16_64 0
		.amdhsa_float_denorm_mode_32 3
		.amdhsa_float_denorm_mode_16_64 3
		.amdhsa_dx10_clamp 1
		.amdhsa_ieee_mode 1
		.amdhsa_fp16_overflow 0
		.amdhsa_workgroup_processor_mode 1
		.amdhsa_memory_ordered 1
		.amdhsa_forward_progress 1
		.amdhsa_shared_vgpr_count 0
		.amdhsa_exception_fp_ieee_invalid_op 0
		.amdhsa_exception_fp_denorm_src 0
		.amdhsa_exception_fp_ieee_div_zero 0
		.amdhsa_exception_fp_ieee_overflow 0
		.amdhsa_exception_fp_ieee_underflow 0
		.amdhsa_exception_fp_ieee_inexact 0
		.amdhsa_exception_int_div_zero 0
	.end_amdhsa_kernel
	.section	.text._ZN2at6native6mbtopk10gatherTopKIhmLi2EEEvNS_4cuda6detail10TensorInfoIKT_T0_EES8_S8_bjS8_NS5_IS6_S8_EES8_NS5_IlS8_EES8_jjPS6_PjSD_j,"axG",@progbits,_ZN2at6native6mbtopk10gatherTopKIhmLi2EEEvNS_4cuda6detail10TensorInfoIKT_T0_EES8_S8_bjS8_NS5_IS6_S8_EES8_NS5_IlS8_EES8_jjPS6_PjSD_j,comdat
.Lfunc_end122:
	.size	_ZN2at6native6mbtopk10gatherTopKIhmLi2EEEvNS_4cuda6detail10TensorInfoIKT_T0_EES8_S8_bjS8_NS5_IS6_S8_EES8_NS5_IlS8_EES8_jjPS6_PjSD_j, .Lfunc_end122-_ZN2at6native6mbtopk10gatherTopKIhmLi2EEEvNS_4cuda6detail10TensorInfoIKT_T0_EES8_S8_bjS8_NS5_IS6_S8_EES8_NS5_IlS8_EES8_jjPS6_PjSD_j
                                        ; -- End function
	.set _ZN2at6native6mbtopk10gatherTopKIhmLi2EEEvNS_4cuda6detail10TensorInfoIKT_T0_EES8_S8_bjS8_NS5_IS6_S8_EES8_NS5_IlS8_EES8_jjPS6_PjSD_j.num_vgpr, 25
	.set _ZN2at6native6mbtopk10gatherTopKIhmLi2EEEvNS_4cuda6detail10TensorInfoIKT_T0_EES8_S8_bjS8_NS5_IS6_S8_EES8_NS5_IlS8_EES8_jjPS6_PjSD_j.num_agpr, 0
	.set _ZN2at6native6mbtopk10gatherTopKIhmLi2EEEvNS_4cuda6detail10TensorInfoIKT_T0_EES8_S8_bjS8_NS5_IS6_S8_EES8_NS5_IlS8_EES8_jjPS6_PjSD_j.numbered_sgpr, 51
	.set _ZN2at6native6mbtopk10gatherTopKIhmLi2EEEvNS_4cuda6detail10TensorInfoIKT_T0_EES8_S8_bjS8_NS5_IS6_S8_EES8_NS5_IlS8_EES8_jjPS6_PjSD_j.num_named_barrier, 0
	.set _ZN2at6native6mbtopk10gatherTopKIhmLi2EEEvNS_4cuda6detail10TensorInfoIKT_T0_EES8_S8_bjS8_NS5_IS6_S8_EES8_NS5_IlS8_EES8_jjPS6_PjSD_j.private_seg_size, 0
	.set _ZN2at6native6mbtopk10gatherTopKIhmLi2EEEvNS_4cuda6detail10TensorInfoIKT_T0_EES8_S8_bjS8_NS5_IS6_S8_EES8_NS5_IlS8_EES8_jjPS6_PjSD_j.uses_vcc, 1
	.set _ZN2at6native6mbtopk10gatherTopKIhmLi2EEEvNS_4cuda6detail10TensorInfoIKT_T0_EES8_S8_bjS8_NS5_IS6_S8_EES8_NS5_IlS8_EES8_jjPS6_PjSD_j.uses_flat_scratch, 0
	.set _ZN2at6native6mbtopk10gatherTopKIhmLi2EEEvNS_4cuda6detail10TensorInfoIKT_T0_EES8_S8_bjS8_NS5_IS6_S8_EES8_NS5_IlS8_EES8_jjPS6_PjSD_j.has_dyn_sized_stack, 0
	.set _ZN2at6native6mbtopk10gatherTopKIhmLi2EEEvNS_4cuda6detail10TensorInfoIKT_T0_EES8_S8_bjS8_NS5_IS6_S8_EES8_NS5_IlS8_EES8_jjPS6_PjSD_j.has_recursion, 0
	.set _ZN2at6native6mbtopk10gatherTopKIhmLi2EEEvNS_4cuda6detail10TensorInfoIKT_T0_EES8_S8_bjS8_NS5_IS6_S8_EES8_NS5_IlS8_EES8_jjPS6_PjSD_j.has_indirect_call, 0
	.section	.AMDGPU.csdata,"",@progbits
; Kernel info:
; codeLenInByte = 2896
; TotalNumSgprs: 53
; NumVgprs: 25
; ScratchSize: 0
; MemoryBound: 0
; FloatMode: 240
; IeeeMode: 1
; LDSByteSize: 1068 bytes/workgroup (compile time only)
; SGPRBlocks: 0
; VGPRBlocks: 3
; NumSGPRsForWavesPerEU: 53
; NumVGPRsForWavesPerEU: 25
; Occupancy: 16
; WaveLimiterHint : 1
; COMPUTE_PGM_RSRC2:SCRATCH_EN: 0
; COMPUTE_PGM_RSRC2:USER_SGPR: 6
; COMPUTE_PGM_RSRC2:TRAP_HANDLER: 0
; COMPUTE_PGM_RSRC2:TGID_X_EN: 1
; COMPUTE_PGM_RSRC2:TGID_Y_EN: 1
; COMPUTE_PGM_RSRC2:TGID_Z_EN: 1
; COMPUTE_PGM_RSRC2:TIDIG_COMP_CNT: 0
	.section	.text._ZN2at6native6sbtopk10gatherTopKIhmLi2ELb0EEEvNS_4cuda6detail10TensorInfoIKT_T0_EES8_S8_bS8_S8_NS5_IS6_S8_EES8_NS5_IlS8_EES8_PS6_,"axG",@progbits,_ZN2at6native6sbtopk10gatherTopKIhmLi2ELb0EEEvNS_4cuda6detail10TensorInfoIKT_T0_EES8_S8_bS8_S8_NS5_IS6_S8_EES8_NS5_IlS8_EES8_PS6_,comdat
	.protected	_ZN2at6native6sbtopk10gatherTopKIhmLi2ELb0EEEvNS_4cuda6detail10TensorInfoIKT_T0_EES8_S8_bS8_S8_NS5_IS6_S8_EES8_NS5_IlS8_EES8_PS6_ ; -- Begin function _ZN2at6native6sbtopk10gatherTopKIhmLi2ELb0EEEvNS_4cuda6detail10TensorInfoIKT_T0_EES8_S8_bS8_S8_NS5_IS6_S8_EES8_NS5_IlS8_EES8_PS6_
	.globl	_ZN2at6native6sbtopk10gatherTopKIhmLi2ELb0EEEvNS_4cuda6detail10TensorInfoIKT_T0_EES8_S8_bS8_S8_NS5_IS6_S8_EES8_NS5_IlS8_EES8_PS6_
	.p2align	8
	.type	_ZN2at6native6sbtopk10gatherTopKIhmLi2ELb0EEEvNS_4cuda6detail10TensorInfoIKT_T0_EES8_S8_bS8_S8_NS5_IS6_S8_EES8_NS5_IlS8_EES8_PS6_,@function
_ZN2at6native6sbtopk10gatherTopKIhmLi2ELb0EEEvNS_4cuda6detail10TensorInfoIKT_T0_EES8_S8_bS8_S8_NS5_IS6_S8_EES8_NS5_IlS8_EES8_PS6_: ; @_ZN2at6native6sbtopk10gatherTopKIhmLi2ELb0EEEvNS_4cuda6detail10TensorInfoIKT_T0_EES8_S8_bS8_S8_NS5_IS6_S8_EES8_NS5_IlS8_EES8_PS6_
; %bb.0:
	s_clause 0x1
	s_load_dwordx2 s[14:15], s[4:5], 0x520
	s_load_dwordx4 s[28:31], s[4:5], 0x1b8
	s_add_u32 s12, s4, 0x520
	s_addc_u32 s13, s5, 0
	s_mov_b32 s35, 0
	s_waitcnt lgkmcnt(0)
	s_mul_i32 s0, s15, s8
	s_add_i32 s0, s0, s7
	s_mul_i32 s0, s0, s14
	s_add_i32 s34, s0, s6
	v_cmp_le_u64_e64 s0, s[28:29], s[34:35]
	s_and_b32 vcc_lo, exec_lo, s0
	s_cbranch_vccnz .LBB123_478
; %bb.1:
	s_clause 0x2
	s_load_dwordx2 s[16:17], s[4:5], 0x10
	s_load_dwordx2 s[48:49], s[4:5], 0x380
	;; [unrolled: 1-line block ×3, first 2 shown]
	s_mov_b64 s[50:51], 0
	s_waitcnt lgkmcnt(0)
	v_cmp_lt_u64_e64 s0, s[34:35], s[16:17]
	s_and_b32 vcc_lo, exec_lo, s0
	s_mov_b64 s[0:1], 0
	s_cbranch_vccnz .LBB123_3
; %bb.2:
	v_cvt_f32_u32_e32 v1, s16
	s_sub_i32 s1, 0, s16
	v_rcp_iflag_f32_e32 v1, v1
	v_mul_f32_e32 v1, 0x4f7ffffe, v1
	v_cvt_u32_f32_e32 v1, v1
	v_readfirstlane_b32 s0, v1
	s_mul_i32 s1, s1, s0
	s_mul_hi_u32 s1, s0, s1
	s_add_i32 s0, s0, s1
	s_mul_hi_u32 s0, s34, s0
	s_mul_i32 s1, s0, s16
	s_add_i32 s2, s0, 1
	s_sub_i32 s1, s34, s1
	s_sub_i32 s3, s1, s16
	s_cmp_ge_u32 s1, s16
	s_cselect_b32 s0, s2, s0
	s_cselect_b32 s1, s3, s1
	s_add_i32 s2, s0, 1
	s_cmp_ge_u32 s1, s16
	s_cselect_b32 s0, s2, s0
.LBB123_3:
	v_cmp_lt_u64_e64 s1, s[34:35], s[52:53]
	s_and_b32 vcc_lo, exec_lo, s1
	s_cbranch_vccnz .LBB123_5
; %bb.4:
	v_cvt_f32_u32_e32 v1, s52
	s_sub_i32 s2, 0, s52
	v_rcp_iflag_f32_e32 v1, v1
	v_mul_f32_e32 v1, 0x4f7ffffe, v1
	v_cvt_u32_f32_e32 v1, v1
	v_readfirstlane_b32 s1, v1
	s_mul_i32 s2, s2, s1
	s_mul_hi_u32 s2, s1, s2
	s_add_i32 s1, s1, s2
	s_mul_hi_u32 s1, s34, s1
	s_mul_i32 s2, s1, s52
	s_add_i32 s3, s1, 1
	s_sub_i32 s2, s34, s2
	s_sub_i32 s7, s2, s52
	s_cmp_ge_u32 s2, s52
	s_cselect_b32 s1, s3, s1
	s_cselect_b32 s2, s7, s2
	s_add_i32 s3, s1, 1
	s_cmp_ge_u32 s2, s52
	s_cselect_b32 s50, s3, s1
.LBB123_5:
	s_load_dwordx2 s[18:19], s[4:5], 0x0
	v_cmp_lt_u64_e64 s1, s[34:35], s[48:49]
	s_mov_b64 s[54:55], 0
	s_and_b32 vcc_lo, exec_lo, s1
	s_cbranch_vccnz .LBB123_7
; %bb.6:
	v_cvt_f32_u32_e32 v1, s48
	s_sub_i32 s2, 0, s48
	v_rcp_iflag_f32_e32 v1, v1
	v_mul_f32_e32 v1, 0x4f7ffffe, v1
	v_cvt_u32_f32_e32 v1, v1
	v_readfirstlane_b32 s1, v1
	s_mul_i32 s2, s2, s1
	s_mul_hi_u32 s2, s1, s2
	s_add_i32 s1, s1, s2
	s_mul_hi_u32 s1, s34, s1
	s_mul_i32 s2, s1, s48
	s_add_i32 s3, s1, 1
	s_sub_i32 s2, s34, s2
	s_sub_i32 s7, s2, s48
	s_cmp_ge_u32 s2, s48
	s_cselect_b32 s1, s3, s1
	s_cselect_b32 s2, s7, s2
	s_add_i32 s3, s1, 1
	s_cmp_ge_u32 s2, s48
	s_cselect_b32 s54, s3, s1
.LBB123_7:
	s_clause 0x2
	s_load_dwordx2 s[2:3], s[4:5], 0x370
	; meta instruction
	s_load_dwordx4 s[8:11], s[4:5], 0xd0
	s_load_dwordx4 s[36:39], s[4:5], 0x1a0
	s_mov_b32 s61, 0
	s_waitcnt lgkmcnt(0)
	v_writelane_b32 v49, s2, 0
	v_writelane_b32 v49, s3, 1
	s_load_dwordx2 s[2:3], s[4:5], 0x1c8
	s_waitcnt lgkmcnt(0)
	v_writelane_b32 v49, s2, 2
	v_writelane_b32 v49, s3, 3
	v_cmp_eq_u32_e64 s3, 0, v0
	s_and_saveexec_b32 s1, s3
	s_cbranch_execz .LBB123_9
; %bb.8:
	v_mov_b32_e32 v1, 0
	v_mov_b32_e32 v3, s36
	;; [unrolled: 1-line block ×4, first 2 shown]
	ds_write_b32 v1, v1 offset:5144
	ds_write_b128 v1, v[1:4] offset:5120
.LBB123_9:
	s_or_b32 exec_lo, exec_lo, s1
	s_mul_i32 s1, s0, s17
	s_mul_hi_u32 s2, s0, s16
	s_mul_i32 s7, s0, s16
	s_add_i32 s2, s2, s1
	s_sub_u32 s1, s34, s7
	s_load_dword s7, s[4:5], 0x1b0
	s_mul_i32 s11, s1, s11
	s_mul_hi_u32 s15, s1, s10
	s_subb_u32 s2, 0, s2
	s_add_i32 s11, s15, s11
	s_mul_i32 s2, s2, s10
	s_mul_i32 s1, s1, s10
	s_add_i32 s11, s11, s2
	s_mul_i32 s2, s0, s9
	s_mul_hi_u32 s9, s0, s8
	s_mul_i32 s0, s0, s8
	s_add_i32 s9, s9, s2
	s_add_u32 s0, s18, s0
	s_addc_u32 s2, s19, s9
	s_add_u32 s28, s0, s1
	s_addc_u32 s29, s2, s11
	s_waitcnt lgkmcnt(0)
	v_mad_u64_u32 v[12:13], null, s30, v0, s[28:29]
	s_barrier
	s_bitcmp1_b32 s7, 0
	buffer_gl0_inv
	s_load_dword s7, s[12:13], 0xc
	v_mbcnt_lo_u32_b32 v24, -1, 0
	v_cmp_gt_u32_e32 vcc_lo, 32, v0
	v_mov_b32_e32 v1, v13
	v_mov_b32_e32 v3, 0
	s_cselect_b32 s2, -1, 0
	v_cmp_gt_i32_e64 s1, 4, v24
	s_xor_b32 s35, s2, -1
	v_mad_u64_u32 v[4:5], null, s31, v0, v[1:2]
	v_add_nc_u32_e32 v2, 2, v0
	s_and_b32 s51, vcc_lo, s1
	v_mov_b32_e32 v1, v3
	v_cmp_lt_u64_e64 s55, 0xc00, s[36:37]
	v_mov_b32_e32 v19, s38
	v_cmp_gt_u64_e32 vcc_lo, s[36:37], v[2:3]
	v_mov_b32_e32 v13, v4
	v_lshlrev_b64 v[4:5], v24, -1
	v_cmp_gt_u64_e64 s1, s[36:37], v[0:1]
	v_cmp_eq_u32_e64 s0, 0, v24
	s_waitcnt lgkmcnt(0)
	s_and_b32 s33, s7, 0xffff
	v_cndmask_b32_e64 v2, v2, s36, vcc_lo
	s_bfe_u32 s8, s33, 0x80008
	v_not_b32_e32 v23, v4
	v_not_b32_e32 v4, v0
	s_lshl_b32 s80, s8, 3
	s_bfe_u32 s8, s7, 0xb0005
	s_cmp_gt_u32 s33, 31
	v_cndmask_b32_e64 v5, 0, s37, vcc_lo
	s_cselect_b32 s81, -1, 0
	s_add_u32 s82, s33, -1
	s_addc_u32 s83, 0, -1
	v_add_co_u32 v4, vcc_lo, v2, v4
	s_add_u32 s84, s82, s36
	s_addc_u32 s63, s83, s37
	v_add_co_ci_u32_e64 v5, null, -1, v5, vcc_lo
	s_cmp_lt_u32 s6, s14
	s_movk_i32 s6, 0x3e0
	s_cselect_b32 s7, 12, 18
	v_and_b32_e32 v16, -4, v4
	s_add_u32 s64, s12, s7
	v_mov_b32_e32 v17, v5
	v_and_or_b32 v25, v0, s6, 0xc00
	s_addc_u32 s65, s13, 0
	s_add_i32 s6, s8, -1
	s_bfe_u32 s91, s33, 0x30005
	s_and_b32 s6, s6, 0xffff
	v_cmp_lt_u64_e64 s7, 3, v[4:5]
	v_cmp_ne_u64_e64 s8, v[4:5], v[16:17]
	s_cmp_gt_u32 s6, 6
	v_lshlrev_b32_e32 v14, 2, v0
	v_mov_b32_e32 v15, v3
	v_cmp_gt_u32_e64 s10, 2, v0
	v_add_co_u32 v18, vcc_lo, v16, v0
	v_lshl_or_b32 v27, v24, 3, 0xc00
	v_mov_b32_e32 v20, s39
	v_mov_b32_e32 v28, 8
	;; [unrolled: 1-line block ×5, first 2 shown]
	s_cselect_b32 s92, -1, 0
	s_cmp_lg_u32 s91, 0
	s_mov_b32 s85, s30
	s_mov_b32 s86, s31
	s_mov_b32 s87, s30
	s_mov_b32 s88, s31
	s_mov_b32 s89, s30
	s_mov_b32 s90, s31
	s_mov_b32 s93, 6
	s_cselect_b32 s95, -1, 0
	s_mov_b32 s94, 0
	s_mov_b32 s97, 0
	v_add_co_ci_u32_e64 v2, null, 0, v5, vcc_lo
	v_writelane_b32 v49, s8, 4
                                        ; implicit-def: $sgpr96
                                        ; implicit-def: $sgpr104
                                        ; implicit-def: $sgpr99
                                        ; implicit-def: $vcc_hi
                                        ; implicit-def: $sgpr98
                                        ; implicit-def: $sgpr47
                                        ; implicit-def: $sgpr56
                                        ; implicit-def: $sgpr44
                                        ; implicit-def: $sgpr46
                                        ; implicit-def: $sgpr45
	s_branch .LBB123_12
.LBB123_10:                             ;   in Loop: Header=BB123_12 Depth=1
	s_or_b32 exec_lo, exec_lo, s12
	v_mov_b32_e32 v20, v5
	v_mov_b32_e32 v19, v4
	s_andn2_b32 s8, s45, exec_lo
	s_and_b32 s11, s11, exec_lo
	s_andn2_b32 s46, s46, exec_lo
	s_or_b32 s45, s8, s11
	s_andn2_b32 s44, s44, exec_lo
	s_andn2_b32 s56, s56, exec_lo
	;; [unrolled: 1-line block ×3, first 2 shown]
	s_orn2_b32 s11, s9, exec_lo
.LBB123_11:                             ;   in Loop: Header=BB123_12 Depth=1
	s_or_b32 exec_lo, exec_lo, s6
	s_and_b32 s6, exec_lo, s11
	s_or_b32 s94, s6, s94
	s_andn2_b32 s6, s98, exec_lo
	s_and_b32 s9, s45, exec_lo
	s_andn2_b32 s11, vcc_hi, exec_lo
	s_or_b32 s98, s6, s9
	s_and_b32 s6, s46, exec_lo
	s_andn2_b32 s9, s99, exec_lo
	s_and_b32 s12, s44, exec_lo
	s_or_b32 vcc_hi, s11, s6
	s_or_b32 s99, s9, s12
	s_andn2_b32 s6, s104, exec_lo
	s_and_b32 s9, s56, exec_lo
	s_andn2_b32 s11, s96, exec_lo
	s_and_b32 s12, s47, exec_lo
	s_or_b32 s104, s6, s9
	s_or_b32 s96, s11, s12
	s_andn2_b32 exec_lo, exec_lo, s94
	s_cbranch_execz .LBB123_474
.LBB123_12:                             ; =>This Loop Header: Depth=1
                                        ;     Child Loop BB123_17 Depth 2
                                        ;     Child Loop BB123_31 Depth 2
	;; [unrolled: 1-line block ×25, first 2 shown]
	ds_read_b128 v[4:7], v3 offset:5120
	s_waitcnt lgkmcnt(0)
	v_readfirstlane_b32 s67, v5
	v_readfirstlane_b32 s66, v4
	s_cmp_lg_u64 s[66:67], 0
	s_cbranch_scc1 .LBB123_44
; %bb.13:                               ;   in Loop: Header=BB123_12 Depth=1
	s_and_b32 vcc_lo, exec_lo, s55
	s_cbranch_vccz .LBB123_25
; %bb.14:                               ;   in Loop: Header=BB123_12 Depth=1
	v_cmp_gt_u64_e32 vcc_lo, 0xc01, v[6:7]
	s_mov_b32 s9, 0
	s_mov_b32 s6, 0
	s_cbranch_vccz .LBB123_26
; %bb.15:                               ;   in Loop: Header=BB123_12 Depth=1
	global_load_ushort v2, v3, s[64:65]
	global_load_ubyte v6, v[12:13], off
	v_mov_b32_e32 v5, v1
	v_mov_b32_e32 v4, v0
	s_mov_b32 s11, 0
	s_waitcnt vmcnt(1)
	v_and_b32_e32 v2, 0xffff, v2
	s_branch .LBB123_17
.LBB123_16:                             ;   in Loop: Header=BB123_17 Depth=2
	s_or_b32 exec_lo, exec_lo, s6
	v_mov_b32_e32 v6, v7
	s_andn2_b32 exec_lo, exec_lo, s11
	s_cbranch_execz .LBB123_98
.LBB123_17:                             ;   Parent Loop BB123_12 Depth=1
                                        ; =>  This Inner Loop Header: Depth=2
	v_add_co_u32 v4, vcc_lo, v4, v2
	v_add_co_ci_u32_e64 v5, null, 0, v5, vcc_lo
	s_waitcnt lgkmcnt(0)
	v_mov_b32_e32 v8, 0
	v_mov_b32_e32 v7, 0
	s_mov_b32 s12, exec_lo
	v_cmp_le_u64_e32 vcc_lo, s[36:37], v[4:5]
	v_cmpx_gt_u64_e64 s[36:37], v[4:5]
	s_cbranch_execz .LBB123_19
; %bb.18:                               ;   in Loop: Header=BB123_17 Depth=2
	v_mad_u64_u32 v[9:10], null, v4, s30, s[28:29]
	v_mul_lo_u32 v7, v4, s31
	v_mul_lo_u32 v11, v5, s30
	v_add3_u32 v10, v11, v10, v7
	global_load_ubyte v7, v[9:10], off
.LBB123_19:                             ;   in Loop: Header=BB123_17 Depth=2
	s_or_b32 exec_lo, exec_lo, s12
	s_waitcnt vmcnt(0)
	v_and_b32_e32 v9, v6, v29
	v_cmp_eq_u32_sdwa s12, v9, v26 src0_sel:BYTE_0 src1_sel:DWORD
	s_cmp_lg_u32 s12, 0
	s_cselect_b32 s6, -1, 0
	s_and_b32 s6, s0, s6
	s_and_saveexec_b32 s13, s6
	s_cbranch_execz .LBB123_23
; %bb.20:                               ;   in Loop: Header=BB123_17 Depth=2
	s_mov_b32 s16, exec_lo
	s_bcnt1_i32_b32 s14, s12
	v_mbcnt_lo_u32_b32 v8, s16, 0
	s_mov_b32 s15, exec_lo
                                        ; implicit-def: $vgpr9
	v_cmpx_eq_u32_e32 0, v8
; %bb.21:                               ;   in Loop: Header=BB123_17 Depth=2
	s_bcnt1_i32_b32 s6, s16
	s_mul_i32 s6, s14, s6
	v_mov_b32_e32 v9, s6
	ds_add_rtn_u32 v9, v3, v9 offset:5144
; %bb.22:                               ;   in Loop: Header=BB123_17 Depth=2
	s_or_b32 exec_lo, exec_lo, s15
	s_waitcnt lgkmcnt(0)
	v_readfirstlane_b32 s6, v9
	v_mad_u32_u24 v8, s14, v8, s6
.LBB123_23:                             ;   in Loop: Header=BB123_17 Depth=2
	s_or_b32 exec_lo, exec_lo, s13
	ds_bpermute_b32 v8, v3, v8
	s_and_b32 s6, exec_lo, vcc_lo
	s_or_b32 s11, s6, s11
	s_and_saveexec_b32 s6, s12
	s_cbranch_execz .LBB123_16
; %bb.24:                               ;   in Loop: Header=BB123_17 Depth=2
	v_and_b32_e32 v9, s12, v23
	s_waitcnt lgkmcnt(0)
	v_bcnt_u32_b32 v8, v9, v8
	ds_write_b8 v8, v6
	s_branch .LBB123_16
.LBB123_25:                             ;   in Loop: Header=BB123_12 Depth=1
	s_mov_b32 s9, -1
	s_mov_b32 s6, 0
.LBB123_26:                             ;   in Loop: Header=BB123_12 Depth=1
	s_and_b32 vcc_lo, exec_lo, s9
	s_cbranch_vccz .LBB123_42
.LBB123_27:                             ;   in Loop: Header=BB123_12 Depth=1
	s_and_saveexec_b32 s11, s1
	s_cbranch_execz .LBB123_39
; %bb.28:                               ;   in Loop: Header=BB123_12 Depth=1
	global_load_ushort v4, v3, s[64:65]
	global_load_ubyte v31, v[12:13], off
	v_mov_b32_e32 v6, v0
	s_mov_b32 s12, exec_lo
	s_waitcnt vmcnt(1)
	v_add_nc_u32_sdwa v2, v4, v0 dst_sel:DWORD dst_unused:UNUSED_PAD src0_sel:WORD_0 src1_sel:DWORD
	v_readfirstlane_b32 s6, v4
	v_cmpx_gt_u64_e64 s[36:37], v[2:3]
	s_cbranch_execz .LBB123_38
; %bb.29:                               ;   in Loop: Header=BB123_12 Depth=1
	s_and_b32 s13, s6, 0xffff
	v_mov_b32_e32 v9, v1
	s_cmp_eq_u32 s13, 1
	v_mov_b32_e32 v5, v3
	v_mov_b32_e32 v8, v0
	v_mov_b32_e32 v4, v2
	s_cselect_b32 s6, -1, 0
                                        ; implicit-def: $vgpr6_vgpr7
	s_and_b32 s9, s7, s6
	s_mov_b32 s6, -1
	s_and_saveexec_b32 s14, s9
	s_cbranch_execz .LBB123_33
; %bb.30:                               ;   in Loop: Header=BB123_12 Depth=1
	v_add_co_u32 v8, s6, v2, 3
	v_add_co_ci_u32_e64 v9, null, 0, 0, s6
	v_add_co_u32 v6, s6, v2, 2
	v_add_co_ci_u32_e64 v7, null, 0, 0, s6
	;; [unrolled: 2-line block ×3, first 2 shown]
	v_mov_b32_e32 v22, v17
	v_mov_b32_e32 v11, v9
	s_waitcnt vmcnt(0)
	v_lshlrev_b32_e32 v33, 24, v31
	v_mov_b32_e32 v21, v16
	v_mov_b32_e32 v32, v0
	;; [unrolled: 1-line block ×9, first 2 shown]
	s_mov_b32 s15, 0
.LBB123_31:                             ;   Parent Loop BB123_12 Depth=1
                                        ; =>  This Inner Loop Header: Depth=2
	v_mul_lo_u32 v43, v7, s30
	v_mul_lo_u32 v44, v6, s31
	v_mad_u64_u32 v[36:37], null, v6, s30, 0
	v_mul_lo_u32 v31, v9, s87
	v_mul_lo_u32 v42, v8, s88
	v_mad_u64_u32 v[34:35], null, v8, s87, 0
	v_mul_lo_u32 v45, v5, s85
	v_mul_lo_u32 v46, v4, s86
	v_mad_u64_u32 v[38:39], null, v4, s85, 0
	v_mad_u64_u32 v[40:41], null, v10, s89, s[28:29]
	v_mul_lo_u32 v47, v10, s90
	v_mul_lo_u32 v48, v11, s89
	v_add3_u32 v43, v37, v44, v43
	v_add3_u32 v31, v35, v42, v31
	;; [unrolled: 1-line block ×3, first 2 shown]
	v_add_co_u32 v42, s9, s28, v36
	v_add_co_u32 v37, s6, s28, v34
	v_add3_u32 v41, v48, v41, v47
	v_add_co_u32 v35, vcc_lo, s28, v38
	v_add_co_ci_u32_e64 v43, null, s29, v43, s9
	v_add_co_ci_u32_e64 v38, null, s29, v31, s6
	v_add_co_ci_u32_e64 v36, null, s29, v39, vcc_lo
	s_clause 0x3
	global_load_ubyte v31, v[40:41], off
	global_load_ubyte v34, v[42:43], off
	;; [unrolled: 1-line block ×4, first 2 shown]
	v_add_co_u32 v10, vcc_lo, v10, 4
	v_add_co_ci_u32_e64 v11, null, 0, v11, vcc_lo
	v_add_co_u32 v8, vcc_lo, v8, 4
	v_add_co_ci_u32_e64 v9, null, 0, v9, vcc_lo
	;; [unrolled: 2-line block ×3, first 2 shown]
	v_add_co_u32 v21, vcc_lo, v21, -4
	v_add_co_ci_u32_e64 v22, null, -1, v22, vcc_lo
	v_add_co_u32 v4, vcc_lo, v4, 4
	v_add_co_ci_u32_e64 v5, null, 0, v5, vcc_lo
	v_cmp_eq_u64_e64 s6, 0, v[21:22]
	s_or_b32 s15, s6, s15
	s_waitcnt vmcnt(0)
	v_perm_b32 v36, v35, v34, 0xc0c0004
	v_perm_b32 v34, v34, v37, 0xc0c0004
	;; [unrolled: 1-line block ×4, first 2 shown]
	v_lshl_or_b32 v33, v34, 16, v33
	v_lshl_or_b32 v34, v35, 16, v36
	ds_write_b32 v32, v33
	v_add_nc_u32_e32 v32, 4, v32
	v_mov_b32_e32 v33, v34
	s_andn2_b32 exec_lo, exec_lo, s15
	s_cbranch_execnz .LBB123_31
; %bb.32:                               ;   in Loop: Header=BB123_12 Depth=1
	s_or_b32 exec_lo, exec_lo, s15
	v_add_co_u32 v4, vcc_lo, v2, v16
	v_readlane_b32 s6, v49, 4
	v_add_co_ci_u32_e64 v5, null, 0, v17, vcc_lo
	v_add_co_u32 v6, vcc_lo, v4, -1
	v_mov_b32_e32 v8, v18
	s_orn2_b32 s6, s6, exec_lo
	v_add_co_ci_u32_e64 v2, null, -1, v5, vcc_lo
	v_mov_b32_e32 v9, v19
.LBB123_33:                             ;   in Loop: Header=BB123_12 Depth=1
	s_or_b32 exec_lo, exec_lo, s14
	s_and_saveexec_b32 s9, s6
	s_cbranch_execz .LBB123_37
; %bb.34:                               ;   in Loop: Header=BB123_12 Depth=1
	s_sub_u32 s14, 0, s13
	s_subb_u32 s16, 0, 0
	s_mov_b32 s15, 0
	.p2align	6
.LBB123_35:                             ;   Parent Loop BB123_12 Depth=1
                                        ; =>  This Inner Loop Header: Depth=2
	v_mov_b32_e32 v7, v5
	v_mov_b32_e32 v6, v4
	s_waitcnt vmcnt(0)
	ds_write_b8 v8, v31
	v_mul_lo_u32 v9, v7, s30
	v_mad_u64_u32 v[4:5], null, v6, s30, s[28:29]
	v_mul_lo_u32 v2, v6, s31
	v_add3_u32 v5, v9, v5, v2
	v_mov_b32_e32 v9, v7
	v_mov_b32_e32 v8, v6
	global_load_ubyte v2, v[4:5], off
	v_add_co_u32 v4, vcc_lo, v6, s13
	v_add_co_ci_u32_e64 v5, null, 0, v7, vcc_lo
	v_add_co_u32 v6, s6, s14, v4
	v_cmp_le_u64_e32 vcc_lo, s[36:37], v[4:5]
	v_add_co_ci_u32_e64 v7, null, s16, v5, s6
	s_or_b32 s15, vcc_lo, s15
	s_waitcnt vmcnt(0)
	v_mov_b32_e32 v31, v2
	s_andn2_b32 exec_lo, exec_lo, s15
	s_cbranch_execnz .LBB123_35
; %bb.36:                               ;   in Loop: Header=BB123_12 Depth=1
	s_or_b32 exec_lo, exec_lo, s15
	v_mov_b32_e32 v31, v2
.LBB123_37:                             ;   in Loop: Header=BB123_12 Depth=1
	s_or_b32 exec_lo, exec_lo, s9
.LBB123_38:                             ;   in Loop: Header=BB123_12 Depth=1
	s_or_b32 exec_lo, exec_lo, s12
	s_waitcnt vmcnt(0)
	ds_write_b8 v6, v31
.LBB123_39:                             ;   in Loop: Header=BB123_12 Depth=1
	s_or_b32 exec_lo, exec_lo, s11
	s_waitcnt lgkmcnt(0)
	s_barrier
	buffer_gl0_inv
	s_and_saveexec_b32 s6, s3
; %bb.40:                               ;   in Loop: Header=BB123_12 Depth=1
	v_mov_b32_e32 v4, s36
	v_mov_b32_e32 v5, s37
	ds_write_b64 v3, v[4:5] offset:5120
; %bb.41:                               ;   in Loop: Header=BB123_12 Depth=1
	s_or_b32 exec_lo, exec_lo, s6
	s_mov_b32 s6, -1
	s_waitcnt lgkmcnt(0)
	s_barrier
.LBB123_42:                             ;   in Loop: Header=BB123_12 Depth=1
	s_and_b32 vcc_lo, exec_lo, s6
	s_mov_b64 s[66:67], 0
	s_cbranch_vccz .LBB123_44
; %bb.43:                               ;   in Loop: Header=BB123_12 Depth=1
	buffer_gl0_inv
	ds_read_b64 v[4:5], v3 offset:5120
	s_waitcnt lgkmcnt(0)
	v_readfirstlane_b32 s66, v4
.LBB123_44:                             ;   in Loop: Header=BB123_12 Depth=1
	s_cmp_lt_i32 s66, 1
	s_mov_b32 s6, -1
                                        ; implicit-def: $vgpr10_vgpr11
                                        ; implicit-def: $vgpr6_vgpr7
	s_cbranch_scc1 .LBB123_54
; %bb.45:                               ;   in Loop: Header=BB123_12 Depth=1
	s_and_b32 vcc_lo, exec_lo, s6
	s_cbranch_vccnz .LBB123_68
.LBB123_46:                             ;   in Loop: Header=BB123_12 Depth=1
	s_lshl_b32 s6, s97, 7
	s_and_saveexec_b32 s9, s0
	s_cbranch_execz .LBB123_48
.LBB123_47:                             ;   in Loop: Header=BB123_12 Depth=1
	v_lshl_add_u32 v2, s6, 3, v25
	ds_write_b128 v2, v[4:7]
	ds_write_b128 v2, v[8:11] offset:16
.LBB123_48:                             ;   in Loop: Header=BB123_12 Depth=1
	s_or_b32 exec_lo, exec_lo, s9
	s_waitcnt lgkmcnt(0)
	s_barrier
	buffer_gl0_inv
	s_and_saveexec_b32 s9, s51
	s_cbranch_execz .LBB123_82
; %bb.49:                               ;   in Loop: Header=BB123_12 Depth=1
	v_mov_b32_e32 v4, 0
	v_mov_b32_e32 v5, 0
	s_andn2_b32 vcc_lo, exec_lo, s81
	s_cbranch_vccnz .LBB123_81
; %bb.50:                               ;   in Loop: Header=BB123_12 Depth=1
	v_mov_b32_e32 v4, 0
	v_mov_b32_e32 v5, 0
	s_andn2_b32 vcc_lo, exec_lo, s92
	s_cbranch_vccnz .LBB123_78
; %bb.51:                               ;   in Loop: Header=BB123_12 Depth=1
	v_lshl_add_u32 v2, s97, 10, v27
	s_mov_b32 s11, 0
	s_inst_prefetch 0x1
	.p2align	6
.LBB123_52:                             ;   Parent Loop BB123_12 Depth=1
                                        ; =>  This Inner Loop Header: Depth=2
	ds_read2_b64 v[6:9], v2 offset1:4
	ds_read2_b64 v[31:34], v2 offset0:8 offset1:12
	ds_read2_b64 v[35:38], v2 offset0:16 offset1:20
	s_add_i32 s11, s11, 8
	s_cmp_eq_u32 s80, s11
	s_waitcnt lgkmcnt(2)
	v_add_co_u32 v4, vcc_lo, v6, v4
	v_add_co_ci_u32_e64 v5, null, v7, v5, vcc_lo
	v_add_co_u32 v8, vcc_lo, v8, v4
	v_add_co_ci_u32_e64 v9, null, v9, v5, vcc_lo
	ds_read2_b64 v[4:7], v2 offset0:24 offset1:28
	s_waitcnt lgkmcnt(2)
	v_add_co_u32 v8, vcc_lo, v31, v8
	v_add_co_ci_u32_e64 v9, null, v32, v9, vcc_lo
	v_add_nc_u32_e32 v2, 0x100, v2
	v_add_co_u32 v8, vcc_lo, v33, v8
	v_add_co_ci_u32_e64 v9, null, v34, v9, vcc_lo
	s_waitcnt lgkmcnt(1)
	v_add_co_u32 v8, vcc_lo, v35, v8
	v_add_co_ci_u32_e64 v9, null, v36, v9, vcc_lo
	v_add_co_u32 v8, vcc_lo, v37, v8
	v_add_co_ci_u32_e64 v9, null, v38, v9, vcc_lo
	s_waitcnt lgkmcnt(0)
	v_add_co_u32 v4, vcc_lo, v4, v8
	v_add_co_ci_u32_e64 v5, null, v5, v9, vcc_lo
	v_add_co_u32 v4, vcc_lo, v6, v4
	v_add_co_ci_u32_e64 v5, null, v7, v5, vcc_lo
	s_cbranch_scc0 .LBB123_52
; %bb.53:                               ;   in Loop: Header=BB123_12 Depth=1
	s_inst_prefetch 0x2
	s_mov_b32 s11, s80
	s_andn2_b32 vcc_lo, exec_lo, s95
	s_cbranch_vccz .LBB123_79
	s_branch .LBB123_81
.LBB123_54:                             ;   in Loop: Header=BB123_12 Depth=1
	global_load_ushort v2, v3, s[64:65]
	s_mov_b32 s12, s61
	s_mov_b32 s13, s37
	s_waitcnt vmcnt(0)
	v_readfirstlane_b32 s6, v2
	s_and_b32 s6, 0xffff, s6
	s_lshl_b32 s27, s6, 2
	s_cmp_lg_u64 s[12:13], 0
	s_cbranch_scc0 .LBB123_77
; %bb.55:                               ;   in Loop: Header=BB123_12 Depth=1
	v_cvt_f32_u32_e32 v4, s27
	s_sub_u32 s11, 0, s27
	s_subb_u32 s12, 0, 0
	v_fmac_f32_e64 v4, 0x4f800000, 0
	v_rcp_f32_e32 v4, v4
	v_mul_f32_e32 v4, 0x5f7ffffc, v4
	v_mul_f32_e32 v5, 0x2f800000, v4
	v_trunc_f32_e32 v5, v5
	v_fmac_f32_e32 v4, 0xcf800000, v5
	v_cvt_u32_f32_e32 v5, v5
	v_cvt_u32_f32_e32 v4, v4
	v_readfirstlane_b32 s6, v5
	v_readfirstlane_b32 s9, v4
	s_mul_i32 s13, s11, s6
	s_mul_hi_u32 s15, s11, s9
	s_mul_i32 s14, s12, s9
	s_add_i32 s13, s15, s13
	s_mul_i32 s16, s11, s9
	s_add_i32 s13, s13, s14
	s_mul_hi_u32 s15, s9, s16
	s_mul_i32 s18, s9, s13
	s_mul_hi_u32 s17, s6, s16
	s_mul_i32 s14, s6, s16
	s_mul_hi_u32 s16, s9, s13
	s_add_u32 s15, s15, s18
	s_addc_u32 s16, 0, s16
	s_mul_hi_u32 s19, s6, s13
	s_add_u32 s14, s15, s14
	s_mul_i32 s13, s6, s13
	s_addc_u32 s14, s16, s17
	s_addc_u32 s15, s19, 0
	s_add_u32 s13, s14, s13
	s_addc_u32 s14, 0, s15
	s_add_u32 s9, s9, s13
	s_cselect_b32 s13, -1, 0
	s_mul_hi_u32 s15, s11, s9
	s_cmp_lg_u32 s13, 0
	s_mul_i32 s13, s11, s9
	s_addc_u32 s6, s6, s14
	s_mul_i32 s12, s12, s9
	s_mul_i32 s11, s11, s6
	s_mul_hi_u32 s14, s9, s13
	s_add_i32 s11, s15, s11
	s_mul_hi_u32 s15, s6, s13
	s_add_i32 s11, s11, s12
	s_mul_i32 s12, s6, s13
	s_mul_i32 s17, s9, s11
	s_mul_hi_u32 s16, s9, s11
	s_add_u32 s14, s14, s17
	s_addc_u32 s16, 0, s16
	s_mul_hi_u32 s13, s6, s11
	s_add_u32 s12, s14, s12
	s_mul_i32 s11, s6, s11
	s_addc_u32 s12, s16, s15
	s_addc_u32 s13, s13, 0
	s_add_u32 s11, s12, s11
	s_addc_u32 s12, 0, s13
	s_add_u32 s9, s9, s11
	s_cselect_b32 s11, -1, 0
	s_mul_hi_u32 s13, s36, s9
	s_cmp_lg_u32 s11, 0
	s_mul_hi_u32 s11, s37, s9
	s_addc_u32 s6, s6, s12
	s_mul_i32 s9, s37, s9
	s_mul_i32 s14, s36, s6
	s_mul_hi_u32 s12, s36, s6
	s_add_u32 s13, s13, s14
	s_addc_u32 s12, 0, s12
	s_mul_hi_u32 s15, s37, s6
	s_add_u32 s9, s13, s9
	s_mul_i32 s6, s37, s6
	s_addc_u32 s9, s12, s11
	s_addc_u32 s11, s15, 0
	s_add_u32 s6, s9, s6
	s_addc_u32 s9, 0, s11
	s_mul_hi_u32 s11, s27, s6
	s_mul_i32 s9, s27, s9
	s_mul_i32 s6, s27, s6
	s_add_i32 s11, s11, s9
	s_sub_u32 s6, s36, s6
	s_cselect_b32 s9, -1, 0
	s_cmp_lg_u32 s9, 0
	s_subb_u32 s9, s37, s11
	s_sub_u32 s11, s6, s27
	s_cselect_b32 s12, -1, 0
	s_cmp_lg_u32 s12, 0
	s_subb_u32 s12, s9, 0
	s_sub_u32 s13, s11, s27
	s_cselect_b32 s14, -1, 0
	s_cmp_lg_u32 s14, 0
	s_subb_u32 s14, s12, 0
	s_cmp_ge_u32 s11, s27
	s_cselect_b32 s15, -1, 0
	s_cmp_eq_u32 s12, 0
	s_cselect_b32 s15, s15, -1
	s_cmp_lg_u32 s15, 0
	s_cselect_b32 s12, s14, s12
	s_cselect_b32 s11, s13, s11
	s_cmp_ge_u32 s6, s27
	s_cselect_b32 s13, -1, 0
	s_cmp_eq_u32 s9, 0
	s_cselect_b32 s13, s13, -1
	s_cmp_lg_u32 s13, 0
	s_cselect_b32 s13, s12, s9
	s_cselect_b32 s12, s11, s6
	s_cbranch_execnz .LBB123_57
.LBB123_56:                             ;   in Loop: Header=BB123_12 Depth=1
	v_cvt_f32_u32_e32 v4, s27
	s_sub_i32 s9, 0, s27
	v_rcp_iflag_f32_e32 v4, v4
	v_mul_f32_e32 v4, 0x4f7ffffe, v4
	v_cvt_u32_f32_e32 v4, v4
	v_readfirstlane_b32 s6, v4
	s_mul_i32 s9, s9, s6
	s_mul_hi_u32 s9, s6, s9
	s_add_i32 s6, s6, s9
	s_mul_hi_u32 s6, s36, s6
	s_mul_i32 s6, s6, s27
	s_sub_i32 s6, s36, s6
	s_sub_i32 s9, s6, s27
	s_cmp_ge_u32 s6, s27
	s_cselect_b32 s6, s9, s6
	s_sub_i32 s9, s6, s27
	s_cmp_ge_u32 s6, s27
	s_cselect_b32 s60, s9, s6
	s_mov_b64 s[12:13], s[60:61]
.LBB123_57:                             ;   in Loop: Header=BB123_12 Depth=1
	v_mov_b32_e32 v4, 0
	v_mov_b32_e32 v6, 0
	;; [unrolled: 1-line block ×8, first 2 shown]
	s_sub_u32 s68, s36, s12
	s_subb_u32 s69, s37, s13
	s_mov_b32 s57, exec_lo
	v_cmpx_gt_u64_e64 s[68:69], v[14:15]
	s_cbranch_execz .LBB123_61
; %bb.58:                               ;   in Loop: Header=BB123_12 Depth=1
	v_mov_b32_e32 v22, v15
	v_mov_b32_e32 v21, v14
	s_mov_b64 s[70:71], 0
	s_mov_b32 s60, 0
	s_mov_b64 s[72:73], 0
	s_mov_b64 s[74:75], 0
	;; [unrolled: 1-line block ×3, first 2 shown]
.LBB123_59:                             ;   Parent Loop BB123_12 Depth=1
                                        ; =>  This Inner Loop Header: Depth=2
	v_mad_u64_u32 v[4:5], null, v21, s30, s[28:29]
	v_mul_lo_u32 v6, v21, s31
	v_mul_lo_u32 v7, v22, s30
	v_add3_u32 v5, v7, v5, v6
	v_add_co_u32 v6, vcc_lo, v4, s30
	v_add_co_ci_u32_e64 v7, null, s31, v5, vcc_lo
	s_clause 0x1
	global_load_ubyte v8, v[4:5], off
	global_load_ubyte v9, v[6:7], off
	v_add_co_u32 v4, vcc_lo, v6, s30
	v_add_co_ci_u32_e64 v5, null, s31, v7, vcc_lo
	v_add_co_u32 v6, vcc_lo, v4, s30
	global_load_ubyte v4, v[4:5], off
	v_add_co_ci_u32_e64 v7, null, s31, v5, vcc_lo
	v_add_co_u32 v21, vcc_lo, v21, s27
	v_add_co_ci_u32_e64 v22, null, 0, v22, vcc_lo
	global_load_ubyte v5, v[6:7], off
	v_cmp_le_u64_e32 vcc_lo, s[68:69], v[21:22]
	s_waitcnt vmcnt(3)
	v_and_b32_e32 v6, v29, v8
	v_bfe_u32 v7, v8, s93, 2
	s_waitcnt vmcnt(2)
	v_bfe_u32 v8, v9, s93, 2
	v_cmp_eq_u32_e64 s6, v6, v26
	v_and_b32_e32 v6, v29, v9
	v_cmp_eq_u32_e64 s9, 0, v7
	v_cmp_eq_u32_e64 s15, 0, v8
	;; [unrolled: 1-line block ×5, first 2 shown]
	s_waitcnt vmcnt(1)
	v_and_b32_e32 v6, v29, v4
	v_bfe_u32 v4, v4, s93, 2
	s_and_b32 s9, s6, s9
	v_cmp_eq_u32_e64 s13, 3, v7
	v_cndmask_b32_e64 v7, 0, 1, s9
	v_cmp_eq_u32_e64 s18, v6, v26
	s_waitcnt vmcnt(0)
	v_and_b32_e32 v6, v29, v5
	v_bfe_u32 v5, v5, s93, 2
	v_cmp_eq_u32_e64 s19, 0, v4
	s_and_b32 s15, s14, s15
	v_cmp_ne_u32_e64 s20, 0, v7
	v_cndmask_b32_e64 v7, 0, 1, s15
	v_cmp_eq_u32_e64 s23, v6, v26
	v_cmp_eq_u32_e64 s24, 0, v5
	s_and_b32 s19, s18, s19
	v_cmp_eq_u32_e64 s15, 1, v4
	v_cmp_eq_u32_e64 s21, 2, v4
	;; [unrolled: 1-line block ×3, first 2 shown]
	s_bcnt1_i32_b32 s40, s20
	v_cmp_ne_u32_e64 s20, 0, v7
	v_cndmask_b32_e64 v4, 0, 1, s19
	s_and_b32 s24, s23, s24
	v_cmp_eq_u32_e64 s19, 1, v5
	v_cmp_eq_u32_e64 s25, 2, v5
	;; [unrolled: 1-line block ×3, first 2 shown]
	v_cndmask_b32_e64 v5, 0, 1, s24
	s_bcnt1_i32_b32 s24, s20
	v_cmp_ne_u32_e64 s20, 0, v4
	s_add_i32 s40, s24, s40
	v_cmp_eq_u32_e64 s9, 1, v8
	v_cmp_ne_u32_e64 s24, 0, v5
	v_cmp_eq_u32_e64 s16, 2, v8
	s_bcnt1_i32_b32 s20, s20
	v_cmp_eq_u32_e64 s17, 3, v8
	s_add_i32 s20, s40, s20
	s_bcnt1_i32_b32 s24, s24
	s_add_i32 s20, s20, s24
	s_add_u32 s76, s76, s20
	s_addc_u32 s77, s77, 0
	s_and_b32 s11, s6, s11
	s_and_b32 s9, s14, s9
	v_cndmask_b32_e64 v4, 0, 1, s11
	v_cndmask_b32_e64 v5, 0, 1, s9
	s_and_b32 s9, s18, s15
	v_cndmask_b32_e64 v6, 0, 1, s9
	s_and_b32 s9, s23, s19
	v_cmp_ne_u32_e64 s11, 0, v5
	v_cndmask_b32_e64 v7, 0, 1, s9
	v_cmp_ne_u32_e64 s9, 0, v4
	v_cmp_ne_u32_e64 s15, 0, v6
	s_bcnt1_i32_b32 s11, s11
	v_cmp_ne_u32_e64 s19, 0, v7
	s_bcnt1_i32_b32 s9, s9
	s_bcnt1_i32_b32 s15, s15
	s_add_i32 s9, s11, s9
	s_bcnt1_i32_b32 s19, s19
	s_add_i32 s9, s9, s15
	s_add_i32 s9, s9, s19
	s_add_u32 s74, s74, s9
	s_addc_u32 s75, s75, 0
	s_and_b32 s9, s6, s12
	v_cndmask_b32_e64 v4, 0, 1, s9
	s_and_b32 s9, s14, s16
	v_cndmask_b32_e64 v5, 0, 1, s9
	;; [unrolled: 2-line block ×3, first 2 shown]
	s_and_b32 s9, s23, s25
	v_cmp_ne_u32_e64 s11, 0, v5
	v_cndmask_b32_e64 v7, 0, 1, s9
	v_cmp_ne_u32_e64 s9, 0, v4
	v_cmp_ne_u32_e64 s12, 0, v6
	s_bcnt1_i32_b32 s11, s11
	v_cmp_ne_u32_e64 s15, 0, v7
	s_bcnt1_i32_b32 s9, s9
	s_bcnt1_i32_b32 s12, s12
	s_add_i32 s9, s11, s9
	s_bcnt1_i32_b32 s15, s15
	s_add_i32 s9, s9, s12
	s_add_i32 s9, s9, s15
	s_add_u32 s72, s72, s9
	s_addc_u32 s73, s73, 0
	s_and_b32 s6, s6, s13
	v_mov_b32_e32 v8, s72
	v_cndmask_b32_e64 v4, 0, 1, s6
	s_and_b32 s6, s14, s17
	v_mov_b32_e32 v9, s73
	v_cndmask_b32_e64 v5, 0, 1, s6
	s_and_b32 s6, s18, s22
	v_cndmask_b32_e64 v6, 0, 1, s6
	s_and_b32 s6, s23, s26
	v_cmp_ne_u32_e64 s9, 0, v5
	v_cndmask_b32_e64 v7, 0, 1, s6
	v_cmp_ne_u32_e64 s6, 0, v4
	v_cmp_ne_u32_e64 s11, 0, v6
	v_mov_b32_e32 v4, s76
	s_bcnt1_i32_b32 s9, s9
	v_cmp_ne_u32_e64 s12, 0, v7
	s_bcnt1_i32_b32 s6, s6
	s_bcnt1_i32_b32 s11, s11
	s_add_i32 s6, s9, s6
	v_mov_b32_e32 v6, s74
	s_bcnt1_i32_b32 s9, s12
	s_add_i32 s6, s6, s11
	v_mov_b32_e32 v5, s77
	s_add_i32 s6, s6, s9
	v_mov_b32_e32 v7, s75
	s_add_u32 s70, s70, s6
	s_addc_u32 s71, s71, 0
	v_mov_b32_e32 v10, s70
	v_mov_b32_e32 v11, s71
	s_or_b32 s60, vcc_lo, s60
	s_andn2_b32 exec_lo, exec_lo, s60
	s_cbranch_execnz .LBB123_59
; %bb.60:                               ;   in Loop: Header=BB123_12 Depth=1
	s_or_b32 exec_lo, exec_lo, s60
.LBB123_61:                             ;   in Loop: Header=BB123_12 Depth=1
	s_or_b32 exec_lo, exec_lo, s57
	v_add_co_u32 v21, s6, s68, v0
	v_and_b32_e32 v2, 0xffff, v2
	v_add_co_ci_u32_e64 v22, null, s69, 0, s6
	s_mov_b32 s12, exec_lo
	v_cmpx_gt_u64_e64 s[36:37], v[21:22]
	s_cbranch_execz .LBB123_67
; %bb.62:                               ;   in Loop: Header=BB123_12 Depth=1
	v_mad_u64_u32 v[31:32], null, v21, s30, s[28:29]
	v_mul_lo_u32 v33, v21, s31
	v_mul_lo_u32 v34, v22, s30
	s_mov_b32 s13, 0
	v_add3_u32 v32, v34, v32, v33
	global_load_ubyte v32, v[31:32], off
	s_branch .LBB123_64
.LBB123_63:                             ;   in Loop: Header=BB123_64 Depth=2
	s_or_b32 exec_lo, exec_lo, s9
	s_waitcnt vmcnt(0)
	v_and_b32_e32 v32, 0xff, v32
	s_and_b32 s11, exec_lo, vcc_lo
	s_or_b32 s13, s11, s13
	v_and_b32_e32 v33, v29, v32
	v_bfe_u32 v32, v32, s93, 2
	v_cmp_eq_u32_e64 s6, v33, v26
	v_cmp_eq_u32_e64 s9, 0, v32
	v_cmp_eq_u32_e32 vcc_lo, 1, v32
	v_cmp_eq_u32_e64 s11, 2, v32
	s_and_b32 s9, s6, s9
	v_cndmask_b32_e64 v33, 0, 1, s9
	s_and_b32 s9, s6, vcc_lo
	v_cmp_eq_u32_e32 vcc_lo, 3, v32
	v_cndmask_b32_e64 v34, 0, 1, s9
	s_and_b32 s9, s6, s11
	v_cndmask_b32_e64 v32, 0, 1, s9
	v_cmp_ne_u32_e64 s9, 0, v33
	v_cmp_ne_u32_e64 s11, 0, v34
	s_and_b32 s6, s6, vcc_lo
	v_cndmask_b32_e64 v33, 0, 1, s6
	s_bcnt1_i32_b32 s6, s9
	v_cmp_ne_u32_e32 vcc_lo, 0, v32
	s_bcnt1_i32_b32 s9, s11
	v_add_co_u32 v4, s6, v4, s6
	v_add_co_ci_u32_e64 v5, null, 0, v5, s6
	v_add_co_u32 v6, s6, v6, s9
	v_add_co_ci_u32_e64 v7, null, 0, v7, s6
	s_bcnt1_i32_b32 s6, vcc_lo
	v_cmp_ne_u32_e32 vcc_lo, 0, v33
	v_add_co_u32 v8, s6, v8, s6
	v_add_co_ci_u32_e64 v9, null, 0, v9, s6
	s_bcnt1_i32_b32 s6, vcc_lo
	v_mov_b32_e32 v32, v31
	v_add_co_u32 v10, vcc_lo, v10, s6
	v_add_co_ci_u32_e64 v11, null, 0, v11, vcc_lo
	s_andn2_b32 exec_lo, exec_lo, s13
	s_cbranch_execz .LBB123_66
.LBB123_64:                             ;   Parent Loop BB123_12 Depth=1
                                        ; =>  This Inner Loop Header: Depth=2
	v_add_co_u32 v21, vcc_lo, v21, v2
	v_add_co_ci_u32_e64 v22, null, 0, v22, vcc_lo
	v_mov_b32_e32 v31, 0
	s_mov_b32 s9, exec_lo
	v_cmp_le_u64_e32 vcc_lo, s[36:37], v[21:22]
	v_cmpx_gt_u64_e64 s[36:37], v[21:22]
	s_cbranch_execz .LBB123_63
; %bb.65:                               ;   in Loop: Header=BB123_64 Depth=2
	v_mad_u64_u32 v[33:34], null, v21, s30, s[28:29]
	v_mul_lo_u32 v31, v21, s31
	v_mul_lo_u32 v35, v22, s30
	v_add3_u32 v34, v35, v34, v31
	global_load_ubyte v31, v[33:34], off
	s_branch .LBB123_63
.LBB123_66:                             ;   in Loop: Header=BB123_12 Depth=1
	s_or_b32 exec_lo, exec_lo, s13
.LBB123_67:                             ;   in Loop: Header=BB123_12 Depth=1
	s_or_b32 exec_lo, exec_lo, s12
	s_branch .LBB123_46
.LBB123_68:                             ;   in Loop: Header=BB123_12 Depth=1
	global_load_ushort v2, v3, s[64:65]
	v_mov_b32_e32 v6, 0
	v_mov_b32_e32 v8, 0
	;; [unrolled: 1-line block ×6, first 2 shown]
	s_mov_b32 s62, exec_lo
	s_waitcnt vmcnt(0)
	v_readfirstlane_b32 s6, v2
	s_and_b32 s57, 0xffff, s6
	s_lshl_b32 s60, s57, 2
	v_cvt_f32_u32_e32 v4, s60
	s_sub_i32 s9, 0, s60
	v_rcp_iflag_f32_e32 v4, v4
	v_mul_f32_e32 v4, 0x4f7ffffe, v4
	v_cvt_u32_f32_e32 v4, v4
	v_readfirstlane_b32 s6, v4
	v_mov_b32_e32 v4, 0
	v_mov_b32_e32 v5, 0
	s_mul_i32 s9, s9, s6
	s_mul_hi_u32 s9, s6, s9
	s_add_i32 s6, s6, s9
	s_mul_hi_u32 s6, s66, s6
	s_mul_i32 s9, s6, s60
	s_add_i32 s11, s6, 1
	s_sub_i32 s9, s66, s9
	s_sub_i32 s12, s9, s60
	s_cmp_ge_u32 s9, s60
	s_cselect_b32 s6, s11, s6
	s_cselect_b32 s9, s12, s9
	s_add_i32 s11, s6, 1
	s_cmp_ge_u32 s9, s60
	s_cselect_b32 s6, s11, s6
	s_mul_hi_u32 s69, s57, s6
	s_mul_i32 s68, s57, s6
	s_lshl_b64 s[70:71], s[68:69], 2
	v_cmpx_gt_u64_e64 s[70:71], v[14:15]
	s_cbranch_execz .LBB123_72
; %bb.69:                               ;   in Loop: Header=BB123_12 Depth=1
	v_mov_b32_e32 v22, v15
	v_mov_b32_e32 v31, v14
	;; [unrolled: 1-line block ×3, first 2 shown]
	s_mov_b64 s[72:73], 0
	s_mov_b32 s67, 0
	s_mov_b64 s[74:75], 0
	s_mov_b64 s[76:77], 0
	;; [unrolled: 1-line block ×3, first 2 shown]
.LBB123_70:                             ;   Parent Loop BB123_12 Depth=1
                                        ; =>  This Inner Loop Header: Depth=2
	ds_read_b32 v4, v31
	v_add_nc_u32_e32 v31, s60, v31
	s_waitcnt lgkmcnt(0)
	v_and_b32_e32 v5, 0xff, v4
	v_and_b32_e32 v6, v29, v5
	v_bfe_u32 v5, v5, s93, 2
	v_cmp_eq_u32_e32 vcc_lo, v6, v26
	v_bfe_u32 v6, v4, 8, 8
	v_cmp_eq_u32_e64 s12, 0, v5
	v_cmp_eq_u32_e64 s13, 1, v5
	v_cmp_eq_u32_e64 s14, 2, v5
	v_cmp_eq_u32_e64 s15, 3, v5
	v_and_b32_e32 v7, v29, v6
	v_bfe_u32 v5, v6, s93, 2
	s_and_b32 s12, vcc_lo, s12
	v_cmp_eq_u32_e64 s6, v7, v26
	v_bfe_u32 v7, v4, 16, 8
	v_lshrrev_b32_e32 v4, 24, v4
	v_cmp_eq_u32_e64 s16, 0, v5
	v_cmp_eq_u32_e64 s17, 1, v5
	;; [unrolled: 1-line block ×3, first 2 shown]
	v_and_b32_e32 v8, v29, v7
	v_cmp_eq_u32_e64 s19, 3, v5
	v_bfe_u32 v5, v7, s93, 2
	s_and_b32 s16, s6, s16
	v_cmp_eq_u32_e64 s9, v8, v26
	v_and_b32_e32 v8, v29, v4
	v_bfe_u32 v4, v4, s93, 2
	v_cmp_eq_u32_e64 s20, 0, v5
	v_cmp_eq_u32_e64 s21, 1, v5
	v_cmp_eq_u32_e64 s22, 2, v5
	v_cmp_eq_u32_e64 s11, v8, v26
	v_cmp_eq_u32_e64 s24, 0, v4
	v_cmp_eq_u32_e64 s25, 1, v4
	v_cmp_eq_u32_e64 s26, 2, v4
	v_cmp_eq_u32_e64 s27, 3, v4
	v_cndmask_b32_e64 v4, 0, 1, s12
	s_and_b32 s20, s9, s20
	s_and_b32 s24, s11, s24
	v_cmp_eq_u32_e64 s23, 3, v5
	v_cmp_ne_u32_e64 s12, 0, v4
	v_cndmask_b32_e64 v4, 0, 1, s16
	s_bcnt1_i32_b32 s12, s12
	v_cmp_ne_u32_e64 s16, 0, v4
	v_cndmask_b32_e64 v4, 0, 1, s20
	s_bcnt1_i32_b32 s16, s16
	v_cmp_ne_u32_e64 s20, 0, v4
	v_cndmask_b32_e64 v4, 0, 1, s24
	s_add_i32 s12, s16, s12
	s_bcnt1_i32_b32 s20, s20
	v_cmp_ne_u32_e64 s24, 0, v4
	s_add_i32 s12, s12, s20
	s_bcnt1_i32_b32 s24, s24
	s_add_i32 s12, s12, s24
	s_add_u32 s78, s78, s12
	s_addc_u32 s79, s79, 0
	s_and_b32 s12, vcc_lo, s13
	s_and_b32 s13, s6, s17
	v_cndmask_b32_e64 v4, 0, 1, s12
	s_and_b32 s16, s9, s21
	s_and_b32 s17, s11, s25
	v_cmp_ne_u32_e64 s12, 0, v4
	v_cndmask_b32_e64 v4, 0, 1, s13
	s_bcnt1_i32_b32 s12, s12
	v_cmp_ne_u32_e64 s13, 0, v4
	v_cndmask_b32_e64 v4, 0, 1, s16
	s_bcnt1_i32_b32 s13, s13
	v_cmp_ne_u32_e64 s16, 0, v4
	v_cndmask_b32_e64 v4, 0, 1, s17
	s_add_i32 s12, s13, s12
	s_bcnt1_i32_b32 s16, s16
	v_cmp_ne_u32_e64 s17, 0, v4
	s_add_i32 s12, s12, s16
	s_bcnt1_i32_b32 s17, s17
	s_add_i32 s12, s12, s17
	s_add_u32 s76, s76, s12
	s_addc_u32 s77, s77, 0
	s_and_b32 s12, vcc_lo, s14
	s_and_b32 s13, s6, s18
	v_cndmask_b32_e64 v4, 0, 1, s12
	s_and_b32 s14, s9, s22
	s_and_b32 s16, s11, s26
	v_mov_b32_e32 v6, s76
	v_mov_b32_e32 v7, s77
	v_cmp_ne_u32_e64 s12, 0, v4
	v_cndmask_b32_e64 v4, 0, 1, s13
	s_bcnt1_i32_b32 s12, s12
	v_cmp_ne_u32_e64 s13, 0, v4
	v_cndmask_b32_e64 v4, 0, 1, s14
	s_bcnt1_i32_b32 s13, s13
	v_cmp_ne_u32_e64 s14, 0, v4
	v_cndmask_b32_e64 v4, 0, 1, s16
	s_add_i32 s12, s13, s12
	s_bcnt1_i32_b32 s14, s14
	v_cmp_ne_u32_e64 s16, 0, v4
	s_add_i32 s12, s12, s14
	s_bcnt1_i32_b32 s16, s16
	s_add_i32 s12, s12, s16
	s_add_u32 s74, s74, s12
	s_addc_u32 s75, s75, 0
	s_and_b32 s12, vcc_lo, s15
	s_and_b32 s6, s6, s19
	v_cndmask_b32_e64 v4, 0, 1, s12
	s_and_b32 s9, s9, s23
	s_and_b32 s11, s11, s27
	v_add_co_u32 v21, s12, v21, s60
	v_cmp_ne_u32_e32 vcc_lo, 0, v4
	v_cndmask_b32_e64 v4, 0, 1, s6
	v_add_co_ci_u32_e64 v22, null, 0, v22, s12
	v_mov_b32_e32 v8, s74
	s_bcnt1_i32_b32 s13, vcc_lo
	v_cmp_ne_u32_e64 s6, 0, v4
	v_cndmask_b32_e64 v4, 0, 1, s9
	v_cmp_le_u64_e64 s12, s[70:71], v[21:22]
	v_mov_b32_e32 v9, s75
	s_bcnt1_i32_b32 s6, s6
	v_cmp_ne_u32_e64 s9, 0, v4
	v_cndmask_b32_e64 v4, 0, 1, s11
	s_add_i32 s6, s6, s13
	s_bcnt1_i32_b32 s9, s9
	v_cmp_ne_u32_e64 s11, 0, v4
	s_add_i32 s6, s6, s9
	v_mov_b32_e32 v4, s78
	v_mov_b32_e32 v5, s79
	s_bcnt1_i32_b32 s11, s11
	s_add_i32 s6, s6, s11
	s_add_u32 s72, s72, s6
	s_addc_u32 s73, s73, 0
	v_mov_b32_e32 v10, s72
	v_mov_b32_e32 v11, s73
	s_or_b32 s67, s12, s67
	s_andn2_b32 exec_lo, exec_lo, s67
	s_cbranch_execnz .LBB123_70
; %bb.71:                               ;   in Loop: Header=BB123_12 Depth=1
	s_or_b32 exec_lo, exec_lo, s67
.LBB123_72:                             ;   in Loop: Header=BB123_12 Depth=1
	s_or_b32 exec_lo, exec_lo, s62
	v_add_co_u32 v21, s6, s70, v0
	v_and_b32_e32 v2, 0xffff, v2
	v_add_co_ci_u32_e64 v22, null, s71, 0, s6
	s_and_b32 s60, s66, 0x7fffffff
	s_mov_b32 s14, exec_lo
	v_cmpx_gt_u64_e64 s[60:61], v[21:22]
	s_cbranch_execz .LBB123_76
; %bb.73:                               ;   in Loop: Header=BB123_12 Depth=1
	v_lshl_add_u32 v31, s68, 2, v0
	s_mov_b32 s15, 0
.LBB123_74:                             ;   Parent Loop BB123_12 Depth=1
                                        ; =>  This Inner Loop Header: Depth=2
	ds_read_u8 v32, v31
	v_add_co_u32 v21, vcc_lo, v21, v2
	v_add_co_ci_u32_e64 v22, null, 0, v22, vcc_lo
	v_add_nc_u32_e32 v31, s57, v31
	v_cmp_le_u64_e32 vcc_lo, s[60:61], v[21:22]
	s_waitcnt lgkmcnt(0)
	v_and_b32_e32 v33, v29, v32
	v_bfe_u32 v32, v32, s93, 2
	v_cmp_eq_u32_e64 s6, v33, v26
	v_cmp_eq_u32_e64 s9, 0, v32
	;; [unrolled: 1-line block ×5, first 2 shown]
	s_and_b32 s9, s6, s9
	v_cndmask_b32_e64 v32, 0, 1, s9
	s_and_b32 s9, s6, s11
	v_cndmask_b32_e64 v33, 0, 1, s9
	s_and_b32 s9, s6, s12
	s_and_b32 s6, s6, s13
	v_cndmask_b32_e64 v34, 0, 1, s9
	v_cndmask_b32_e64 v35, 0, 1, s6
	v_cmp_ne_u32_e64 s6, 0, v32
	v_cmp_ne_u32_e64 s9, 0, v33
	;; [unrolled: 1-line block ×4, first 2 shown]
	s_bcnt1_i32_b32 s6, s6
	s_bcnt1_i32_b32 s9, s9
	v_add_co_u32 v4, s6, v4, s6
	s_bcnt1_i32_b32 s11, s11
	v_add_co_ci_u32_e64 v5, null, 0, v5, s6
	v_add_co_u32 v6, s6, v6, s9
	s_bcnt1_i32_b32 s12, s12
	v_add_co_ci_u32_e64 v7, null, 0, v7, s6
	v_add_co_u32 v8, s6, v8, s11
	v_add_co_ci_u32_e64 v9, null, 0, v9, s6
	v_add_co_u32 v10, s6, v10, s12
	v_add_co_ci_u32_e64 v11, null, 0, v11, s6
	s_or_b32 s15, vcc_lo, s15
	s_andn2_b32 exec_lo, exec_lo, s15
	s_cbranch_execnz .LBB123_74
; %bb.75:                               ;   in Loop: Header=BB123_12 Depth=1
	s_or_b32 exec_lo, exec_lo, s15
.LBB123_76:                             ;   in Loop: Header=BB123_12 Depth=1
	s_or_b32 exec_lo, exec_lo, s14
	s_lshl_b32 s6, s97, 7
	s_and_saveexec_b32 s9, s0
	s_cbranch_execnz .LBB123_47
	s_branch .LBB123_48
.LBB123_77:                             ;   in Loop: Header=BB123_12 Depth=1
                                        ; implicit-def: $sgpr12_sgpr13
	s_branch .LBB123_56
.LBB123_78:                             ;   in Loop: Header=BB123_12 Depth=1
	s_mov_b32 s11, 0
	s_andn2_b32 vcc_lo, exec_lo, s95
	s_cbranch_vccnz .LBB123_81
.LBB123_79:                             ;   in Loop: Header=BB123_12 Depth=1
	s_lshl_b32 s12, s97, 10
	s_lshl_b32 s11, s11, 5
	v_add3_u32 v2, s12, s11, v27
	s_mov_b32 s11, s91
.LBB123_80:                             ;   Parent Loop BB123_12 Depth=1
                                        ; =>  This Inner Loop Header: Depth=2
	ds_read_b64 v[6:7], v2
	v_add_nc_u32_e32 v2, 32, v2
	s_add_i32 s11, s11, -1
	s_cmp_lg_u32 s11, 0
	s_waitcnt lgkmcnt(0)
	v_add_co_u32 v4, vcc_lo, v6, v4
	v_add_co_ci_u32_e64 v5, null, v7, v5, vcc_lo
	s_cbranch_scc1 .LBB123_80
.LBB123_81:                             ;   in Loop: Header=BB123_12 Depth=1
	v_add_lshl_u32 v2, s6, v24, 3
	ds_write_b64 v2, v[4:5] offset:3072
.LBB123_82:                             ;   in Loop: Header=BB123_12 Depth=1
	s_or_b32 exec_lo, exec_lo, s9
	s_lshl_b32 s6, s6, 3
	s_waitcnt lgkmcnt(0)
	v_mov_b32_e32 v2, s6
	s_barrier
	buffer_gl0_inv
	v_cmp_eq_u64_e64 s9, 1, v[19:20]
	s_lshl_b32 s11, 3, s93
	ds_read_b128 v[4:7], v2 offset:3072
	ds_read_b128 v[8:11], v2 offset:3088
	s_mov_b32 s69, -1
	s_not_b32 s26, s11
	s_mov_b32 s27, 0
	s_andn2_b32 vcc_lo, exec_lo, s35
	s_mov_b32 s66, 0
	s_mov_b32 s57, 0
                                        ; implicit-def: $sgpr67
                                        ; implicit-def: $sgpr68
                                        ; implicit-def: $vgpr2
	s_waitcnt lgkmcnt(1)
	v_readfirstlane_b32 s13, v5
	v_readfirstlane_b32 s12, v4
	;; [unrolled: 1-line block ×4, first 2 shown]
	s_waitcnt lgkmcnt(0)
	v_readfirstlane_b32 s17, v9
	v_readfirstlane_b32 s16, v8
	;; [unrolled: 1-line block ×4, first 2 shown]
                                        ; implicit-def: $vgpr4_vgpr5
                                        ; implicit-def: $vgpr8
                                        ; implicit-def: $vgpr9
                                        ; implicit-def: $vgpr10
	s_cbranch_vccnz .LBB123_277
; %bb.83:                               ;   in Loop: Header=BB123_12 Depth=1
	s_cmp_eq_u64 s[12:13], 1
	v_mov_b32_e32 v8, v26
	v_mov_b32_e32 v9, v29
	;; [unrolled: 1-line block ×3, first 2 shown]
	s_cselect_b32 s6, -1, 0
	s_mov_b32 s20, -1
	s_and_b32 s6, s6, s9
                                        ; implicit-def: $sgpr68
                                        ; implicit-def: $sgpr67
	s_and_saveexec_b32 s57, s6
	s_cbranch_execz .LBB123_118
; %bb.84:                               ;   in Loop: Header=BB123_12 Depth=1
	ds_read_b64 v[4:5], v3 offset:5120
	s_waitcnt lgkmcnt(0)
	s_barrier
	buffer_gl0_inv
	v_readfirstlane_b32 s20, v4
	v_readfirstlane_b32 s21, v5
	s_and_saveexec_b32 s22, s10
; %bb.85:                               ;   in Loop: Header=BB123_12 Depth=1
	ds_write_b8 v0, v3 offset:3072
; %bb.86:                               ;   in Loop: Header=BB123_12 Depth=1
	s_or_b32 exec_lo, exec_lo, s22
	v_and_b32_e32 v8, s26, v26
	v_or_b32_e32 v9, s11, v29
	s_mov_b32 s67, -1
	s_mov_b32 s68, 0
	s_cmp_eq_u64 s[20:21], 0
	s_mov_b32 s24, 0
	s_mov_b32 s25, -1
	s_waitcnt lgkmcnt(0)
	s_barrier
	buffer_gl0_inv
                                        ; implicit-def: $vgpr10
	s_cbranch_scc1 .LBB123_103
; %bb.87:                               ;   in Loop: Header=BB123_12 Depth=1
	s_add_u32 s58, s20, s82
	s_addc_u32 s23, s21, s83
	s_mov_b32 s22, s61
	s_cmp_lg_u64 s[22:23], 0
	s_cbranch_scc0 .LBB123_144
; %bb.88:                               ;   in Loop: Header=BB123_12 Depth=1
	v_cvt_f32_u32_e32 v2, s33
	s_sub_u32 s24, 0, s33
	s_subb_u32 s25, 0, 0
	v_fmac_f32_e64 v2, 0x4f800000, 0
	v_rcp_f32_e32 v2, v2
	v_mul_f32_e32 v2, 0x5f7ffffc, v2
	v_mul_f32_e32 v4, 0x2f800000, v2
	v_trunc_f32_e32 v4, v4
	v_fmac_f32_e32 v2, 0xcf800000, v4
	v_cvt_u32_f32_e32 v4, v4
	v_cvt_u32_f32_e32 v2, v2
	v_readfirstlane_b32 s8, v4
	v_readfirstlane_b32 s22, v2
	s_mul_i32 s40, s24, s8
	s_mul_hi_u32 s42, s24, s22
	s_mul_i32 s41, s25, s22
	s_add_i32 s40, s42, s40
	s_mul_i32 s43, s24, s22
	s_add_i32 s40, s40, s41
	s_mul_hi_u32 s42, s22, s43
	s_mul_i32 s60, s22, s40
	s_mul_hi_u32 s59, s8, s43
	s_mul_i32 s41, s8, s43
	s_mul_hi_u32 s43, s22, s40
	s_add_u32 s42, s42, s60
	s_addc_u32 s43, 0, s43
	s_mul_hi_u32 s62, s8, s40
	s_add_u32 s41, s42, s41
	s_mul_i32 s40, s8, s40
	s_addc_u32 s41, s43, s59
	s_addc_u32 s42, s62, 0
	s_add_u32 s40, s41, s40
	s_addc_u32 s41, 0, s42
	s_add_u32 s22, s22, s40
	s_cselect_b32 s40, -1, 0
	s_mul_hi_u32 s42, s24, s22
	s_cmp_lg_u32 s40, 0
	s_mul_i32 s40, s24, s22
	s_addc_u32 s8, s8, s41
	s_mul_i32 s25, s25, s22
	s_mul_i32 s24, s24, s8
	s_mul_hi_u32 s41, s22, s40
	s_add_i32 s24, s42, s24
	s_mul_hi_u32 s42, s8, s40
	s_add_i32 s24, s24, s25
	s_mul_i32 s25, s8, s40
	s_mul_i32 s59, s22, s24
	s_mul_hi_u32 s43, s22, s24
	s_add_u32 s41, s41, s59
	s_addc_u32 s43, 0, s43
	s_mul_hi_u32 s40, s8, s24
	s_add_u32 s25, s41, s25
	s_mul_i32 s24, s8, s24
	s_addc_u32 s25, s43, s42
	s_addc_u32 s40, s40, 0
	s_add_u32 s24, s25, s24
	s_addc_u32 s25, 0, s40
	s_add_u32 s22, s22, s24
	s_cselect_b32 s24, -1, 0
	s_mul_hi_u32 s40, s58, s22
	s_cmp_lg_u32 s24, 0
	s_mul_hi_u32 s24, s23, s22
	s_addc_u32 s8, s8, s25
	s_mul_i32 s22, s23, s22
	s_mul_i32 s41, s58, s8
	s_mul_hi_u32 s25, s58, s8
	s_add_u32 s40, s40, s41
	s_addc_u32 s25, 0, s25
	s_mul_hi_u32 s42, s23, s8
	s_add_u32 s22, s40, s22
	s_mul_i32 s8, s23, s8
	s_addc_u32 s22, s25, s24
	s_addc_u32 s24, s42, 0
	s_add_u32 s8, s22, s8
	s_addc_u32 s22, 0, s24
	s_mul_hi_u32 s24, s33, s8
	s_mul_i32 s22, s33, s22
	s_mul_i32 s8, s33, s8
	s_add_i32 s24, s24, s22
	s_sub_u32 s8, s58, s8
	s_cselect_b32 s22, -1, 0
	s_cmp_lg_u32 s22, 0
	s_subb_u32 s22, s23, s24
	s_sub_u32 s24, s8, s33
	s_cselect_b32 s25, -1, 0
	s_cmp_lg_u32 s25, 0
	s_subb_u32 s25, s22, 0
	;; [unrolled: 4-line block ×3, first 2 shown]
	s_cmp_ge_u32 s24, s33
	s_cselect_b32 s42, -1, 0
	s_cmp_eq_u32 s25, 0
	s_cselect_b32 s42, s42, -1
	s_cmp_lg_u32 s42, 0
	s_cselect_b32 s25, s41, s25
	s_cselect_b32 s24, s40, s24
	s_cmp_ge_u32 s8, s33
	s_cselect_b32 s40, -1, 0
	s_cmp_eq_u32 s22, 0
	s_cselect_b32 s40, s40, -1
	s_cmp_lg_u32 s40, 0
	s_cselect_b32 s25, s25, s22
	s_cselect_b32 s24, s24, s8
	s_cbranch_execnz .LBB123_90
.LBB123_89:                             ;   in Loop: Header=BB123_12 Depth=1
	v_cvt_f32_u32_e32 v2, s33
	s_sub_i32 s22, 0, s33
	v_rcp_iflag_f32_e32 v2, v2
	v_mul_f32_e32 v2, 0x4f7ffffe, v2
	v_cvt_u32_f32_e32 v2, v2
	v_readfirstlane_b32 s8, v2
	s_mul_i32 s22, s22, s8
	s_mul_hi_u32 s22, s8, s22
	s_add_i32 s8, s8, s22
	s_mul_hi_u32 s8, s58, s8
	s_mul_i32 s8, s8, s33
	s_sub_i32 s8, s58, s8
	s_sub_i32 s22, s8, s33
	s_cmp_ge_u32 s8, s33
	s_cselect_b32 s8, s22, s8
	s_sub_i32 s22, s8, s33
	s_cmp_ge_u32 s8, s33
	s_cselect_b32 s60, s22, s8
	s_mov_b64 s[24:25], s[60:61]
.LBB123_90:                             ;   in Loop: Header=BB123_12 Depth=1
	s_sub_u32 s22, s58, s24
	s_subb_u32 s23, s23, s25
	s_mov_b32 s25, 0
	s_mov_b32 s24, 0
	s_mov_b32 s58, exec_lo
                                        ; implicit-def: $vgpr10
	v_cmpx_gt_u64_e64 s[22:23], v[0:1]
	s_cbranch_execz .LBB123_102
; %bb.91:                               ;   in Loop: Header=BB123_12 Depth=1
	v_mov_b32_e32 v5, v1
	v_mov_b32_e32 v2, v0
	v_mov_b32_e32 v4, v0
                                        ; implicit-def: $sgpr59
	s_inst_prefetch 0x1
	s_branch .LBB123_94
	.p2align	6
.LBB123_92:                             ;   in Loop: Header=BB123_94 Depth=2
	s_or_b32 exec_lo, exec_lo, s60
	s_waitcnt lgkmcnt(0)
	s_barrier
	buffer_gl0_inv
	ds_read_u16 v6, v3 offset:3072
	s_mov_b32 s60, -1
	s_mov_b32 s62, -1
	s_waitcnt lgkmcnt(0)
	s_barrier
	buffer_gl0_inv
	v_cmp_ne_u32_sdwa s8, v6, v3 src0_sel:BYTE_0 src1_sel:DWORD
	s_and_b32 vcc_lo, exec_lo, s8
	s_cbranch_vccz .LBB123_97
.LBB123_93:                             ;   in Loop: Header=BB123_94 Depth=2
	s_and_b32 s8, exec_lo, s60
	s_or_b32 s24, s8, s24
	s_andn2_b32 s8, s59, exec_lo
	s_and_b32 s40, s62, exec_lo
	s_or_b32 s59, s8, s40
	s_andn2_b32 exec_lo, exec_lo, s24
	s_cbranch_execz .LBB123_101
.LBB123_94:                             ;   Parent Loop BB123_12 Depth=1
                                        ; =>  This Inner Loop Header: Depth=2
	s_mov_b32 s60, exec_lo
	v_cmpx_gt_u64_e64 s[20:21], v[4:5]
	s_cbranch_execz .LBB123_92
; %bb.95:                               ;   in Loop: Header=BB123_94 Depth=2
	ds_read_u8 v6, v2
	s_waitcnt lgkmcnt(0)
	v_and_b32_e32 v7, v6, v9
	v_cmp_eq_u32_sdwa s8, v7, v8 src0_sel:BYTE_0 src1_sel:DWORD
	s_and_b32 exec_lo, exec_lo, s8
	s_cbranch_execz .LBB123_92
; %bb.96:                               ;   in Loop: Header=BB123_94 Depth=2
	v_lshlrev_b16 v6, 8, v6
	v_or_b32_e32 v6, 1, v6
	ds_write_b16 v3, v6 offset:3072
	s_branch .LBB123_92
.LBB123_97:                             ;   in Loop: Header=BB123_94 Depth=2
	v_add_co_u32 v4, vcc_lo, v4, s33
	v_add_co_ci_u32_e64 v5, null, 0, v5, vcc_lo
	v_add_nc_u32_e32 v2, s33, v2
	s_mov_b32 s62, 0
	v_cmp_le_u64_e32 vcc_lo, s[22:23], v[4:5]
	s_orn2_b32 s60, vcc_lo, exec_lo
	s_branch .LBB123_93
.LBB123_98:                             ;   in Loop: Header=BB123_12 Depth=1
	s_or_b32 exec_lo, exec_lo, s11
	s_waitcnt lgkmcnt(0)
	s_barrier
	buffer_gl0_inv
	s_and_saveexec_b32 s6, s3
	s_cbranch_execz .LBB123_100
; %bb.99:                               ;   in Loop: Header=BB123_12 Depth=1
	ds_read_b32 v4, v3 offset:5144
	s_waitcnt lgkmcnt(0)
	v_ashrrev_i32_e32 v5, 31, v4
	ds_write_b64 v3, v[4:5] offset:5120
.LBB123_100:                            ;   in Loop: Header=BB123_12 Depth=1
	s_or_b32 exec_lo, exec_lo, s6
	s_waitcnt lgkmcnt(0)
	s_mov_b32 s6, -1
	s_barrier
	s_and_b32 vcc_lo, exec_lo, s9
	s_cbranch_vccnz .LBB123_27
	s_branch .LBB123_42
.LBB123_101:                            ;   in Loop: Header=BB123_12 Depth=1
	s_inst_prefetch 0x2
	s_or_b32 exec_lo, exec_lo, s24
	v_lshrrev_b32_sdwa v10, v28, v6 dst_sel:DWORD dst_unused:UNUSED_PAD src0_sel:DWORD src1_sel:WORD_0
	s_and_b32 s24, s59, exec_lo
.LBB123_102:                            ;   in Loop: Header=BB123_12 Depth=1
	s_or_b32 exec_lo, exec_lo, s58
.LBB123_103:                            ;   in Loop: Header=BB123_12 Depth=1
	s_and_b32 vcc_lo, exec_lo, s25
	s_cbranch_vccz .LBB123_117
; %bb.104:                              ;   in Loop: Header=BB123_12 Depth=1
	s_mov_b32 s62, s61
	s_cmp_lg_u64 s[62:63], 0
	s_cbranch_scc0 .LBB123_145
; %bb.105:                              ;   in Loop: Header=BB123_12 Depth=1
	v_cvt_f32_u32_e32 v2, s33
	s_sub_u32 s21, 0, s33
	s_subb_u32 s22, 0, 0
	v_fmac_f32_e64 v2, 0x4f800000, 0
	v_rcp_f32_e32 v2, v2
	v_mul_f32_e32 v2, 0x5f7ffffc, v2
	v_mul_f32_e32 v4, 0x2f800000, v2
	v_trunc_f32_e32 v4, v4
	v_fmac_f32_e32 v2, 0xcf800000, v4
	v_cvt_u32_f32_e32 v4, v4
	v_cvt_u32_f32_e32 v2, v2
	v_readfirstlane_b32 s8, v4
	v_readfirstlane_b32 s20, v2
	s_mul_i32 s23, s21, s8
	s_mul_hi_u32 s40, s21, s20
	s_mul_i32 s25, s22, s20
	s_add_i32 s23, s40, s23
	s_mul_i32 s41, s21, s20
	s_add_i32 s23, s23, s25
	s_mul_hi_u32 s40, s20, s41
	s_mul_i32 s43, s20, s23
	s_mul_hi_u32 s42, s8, s41
	s_mul_i32 s25, s8, s41
	s_mul_hi_u32 s41, s20, s23
	s_add_u32 s40, s40, s43
	s_addc_u32 s41, 0, s41
	s_mul_hi_u32 s58, s8, s23
	s_add_u32 s25, s40, s25
	s_mul_i32 s23, s8, s23
	s_addc_u32 s25, s41, s42
	s_addc_u32 s40, s58, 0
	s_add_u32 s23, s25, s23
	s_addc_u32 s25, 0, s40
	s_add_u32 s20, s20, s23
	s_cselect_b32 s23, -1, 0
	s_mul_hi_u32 s40, s21, s20
	s_cmp_lg_u32 s23, 0
	s_mul_i32 s23, s21, s20
	s_addc_u32 s8, s8, s25
	s_mul_i32 s22, s22, s20
	s_mul_i32 s21, s21, s8
	s_mul_hi_u32 s25, s20, s23
	s_add_i32 s21, s40, s21
	s_mul_hi_u32 s40, s8, s23
	s_add_i32 s21, s21, s22
	s_mul_i32 s22, s8, s23
	s_mul_i32 s42, s20, s21
	s_mul_hi_u32 s41, s20, s21
	s_add_u32 s25, s25, s42
	s_addc_u32 s41, 0, s41
	s_mul_hi_u32 s23, s8, s21
	s_add_u32 s22, s25, s22
	s_mul_i32 s21, s8, s21
	s_addc_u32 s22, s41, s40
	s_addc_u32 s23, s23, 0
	s_add_u32 s21, s22, s21
	s_addc_u32 s22, 0, s23
	s_add_u32 s20, s20, s21
	s_cselect_b32 s21, -1, 0
	s_mul_hi_u32 s23, s84, s20
	s_cmp_lg_u32 s21, 0
	s_mul_hi_u32 s21, s63, s20
	s_addc_u32 s8, s8, s22
	s_mul_i32 s20, s63, s20
	s_mul_i32 s25, s84, s8
	s_mul_hi_u32 s22, s84, s8
	s_add_u32 s23, s23, s25
	s_addc_u32 s22, 0, s22
	s_mul_hi_u32 s40, s63, s8
	s_add_u32 s20, s23, s20
	s_mul_i32 s8, s63, s8
	s_addc_u32 s20, s22, s21
	s_addc_u32 s21, s40, 0
	s_add_u32 s8, s20, s8
	s_addc_u32 s20, 0, s21
	s_mul_hi_u32 s21, s33, s8
	s_mul_i32 s20, s33, s20
	s_mul_i32 s8, s33, s8
	s_add_i32 s21, s21, s20
	s_sub_u32 s8, s84, s8
	s_cselect_b32 s20, -1, 0
	s_cmp_lg_u32 s20, 0
	s_subb_u32 s20, s63, s21
	s_sub_u32 s21, s8, s33
	s_cselect_b32 s22, -1, 0
	s_cmp_lg_u32 s22, 0
	s_subb_u32 s22, s20, 0
	s_sub_u32 s23, s21, s33
	s_cselect_b32 s25, -1, 0
	s_cmp_lg_u32 s25, 0
	s_subb_u32 s25, s22, 0
	s_cmp_ge_u32 s21, s33
	s_cselect_b32 s40, -1, 0
	s_cmp_eq_u32 s22, 0
	s_cselect_b32 s40, s40, -1
	s_cmp_lg_u32 s40, 0
	s_cselect_b32 s22, s25, s22
	s_cselect_b32 s23, s23, s21
	s_cmp_ge_u32 s8, s33
	s_cselect_b32 s21, -1, 0
	s_cmp_eq_u32 s20, 0
	s_cselect_b32 s21, s21, -1
	s_cmp_lg_u32 s21, 0
	s_cselect_b32 s21, s22, s20
	s_cselect_b32 s20, s23, s8
	s_cbranch_execnz .LBB123_107
.LBB123_106:                            ;   in Loop: Header=BB123_12 Depth=1
	v_cvt_f32_u32_e32 v2, s33
	s_sub_i32 s20, 0, s33
	v_rcp_iflag_f32_e32 v2, v2
	v_mul_f32_e32 v2, 0x4f7ffffe, v2
	v_cvt_u32_f32_e32 v2, v2
	v_readfirstlane_b32 s8, v2
	s_mul_i32 s20, s20, s8
	s_mul_hi_u32 s20, s8, s20
	s_add_i32 s8, s8, s20
	s_mul_hi_u32 s8, s84, s8
	s_mul_i32 s8, s8, s33
	s_sub_i32 s8, s84, s8
	s_sub_i32 s20, s8, s33
	s_cmp_ge_u32 s8, s33
	s_cselect_b32 s8, s20, s8
	s_sub_i32 s20, s8, s33
	s_cmp_ge_u32 s8, s33
	s_cselect_b32 s60, s20, s8
	s_mov_b64 s[20:21], s[60:61]
.LBB123_107:                            ;   in Loop: Header=BB123_12 Depth=1
	s_sub_u32 s20, s84, s20
	s_subb_u32 s21, s63, s21
	s_mov_b32 s22, exec_lo
                                        ; implicit-def: $vgpr10
	v_cmpx_gt_u64_e64 s[20:21], v[0:1]
	s_cbranch_execz .LBB123_116
; %bb.108:                              ;   in Loop: Header=BB123_12 Depth=1
	v_mov_b32_e32 v5, v1
	v_mov_b32_e32 v4, v0
	s_mov_b32 s23, 0
                                        ; implicit-def: $sgpr25
	s_branch .LBB123_111
.LBB123_109:                            ;   in Loop: Header=BB123_111 Depth=2
	s_or_b32 exec_lo, exec_lo, s58
	s_waitcnt lgkmcnt(0)
	s_barrier
	buffer_gl0_inv
	ds_read_u16 v2, v3 offset:3072
	s_mov_b32 s41, -1
	s_mov_b32 s40, -1
	s_waitcnt lgkmcnt(0)
	s_barrier
	buffer_gl0_inv
	v_cmp_ne_u32_sdwa s8, v2, v3 src0_sel:BYTE_0 src1_sel:DWORD
	s_and_b32 vcc_lo, exec_lo, s8
	s_cbranch_vccz .LBB123_114
.LBB123_110:                            ;   in Loop: Header=BB123_111 Depth=2
	s_and_b32 s8, exec_lo, s41
	s_or_b32 s23, s8, s23
	s_andn2_b32 s8, s25, exec_lo
	s_and_b32 s25, s40, exec_lo
	s_or_b32 s25, s8, s25
	s_andn2_b32 exec_lo, exec_lo, s23
	s_cbranch_execz .LBB123_115
.LBB123_111:                            ;   Parent Loop BB123_12 Depth=1
                                        ; =>  This Inner Loop Header: Depth=2
	s_mov_b32 s58, exec_lo
	v_cmpx_gt_u64_e64 s[36:37], v[4:5]
	s_cbranch_execz .LBB123_109
; %bb.112:                              ;   in Loop: Header=BB123_111 Depth=2
	v_mad_u64_u32 v[6:7], null, v4, s30, s[28:29]
	v_mul_lo_u32 v2, v4, s31
	v_mul_lo_u32 v10, v5, s30
	v_add3_u32 v7, v10, v7, v2
	global_load_ubyte v2, v[6:7], off
	s_waitcnt vmcnt(0)
	v_and_b32_e32 v6, v2, v9
	v_cmp_eq_u32_sdwa s8, v6, v8 src0_sel:BYTE_0 src1_sel:DWORD
	s_and_b32 exec_lo, exec_lo, s8
	s_cbranch_execz .LBB123_109
; %bb.113:                              ;   in Loop: Header=BB123_111 Depth=2
	v_lshlrev_b16 v2, 8, v2
	v_or_b32_e32 v2, 1, v2
	ds_write_b16 v3, v2 offset:3072
	s_branch .LBB123_109
.LBB123_114:                            ;   in Loop: Header=BB123_111 Depth=2
	v_add_co_u32 v4, vcc_lo, v4, s33
	v_add_co_ci_u32_e64 v5, null, 0, v5, vcc_lo
	s_mov_b32 s40, 0
	v_cmp_le_u64_e32 vcc_lo, s[20:21], v[4:5]
	s_orn2_b32 s41, vcc_lo, exec_lo
	s_branch .LBB123_110
.LBB123_115:                            ;   in Loop: Header=BB123_12 Depth=1
	s_or_b32 exec_lo, exec_lo, s23
	v_lshrrev_b32_sdwa v10, v28, v2 dst_sel:DWORD dst_unused:UNUSED_PAD src0_sel:DWORD src1_sel:WORD_0
	s_andn2_b32 s8, s24, exec_lo
	s_and_b32 s20, s25, exec_lo
	s_or_b32 s24, s8, s20
.LBB123_116:                            ;   in Loop: Header=BB123_12 Depth=1
	s_or_b32 exec_lo, exec_lo, s22
	s_mov_b32 s67, 0
	s_mov_b32 s68, -1
.LBB123_117:                            ;   in Loop: Header=BB123_12 Depth=1
	s_orn2_b32 s20, s24, exec_lo
.LBB123_118:                            ;   in Loop: Header=BB123_12 Depth=1
	s_or_b32 exec_lo, exec_lo, s57
	s_mov_b32 s69, 0
	s_mov_b32 s66, 0
	;; [unrolled: 1-line block ×3, first 2 shown]
                                        ; implicit-def: $vgpr4_vgpr5
                                        ; implicit-def: $vgpr2
	s_and_saveexec_b32 s70, s20
	s_cbranch_execz .LBB123_276
; %bb.119:                              ;   in Loop: Header=BB123_12 Depth=1
	v_mov_b32_e32 v4, 1
	v_mov_b32_e32 v5, 0
	;; [unrolled: 1-line block ×3, first 2 shown]
	s_xor_b32 s8, s6, -1
	s_mov_b32 s21, 0
	s_and_saveexec_b32 s6, s8
	s_cbranch_execz .LBB123_128
; %bb.120:                              ;   in Loop: Header=BB123_12 Depth=1
	s_mov_b32 s8, exec_lo
	v_cmpx_ge_u64_e64 s[12:13], v[19:20]
	s_xor_b32 s20, exec_lo, s8
	s_cbranch_execz .LBB123_125
; %bb.121:                              ;   in Loop: Header=BB123_12 Depth=1
	ds_read_b64 v[4:5], v3 offset:5120
	v_and_b32_e32 v8, s26, v8
	v_or_b32_e32 v9, s11, v9
	s_waitcnt lgkmcnt(0)
	v_cmp_ne_u64_e32 vcc_lo, 0, v[4:5]
	s_cbranch_vccnz .LBB123_125
; %bb.122:                              ;   in Loop: Header=BB123_12 Depth=1
	s_and_saveexec_b32 s21, s3
; %bb.123:                              ;   in Loop: Header=BB123_12 Depth=1
	v_mov_b32_e32 v4, s12
	v_mov_b32_e32 v5, s13
	ds_write_b64 v3, v[4:5] offset:5128
; %bb.124:                              ;   in Loop: Header=BB123_12 Depth=1
	s_or_b32 exec_lo, exec_lo, s21
	s_waitcnt lgkmcnt(0)
	s_barrier
	buffer_gl0_inv
.LBB123_125:                            ;   in Loop: Header=BB123_12 Depth=1
	s_or_saveexec_b32 s20, s20
	v_mov_b32_e32 v4, v19
	v_mov_b32_e32 v2, 8
	;; [unrolled: 1-line block ×3, first 2 shown]
	s_mov_b32 s21, 0
	s_xor_b32 exec_lo, exec_lo, s20
; %bb.126:                              ;   in Loop: Header=BB123_12 Depth=1
	v_sub_co_u32 v4, vcc_lo, v19, s12
	v_subrev_co_ci_u32_e64 v5, null, s13, v20, vcc_lo
	v_mov_b32_e32 v2, 0
	s_mov_b32 s21, exec_lo
; %bb.127:                              ;   in Loop: Header=BB123_12 Depth=1
	s_or_b32 exec_lo, exec_lo, s20
	s_and_b32 s21, s21, exec_lo
.LBB123_128:                            ;   in Loop: Header=BB123_12 Depth=1
	s_or_b32 exec_lo, exec_lo, s6
	s_mov_b32 s20, -1
                                        ; implicit-def: $sgpr57
                                        ; implicit-def: $sgpr66
	s_and_saveexec_b32 s6, s21
	s_xor_b32 s6, exec_lo, s6
	s_cbranch_execz .LBB123_273
; %bb.129:                              ;   in Loop: Header=BB123_12 Depth=1
	v_cmp_eq_u64_e32 vcc_lo, 1, v[4:5]
	s_cmp_eq_u64 s[14:15], 1
                                        ; implicit-def: $sgpr66
                                        ; implicit-def: $sgpr57
	s_cselect_b32 s20, -1, 0
	s_and_b32 s72, s20, vcc_lo
	s_mov_b32 s20, -1
	s_and_saveexec_b32 s71, s72
	s_cbranch_execz .LBB123_163
; %bb.130:                              ;   in Loop: Header=BB123_12 Depth=1
	ds_read_b64 v[6:7], v3 offset:5120
	s_waitcnt lgkmcnt(0)
	s_barrier
	buffer_gl0_inv
	v_readfirstlane_b32 s20, v6
	v_readfirstlane_b32 s21, v7
	s_and_saveexec_b32 s22, s10
; %bb.131:                              ;   in Loop: Header=BB123_12 Depth=1
	ds_write_b8 v0, v3 offset:3072
; %bb.132:                              ;   in Loop: Header=BB123_12 Depth=1
	s_or_b32 exec_lo, exec_lo, s22
	s_lshl_b32 s22, 1, s93
	v_or_b32_e32 v9, s11, v9
	v_and_or_b32 v8, v8, s26, s22
	s_mov_b32 s57, -1
	s_mov_b32 s66, 0
	s_cmp_eq_u64 s[20:21], 0
	s_mov_b32 s24, 0
	s_mov_b32 s25, -1
	s_waitcnt lgkmcnt(0)
	s_barrier
	buffer_gl0_inv
                                        ; implicit-def: $vgpr10
	s_cbranch_scc1 .LBB123_148
; %bb.133:                              ;   in Loop: Header=BB123_12 Depth=1
	s_add_u32 s62, s20, s82
	s_addc_u32 s23, s21, s83
	s_mov_b32 s22, s61
	s_cmp_lg_u64 s[22:23], 0
	s_cbranch_scc0 .LBB123_189
; %bb.134:                              ;   in Loop: Header=BB123_12 Depth=1
	v_cvt_f32_u32_e32 v6, s33
	s_sub_u32 s25, 0, s33
	s_subb_u32 s40, 0, 0
	v_fmac_f32_e64 v6, 0x4f800000, 0
	v_rcp_f32_e32 v6, v6
	v_mul_f32_e32 v6, 0x5f7ffffc, v6
	v_mul_f32_e32 v7, 0x2f800000, v6
	v_trunc_f32_e32 v7, v7
	v_fmac_f32_e32 v6, 0xcf800000, v7
	v_cvt_u32_f32_e32 v7, v7
	v_cvt_u32_f32_e32 v6, v6
	v_readfirstlane_b32 s22, v7
	v_readfirstlane_b32 s24, v6
	s_mul_i32 s41, s25, s22
	s_mul_hi_u32 s43, s25, s24
	s_mul_i32 s42, s40, s24
	s_add_i32 s41, s43, s41
	s_mul_i32 s58, s25, s24
	s_add_i32 s41, s41, s42
	s_mul_hi_u32 s43, s24, s58
	s_mul_i32 s60, s24, s41
	s_mul_hi_u32 s59, s22, s58
	s_mul_i32 s42, s22, s58
	s_mul_hi_u32 s58, s24, s41
	s_add_u32 s43, s43, s60
	s_addc_u32 s58, 0, s58
	s_mul_hi_u32 s73, s22, s41
	s_add_u32 s42, s43, s42
	s_mul_i32 s41, s22, s41
	s_addc_u32 s42, s58, s59
	s_addc_u32 s43, s73, 0
	s_add_u32 s41, s42, s41
	s_addc_u32 s42, 0, s43
	s_add_u32 s24, s24, s41
	s_cselect_b32 s41, -1, 0
	s_mul_hi_u32 s43, s25, s24
	s_cmp_lg_u32 s41, 0
	s_mul_i32 s41, s25, s24
	s_addc_u32 s22, s22, s42
	s_mul_i32 s40, s40, s24
	s_mul_i32 s25, s25, s22
	s_mul_hi_u32 s42, s24, s41
	s_add_i32 s25, s43, s25
	s_mul_hi_u32 s43, s22, s41
	s_add_i32 s25, s25, s40
	s_mul_i32 s40, s22, s41
	s_mul_i32 s59, s24, s25
	s_mul_hi_u32 s58, s24, s25
	s_add_u32 s42, s42, s59
	s_addc_u32 s58, 0, s58
	s_mul_hi_u32 s41, s22, s25
	s_add_u32 s40, s42, s40
	s_mul_i32 s25, s22, s25
	s_addc_u32 s40, s58, s43
	s_addc_u32 s41, s41, 0
	s_add_u32 s25, s40, s25
	s_addc_u32 s40, 0, s41
	s_add_u32 s24, s24, s25
	s_cselect_b32 s25, -1, 0
	s_mul_hi_u32 s41, s62, s24
	s_cmp_lg_u32 s25, 0
	s_mul_hi_u32 s25, s23, s24
	s_addc_u32 s22, s22, s40
	s_mul_i32 s24, s23, s24
	s_mul_i32 s42, s62, s22
	s_mul_hi_u32 s40, s62, s22
	s_add_u32 s41, s41, s42
	s_addc_u32 s40, 0, s40
	s_mul_hi_u32 s43, s23, s22
	s_add_u32 s24, s41, s24
	s_mul_i32 s22, s23, s22
	s_addc_u32 s24, s40, s25
	s_addc_u32 s25, s43, 0
	s_add_u32 s22, s24, s22
	s_addc_u32 s24, 0, s25
	s_mul_hi_u32 s25, s33, s22
	s_mul_i32 s24, s33, s24
	s_mul_i32 s22, s33, s22
	s_add_i32 s25, s25, s24
	s_sub_u32 s22, s62, s22
	s_cselect_b32 s24, -1, 0
	s_cmp_lg_u32 s24, 0
	s_subb_u32 s24, s23, s25
	s_sub_u32 s25, s22, s33
	s_cselect_b32 s40, -1, 0
	s_cmp_lg_u32 s40, 0
	s_subb_u32 s40, s24, 0
	;; [unrolled: 4-line block ×3, first 2 shown]
	s_cmp_ge_u32 s25, s33
	s_cselect_b32 s43, -1, 0
	s_cmp_eq_u32 s40, 0
	s_cselect_b32 s43, s43, -1
	s_cmp_lg_u32 s43, 0
	s_cselect_b32 s40, s42, s40
	s_cselect_b32 s41, s41, s25
	s_cmp_ge_u32 s22, s33
	s_cselect_b32 s25, -1, 0
	s_cmp_eq_u32 s24, 0
	s_cselect_b32 s25, s25, -1
	s_cmp_lg_u32 s25, 0
	s_cselect_b32 s25, s40, s24
	s_cselect_b32 s24, s41, s22
	s_cbranch_execnz .LBB123_136
.LBB123_135:                            ;   in Loop: Header=BB123_12 Depth=1
	v_cvt_f32_u32_e32 v6, s33
	s_sub_i32 s24, 0, s33
	v_rcp_iflag_f32_e32 v6, v6
	v_mul_f32_e32 v6, 0x4f7ffffe, v6
	v_cvt_u32_f32_e32 v6, v6
	v_readfirstlane_b32 s22, v6
	s_mul_i32 s24, s24, s22
	s_mul_hi_u32 s24, s22, s24
	s_add_i32 s22, s22, s24
	s_mul_hi_u32 s22, s62, s22
	s_mul_i32 s22, s22, s33
	s_sub_i32 s22, s62, s22
	s_sub_i32 s24, s22, s33
	s_cmp_ge_u32 s22, s33
	s_cselect_b32 s22, s24, s22
	s_sub_i32 s24, s22, s33
	s_cmp_ge_u32 s22, s33
	s_cselect_b32 s60, s24, s22
	s_mov_b64 s[24:25], s[60:61]
.LBB123_136:                            ;   in Loop: Header=BB123_12 Depth=1
	s_sub_u32 s22, s62, s24
	s_subb_u32 s23, s23, s25
	s_mov_b32 s25, 0
	s_mov_b32 s24, 0
	s_mov_b32 s58, exec_lo
                                        ; implicit-def: $vgpr10
	v_cmpx_gt_u64_e64 s[22:23], v[0:1]
	s_cbranch_execz .LBB123_147
; %bb.137:                              ;   in Loop: Header=BB123_12 Depth=1
	v_mov_b32_e32 v7, v1
	v_mov_b32_e32 v10, v0
	;; [unrolled: 1-line block ×3, first 2 shown]
                                        ; implicit-def: $sgpr59
	s_inst_prefetch 0x1
	s_branch .LBB123_140
	.p2align	6
.LBB123_138:                            ;   in Loop: Header=BB123_140 Depth=2
	s_or_b32 exec_lo, exec_lo, s60
	s_waitcnt lgkmcnt(0)
	s_barrier
	buffer_gl0_inv
	ds_read_u16 v11, v3 offset:3072
	s_mov_b32 s60, -1
	s_mov_b32 s62, -1
	s_waitcnt lgkmcnt(0)
	s_barrier
	buffer_gl0_inv
	v_cmp_ne_u32_sdwa s40, v11, v3 src0_sel:BYTE_0 src1_sel:DWORD
	s_and_b32 vcc_lo, exec_lo, s40
	s_cbranch_vccz .LBB123_143
.LBB123_139:                            ;   in Loop: Header=BB123_140 Depth=2
	s_and_b32 s8, exec_lo, s60
	s_or_b32 s24, s8, s24
	s_andn2_b32 s8, s59, exec_lo
	s_and_b32 s40, s62, exec_lo
	s_or_b32 s59, s8, s40
	s_andn2_b32 exec_lo, exec_lo, s24
	s_cbranch_execz .LBB123_146
.LBB123_140:                            ;   Parent Loop BB123_12 Depth=1
                                        ; =>  This Inner Loop Header: Depth=2
	s_mov_b32 s60, exec_lo
	v_cmpx_gt_u64_e64 s[20:21], v[6:7]
	s_cbranch_execz .LBB123_138
; %bb.141:                              ;   in Loop: Header=BB123_140 Depth=2
	ds_read_u8 v11, v10
	s_waitcnt lgkmcnt(0)
	v_and_b32_e32 v21, v11, v9
	v_cmp_eq_u32_sdwa s40, v21, v8 src0_sel:BYTE_0 src1_sel:DWORD
	s_and_b32 exec_lo, exec_lo, s40
	s_cbranch_execz .LBB123_138
; %bb.142:                              ;   in Loop: Header=BB123_140 Depth=2
	v_lshlrev_b16 v11, 8, v11
	v_or_b32_e32 v11, 1, v11
	ds_write_b16 v3, v11 offset:3072
	s_branch .LBB123_138
.LBB123_143:                            ;   in Loop: Header=BB123_140 Depth=2
	v_add_co_u32 v6, vcc_lo, v6, s33
	v_add_co_ci_u32_e64 v7, null, 0, v7, vcc_lo
	v_add_nc_u32_e32 v10, s33, v10
	s_mov_b32 s62, 0
	v_cmp_le_u64_e32 vcc_lo, s[22:23], v[6:7]
	s_orn2_b32 s60, vcc_lo, exec_lo
	s_branch .LBB123_139
.LBB123_144:                            ;   in Loop: Header=BB123_12 Depth=1
                                        ; implicit-def: $sgpr24_sgpr25
	s_branch .LBB123_89
.LBB123_145:                            ;   in Loop: Header=BB123_12 Depth=1
                                        ; implicit-def: $sgpr20_sgpr21
	s_branch .LBB123_106
.LBB123_146:                            ;   in Loop: Header=BB123_12 Depth=1
	s_inst_prefetch 0x2
	s_or_b32 exec_lo, exec_lo, s24
	v_lshrrev_b32_sdwa v10, v28, v11 dst_sel:DWORD dst_unused:UNUSED_PAD src0_sel:DWORD src1_sel:WORD_0
	s_and_b32 s24, s59, exec_lo
.LBB123_147:                            ;   in Loop: Header=BB123_12 Depth=1
	s_or_b32 exec_lo, exec_lo, s58
.LBB123_148:                            ;   in Loop: Header=BB123_12 Depth=1
	s_and_b32 vcc_lo, exec_lo, s25
	s_cbranch_vccz .LBB123_162
; %bb.149:                              ;   in Loop: Header=BB123_12 Depth=1
	s_mov_b32 s62, s61
	s_cmp_lg_u64 s[62:63], 0
	s_cbranch_scc0 .LBB123_190
; %bb.150:                              ;   in Loop: Header=BB123_12 Depth=1
	v_cvt_f32_u32_e32 v6, s33
	s_sub_u32 s22, 0, s33
	s_subb_u32 s23, 0, 0
	v_fmac_f32_e64 v6, 0x4f800000, 0
	v_rcp_f32_e32 v6, v6
	v_mul_f32_e32 v6, 0x5f7ffffc, v6
	v_mul_f32_e32 v7, 0x2f800000, v6
	v_trunc_f32_e32 v7, v7
	v_fmac_f32_e32 v6, 0xcf800000, v7
	v_cvt_u32_f32_e32 v7, v7
	v_cvt_u32_f32_e32 v6, v6
	v_readfirstlane_b32 s20, v7
	v_readfirstlane_b32 s21, v6
	s_mul_i32 s25, s22, s20
	s_mul_hi_u32 s41, s22, s21
	s_mul_i32 s40, s23, s21
	s_add_i32 s25, s41, s25
	s_mul_i32 s42, s22, s21
	s_add_i32 s25, s25, s40
	s_mul_hi_u32 s41, s21, s42
	s_mul_i32 s57, s21, s25
	s_mul_hi_u32 s43, s20, s42
	s_mul_i32 s40, s20, s42
	s_mul_hi_u32 s42, s21, s25
	s_add_u32 s41, s41, s57
	s_addc_u32 s42, 0, s42
	s_mul_hi_u32 s58, s20, s25
	s_add_u32 s40, s41, s40
	s_mul_i32 s25, s20, s25
	s_addc_u32 s40, s42, s43
	s_addc_u32 s41, s58, 0
	s_add_u32 s25, s40, s25
	s_addc_u32 s40, 0, s41
	s_add_u32 s21, s21, s25
	s_cselect_b32 s25, -1, 0
	s_mul_hi_u32 s41, s22, s21
	s_cmp_lg_u32 s25, 0
	s_mul_i32 s25, s22, s21
	s_addc_u32 s20, s20, s40
	s_mul_i32 s23, s23, s21
	s_mul_i32 s22, s22, s20
	s_mul_hi_u32 s40, s21, s25
	s_add_i32 s22, s41, s22
	s_mul_hi_u32 s41, s20, s25
	s_add_i32 s22, s22, s23
	s_mul_i32 s23, s20, s25
	s_mul_i32 s43, s21, s22
	s_mul_hi_u32 s42, s21, s22
	s_add_u32 s40, s40, s43
	s_addc_u32 s42, 0, s42
	s_mul_hi_u32 s25, s20, s22
	s_add_u32 s23, s40, s23
	s_mul_i32 s22, s20, s22
	s_addc_u32 s23, s42, s41
	s_addc_u32 s25, s25, 0
	s_add_u32 s22, s23, s22
	s_addc_u32 s23, 0, s25
	s_add_u32 s21, s21, s22
	s_cselect_b32 s22, -1, 0
	s_mul_hi_u32 s25, s84, s21
	s_cmp_lg_u32 s22, 0
	s_mul_hi_u32 s22, s63, s21
	s_addc_u32 s20, s20, s23
	s_mul_i32 s21, s63, s21
	s_mul_i32 s40, s84, s20
	s_mul_hi_u32 s23, s84, s20
	s_add_u32 s25, s25, s40
	s_addc_u32 s23, 0, s23
	s_mul_hi_u32 s41, s63, s20
	s_add_u32 s21, s25, s21
	s_mul_i32 s20, s63, s20
	s_addc_u32 s21, s23, s22
	s_addc_u32 s22, s41, 0
	s_add_u32 s20, s21, s20
	s_addc_u32 s21, 0, s22
	s_mul_hi_u32 s22, s33, s20
	s_mul_i32 s21, s33, s21
	s_mul_i32 s20, s33, s20
	s_add_i32 s22, s22, s21
	s_sub_u32 s20, s84, s20
	s_cselect_b32 s21, -1, 0
	s_cmp_lg_u32 s21, 0
	s_subb_u32 s21, s63, s22
	s_sub_u32 s22, s20, s33
	s_cselect_b32 s23, -1, 0
	s_cmp_lg_u32 s23, 0
	s_subb_u32 s23, s21, 0
	;; [unrolled: 4-line block ×3, first 2 shown]
	s_cmp_ge_u32 s22, s33
	s_cselect_b32 s41, -1, 0
	s_cmp_eq_u32 s23, 0
	s_cselect_b32 s41, s41, -1
	s_cmp_lg_u32 s41, 0
	s_cselect_b32 s23, s40, s23
	s_cselect_b32 s22, s25, s22
	s_cmp_ge_u32 s20, s33
	s_cselect_b32 s25, -1, 0
	s_cmp_eq_u32 s21, 0
	s_cselect_b32 s25, s25, -1
	s_cmp_lg_u32 s25, 0
	s_cselect_b32 s21, s23, s21
	s_cselect_b32 s20, s22, s20
	s_cbranch_execnz .LBB123_152
.LBB123_151:                            ;   in Loop: Header=BB123_12 Depth=1
	v_cvt_f32_u32_e32 v6, s33
	s_sub_i32 s21, 0, s33
	v_rcp_iflag_f32_e32 v6, v6
	v_mul_f32_e32 v6, 0x4f7ffffe, v6
	v_cvt_u32_f32_e32 v6, v6
	v_readfirstlane_b32 s20, v6
	s_mul_i32 s21, s21, s20
	s_mul_hi_u32 s21, s20, s21
	s_add_i32 s20, s20, s21
	s_mul_hi_u32 s20, s84, s20
	s_mul_i32 s20, s20, s33
	s_sub_i32 s20, s84, s20
	s_sub_i32 s21, s20, s33
	s_cmp_ge_u32 s20, s33
	s_cselect_b32 s20, s21, s20
	s_sub_i32 s21, s20, s33
	s_cmp_ge_u32 s20, s33
	s_cselect_b32 s60, s21, s20
	s_mov_b64 s[20:21], s[60:61]
.LBB123_152:                            ;   in Loop: Header=BB123_12 Depth=1
	s_sub_u32 s20, s84, s20
	s_subb_u32 s21, s63, s21
	s_mov_b32 s22, exec_lo
                                        ; implicit-def: $vgpr10
	v_cmpx_gt_u64_e64 s[20:21], v[0:1]
	s_cbranch_execz .LBB123_161
; %bb.153:                              ;   in Loop: Header=BB123_12 Depth=1
	v_mov_b32_e32 v7, v1
	v_mov_b32_e32 v6, v0
	s_mov_b32 s23, 0
                                        ; implicit-def: $sgpr25
	s_branch .LBB123_156
.LBB123_154:                            ;   in Loop: Header=BB123_156 Depth=2
	s_or_b32 exec_lo, exec_lo, s57
	s_waitcnt lgkmcnt(0)
	s_barrier
	buffer_gl0_inv
	ds_read_u16 v10, v3 offset:3072
	s_mov_b32 s41, -1
	s_waitcnt lgkmcnt(0)
	s_barrier
	buffer_gl0_inv
	v_cmp_eq_u32_sdwa s40, v10, v3 src0_sel:BYTE_0 src1_sel:DWORD
	s_and_b32 vcc_lo, exec_lo, s40
	s_mov_b32 s40, -1
	s_cbranch_vccnz .LBB123_159
.LBB123_155:                            ;   in Loop: Header=BB123_156 Depth=2
	s_and_b32 s8, exec_lo, s41
	s_or_b32 s23, s8, s23
	s_andn2_b32 s8, s25, exec_lo
	s_and_b32 s25, s40, exec_lo
	s_or_b32 s25, s8, s25
	s_andn2_b32 exec_lo, exec_lo, s23
	s_cbranch_execz .LBB123_160
.LBB123_156:                            ;   Parent Loop BB123_12 Depth=1
                                        ; =>  This Inner Loop Header: Depth=2
	s_mov_b32 s57, exec_lo
	v_cmpx_gt_u64_e64 s[36:37], v[6:7]
	s_cbranch_execz .LBB123_154
; %bb.157:                              ;   in Loop: Header=BB123_156 Depth=2
	v_mad_u64_u32 v[10:11], null, v6, s30, s[28:29]
	v_mul_lo_u32 v21, v6, s31
	v_mul_lo_u32 v22, v7, s30
	v_add3_u32 v11, v22, v11, v21
	global_load_ubyte v10, v[10:11], off
	s_waitcnt vmcnt(0)
	v_and_b32_e32 v11, v10, v9
	v_cmp_eq_u32_sdwa s40, v11, v8 src0_sel:BYTE_0 src1_sel:DWORD
	s_and_b32 exec_lo, exec_lo, s40
	s_cbranch_execz .LBB123_154
; %bb.158:                              ;   in Loop: Header=BB123_156 Depth=2
	v_lshlrev_b16 v10, 8, v10
	v_or_b32_e32 v10, 1, v10
	ds_write_b16 v3, v10 offset:3072
	s_branch .LBB123_154
.LBB123_159:                            ;   in Loop: Header=BB123_156 Depth=2
	v_add_co_u32 v6, vcc_lo, v6, s33
	v_add_co_ci_u32_e64 v7, null, 0, v7, vcc_lo
	s_mov_b32 s40, 0
	v_cmp_le_u64_e32 vcc_lo, s[20:21], v[6:7]
	s_orn2_b32 s41, vcc_lo, exec_lo
	s_branch .LBB123_155
.LBB123_160:                            ;   in Loop: Header=BB123_12 Depth=1
	s_or_b32 exec_lo, exec_lo, s23
	v_lshrrev_b32_sdwa v10, v28, v10 dst_sel:DWORD dst_unused:UNUSED_PAD src0_sel:DWORD src1_sel:WORD_0
	s_andn2_b32 s8, s24, exec_lo
	s_and_b32 s20, s25, exec_lo
	s_or_b32 s24, s8, s20
.LBB123_161:                            ;   in Loop: Header=BB123_12 Depth=1
	s_or_b32 exec_lo, exec_lo, s22
	s_mov_b32 s57, 0
	s_mov_b32 s66, -1
.LBB123_162:                            ;   in Loop: Header=BB123_12 Depth=1
	s_orn2_b32 s20, s24, exec_lo
.LBB123_163:                            ;   in Loop: Header=BB123_12 Depth=1
	s_or_b32 exec_lo, exec_lo, s71
	s_mov_b32 s21, 0
	s_and_saveexec_b32 s71, s20
	s_cbranch_execz .LBB123_272
; %bb.164:                              ;   in Loop: Header=BB123_12 Depth=1
	v_mov_b32_e32 v6, 1
	v_mov_b32_e32 v7, 0
	v_mov_b32_e32 v2, 1
	s_xor_b32 s22, s72, -1
	s_and_saveexec_b32 s20, s22
	s_cbranch_execz .LBB123_173
; %bb.165:                              ;   in Loop: Header=BB123_12 Depth=1
	s_mov_b32 s21, exec_lo
	v_cmpx_ge_u64_e64 s[14:15], v[4:5]
	s_xor_b32 s21, exec_lo, s21
	s_cbranch_execz .LBB123_170
; %bb.166:                              ;   in Loop: Header=BB123_12 Depth=1
	ds_read_b64 v[6:7], v3 offset:5120
	s_lshl_b32 s22, 1, s93
	v_or_b32_e32 v9, s11, v9
	v_and_or_b32 v8, v8, s26, s22
	s_waitcnt lgkmcnt(0)
	v_cmp_ne_u64_e32 vcc_lo, 0, v[6:7]
	s_cbranch_vccnz .LBB123_170
; %bb.167:                              ;   in Loop: Header=BB123_12 Depth=1
	s_and_saveexec_b32 s22, s3
; %bb.168:                              ;   in Loop: Header=BB123_12 Depth=1
	v_mov_b32_e32 v6, s14
	v_mov_b32_e32 v7, s15
	ds_write_b64 v3, v[6:7] offset:5128
; %bb.169:                              ;   in Loop: Header=BB123_12 Depth=1
	s_or_b32 exec_lo, exec_lo, s22
	s_waitcnt lgkmcnt(0)
	s_barrier
	buffer_gl0_inv
.LBB123_170:                            ;   in Loop: Header=BB123_12 Depth=1
	s_or_saveexec_b32 s21, s21
	v_mov_b32_e32 v2, 8
	s_mov_b32 s22, 0
	s_xor_b32 exec_lo, exec_lo, s21
; %bb.171:                              ;   in Loop: Header=BB123_12 Depth=1
	v_sub_co_u32 v4, vcc_lo, v4, s14
	v_subrev_co_ci_u32_e64 v5, null, s15, v5, vcc_lo
	v_mov_b32_e32 v2, 0
	s_mov_b32 s22, exec_lo
; %bb.172:                              ;   in Loop: Header=BB123_12 Depth=1
	s_or_b32 exec_lo, exec_lo, s21
	v_mov_b32_e32 v7, v5
	v_mov_b32_e32 v6, v4
	s_and_b32 s21, s22, exec_lo
.LBB123_173:                            ;   in Loop: Header=BB123_12 Depth=1
	s_or_b32 exec_lo, exec_lo, s20
	s_mov_b32 s20, -1
                                        ; implicit-def: $sgpr73
                                        ; implicit-def: $sgpr74
	s_and_saveexec_b32 s72, s21
	s_cbranch_execz .LBB123_271
; %bb.174:                              ;   in Loop: Header=BB123_12 Depth=1
	v_cmp_eq_u64_e32 vcc_lo, 1, v[6:7]
	s_cmp_eq_u64 s[16:17], 1
                                        ; implicit-def: $sgpr74
                                        ; implicit-def: $sgpr73
	s_cselect_b32 s20, -1, 0
	s_and_b32 s76, s20, vcc_lo
	s_mov_b32 s20, -1
	s_and_saveexec_b32 s75, s76
	s_cbranch_execz .LBB123_208
; %bb.175:                              ;   in Loop: Header=BB123_12 Depth=1
	ds_read_b64 v[4:5], v3 offset:5120
	s_waitcnt lgkmcnt(0)
	s_barrier
	buffer_gl0_inv
	v_readfirstlane_b32 s20, v4
	v_readfirstlane_b32 s21, v5
	s_and_saveexec_b32 s22, s10
; %bb.176:                              ;   in Loop: Header=BB123_12 Depth=1
	ds_write_b8 v0, v3 offset:3072
; %bb.177:                              ;   in Loop: Header=BB123_12 Depth=1
	s_or_b32 exec_lo, exec_lo, s22
	s_lshl_b32 s22, 2, s93
	v_or_b32_e32 v9, s11, v9
	v_and_or_b32 v8, v8, s26, s22
	s_mov_b32 s73, -1
	s_mov_b32 s74, 0
	s_cmp_eq_u64 s[20:21], 0
	s_mov_b32 s24, 0
	s_mov_b32 s25, -1
	s_waitcnt lgkmcnt(0)
	s_barrier
	buffer_gl0_inv
                                        ; implicit-def: $vgpr10
	s_cbranch_scc1 .LBB123_193
; %bb.178:                              ;   in Loop: Header=BB123_12 Depth=1
	s_add_u32 s62, s20, s82
	s_addc_u32 s23, s21, s83
	s_mov_b32 s22, s61
	s_cmp_lg_u64 s[22:23], 0
	s_cbranch_scc0 .LBB123_225
; %bb.179:                              ;   in Loop: Header=BB123_12 Depth=1
	v_cvt_f32_u32_e32 v4, s33
	s_sub_u32 s25, 0, s33
	s_subb_u32 s40, 0, 0
	v_fmac_f32_e64 v4, 0x4f800000, 0
	v_rcp_f32_e32 v4, v4
	v_mul_f32_e32 v4, 0x5f7ffffc, v4
	v_mul_f32_e32 v5, 0x2f800000, v4
	v_trunc_f32_e32 v5, v5
	v_fmac_f32_e32 v4, 0xcf800000, v5
	v_cvt_u32_f32_e32 v5, v5
	v_cvt_u32_f32_e32 v4, v4
	v_readfirstlane_b32 s22, v5
	v_readfirstlane_b32 s24, v4
	s_mul_i32 s41, s25, s22
	s_mul_hi_u32 s43, s25, s24
	s_mul_i32 s42, s40, s24
	s_add_i32 s41, s43, s41
	s_mul_i32 s58, s25, s24
	s_add_i32 s41, s41, s42
	s_mul_hi_u32 s43, s24, s58
	s_mul_i32 s60, s24, s41
	s_mul_hi_u32 s59, s22, s58
	s_mul_i32 s42, s22, s58
	s_mul_hi_u32 s58, s24, s41
	s_add_u32 s43, s43, s60
	s_addc_u32 s58, 0, s58
	s_mul_hi_u32 s77, s22, s41
	s_add_u32 s42, s43, s42
	s_mul_i32 s41, s22, s41
	s_addc_u32 s42, s58, s59
	s_addc_u32 s43, s77, 0
	s_add_u32 s41, s42, s41
	s_addc_u32 s42, 0, s43
	s_add_u32 s24, s24, s41
	s_cselect_b32 s41, -1, 0
	s_mul_hi_u32 s43, s25, s24
	s_cmp_lg_u32 s41, 0
	s_mul_i32 s41, s25, s24
	s_addc_u32 s22, s22, s42
	s_mul_i32 s40, s40, s24
	s_mul_i32 s25, s25, s22
	s_mul_hi_u32 s42, s24, s41
	s_add_i32 s25, s43, s25
	s_mul_hi_u32 s43, s22, s41
	s_add_i32 s25, s25, s40
	s_mul_i32 s40, s22, s41
	s_mul_i32 s59, s24, s25
	s_mul_hi_u32 s58, s24, s25
	s_add_u32 s42, s42, s59
	s_addc_u32 s58, 0, s58
	s_mul_hi_u32 s41, s22, s25
	s_add_u32 s40, s42, s40
	s_mul_i32 s25, s22, s25
	s_addc_u32 s40, s58, s43
	s_addc_u32 s41, s41, 0
	s_add_u32 s25, s40, s25
	s_addc_u32 s40, 0, s41
	s_add_u32 s24, s24, s25
	s_cselect_b32 s25, -1, 0
	s_mul_hi_u32 s41, s62, s24
	s_cmp_lg_u32 s25, 0
	s_mul_hi_u32 s25, s23, s24
	s_addc_u32 s22, s22, s40
	s_mul_i32 s24, s23, s24
	s_mul_i32 s42, s62, s22
	s_mul_hi_u32 s40, s62, s22
	s_add_u32 s41, s41, s42
	s_addc_u32 s40, 0, s40
	s_mul_hi_u32 s43, s23, s22
	s_add_u32 s24, s41, s24
	s_mul_i32 s22, s23, s22
	s_addc_u32 s24, s40, s25
	s_addc_u32 s25, s43, 0
	s_add_u32 s22, s24, s22
	s_addc_u32 s24, 0, s25
	s_mul_hi_u32 s25, s33, s22
	s_mul_i32 s24, s33, s24
	s_mul_i32 s22, s33, s22
	s_add_i32 s25, s25, s24
	s_sub_u32 s22, s62, s22
	s_cselect_b32 s24, -1, 0
	s_cmp_lg_u32 s24, 0
	s_subb_u32 s24, s23, s25
	s_sub_u32 s25, s22, s33
	s_cselect_b32 s40, -1, 0
	s_cmp_lg_u32 s40, 0
	s_subb_u32 s40, s24, 0
	;; [unrolled: 4-line block ×3, first 2 shown]
	s_cmp_ge_u32 s25, s33
	s_cselect_b32 s43, -1, 0
	s_cmp_eq_u32 s40, 0
	s_cselect_b32 s43, s43, -1
	s_cmp_lg_u32 s43, 0
	s_cselect_b32 s40, s42, s40
	s_cselect_b32 s41, s41, s25
	s_cmp_ge_u32 s22, s33
	s_cselect_b32 s25, -1, 0
	s_cmp_eq_u32 s24, 0
	s_cselect_b32 s25, s25, -1
	s_cmp_lg_u32 s25, 0
	s_cselect_b32 s25, s40, s24
	s_cselect_b32 s24, s41, s22
	s_cbranch_execnz .LBB123_181
.LBB123_180:                            ;   in Loop: Header=BB123_12 Depth=1
	v_cvt_f32_u32_e32 v4, s33
	s_sub_i32 s24, 0, s33
	v_rcp_iflag_f32_e32 v4, v4
	v_mul_f32_e32 v4, 0x4f7ffffe, v4
	v_cvt_u32_f32_e32 v4, v4
	v_readfirstlane_b32 s22, v4
	s_mul_i32 s24, s24, s22
	s_mul_hi_u32 s24, s22, s24
	s_add_i32 s22, s22, s24
	s_mul_hi_u32 s22, s62, s22
	s_mul_i32 s22, s22, s33
	s_sub_i32 s22, s62, s22
	s_sub_i32 s24, s22, s33
	s_cmp_ge_u32 s22, s33
	s_cselect_b32 s22, s24, s22
	s_sub_i32 s24, s22, s33
	s_cmp_ge_u32 s22, s33
	s_cselect_b32 s60, s24, s22
	s_mov_b64 s[24:25], s[60:61]
.LBB123_181:                            ;   in Loop: Header=BB123_12 Depth=1
	s_sub_u32 s22, s62, s24
	s_subb_u32 s23, s23, s25
	s_mov_b32 s25, 0
	s_mov_b32 s24, 0
	s_mov_b32 s58, exec_lo
                                        ; implicit-def: $vgpr10
	v_cmpx_gt_u64_e64 s[22:23], v[0:1]
	s_cbranch_execz .LBB123_192
; %bb.182:                              ;   in Loop: Header=BB123_12 Depth=1
	v_mov_b32_e32 v5, v1
	v_mov_b32_e32 v10, v0
	;; [unrolled: 1-line block ×3, first 2 shown]
                                        ; implicit-def: $sgpr59
	s_inst_prefetch 0x1
	s_branch .LBB123_185
	.p2align	6
.LBB123_183:                            ;   in Loop: Header=BB123_185 Depth=2
	s_or_b32 exec_lo, exec_lo, s60
	s_waitcnt lgkmcnt(0)
	s_barrier
	buffer_gl0_inv
	ds_read_u16 v11, v3 offset:3072
	s_mov_b32 s60, -1
	s_mov_b32 s62, -1
	s_waitcnt lgkmcnt(0)
	s_barrier
	buffer_gl0_inv
	v_cmp_ne_u32_sdwa s40, v11, v3 src0_sel:BYTE_0 src1_sel:DWORD
	s_and_b32 vcc_lo, exec_lo, s40
	s_cbranch_vccz .LBB123_188
.LBB123_184:                            ;   in Loop: Header=BB123_185 Depth=2
	s_and_b32 s8, exec_lo, s60
	s_or_b32 s24, s8, s24
	s_andn2_b32 s8, s59, exec_lo
	s_and_b32 s40, s62, exec_lo
	s_or_b32 s59, s8, s40
	s_andn2_b32 exec_lo, exec_lo, s24
	s_cbranch_execz .LBB123_191
.LBB123_185:                            ;   Parent Loop BB123_12 Depth=1
                                        ; =>  This Inner Loop Header: Depth=2
	s_mov_b32 s60, exec_lo
	v_cmpx_gt_u64_e64 s[20:21], v[4:5]
	s_cbranch_execz .LBB123_183
; %bb.186:                              ;   in Loop: Header=BB123_185 Depth=2
	ds_read_u8 v11, v10
	s_waitcnt lgkmcnt(0)
	v_and_b32_e32 v21, v11, v9
	v_cmp_eq_u32_sdwa s40, v21, v8 src0_sel:BYTE_0 src1_sel:DWORD
	s_and_b32 exec_lo, exec_lo, s40
	s_cbranch_execz .LBB123_183
; %bb.187:                              ;   in Loop: Header=BB123_185 Depth=2
	v_lshlrev_b16 v11, 8, v11
	v_or_b32_e32 v11, 1, v11
	ds_write_b16 v3, v11 offset:3072
	s_branch .LBB123_183
.LBB123_188:                            ;   in Loop: Header=BB123_185 Depth=2
	v_add_co_u32 v4, vcc_lo, v4, s33
	v_add_co_ci_u32_e64 v5, null, 0, v5, vcc_lo
	v_add_nc_u32_e32 v10, s33, v10
	s_mov_b32 s62, 0
	v_cmp_le_u64_e32 vcc_lo, s[22:23], v[4:5]
	s_orn2_b32 s60, vcc_lo, exec_lo
	s_branch .LBB123_184
.LBB123_189:                            ;   in Loop: Header=BB123_12 Depth=1
                                        ; implicit-def: $sgpr24_sgpr25
	s_branch .LBB123_135
.LBB123_190:                            ;   in Loop: Header=BB123_12 Depth=1
                                        ; implicit-def: $sgpr20_sgpr21
	s_branch .LBB123_151
.LBB123_191:                            ;   in Loop: Header=BB123_12 Depth=1
	s_inst_prefetch 0x2
	s_or_b32 exec_lo, exec_lo, s24
	v_lshrrev_b32_sdwa v10, v28, v11 dst_sel:DWORD dst_unused:UNUSED_PAD src0_sel:DWORD src1_sel:WORD_0
	s_and_b32 s24, s59, exec_lo
.LBB123_192:                            ;   in Loop: Header=BB123_12 Depth=1
	s_or_b32 exec_lo, exec_lo, s58
.LBB123_193:                            ;   in Loop: Header=BB123_12 Depth=1
	s_and_b32 vcc_lo, exec_lo, s25
	s_cbranch_vccz .LBB123_207
; %bb.194:                              ;   in Loop: Header=BB123_12 Depth=1
	s_mov_b32 s62, s61
	s_cmp_lg_u64 s[62:63], 0
	s_cbranch_scc0 .LBB123_226
; %bb.195:                              ;   in Loop: Header=BB123_12 Depth=1
	v_cvt_f32_u32_e32 v4, s33
	s_sub_u32 s22, 0, s33
	s_subb_u32 s23, 0, 0
	v_fmac_f32_e64 v4, 0x4f800000, 0
	v_rcp_f32_e32 v4, v4
	v_mul_f32_e32 v4, 0x5f7ffffc, v4
	v_mul_f32_e32 v5, 0x2f800000, v4
	v_trunc_f32_e32 v5, v5
	v_fmac_f32_e32 v4, 0xcf800000, v5
	v_cvt_u32_f32_e32 v5, v5
	v_cvt_u32_f32_e32 v4, v4
	v_readfirstlane_b32 s20, v5
	v_readfirstlane_b32 s21, v4
	s_mul_i32 s25, s22, s20
	s_mul_hi_u32 s41, s22, s21
	s_mul_i32 s40, s23, s21
	s_add_i32 s25, s41, s25
	s_mul_i32 s42, s22, s21
	s_add_i32 s25, s25, s40
	s_mul_hi_u32 s41, s21, s42
	s_mul_i32 s58, s21, s25
	s_mul_hi_u32 s43, s20, s42
	s_mul_i32 s40, s20, s42
	s_mul_hi_u32 s42, s21, s25
	s_add_u32 s41, s41, s58
	s_addc_u32 s42, 0, s42
	s_mul_hi_u32 s59, s20, s25
	s_add_u32 s40, s41, s40
	s_mul_i32 s25, s20, s25
	s_addc_u32 s40, s42, s43
	s_addc_u32 s41, s59, 0
	s_add_u32 s25, s40, s25
	s_addc_u32 s40, 0, s41
	s_add_u32 s21, s21, s25
	s_cselect_b32 s25, -1, 0
	s_mul_hi_u32 s41, s22, s21
	s_cmp_lg_u32 s25, 0
	s_mul_i32 s25, s22, s21
	s_addc_u32 s20, s20, s40
	s_mul_i32 s23, s23, s21
	s_mul_i32 s22, s22, s20
	s_mul_hi_u32 s40, s21, s25
	s_add_i32 s22, s41, s22
	s_mul_hi_u32 s41, s20, s25
	s_add_i32 s22, s22, s23
	s_mul_i32 s23, s20, s25
	s_mul_i32 s43, s21, s22
	s_mul_hi_u32 s42, s21, s22
	s_add_u32 s40, s40, s43
	s_addc_u32 s42, 0, s42
	s_mul_hi_u32 s25, s20, s22
	s_add_u32 s23, s40, s23
	s_mul_i32 s22, s20, s22
	s_addc_u32 s23, s42, s41
	s_addc_u32 s25, s25, 0
	s_add_u32 s22, s23, s22
	s_addc_u32 s23, 0, s25
	s_add_u32 s21, s21, s22
	s_cselect_b32 s22, -1, 0
	s_mul_hi_u32 s25, s84, s21
	s_cmp_lg_u32 s22, 0
	s_mul_hi_u32 s22, s63, s21
	s_addc_u32 s20, s20, s23
	s_mul_i32 s21, s63, s21
	s_mul_i32 s40, s84, s20
	s_mul_hi_u32 s23, s84, s20
	s_add_u32 s25, s25, s40
	s_addc_u32 s23, 0, s23
	s_mul_hi_u32 s41, s63, s20
	s_add_u32 s21, s25, s21
	s_mul_i32 s20, s63, s20
	s_addc_u32 s21, s23, s22
	s_addc_u32 s22, s41, 0
	s_add_u32 s20, s21, s20
	s_addc_u32 s21, 0, s22
	s_mul_hi_u32 s22, s33, s20
	s_mul_i32 s21, s33, s21
	s_mul_i32 s20, s33, s20
	s_add_i32 s22, s22, s21
	s_sub_u32 s20, s84, s20
	s_cselect_b32 s21, -1, 0
	s_cmp_lg_u32 s21, 0
	s_subb_u32 s21, s63, s22
	s_sub_u32 s22, s20, s33
	s_cselect_b32 s23, -1, 0
	s_cmp_lg_u32 s23, 0
	s_subb_u32 s23, s21, 0
	;; [unrolled: 4-line block ×3, first 2 shown]
	s_cmp_ge_u32 s22, s33
	s_cselect_b32 s41, -1, 0
	s_cmp_eq_u32 s23, 0
	s_cselect_b32 s41, s41, -1
	s_cmp_lg_u32 s41, 0
	s_cselect_b32 s23, s40, s23
	s_cselect_b32 s22, s25, s22
	s_cmp_ge_u32 s20, s33
	s_cselect_b32 s25, -1, 0
	s_cmp_eq_u32 s21, 0
	s_cselect_b32 s25, s25, -1
	s_cmp_lg_u32 s25, 0
	s_cselect_b32 s21, s23, s21
	s_cselect_b32 s20, s22, s20
	s_cbranch_execnz .LBB123_197
.LBB123_196:                            ;   in Loop: Header=BB123_12 Depth=1
	v_cvt_f32_u32_e32 v4, s33
	s_sub_i32 s21, 0, s33
	v_rcp_iflag_f32_e32 v4, v4
	v_mul_f32_e32 v4, 0x4f7ffffe, v4
	v_cvt_u32_f32_e32 v4, v4
	v_readfirstlane_b32 s20, v4
	s_mul_i32 s21, s21, s20
	s_mul_hi_u32 s21, s20, s21
	s_add_i32 s20, s20, s21
	s_mul_hi_u32 s20, s84, s20
	s_mul_i32 s20, s20, s33
	s_sub_i32 s20, s84, s20
	s_sub_i32 s21, s20, s33
	s_cmp_ge_u32 s20, s33
	s_cselect_b32 s20, s21, s20
	s_sub_i32 s21, s20, s33
	s_cmp_ge_u32 s20, s33
	s_cselect_b32 s60, s21, s20
	s_mov_b64 s[20:21], s[60:61]
.LBB123_197:                            ;   in Loop: Header=BB123_12 Depth=1
	s_sub_u32 s20, s84, s20
	s_subb_u32 s21, s63, s21
	s_mov_b32 s22, exec_lo
                                        ; implicit-def: $vgpr10
	v_cmpx_gt_u64_e64 s[20:21], v[0:1]
	s_cbranch_execz .LBB123_206
; %bb.198:                              ;   in Loop: Header=BB123_12 Depth=1
	v_mov_b32_e32 v5, v1
	v_mov_b32_e32 v4, v0
	s_mov_b32 s23, 0
                                        ; implicit-def: $sgpr25
	s_branch .LBB123_201
.LBB123_199:                            ;   in Loop: Header=BB123_201 Depth=2
	s_or_b32 exec_lo, exec_lo, s58
	s_waitcnt lgkmcnt(0)
	s_barrier
	buffer_gl0_inv
	ds_read_u16 v10, v3 offset:3072
	s_mov_b32 s41, -1
	s_waitcnt lgkmcnt(0)
	s_barrier
	buffer_gl0_inv
	v_cmp_eq_u32_sdwa s40, v10, v3 src0_sel:BYTE_0 src1_sel:DWORD
	s_and_b32 vcc_lo, exec_lo, s40
	s_mov_b32 s40, -1
	s_cbranch_vccnz .LBB123_204
.LBB123_200:                            ;   in Loop: Header=BB123_201 Depth=2
	s_and_b32 s8, exec_lo, s41
	s_or_b32 s23, s8, s23
	s_andn2_b32 s8, s25, exec_lo
	s_and_b32 s25, s40, exec_lo
	s_or_b32 s25, s8, s25
	s_andn2_b32 exec_lo, exec_lo, s23
	s_cbranch_execz .LBB123_205
.LBB123_201:                            ;   Parent Loop BB123_12 Depth=1
                                        ; =>  This Inner Loop Header: Depth=2
	s_mov_b32 s58, exec_lo
	v_cmpx_gt_u64_e64 s[36:37], v[4:5]
	s_cbranch_execz .LBB123_199
; %bb.202:                              ;   in Loop: Header=BB123_201 Depth=2
	v_mad_u64_u32 v[10:11], null, v4, s30, s[28:29]
	v_mul_lo_u32 v21, v4, s31
	v_mul_lo_u32 v22, v5, s30
	v_add3_u32 v11, v22, v11, v21
	global_load_ubyte v10, v[10:11], off
	s_waitcnt vmcnt(0)
	v_and_b32_e32 v11, v10, v9
	v_cmp_eq_u32_sdwa s40, v11, v8 src0_sel:BYTE_0 src1_sel:DWORD
	s_and_b32 exec_lo, exec_lo, s40
	s_cbranch_execz .LBB123_199
; %bb.203:                              ;   in Loop: Header=BB123_201 Depth=2
	v_lshlrev_b16 v10, 8, v10
	v_or_b32_e32 v10, 1, v10
	ds_write_b16 v3, v10 offset:3072
	s_branch .LBB123_199
.LBB123_204:                            ;   in Loop: Header=BB123_201 Depth=2
	v_add_co_u32 v4, vcc_lo, v4, s33
	v_add_co_ci_u32_e64 v5, null, 0, v5, vcc_lo
	s_mov_b32 s40, 0
	v_cmp_le_u64_e32 vcc_lo, s[20:21], v[4:5]
	s_orn2_b32 s41, vcc_lo, exec_lo
	s_branch .LBB123_200
.LBB123_205:                            ;   in Loop: Header=BB123_12 Depth=1
	s_or_b32 exec_lo, exec_lo, s23
	v_lshrrev_b32_sdwa v10, v28, v10 dst_sel:DWORD dst_unused:UNUSED_PAD src0_sel:DWORD src1_sel:WORD_0
	s_andn2_b32 s8, s24, exec_lo
	s_and_b32 s20, s25, exec_lo
	s_or_b32 s24, s8, s20
.LBB123_206:                            ;   in Loop: Header=BB123_12 Depth=1
	s_or_b32 exec_lo, exec_lo, s22
	s_mov_b32 s73, 0
	s_mov_b32 s74, -1
.LBB123_207:                            ;   in Loop: Header=BB123_12 Depth=1
	s_orn2_b32 s20, s24, exec_lo
.LBB123_208:                            ;   in Loop: Header=BB123_12 Depth=1
	s_or_b32 exec_lo, exec_lo, s75
	s_mov_b32 s21, 0
	s_and_saveexec_b32 s75, s20
	s_cbranch_execz .LBB123_270
; %bb.209:                              ;   in Loop: Header=BB123_12 Depth=1
	v_mov_b32_e32 v4, 1
	v_mov_b32_e32 v5, 0
	;; [unrolled: 1-line block ×3, first 2 shown]
	s_xor_b32 s22, s76, -1
	s_and_saveexec_b32 s20, s22
	s_cbranch_execz .LBB123_218
; %bb.210:                              ;   in Loop: Header=BB123_12 Depth=1
	s_mov_b32 s21, exec_lo
	v_cmpx_ge_u64_e64 s[16:17], v[6:7]
	s_xor_b32 s21, exec_lo, s21
	s_cbranch_execz .LBB123_215
; %bb.211:                              ;   in Loop: Header=BB123_12 Depth=1
	ds_read_b64 v[4:5], v3 offset:5120
	s_lshl_b32 s22, 2, s93
	v_or_b32_e32 v9, s11, v9
	v_and_or_b32 v8, v8, s26, s22
	s_waitcnt lgkmcnt(0)
	v_cmp_ne_u64_e32 vcc_lo, 0, v[4:5]
	s_cbranch_vccnz .LBB123_215
; %bb.212:                              ;   in Loop: Header=BB123_12 Depth=1
	s_and_saveexec_b32 s22, s3
; %bb.213:                              ;   in Loop: Header=BB123_12 Depth=1
	v_mov_b32_e32 v4, s16
	v_mov_b32_e32 v5, s17
	ds_write_b64 v3, v[4:5] offset:5128
; %bb.214:                              ;   in Loop: Header=BB123_12 Depth=1
	s_or_b32 exec_lo, exec_lo, s22
	s_waitcnt lgkmcnt(0)
	s_barrier
	buffer_gl0_inv
.LBB123_215:                            ;   in Loop: Header=BB123_12 Depth=1
	s_or_saveexec_b32 s21, s21
	v_mov_b32_e32 v2, 8
	s_mov_b32 s22, 0
	s_xor_b32 exec_lo, exec_lo, s21
; %bb.216:                              ;   in Loop: Header=BB123_12 Depth=1
	v_sub_co_u32 v6, vcc_lo, v6, s16
	v_subrev_co_ci_u32_e64 v7, null, s17, v7, vcc_lo
	v_mov_b32_e32 v2, 0
	s_mov_b32 s22, exec_lo
; %bb.217:                              ;   in Loop: Header=BB123_12 Depth=1
	s_or_b32 exec_lo, exec_lo, s21
	v_mov_b32_e32 v4, v6
	v_mov_b32_e32 v5, v7
	s_and_b32 s21, s22, exec_lo
.LBB123_218:                            ;   in Loop: Header=BB123_12 Depth=1
	s_or_b32 exec_lo, exec_lo, s20
	s_mov_b32 s20, -1
                                        ; implicit-def: $sgpr79
                                        ; implicit-def: $sgpr62
	s_and_saveexec_b32 s76, s21
	s_cbranch_execz .LBB123_269
; %bb.219:                              ;   in Loop: Header=BB123_12 Depth=1
	v_cmp_eq_u64_e32 vcc_lo, 1, v[4:5]
	s_cmp_eq_u64 s[18:19], 1
	s_mov_b32 s21, -1
	s_cselect_b32 s20, -1, 0
                                        ; implicit-def: $sgpr79
                                        ; implicit-def: $sgpr62
	s_and_b32 s77, s20, vcc_lo
	s_and_saveexec_b32 s78, s77
	s_cbranch_execz .LBB123_257
; %bb.220:                              ;   in Loop: Header=BB123_12 Depth=1
	ds_read_b64 v[6:7], v3 offset:5120
	s_waitcnt lgkmcnt(0)
	s_barrier
	buffer_gl0_inv
	v_readfirstlane_b32 s20, v6
	v_readfirstlane_b32 s21, v7
	s_and_saveexec_b32 s22, s10
; %bb.221:                              ;   in Loop: Header=BB123_12 Depth=1
	ds_write_b8 v0, v3 offset:3072
; %bb.222:                              ;   in Loop: Header=BB123_12 Depth=1
	s_or_b32 exec_lo, exec_lo, s22
	v_or_b32_e32 v8, s11, v8
	v_or_b32_e32 v9, s11, v9
	s_mov_b32 s62, -1
	s_mov_b32 s79, 0
	s_cmp_eq_u64 s[20:21], 0
	s_mov_b32 s24, 0
	s_mov_b32 s25, -1
	s_waitcnt lgkmcnt(0)
	s_barrier
	buffer_gl0_inv
                                        ; implicit-def: $vgpr10
	s_cbranch_scc1 .LBB123_240
; %bb.223:                              ;   in Loop: Header=BB123_12 Depth=1
	s_add_u32 s58, s20, s82
	s_addc_u32 s23, s21, s83
	s_mov_b32 s22, s61
	s_cmp_lg_u64 s[22:23], 0
	s_cbranch_scc0 .LBB123_227
; %bb.224:                              ;   in Loop: Header=BB123_12 Depth=1
	v_cvt_f32_u32_e32 v6, s33
	s_sub_u32 s25, 0, s33
	s_subb_u32 s40, 0, 0
	v_fmac_f32_e64 v6, 0x4f800000, 0
	v_rcp_f32_e32 v6, v6
	v_mul_f32_e32 v6, 0x5f7ffffc, v6
	v_mul_f32_e32 v7, 0x2f800000, v6
	v_trunc_f32_e32 v7, v7
	v_fmac_f32_e32 v6, 0xcf800000, v7
	v_cvt_u32_f32_e32 v7, v7
	v_cvt_u32_f32_e32 v6, v6
	v_readfirstlane_b32 s22, v7
	v_readfirstlane_b32 s24, v6
	s_mul_i32 s41, s25, s22
	s_mul_hi_u32 s43, s25, s24
	s_mul_i32 s42, s40, s24
	s_add_i32 s41, s43, s41
	s_mul_i32 s59, s25, s24
	s_add_i32 s41, s41, s42
	s_mul_hi_u32 s43, s24, s59
	s_mul_i32 vcc_lo, s24, s41
	s_mul_hi_u32 s60, s22, s59
	s_mul_i32 s42, s22, s59
	s_mul_hi_u32 s59, s24, s41
	s_add_u32 s43, s43, vcc_lo
	s_addc_u32 s59, 0, s59
	s_mul_hi_u32 s8, s22, s41
	s_add_u32 s42, s43, s42
	s_mul_i32 s41, s22, s41
	s_addc_u32 s42, s59, s60
	s_addc_u32 s8, s8, 0
	s_add_u32 s41, s42, s41
	s_addc_u32 s8, 0, s8
	s_add_u32 s24, s24, s41
	s_cselect_b32 s41, -1, 0
	s_mul_hi_u32 s42, s25, s24
	s_cmp_lg_u32 s41, 0
	s_mul_i32 s40, s40, s24
	s_addc_u32 s8, s22, s8
	s_mul_i32 s22, s25, s24
	s_mul_i32 s25, s25, s8
	s_mul_hi_u32 s41, s24, s22
	s_add_i32 s25, s42, s25
	s_mul_hi_u32 s42, s8, s22
	s_add_i32 s25, s25, s40
	s_mul_i32 s22, s8, s22
	s_mul_i32 s59, s24, s25
	s_mul_hi_u32 s43, s24, s25
	s_add_u32 s41, s41, s59
	s_addc_u32 s43, 0, s43
	s_mul_hi_u32 s40, s8, s25
	s_add_u32 s22, s41, s22
	s_mul_i32 s25, s8, s25
	s_addc_u32 s22, s43, s42
	s_addc_u32 s40, s40, 0
	s_add_u32 s22, s22, s25
	s_addc_u32 s25, 0, s40
	s_add_u32 s22, s24, s22
	s_cselect_b32 s24, -1, 0
	s_mul_hi_u32 s40, s58, s22
	s_cmp_lg_u32 s24, 0
	s_mul_hi_u32 s24, s23, s22
	s_addc_u32 s8, s8, s25
	s_mul_i32 s22, s23, s22
	s_mul_i32 s41, s58, s8
	s_mul_hi_u32 s25, s58, s8
	s_add_u32 s40, s40, s41
	s_addc_u32 s25, 0, s25
	s_mul_hi_u32 s42, s23, s8
	s_add_u32 s22, s40, s22
	s_mul_i32 s8, s23, s8
	s_addc_u32 s22, s25, s24
	s_addc_u32 s24, s42, 0
	s_add_u32 s8, s22, s8
	s_addc_u32 s22, 0, s24
	s_mul_hi_u32 s24, s33, s8
	s_mul_i32 s22, s33, s22
	s_mul_i32 s8, s33, s8
	s_add_i32 s24, s24, s22
	s_sub_u32 s8, s58, s8
	s_cselect_b32 s22, -1, 0
	s_cmp_lg_u32 s22, 0
	s_subb_u32 s22, s23, s24
	s_sub_u32 s24, s8, s33
	s_cselect_b32 s25, -1, 0
	s_cmp_lg_u32 s25, 0
	s_subb_u32 s25, s22, 0
	;; [unrolled: 4-line block ×3, first 2 shown]
	s_cmp_ge_u32 s24, s33
	s_cselect_b32 s42, -1, 0
	s_cmp_eq_u32 s25, 0
	s_cselect_b32 s42, s42, -1
	s_cmp_lg_u32 s42, 0
	s_cselect_b32 s25, s41, s25
	s_cselect_b32 s24, s40, s24
	s_cmp_ge_u32 s8, s33
	s_cselect_b32 s40, -1, 0
	s_cmp_eq_u32 s22, 0
	s_cselect_b32 s40, s40, -1
	s_cmp_lg_u32 s40, 0
	s_cselect_b32 s25, s25, s22
	s_cselect_b32 s24, s24, s8
	s_mov_b32 s22, 0
	s_branch .LBB123_228
.LBB123_225:                            ;   in Loop: Header=BB123_12 Depth=1
                                        ; implicit-def: $sgpr24_sgpr25
	s_branch .LBB123_180
.LBB123_226:                            ;   in Loop: Header=BB123_12 Depth=1
                                        ; implicit-def: $sgpr20_sgpr21
	s_branch .LBB123_196
.LBB123_227:                            ;   in Loop: Header=BB123_12 Depth=1
	s_mov_b32 s22, -1
                                        ; implicit-def: $sgpr24_sgpr25
.LBB123_228:                            ;   in Loop: Header=BB123_12 Depth=1
	s_andn2_b32 vcc_lo, exec_lo, s22
	s_cbranch_vccnz .LBB123_230
; %bb.229:                              ;   in Loop: Header=BB123_12 Depth=1
	v_cvt_f32_u32_e32 v6, s33
	s_sub_i32 s24, 0, s33
	v_rcp_iflag_f32_e32 v6, v6
	v_mul_f32_e32 v6, 0x4f7ffffe, v6
	v_cvt_u32_f32_e32 v6, v6
	v_readfirstlane_b32 s22, v6
	s_mul_i32 s24, s24, s22
	s_mul_hi_u32 s24, s22, s24
	s_add_i32 s22, s22, s24
	s_mul_hi_u32 s22, s58, s22
	s_mul_i32 s22, s22, s33
	s_sub_i32 s22, s58, s22
	s_sub_i32 s24, s22, s33
	s_cmp_ge_u32 s22, s33
	s_cselect_b32 s22, s24, s22
	s_sub_i32 s24, s22, s33
	s_cmp_ge_u32 s22, s33
	s_cselect_b32 s60, s24, s22
	s_mov_b64 s[24:25], s[60:61]
.LBB123_230:                            ;   in Loop: Header=BB123_12 Depth=1
	s_sub_u32 s22, s58, s24
	s_subb_u32 s23, s23, s25
	s_mov_b32 s25, 0
	s_mov_b32 s24, 0
	s_mov_b32 s58, exec_lo
                                        ; implicit-def: $vgpr10
	v_cmpx_gt_u64_e64 s[22:23], v[0:1]
	s_cbranch_execz .LBB123_239
; %bb.231:                              ;   in Loop: Header=BB123_12 Depth=1
	v_mov_b32_e32 v7, v1
	v_mov_b32_e32 v10, v0
	;; [unrolled: 1-line block ×3, first 2 shown]
                                        ; implicit-def: $sgpr59
	s_inst_prefetch 0x1
	s_branch .LBB123_234
	.p2align	6
.LBB123_232:                            ;   in Loop: Header=BB123_234 Depth=2
	s_or_b32 exec_lo, exec_lo, s60
	s_waitcnt lgkmcnt(0)
	s_barrier
	buffer_gl0_inv
	ds_read_u16 v11, v3 offset:3072
	s_mov_b32 s60, -1
	s_mov_b32 s40, -1
	s_waitcnt lgkmcnt(0)
	s_barrier
	buffer_gl0_inv
	v_cmp_ne_u32_sdwa s8, v11, v3 src0_sel:BYTE_0 src1_sel:DWORD
	s_and_b32 vcc_lo, exec_lo, s8
	s_cbranch_vccz .LBB123_237
.LBB123_233:                            ;   in Loop: Header=BB123_234 Depth=2
	s_and_b32 s8, exec_lo, s60
	s_or_b32 s24, s8, s24
	s_andn2_b32 s8, s59, exec_lo
	s_and_b32 s40, s40, exec_lo
	s_or_b32 s59, s8, s40
	s_andn2_b32 exec_lo, exec_lo, s24
	s_cbranch_execz .LBB123_238
.LBB123_234:                            ;   Parent Loop BB123_12 Depth=1
                                        ; =>  This Inner Loop Header: Depth=2
	s_mov_b32 s60, exec_lo
	v_cmpx_gt_u64_e64 s[20:21], v[6:7]
	s_cbranch_execz .LBB123_232
; %bb.235:                              ;   in Loop: Header=BB123_234 Depth=2
	ds_read_u8 v11, v10
	s_waitcnt lgkmcnt(0)
	v_and_b32_e32 v21, v11, v9
	v_cmp_eq_u32_sdwa s8, v21, v8 src0_sel:BYTE_0 src1_sel:DWORD
	s_and_b32 exec_lo, exec_lo, s8
	s_cbranch_execz .LBB123_232
; %bb.236:                              ;   in Loop: Header=BB123_234 Depth=2
	v_lshlrev_b16 v11, 8, v11
	v_or_b32_e32 v11, 1, v11
	ds_write_b16 v3, v11 offset:3072
	s_branch .LBB123_232
.LBB123_237:                            ;   in Loop: Header=BB123_234 Depth=2
	v_add_co_u32 v6, vcc_lo, v6, s33
	v_add_co_ci_u32_e64 v7, null, 0, v7, vcc_lo
	v_add_nc_u32_e32 v10, s33, v10
	s_mov_b32 s40, 0
	v_cmp_le_u64_e32 vcc_lo, s[22:23], v[6:7]
	s_orn2_b32 s60, vcc_lo, exec_lo
	s_branch .LBB123_233
.LBB123_238:                            ;   in Loop: Header=BB123_12 Depth=1
	s_inst_prefetch 0x2
	s_or_b32 exec_lo, exec_lo, s24
	v_lshrrev_b32_sdwa v10, v28, v11 dst_sel:DWORD dst_unused:UNUSED_PAD src0_sel:DWORD src1_sel:WORD_0
	s_and_b32 s24, s59, exec_lo
.LBB123_239:                            ;   in Loop: Header=BB123_12 Depth=1
	s_or_b32 exec_lo, exec_lo, s58
.LBB123_240:                            ;   in Loop: Header=BB123_12 Depth=1
	s_and_b32 vcc_lo, exec_lo, s25
	s_cbranch_vccz .LBB123_256
; %bb.241:                              ;   in Loop: Header=BB123_12 Depth=1
	s_mov_b32 s62, s61
	s_cmp_lg_u64 s[62:63], 0
	s_cbranch_scc0 .LBB123_243
; %bb.242:                              ;   in Loop: Header=BB123_12 Depth=1
	v_cvt_f32_u32_e32 v6, s33
	s_sub_u32 s21, 0, s33
	s_subb_u32 s22, 0, 0
	v_fmac_f32_e64 v6, 0x4f800000, 0
	v_rcp_f32_e32 v6, v6
	v_mul_f32_e32 v6, 0x5f7ffffc, v6
	v_mul_f32_e32 v7, 0x2f800000, v6
	v_trunc_f32_e32 v7, v7
	v_fmac_f32_e32 v6, 0xcf800000, v7
	v_cvt_u32_f32_e32 v7, v7
	v_cvt_u32_f32_e32 v6, v6
	v_readfirstlane_b32 s8, v7
	v_readfirstlane_b32 s20, v6
	s_mul_i32 s23, s21, s8
	s_mul_hi_u32 s40, s21, s20
	s_mul_i32 s25, s22, s20
	s_add_i32 s23, s40, s23
	s_mul_i32 s41, s21, s20
	s_add_i32 s23, s23, s25
	s_mul_hi_u32 s40, s20, s41
	s_mul_i32 s43, s20, s23
	s_mul_hi_u32 s42, s8, s41
	s_mul_i32 s25, s8, s41
	s_mul_hi_u32 s41, s20, s23
	s_add_u32 s40, s40, s43
	s_addc_u32 s41, 0, s41
	s_mul_hi_u32 s58, s8, s23
	s_add_u32 s25, s40, s25
	s_mul_i32 s23, s8, s23
	s_addc_u32 s25, s41, s42
	s_addc_u32 s40, s58, 0
	s_add_u32 s23, s25, s23
	s_addc_u32 s25, 0, s40
	s_add_u32 s20, s20, s23
	s_cselect_b32 s23, -1, 0
	s_mul_hi_u32 s40, s21, s20
	s_cmp_lg_u32 s23, 0
	s_mul_i32 s23, s21, s20
	s_addc_u32 s8, s8, s25
	s_mul_i32 s22, s22, s20
	s_mul_i32 s21, s21, s8
	s_mul_hi_u32 s25, s20, s23
	s_add_i32 s21, s40, s21
	s_mul_hi_u32 s40, s8, s23
	s_add_i32 s21, s21, s22
	s_mul_i32 s22, s8, s23
	s_mul_i32 s42, s20, s21
	s_mul_hi_u32 s41, s20, s21
	s_add_u32 s25, s25, s42
	s_addc_u32 s41, 0, s41
	s_mul_hi_u32 s23, s8, s21
	s_add_u32 s22, s25, s22
	s_mul_i32 s21, s8, s21
	s_addc_u32 s22, s41, s40
	s_addc_u32 s23, s23, 0
	s_add_u32 s21, s22, s21
	s_addc_u32 s22, 0, s23
	s_add_u32 s20, s20, s21
	s_cselect_b32 s21, -1, 0
	s_mul_hi_u32 s23, s84, s20
	s_cmp_lg_u32 s21, 0
	s_mul_hi_u32 s21, s63, s20
	s_addc_u32 s8, s8, s22
	s_mul_i32 s20, s63, s20
	s_mul_i32 s25, s84, s8
	s_mul_hi_u32 s22, s84, s8
	s_add_u32 s23, s23, s25
	s_addc_u32 s22, 0, s22
	s_mul_hi_u32 s40, s63, s8
	s_add_u32 s20, s23, s20
	s_mul_i32 s8, s63, s8
	s_addc_u32 s20, s22, s21
	s_addc_u32 s21, s40, 0
	s_add_u32 s8, s20, s8
	s_addc_u32 s20, 0, s21
	s_mul_hi_u32 s21, s33, s8
	s_mul_i32 s20, s33, s20
	s_mul_i32 s8, s33, s8
	s_add_i32 s21, s21, s20
	s_sub_u32 s8, s84, s8
	s_cselect_b32 s20, -1, 0
	s_cmp_lg_u32 s20, 0
	s_subb_u32 s20, s63, s21
	s_sub_u32 s21, s8, s33
	s_cselect_b32 s22, -1, 0
	s_cmp_lg_u32 s22, 0
	s_subb_u32 s22, s20, 0
	;; [unrolled: 4-line block ×3, first 2 shown]
	s_cmp_ge_u32 s21, s33
	s_cselect_b32 s40, -1, 0
	s_cmp_eq_u32 s22, 0
	s_cselect_b32 s40, s40, -1
	s_cmp_lg_u32 s40, 0
	s_cselect_b32 s22, s25, s22
	s_cselect_b32 s23, s23, s21
	s_cmp_ge_u32 s8, s33
	s_cselect_b32 s21, -1, 0
	s_cmp_eq_u32 s20, 0
	s_cselect_b32 s21, s21, -1
	s_cmp_lg_u32 s21, 0
	s_cselect_b32 s21, s22, s20
	s_cselect_b32 s20, s23, s8
	s_mov_b32 s22, 0
	s_branch .LBB123_244
.LBB123_243:                            ;   in Loop: Header=BB123_12 Depth=1
	s_mov_b32 s22, -1
                                        ; implicit-def: $sgpr20_sgpr21
.LBB123_244:                            ;   in Loop: Header=BB123_12 Depth=1
	s_andn2_b32 vcc_lo, exec_lo, s22
	s_cbranch_vccnz .LBB123_246
; %bb.245:                              ;   in Loop: Header=BB123_12 Depth=1
	v_cvt_f32_u32_e32 v6, s33
	s_sub_i32 s20, 0, s33
	v_rcp_iflag_f32_e32 v6, v6
	v_mul_f32_e32 v6, 0x4f7ffffe, v6
	v_cvt_u32_f32_e32 v6, v6
	v_readfirstlane_b32 s8, v6
	s_mul_i32 s20, s20, s8
	s_mul_hi_u32 s20, s8, s20
	s_add_i32 s8, s8, s20
	s_mul_hi_u32 s8, s84, s8
	s_mul_i32 s8, s8, s33
	s_sub_i32 s8, s84, s8
	s_sub_i32 s20, s8, s33
	s_cmp_ge_u32 s8, s33
	s_cselect_b32 s8, s20, s8
	s_sub_i32 s20, s8, s33
	s_cmp_ge_u32 s8, s33
	s_cselect_b32 s60, s20, s8
	s_mov_b64 s[20:21], s[60:61]
.LBB123_246:                            ;   in Loop: Header=BB123_12 Depth=1
	s_sub_u32 s20, s84, s20
	s_subb_u32 s21, s63, s21
	s_mov_b32 s22, exec_lo
                                        ; implicit-def: $vgpr10
	v_cmpx_gt_u64_e64 s[20:21], v[0:1]
	s_cbranch_execz .LBB123_255
; %bb.247:                              ;   in Loop: Header=BB123_12 Depth=1
	v_mov_b32_e32 v7, v1
	v_mov_b32_e32 v6, v0
	s_mov_b32 s23, 0
                                        ; implicit-def: $sgpr25
	s_branch .LBB123_250
.LBB123_248:                            ;   in Loop: Header=BB123_250 Depth=2
	s_or_b32 exec_lo, exec_lo, s58
	s_waitcnt lgkmcnt(0)
	s_barrier
	buffer_gl0_inv
	ds_read_u16 v10, v3 offset:3072
	s_mov_b32 s41, -1
	s_mov_b32 s40, -1
	s_waitcnt lgkmcnt(0)
	s_barrier
	buffer_gl0_inv
	v_cmp_eq_u32_sdwa s8, v10, v3 src0_sel:BYTE_0 src1_sel:DWORD
	s_and_b32 vcc_lo, exec_lo, s8
	s_cbranch_vccnz .LBB123_253
.LBB123_249:                            ;   in Loop: Header=BB123_250 Depth=2
	s_and_b32 s8, exec_lo, s41
	s_or_b32 s23, s8, s23
	s_andn2_b32 s8, s25, exec_lo
	s_and_b32 s25, s40, exec_lo
	s_or_b32 s25, s8, s25
	s_andn2_b32 exec_lo, exec_lo, s23
	s_cbranch_execz .LBB123_254
.LBB123_250:                            ;   Parent Loop BB123_12 Depth=1
                                        ; =>  This Inner Loop Header: Depth=2
	s_mov_b32 s58, exec_lo
	v_cmpx_gt_u64_e64 s[36:37], v[6:7]
	s_cbranch_execz .LBB123_248
; %bb.251:                              ;   in Loop: Header=BB123_250 Depth=2
	v_mad_u64_u32 v[10:11], null, v6, s30, s[28:29]
	v_mul_lo_u32 v21, v6, s31
	v_mul_lo_u32 v22, v7, s30
	v_add3_u32 v11, v22, v11, v21
	global_load_ubyte v10, v[10:11], off
	s_waitcnt vmcnt(0)
	v_and_b32_e32 v11, v10, v9
	v_cmp_eq_u32_sdwa s8, v11, v8 src0_sel:BYTE_0 src1_sel:DWORD
	s_and_b32 exec_lo, exec_lo, s8
	s_cbranch_execz .LBB123_248
; %bb.252:                              ;   in Loop: Header=BB123_250 Depth=2
	v_lshlrev_b16 v10, 8, v10
	v_or_b32_e32 v10, 1, v10
	ds_write_b16 v3, v10 offset:3072
	s_branch .LBB123_248
.LBB123_253:                            ;   in Loop: Header=BB123_250 Depth=2
	v_add_co_u32 v6, vcc_lo, v6, s33
	v_add_co_ci_u32_e64 v7, null, 0, v7, vcc_lo
	s_mov_b32 s40, 0
	v_cmp_le_u64_e32 vcc_lo, s[20:21], v[6:7]
	s_orn2_b32 s41, vcc_lo, exec_lo
	s_branch .LBB123_249
.LBB123_254:                            ;   in Loop: Header=BB123_12 Depth=1
	s_or_b32 exec_lo, exec_lo, s23
	v_lshrrev_b32_sdwa v10, v28, v10 dst_sel:DWORD dst_unused:UNUSED_PAD src0_sel:DWORD src1_sel:WORD_0
	s_andn2_b32 s8, s24, exec_lo
	s_and_b32 s20, s25, exec_lo
	s_or_b32 s24, s8, s20
.LBB123_255:                            ;   in Loop: Header=BB123_12 Depth=1
	s_or_b32 exec_lo, exec_lo, s22
	s_mov_b32 s62, 0
	s_mov_b32 s79, -1
.LBB123_256:                            ;   in Loop: Header=BB123_12 Depth=1
	s_orn2_b32 s21, s24, exec_lo
.LBB123_257:                            ;   in Loop: Header=BB123_12 Depth=1
	s_or_b32 exec_lo, exec_lo, s78
	s_mov_b32 s22, 0
	s_and_saveexec_b32 s20, s21
	s_cbranch_execz .LBB123_268
; %bb.258:                              ;   in Loop: Header=BB123_12 Depth=1
	v_mov_b32_e32 v6, 1
	v_mov_b32_e32 v7, 0
	;; [unrolled: 1-line block ×3, first 2 shown]
	s_xor_b32 s8, s77, -1
	s_and_saveexec_b32 s21, s8
	s_cbranch_execz .LBB123_267
; %bb.259:                              ;   in Loop: Header=BB123_12 Depth=1
	s_mov_b32 s8, exec_lo
	v_cmpx_ge_u64_e64 s[18:19], v[4:5]
	s_xor_b32 s22, exec_lo, s8
	s_cbranch_execz .LBB123_264
; %bb.260:                              ;   in Loop: Header=BB123_12 Depth=1
	ds_read_b64 v[6:7], v3 offset:5120
	v_or_b32_e32 v8, s11, v8
	v_or_b32_e32 v9, s11, v9
	s_waitcnt lgkmcnt(0)
	v_cmp_ne_u64_e32 vcc_lo, 0, v[6:7]
	s_cbranch_vccnz .LBB123_264
; %bb.261:                              ;   in Loop: Header=BB123_12 Depth=1
	s_and_saveexec_b32 s23, s3
; %bb.262:                              ;   in Loop: Header=BB123_12 Depth=1
	v_mov_b32_e32 v6, s18
	v_mov_b32_e32 v7, s19
	ds_write_b64 v3, v[6:7] offset:5128
; %bb.263:                              ;   in Loop: Header=BB123_12 Depth=1
	s_or_b32 exec_lo, exec_lo, s23
	s_waitcnt lgkmcnt(0)
	s_barrier
	buffer_gl0_inv
.LBB123_264:                            ;   in Loop: Header=BB123_12 Depth=1
	s_andn2_saveexec_b32 s22, s22
; %bb.265:                              ;   in Loop: Header=BB123_12 Depth=1
	v_sub_co_u32 v4, vcc_lo, v4, s18
	v_subrev_co_ci_u32_e64 v5, null, s19, v5, vcc_lo
; %bb.266:                              ;   in Loop: Header=BB123_12 Depth=1
	s_or_b32 exec_lo, exec_lo, s22
	v_mov_b32_e32 v7, v5
	v_mov_b32_e32 v2, 8
	v_mov_b32_e32 v6, v4
.LBB123_267:                            ;   in Loop: Header=BB123_12 Depth=1
	s_or_b32 exec_lo, exec_lo, s21
	v_mov_b32_e32 v4, v6
	v_mov_b32_e32 v5, v7
	s_mov_b32 s22, exec_lo
.LBB123_268:                            ;   in Loop: Header=BB123_12 Depth=1
	s_or_b32 exec_lo, exec_lo, s20
	s_orn2_b32 s20, s22, exec_lo
.LBB123_269:                            ;   in Loop: Header=BB123_12 Depth=1
	s_or_b32 exec_lo, exec_lo, s76
	v_mov_b32_e32 v7, v5
	v_mov_b32_e32 v6, v4
	s_andn2_b32 s21, s74, exec_lo
	s_and_b32 s22, s79, exec_lo
	s_andn2_b32 s23, s73, exec_lo
	s_and_b32 s24, s62, exec_lo
	s_or_b32 s74, s21, s22
	s_or_b32 s73, s23, s24
	s_and_b32 s21, s20, exec_lo
.LBB123_270:                            ;   in Loop: Header=BB123_12 Depth=1
	s_or_b32 exec_lo, exec_lo, s75
	s_orn2_b32 s20, s21, exec_lo
.LBB123_271:                            ;   in Loop: Header=BB123_12 Depth=1
	s_or_b32 exec_lo, exec_lo, s72
	v_mov_b32_e32 v4, v6
	v_mov_b32_e32 v5, v7
	s_andn2_b32 s21, s66, exec_lo
	s_and_b32 s22, s74, exec_lo
	s_andn2_b32 s23, s57, exec_lo
	s_and_b32 s24, s73, exec_lo
	s_or_b32 s66, s21, s22
	s_or_b32 s57, s23, s24
	s_and_b32 s21, s20, exec_lo
.LBB123_272:                            ;   in Loop: Header=BB123_12 Depth=1
	s_or_b32 exec_lo, exec_lo, s71
	s_orn2_b32 s20, s21, exec_lo
.LBB123_273:                            ;   in Loop: Header=BB123_12 Depth=1
	s_or_b32 exec_lo, exec_lo, s6
	s_mov_b32 s6, 0
	s_mov_b32 s21, 0
	s_and_saveexec_b32 s22, s20
	s_xor_b32 s20, exec_lo, s22
; %bb.274:                              ;   in Loop: Header=BB123_12 Depth=1
	v_cmp_ne_u32_e32 vcc_lo, 8, v2
	v_cmp_eq_u32_e64 s6, 8, v2
	s_and_b32 s21, vcc_lo, exec_lo
	s_and_b32 s6, s6, exec_lo
; %bb.275:                              ;   in Loop: Header=BB123_12 Depth=1
	s_or_b32 exec_lo, exec_lo, s20
	s_andn2_b32 s20, s68, exec_lo
	s_and_b32 s22, s66, exec_lo
	s_andn2_b32 s23, s67, exec_lo
	s_and_b32 s24, s57, exec_lo
	s_or_b32 s68, s20, s22
	s_or_b32 s67, s23, s24
	s_and_b32 s57, s21, exec_lo
	s_and_b32 s66, s6, exec_lo
.LBB123_276:                            ;   in Loop: Header=BB123_12 Depth=1
	s_or_b32 exec_lo, exec_lo, s70
.LBB123_277:                            ;   in Loop: Header=BB123_12 Depth=1
	s_and_b32 vcc_lo, exec_lo, s69
	s_cbranch_vccz .LBB123_293
; %bb.278:                              ;   in Loop: Header=BB123_12 Depth=1
	s_cmp_eq_u64 s[18:19], 1
	s_mov_b32 s20, -1
	s_cselect_b32 s6, -1, 0
                                        ; implicit-def: $sgpr27
	s_and_b32 s6, s6, s9
                                        ; implicit-def: $sgpr9
	s_and_saveexec_b32 s67, s6
	s_cbranch_execz .LBB123_311
; %bb.279:                              ;   in Loop: Header=BB123_12 Depth=1
	ds_read_b64 v[4:5], v3 offset:5120
	s_waitcnt lgkmcnt(0)
	s_barrier
	buffer_gl0_inv
	v_readfirstlane_b32 s20, v4
	v_readfirstlane_b32 s21, v5
	s_and_saveexec_b32 s9, s10
; %bb.280:                              ;   in Loop: Header=BB123_12 Depth=1
	ds_write_b8 v0, v3 offset:3072
; %bb.281:                              ;   in Loop: Header=BB123_12 Depth=1
	s_or_b32 exec_lo, exec_lo, s9
	v_or_b32_e32 v26, s11, v26
	v_or_b32_e32 v29, s11, v29
	s_mov_b32 s27, -1
	s_mov_b32 s9, 0
	s_cmp_eq_u64 s[20:21], 0
	s_mov_b32 s24, 0
	s_mov_b32 s25, -1
	s_waitcnt lgkmcnt(0)
	s_barrier
	buffer_gl0_inv
                                        ; implicit-def: $vgpr30
	s_cbranch_scc1 .LBB123_296
; %bb.282:                              ;   in Loop: Header=BB123_12 Depth=1
	s_add_u32 s62, s20, s82
	s_addc_u32 s23, s21, s83
	s_mov_b32 s22, s61
	s_cmp_lg_u64 s[22:23], 0
	s_cbranch_scc0 .LBB123_337
; %bb.283:                              ;   in Loop: Header=BB123_12 Depth=1
	v_cvt_f32_u32_e32 v2, s33
	s_sub_u32 s25, 0, s33
	s_subb_u32 s40, 0, 0
	v_fmac_f32_e64 v2, 0x4f800000, 0
	v_rcp_f32_e32 v2, v2
	v_mul_f32_e32 v2, 0x5f7ffffc, v2
	v_mul_f32_e32 v4, 0x2f800000, v2
	v_trunc_f32_e32 v4, v4
	v_fmac_f32_e32 v2, 0xcf800000, v4
	v_cvt_u32_f32_e32 v4, v4
	v_cvt_u32_f32_e32 v2, v2
	v_readfirstlane_b32 s22, v4
	v_readfirstlane_b32 s24, v2
	s_mul_i32 s41, s25, s22
	s_mul_hi_u32 s43, s25, s24
	s_mul_i32 s42, s40, s24
	s_add_i32 s41, s43, s41
	s_mul_i32 s58, s25, s24
	s_add_i32 s41, s41, s42
	s_mul_hi_u32 s43, s24, s58
	s_mul_i32 s60, s24, s41
	s_mul_hi_u32 s59, s22, s58
	s_mul_i32 s42, s22, s58
	s_mul_hi_u32 s58, s24, s41
	s_add_u32 s43, s43, s60
	s_addc_u32 s58, 0, s58
	s_mul_hi_u32 s68, s22, s41
	s_add_u32 s42, s43, s42
	s_mul_i32 s41, s22, s41
	s_addc_u32 s42, s58, s59
	s_addc_u32 s43, s68, 0
	s_add_u32 s41, s42, s41
	s_addc_u32 s42, 0, s43
	s_add_u32 s24, s24, s41
	s_cselect_b32 s41, -1, 0
	s_mul_hi_u32 s43, s25, s24
	s_cmp_lg_u32 s41, 0
	s_mul_i32 s41, s25, s24
	s_addc_u32 s22, s22, s42
	s_mul_i32 s40, s40, s24
	s_mul_i32 s25, s25, s22
	s_mul_hi_u32 s42, s24, s41
	s_add_i32 s25, s43, s25
	s_mul_hi_u32 s43, s22, s41
	s_add_i32 s25, s25, s40
	s_mul_i32 s40, s22, s41
	s_mul_i32 s59, s24, s25
	s_mul_hi_u32 s58, s24, s25
	s_add_u32 s42, s42, s59
	s_addc_u32 s58, 0, s58
	s_mul_hi_u32 s41, s22, s25
	s_add_u32 s40, s42, s40
	s_mul_i32 s25, s22, s25
	s_addc_u32 s40, s58, s43
	s_addc_u32 s41, s41, 0
	s_add_u32 s25, s40, s25
	s_addc_u32 s40, 0, s41
	s_add_u32 s24, s24, s25
	s_cselect_b32 s25, -1, 0
	s_mul_hi_u32 s41, s62, s24
	s_cmp_lg_u32 s25, 0
	s_mul_hi_u32 s25, s23, s24
	s_addc_u32 s22, s22, s40
	s_mul_i32 s24, s23, s24
	s_mul_i32 s42, s62, s22
	s_mul_hi_u32 s40, s62, s22
	s_add_u32 s41, s41, s42
	s_addc_u32 s40, 0, s40
	s_mul_hi_u32 s43, s23, s22
	s_add_u32 s24, s41, s24
	s_mul_i32 s22, s23, s22
	s_addc_u32 s24, s40, s25
	s_addc_u32 s25, s43, 0
	s_add_u32 s22, s24, s22
	s_addc_u32 s24, 0, s25
	s_mul_hi_u32 s25, s33, s22
	s_mul_i32 s24, s33, s24
	s_mul_i32 s22, s33, s22
	s_add_i32 s25, s25, s24
	s_sub_u32 s22, s62, s22
	s_cselect_b32 s24, -1, 0
	s_cmp_lg_u32 s24, 0
	s_subb_u32 s24, s23, s25
	s_sub_u32 s25, s22, s33
	s_cselect_b32 s40, -1, 0
	s_cmp_lg_u32 s40, 0
	s_subb_u32 s40, s24, 0
	s_sub_u32 s41, s25, s33
	s_cselect_b32 s42, -1, 0
	s_cmp_lg_u32 s42, 0
	s_subb_u32 s42, s40, 0
	s_cmp_ge_u32 s25, s33
	s_cselect_b32 s43, -1, 0
	s_cmp_eq_u32 s40, 0
	s_cselect_b32 s43, s43, -1
	s_cmp_lg_u32 s43, 0
	s_cselect_b32 s40, s42, s40
	s_cselect_b32 s41, s41, s25
	s_cmp_ge_u32 s22, s33
	s_cselect_b32 s25, -1, 0
	s_cmp_eq_u32 s24, 0
	s_cselect_b32 s25, s25, -1
	s_cmp_lg_u32 s25, 0
	s_cselect_b32 s25, s40, s24
	s_cselect_b32 s24, s41, s22
	s_cbranch_execnz .LBB123_285
.LBB123_284:                            ;   in Loop: Header=BB123_12 Depth=1
	v_cvt_f32_u32_e32 v2, s33
	s_sub_i32 s24, 0, s33
	v_rcp_iflag_f32_e32 v2, v2
	v_mul_f32_e32 v2, 0x4f7ffffe, v2
	v_cvt_u32_f32_e32 v2, v2
	v_readfirstlane_b32 s22, v2
	s_mul_i32 s24, s24, s22
	s_mul_hi_u32 s24, s22, s24
	s_add_i32 s22, s22, s24
	s_mul_hi_u32 s22, s62, s22
	s_mul_i32 s22, s22, s33
	s_sub_i32 s22, s62, s22
	s_sub_i32 s24, s22, s33
	s_cmp_ge_u32 s22, s33
	s_cselect_b32 s22, s24, s22
	s_sub_i32 s24, s22, s33
	s_cmp_ge_u32 s22, s33
	s_cselect_b32 s60, s24, s22
	s_mov_b64 s[24:25], s[60:61]
.LBB123_285:                            ;   in Loop: Header=BB123_12 Depth=1
	s_sub_u32 s22, s62, s24
	s_subb_u32 s23, s23, s25
	s_mov_b32 s25, 0
	s_mov_b32 s24, 0
	s_mov_b32 s58, exec_lo
                                        ; implicit-def: $vgpr30
	v_cmpx_gt_u64_e64 s[22:23], v[0:1]
	s_cbranch_execz .LBB123_295
; %bb.286:                              ;   in Loop: Header=BB123_12 Depth=1
	v_mov_b32_e32 v5, v1
	v_mov_b32_e32 v2, v0
	;; [unrolled: 1-line block ×3, first 2 shown]
                                        ; implicit-def: $sgpr59
	s_inst_prefetch 0x1
	s_branch .LBB123_289
	.p2align	6
.LBB123_287:                            ;   in Loop: Header=BB123_289 Depth=2
	s_or_b32 exec_lo, exec_lo, s60
	s_waitcnt lgkmcnt(0)
	s_barrier
	buffer_gl0_inv
	ds_read_u16 v6, v3 offset:3072
	s_mov_b32 s40, -1
	s_waitcnt lgkmcnt(0)
	s_barrier
	buffer_gl0_inv
	v_cmp_ne_u32_sdwa s41, v6, v3 src0_sel:BYTE_0 src1_sel:DWORD
	s_and_b32 vcc_lo, exec_lo, s41
	s_mov_b32 s41, -1
	s_cbranch_vccz .LBB123_292
.LBB123_288:                            ;   in Loop: Header=BB123_289 Depth=2
	s_and_b32 s8, exec_lo, s40
	s_or_b32 s24, s8, s24
	s_andn2_b32 s8, s59, exec_lo
	s_and_b32 s40, s41, exec_lo
	s_or_b32 s59, s8, s40
	s_andn2_b32 exec_lo, exec_lo, s24
	s_cbranch_execz .LBB123_294
.LBB123_289:                            ;   Parent Loop BB123_12 Depth=1
                                        ; =>  This Inner Loop Header: Depth=2
	s_mov_b32 s60, exec_lo
	v_cmpx_gt_u64_e64 s[20:21], v[4:5]
	s_cbranch_execz .LBB123_287
; %bb.290:                              ;   in Loop: Header=BB123_289 Depth=2
	ds_read_u8 v6, v2
	s_waitcnt lgkmcnt(0)
	v_and_b32_e32 v7, v6, v29
	v_cmp_eq_u32_sdwa s40, v7, v26 src0_sel:BYTE_0 src1_sel:DWORD
	s_and_b32 exec_lo, exec_lo, s40
	s_cbranch_execz .LBB123_287
; %bb.291:                              ;   in Loop: Header=BB123_289 Depth=2
	v_lshlrev_b16 v6, 8, v6
	v_or_b32_e32 v6, 1, v6
	ds_write_b16 v3, v6 offset:3072
	s_branch .LBB123_287
.LBB123_292:                            ;   in Loop: Header=BB123_289 Depth=2
	v_add_co_u32 v4, vcc_lo, v4, s33
	v_add_co_ci_u32_e64 v5, null, 0, v5, vcc_lo
	v_add_nc_u32_e32 v2, s33, v2
	s_mov_b32 s41, 0
	v_cmp_le_u64_e32 vcc_lo, s[22:23], v[4:5]
	s_orn2_b32 s40, vcc_lo, exec_lo
	s_branch .LBB123_288
.LBB123_293:                            ;   in Loop: Header=BB123_12 Depth=1
	v_mov_b32_e32 v26, v8
	v_mov_b32_e32 v29, v9
	;; [unrolled: 1-line block ×3, first 2 shown]
	s_mov_b32 s9, 0
	s_and_saveexec_b32 s6, s66
	s_cbranch_execnz .LBB123_470
	s_branch .LBB123_471
.LBB123_294:                            ;   in Loop: Header=BB123_12 Depth=1
	s_inst_prefetch 0x2
	s_or_b32 exec_lo, exec_lo, s24
	v_lshrrev_b32_sdwa v30, v28, v6 dst_sel:DWORD dst_unused:UNUSED_PAD src0_sel:DWORD src1_sel:WORD_0
	s_and_b32 s24, s59, exec_lo
.LBB123_295:                            ;   in Loop: Header=BB123_12 Depth=1
	s_or_b32 exec_lo, exec_lo, s58
.LBB123_296:                            ;   in Loop: Header=BB123_12 Depth=1
	s_and_b32 vcc_lo, exec_lo, s25
	s_cbranch_vccz .LBB123_310
; %bb.297:                              ;   in Loop: Header=BB123_12 Depth=1
	s_mov_b32 s62, s61
	s_cmp_lg_u64 s[62:63], 0
	s_cbranch_scc0 .LBB123_338
; %bb.298:                              ;   in Loop: Header=BB123_12 Depth=1
	v_cvt_f32_u32_e32 v2, s33
	s_sub_u32 s21, 0, s33
	s_subb_u32 s22, 0, 0
	v_fmac_f32_e64 v2, 0x4f800000, 0
	v_rcp_f32_e32 v2, v2
	v_mul_f32_e32 v2, 0x5f7ffffc, v2
	v_mul_f32_e32 v4, 0x2f800000, v2
	v_trunc_f32_e32 v4, v4
	v_fmac_f32_e32 v2, 0xcf800000, v4
	v_cvt_u32_f32_e32 v4, v4
	v_cvt_u32_f32_e32 v2, v2
	v_readfirstlane_b32 s9, v4
	v_readfirstlane_b32 s20, v2
	s_mul_i32 s23, s21, s9
	s_mul_hi_u32 s27, s21, s20
	s_mul_i32 s25, s22, s20
	s_add_i32 s23, s27, s23
	s_mul_i32 s40, s21, s20
	s_add_i32 s23, s23, s25
	s_mul_hi_u32 s27, s20, s40
	s_mul_i32 s42, s20, s23
	s_mul_hi_u32 s41, s9, s40
	s_mul_i32 s25, s9, s40
	s_mul_hi_u32 s40, s20, s23
	s_add_u32 s27, s27, s42
	s_addc_u32 s40, 0, s40
	s_mul_hi_u32 s43, s9, s23
	s_add_u32 s25, s27, s25
	s_mul_i32 s23, s9, s23
	s_addc_u32 s25, s40, s41
	s_addc_u32 s27, s43, 0
	s_add_u32 s23, s25, s23
	s_addc_u32 s25, 0, s27
	s_add_u32 s20, s20, s23
	s_cselect_b32 s23, -1, 0
	s_mul_hi_u32 s27, s21, s20
	s_cmp_lg_u32 s23, 0
	s_mul_i32 s23, s21, s20
	s_addc_u32 s9, s9, s25
	s_mul_i32 s22, s22, s20
	s_mul_i32 s21, s21, s9
	s_mul_hi_u32 s25, s20, s23
	s_add_i32 s21, s27, s21
	s_mul_hi_u32 s27, s9, s23
	s_add_i32 s21, s21, s22
	s_mul_i32 s22, s9, s23
	s_mul_i32 s41, s20, s21
	s_mul_hi_u32 s40, s20, s21
	s_add_u32 s25, s25, s41
	s_addc_u32 s40, 0, s40
	s_mul_hi_u32 s23, s9, s21
	s_add_u32 s22, s25, s22
	s_mul_i32 s21, s9, s21
	s_addc_u32 s22, s40, s27
	s_addc_u32 s23, s23, 0
	s_add_u32 s21, s22, s21
	s_addc_u32 s22, 0, s23
	s_add_u32 s20, s20, s21
	s_cselect_b32 s21, -1, 0
	s_mul_hi_u32 s23, s84, s20
	s_cmp_lg_u32 s21, 0
	s_mul_hi_u32 s21, s63, s20
	s_addc_u32 s9, s9, s22
	s_mul_i32 s20, s63, s20
	s_mul_i32 s25, s84, s9
	s_mul_hi_u32 s22, s84, s9
	s_add_u32 s23, s23, s25
	s_addc_u32 s22, 0, s22
	s_mul_hi_u32 s27, s63, s9
	s_add_u32 s20, s23, s20
	s_mul_i32 s9, s63, s9
	s_addc_u32 s20, s22, s21
	s_addc_u32 s21, s27, 0
	s_add_u32 s9, s20, s9
	s_addc_u32 s20, 0, s21
	s_mul_hi_u32 s21, s33, s9
	s_mul_i32 s20, s33, s20
	s_mul_i32 s9, s33, s9
	s_add_i32 s21, s21, s20
	s_sub_u32 s9, s84, s9
	s_cselect_b32 s20, -1, 0
	s_cmp_lg_u32 s20, 0
	s_subb_u32 s20, s63, s21
	s_sub_u32 s21, s9, s33
	s_cselect_b32 s22, -1, 0
	s_cmp_lg_u32 s22, 0
	s_subb_u32 s22, s20, 0
	;; [unrolled: 4-line block ×3, first 2 shown]
	s_cmp_ge_u32 s21, s33
	s_cselect_b32 s27, -1, 0
	s_cmp_eq_u32 s22, 0
	s_cselect_b32 s27, s27, -1
	s_cmp_lg_u32 s27, 0
	s_cselect_b32 s22, s25, s22
	s_cselect_b32 s23, s23, s21
	s_cmp_ge_u32 s9, s33
	s_cselect_b32 s21, -1, 0
	s_cmp_eq_u32 s20, 0
	s_cselect_b32 s21, s21, -1
	s_cmp_lg_u32 s21, 0
	s_cselect_b32 s21, s22, s20
	s_cselect_b32 s20, s23, s9
	s_cbranch_execnz .LBB123_300
.LBB123_299:                            ;   in Loop: Header=BB123_12 Depth=1
	v_cvt_f32_u32_e32 v2, s33
	s_sub_i32 s20, 0, s33
	v_rcp_iflag_f32_e32 v2, v2
	v_mul_f32_e32 v2, 0x4f7ffffe, v2
	v_cvt_u32_f32_e32 v2, v2
	v_readfirstlane_b32 s9, v2
	s_mul_i32 s20, s20, s9
	s_mul_hi_u32 s20, s9, s20
	s_add_i32 s9, s9, s20
	s_mul_hi_u32 s9, s84, s9
	s_mul_i32 s9, s9, s33
	s_sub_i32 s9, s84, s9
	s_sub_i32 s20, s9, s33
	s_cmp_ge_u32 s9, s33
	s_cselect_b32 s9, s20, s9
	s_sub_i32 s20, s9, s33
	s_cmp_ge_u32 s9, s33
	s_cselect_b32 s60, s20, s9
	s_mov_b64 s[20:21], s[60:61]
.LBB123_300:                            ;   in Loop: Header=BB123_12 Depth=1
	s_sub_u32 s20, s84, s20
	s_subb_u32 s21, s63, s21
	s_mov_b32 s9, exec_lo
                                        ; implicit-def: $vgpr30
	v_cmpx_gt_u64_e64 s[20:21], v[0:1]
	s_cbranch_execz .LBB123_309
; %bb.301:                              ;   in Loop: Header=BB123_12 Depth=1
	v_mov_b32_e32 v5, v1
	v_mov_b32_e32 v4, v0
	s_mov_b32 s22, 0
                                        ; implicit-def: $sgpr23
	s_branch .LBB123_304
.LBB123_302:                            ;   in Loop: Header=BB123_304 Depth=2
	s_or_b32 exec_lo, exec_lo, s25
	s_waitcnt lgkmcnt(0)
	s_barrier
	buffer_gl0_inv
	ds_read_u16 v2, v3 offset:3072
	s_mov_b32 s27, -1
	s_waitcnt lgkmcnt(0)
	s_barrier
	buffer_gl0_inv
	v_cmp_ne_u32_sdwa s25, v2, v3 src0_sel:BYTE_0 src1_sel:DWORD
	s_and_b32 vcc_lo, exec_lo, s25
	s_mov_b32 s25, -1
	s_cbranch_vccz .LBB123_307
.LBB123_303:                            ;   in Loop: Header=BB123_304 Depth=2
	s_and_b32 s8, exec_lo, s27
	s_or_b32 s22, s8, s22
	s_andn2_b32 s8, s23, exec_lo
	s_and_b32 s23, s25, exec_lo
	s_or_b32 s23, s8, s23
	s_andn2_b32 exec_lo, exec_lo, s22
	s_cbranch_execz .LBB123_308
.LBB123_304:                            ;   Parent Loop BB123_12 Depth=1
                                        ; =>  This Inner Loop Header: Depth=2
	s_mov_b32 s25, exec_lo
	v_cmpx_gt_u64_e64 s[36:37], v[4:5]
	s_cbranch_execz .LBB123_302
; %bb.305:                              ;   in Loop: Header=BB123_304 Depth=2
	v_mad_u64_u32 v[6:7], null, v4, s30, s[28:29]
	v_mul_lo_u32 v2, v4, s31
	v_mul_lo_u32 v8, v5, s30
	v_add3_u32 v7, v8, v7, v2
	global_load_ubyte v2, v[6:7], off
	s_waitcnt vmcnt(0)
	v_and_b32_e32 v6, v2, v29
	v_cmp_eq_u32_sdwa s27, v6, v26 src0_sel:BYTE_0 src1_sel:DWORD
	s_and_b32 exec_lo, exec_lo, s27
	s_cbranch_execz .LBB123_302
; %bb.306:                              ;   in Loop: Header=BB123_304 Depth=2
	v_lshlrev_b16 v2, 8, v2
	v_or_b32_e32 v2, 1, v2
	ds_write_b16 v3, v2 offset:3072
	s_branch .LBB123_302
.LBB123_307:                            ;   in Loop: Header=BB123_304 Depth=2
	v_add_co_u32 v4, vcc_lo, v4, s33
	v_add_co_ci_u32_e64 v5, null, 0, v5, vcc_lo
	s_mov_b32 s25, 0
	v_cmp_le_u64_e32 vcc_lo, s[20:21], v[4:5]
	s_orn2_b32 s27, vcc_lo, exec_lo
	s_branch .LBB123_303
.LBB123_308:                            ;   in Loop: Header=BB123_12 Depth=1
	s_or_b32 exec_lo, exec_lo, s22
	v_lshrrev_b32_sdwa v30, v28, v2 dst_sel:DWORD dst_unused:UNUSED_PAD src0_sel:DWORD src1_sel:WORD_0
	s_andn2_b32 s8, s24, exec_lo
	s_and_b32 s20, s23, exec_lo
	s_or_b32 s24, s8, s20
.LBB123_309:                            ;   in Loop: Header=BB123_12 Depth=1
	s_or_b32 exec_lo, exec_lo, s9
	s_mov_b32 s27, 0
	s_mov_b32 s9, -1
.LBB123_310:                            ;   in Loop: Header=BB123_12 Depth=1
	s_orn2_b32 s20, s24, exec_lo
.LBB123_311:                            ;   in Loop: Header=BB123_12 Depth=1
	s_or_b32 exec_lo, exec_lo, s67
                                        ; implicit-def: $vgpr4_vgpr5
                                        ; implicit-def: $vgpr2
	s_and_saveexec_b32 s24, s20
	s_cbranch_execz .LBB123_469
; %bb.312:                              ;   in Loop: Header=BB123_12 Depth=1
	v_mov_b32_e32 v4, 1
	v_mov_b32_e32 v5, 0
	;; [unrolled: 1-line block ×3, first 2 shown]
	s_xor_b32 s21, s6, -1
	s_mov_b32 s20, 0
	s_and_saveexec_b32 s6, s21
	s_cbranch_execz .LBB123_321
; %bb.313:                              ;   in Loop: Header=BB123_12 Depth=1
	s_mov_b32 s20, exec_lo
	v_cmpx_ge_u64_e64 s[18:19], v[19:20]
	s_xor_b32 s20, exec_lo, s20
	s_cbranch_execz .LBB123_318
; %bb.314:                              ;   in Loop: Header=BB123_12 Depth=1
	ds_read_b64 v[4:5], v3 offset:5120
	v_or_b32_e32 v26, s11, v26
	v_or_b32_e32 v29, s11, v29
	s_waitcnt lgkmcnt(0)
	v_cmp_ne_u64_e32 vcc_lo, 0, v[4:5]
	s_cbranch_vccnz .LBB123_318
; %bb.315:                              ;   in Loop: Header=BB123_12 Depth=1
	s_and_saveexec_b32 s21, s3
; %bb.316:                              ;   in Loop: Header=BB123_12 Depth=1
	v_mov_b32_e32 v4, s18
	v_mov_b32_e32 v5, s19
	ds_write_b64 v3, v[4:5] offset:5128
; %bb.317:                              ;   in Loop: Header=BB123_12 Depth=1
	s_or_b32 exec_lo, exec_lo, s21
	s_waitcnt lgkmcnt(0)
	s_barrier
	buffer_gl0_inv
.LBB123_318:                            ;   in Loop: Header=BB123_12 Depth=1
	s_or_saveexec_b32 s20, s20
	v_mov_b32_e32 v2, 5
	s_mov_b32 s21, 0
	s_xor_b32 exec_lo, exec_lo, s20
; %bb.319:                              ;   in Loop: Header=BB123_12 Depth=1
	v_sub_co_u32 v19, vcc_lo, v19, s18
	v_subrev_co_ci_u32_e64 v20, null, s19, v20, vcc_lo
	v_mov_b32_e32 v2, 0
	s_mov_b32 s21, exec_lo
; %bb.320:                              ;   in Loop: Header=BB123_12 Depth=1
	s_or_b32 exec_lo, exec_lo, s20
	v_mov_b32_e32 v4, v19
	v_mov_b32_e32 v5, v20
	s_and_b32 s20, s21, exec_lo
.LBB123_321:                            ;   in Loop: Header=BB123_12 Depth=1
	s_or_b32 exec_lo, exec_lo, s6
	s_mov_b32 s18, -1
                                        ; implicit-def: $sgpr25
                                        ; implicit-def: $sgpr67
	s_and_saveexec_b32 s6, s20
	s_xor_b32 s6, exec_lo, s6
	s_cbranch_execz .LBB123_466
; %bb.322:                              ;   in Loop: Header=BB123_12 Depth=1
	v_cmp_eq_u64_e32 vcc_lo, 1, v[4:5]
	s_cmp_eq_u64 s[16:17], 1
                                        ; implicit-def: $sgpr67
                                        ; implicit-def: $sgpr25
	s_cselect_b32 s18, -1, 0
	s_and_b32 s68, s18, vcc_lo
	s_mov_b32 s18, -1
	s_and_saveexec_b32 s69, s68
	s_cbranch_execz .LBB123_356
; %bb.323:                              ;   in Loop: Header=BB123_12 Depth=1
	ds_read_b64 v[6:7], v3 offset:5120
	s_waitcnt lgkmcnt(0)
	s_barrier
	buffer_gl0_inv
	v_readfirstlane_b32 s18, v6
	v_readfirstlane_b32 s19, v7
	s_and_saveexec_b32 s20, s10
; %bb.324:                              ;   in Loop: Header=BB123_12 Depth=1
	ds_write_b8 v0, v3 offset:3072
; %bb.325:                              ;   in Loop: Header=BB123_12 Depth=1
	s_or_b32 exec_lo, exec_lo, s20
	s_lshl_b32 s20, 2, s93
	v_or_b32_e32 v29, s11, v29
	v_and_or_b32 v26, v26, s26, s20
	s_mov_b32 s25, -1
	s_mov_b32 s67, 0
	s_cmp_eq_u64 s[18:19], 0
	s_mov_b32 s22, 0
	s_mov_b32 s23, -1
	s_waitcnt lgkmcnt(0)
	s_barrier
	buffer_gl0_inv
                                        ; implicit-def: $vgpr30
	s_cbranch_scc1 .LBB123_341
; %bb.326:                              ;   in Loop: Header=BB123_12 Depth=1
	s_add_u32 s62, s18, s82
	s_addc_u32 s21, s19, s83
	s_mov_b32 s20, s61
	s_cmp_lg_u64 s[20:21], 0
	s_cbranch_scc0 .LBB123_382
; %bb.327:                              ;   in Loop: Header=BB123_12 Depth=1
	v_cvt_f32_u32_e32 v6, s33
	s_sub_u32 s23, 0, s33
	s_subb_u32 s40, 0, 0
	v_fmac_f32_e64 v6, 0x4f800000, 0
	v_rcp_f32_e32 v6, v6
	v_mul_f32_e32 v6, 0x5f7ffffc, v6
	v_mul_f32_e32 v7, 0x2f800000, v6
	v_trunc_f32_e32 v7, v7
	v_fmac_f32_e32 v6, 0xcf800000, v7
	v_cvt_u32_f32_e32 v7, v7
	v_cvt_u32_f32_e32 v6, v6
	v_readfirstlane_b32 s20, v7
	v_readfirstlane_b32 s22, v6
	s_mul_i32 s41, s23, s20
	s_mul_hi_u32 s43, s23, s22
	s_mul_i32 s42, s40, s22
	s_add_i32 s41, s43, s41
	s_mul_i32 s58, s23, s22
	s_add_i32 s41, s41, s42
	s_mul_hi_u32 s43, s22, s58
	s_mul_i32 s60, s22, s41
	s_mul_hi_u32 s59, s20, s58
	s_mul_i32 s42, s20, s58
	s_mul_hi_u32 s58, s22, s41
	s_add_u32 s43, s43, s60
	s_addc_u32 s58, 0, s58
	s_mul_hi_u32 s70, s20, s41
	s_add_u32 s42, s43, s42
	s_mul_i32 s41, s20, s41
	s_addc_u32 s42, s58, s59
	s_addc_u32 s43, s70, 0
	s_add_u32 s41, s42, s41
	s_addc_u32 s42, 0, s43
	s_add_u32 s22, s22, s41
	s_cselect_b32 s41, -1, 0
	s_mul_hi_u32 s43, s23, s22
	s_cmp_lg_u32 s41, 0
	s_mul_i32 s41, s23, s22
	s_addc_u32 s20, s20, s42
	s_mul_i32 s40, s40, s22
	s_mul_i32 s23, s23, s20
	s_mul_hi_u32 s42, s22, s41
	s_add_i32 s23, s43, s23
	s_mul_hi_u32 s43, s20, s41
	s_add_i32 s23, s23, s40
	s_mul_i32 s40, s20, s41
	s_mul_i32 s59, s22, s23
	s_mul_hi_u32 s58, s22, s23
	s_add_u32 s42, s42, s59
	s_addc_u32 s58, 0, s58
	s_mul_hi_u32 s41, s20, s23
	s_add_u32 s40, s42, s40
	s_mul_i32 s23, s20, s23
	s_addc_u32 s40, s58, s43
	s_addc_u32 s41, s41, 0
	s_add_u32 s23, s40, s23
	s_addc_u32 s40, 0, s41
	s_add_u32 s22, s22, s23
	s_cselect_b32 s23, -1, 0
	s_mul_hi_u32 s41, s62, s22
	s_cmp_lg_u32 s23, 0
	s_mul_hi_u32 s23, s21, s22
	s_addc_u32 s20, s20, s40
	s_mul_i32 s22, s21, s22
	s_mul_i32 s42, s62, s20
	s_mul_hi_u32 s40, s62, s20
	s_add_u32 s41, s41, s42
	s_addc_u32 s40, 0, s40
	s_mul_hi_u32 s43, s21, s20
	s_add_u32 s22, s41, s22
	s_mul_i32 s20, s21, s20
	s_addc_u32 s22, s40, s23
	s_addc_u32 s23, s43, 0
	s_add_u32 s20, s22, s20
	s_addc_u32 s22, 0, s23
	s_mul_hi_u32 s23, s33, s20
	s_mul_i32 s22, s33, s22
	s_mul_i32 s20, s33, s20
	s_add_i32 s23, s23, s22
	s_sub_u32 s20, s62, s20
	s_cselect_b32 s22, -1, 0
	s_cmp_lg_u32 s22, 0
	s_subb_u32 s22, s21, s23
	s_sub_u32 s23, s20, s33
	s_cselect_b32 s40, -1, 0
	s_cmp_lg_u32 s40, 0
	s_subb_u32 s40, s22, 0
	;; [unrolled: 4-line block ×3, first 2 shown]
	s_cmp_ge_u32 s23, s33
	s_cselect_b32 s43, -1, 0
	s_cmp_eq_u32 s40, 0
	s_cselect_b32 s43, s43, -1
	s_cmp_lg_u32 s43, 0
	s_cselect_b32 s40, s42, s40
	s_cselect_b32 s41, s41, s23
	s_cmp_ge_u32 s20, s33
	s_cselect_b32 s23, -1, 0
	s_cmp_eq_u32 s22, 0
	s_cselect_b32 s23, s23, -1
	s_cmp_lg_u32 s23, 0
	s_cselect_b32 s23, s40, s22
	s_cselect_b32 s22, s41, s20
	s_cbranch_execnz .LBB123_329
.LBB123_328:                            ;   in Loop: Header=BB123_12 Depth=1
	v_cvt_f32_u32_e32 v6, s33
	s_sub_i32 s22, 0, s33
	v_rcp_iflag_f32_e32 v6, v6
	v_mul_f32_e32 v6, 0x4f7ffffe, v6
	v_cvt_u32_f32_e32 v6, v6
	v_readfirstlane_b32 s20, v6
	s_mul_i32 s22, s22, s20
	s_mul_hi_u32 s22, s20, s22
	s_add_i32 s20, s20, s22
	s_mul_hi_u32 s20, s62, s20
	s_mul_i32 s20, s20, s33
	s_sub_i32 s20, s62, s20
	s_sub_i32 s22, s20, s33
	s_cmp_ge_u32 s20, s33
	s_cselect_b32 s20, s22, s20
	s_sub_i32 s22, s20, s33
	s_cmp_ge_u32 s20, s33
	s_cselect_b32 s60, s22, s20
	s_mov_b64 s[22:23], s[60:61]
.LBB123_329:                            ;   in Loop: Header=BB123_12 Depth=1
	s_sub_u32 s20, s62, s22
	s_subb_u32 s21, s21, s23
	s_mov_b32 s23, 0
	s_mov_b32 s22, 0
	s_mov_b32 s58, exec_lo
                                        ; implicit-def: $vgpr30
	v_cmpx_gt_u64_e64 s[20:21], v[0:1]
	s_cbranch_execz .LBB123_340
; %bb.330:                              ;   in Loop: Header=BB123_12 Depth=1
	v_mov_b32_e32 v7, v1
	v_mov_b32_e32 v8, v0
	v_mov_b32_e32 v6, v0
                                        ; implicit-def: $sgpr59
	s_inst_prefetch 0x1
	s_branch .LBB123_333
	.p2align	6
.LBB123_331:                            ;   in Loop: Header=BB123_333 Depth=2
	s_or_b32 exec_lo, exec_lo, s60
	s_waitcnt lgkmcnt(0)
	s_barrier
	buffer_gl0_inv
	ds_read_u16 v9, v3 offset:3072
	s_mov_b32 s40, -1
	s_waitcnt lgkmcnt(0)
	s_barrier
	buffer_gl0_inv
	v_cmp_ne_u32_sdwa s41, v9, v3 src0_sel:BYTE_0 src1_sel:DWORD
	s_and_b32 vcc_lo, exec_lo, s41
	s_mov_b32 s41, -1
	s_cbranch_vccz .LBB123_336
.LBB123_332:                            ;   in Loop: Header=BB123_333 Depth=2
	s_and_b32 s8, exec_lo, s40
	s_or_b32 s22, s8, s22
	s_andn2_b32 s8, s59, exec_lo
	s_and_b32 s40, s41, exec_lo
	s_or_b32 s59, s8, s40
	s_andn2_b32 exec_lo, exec_lo, s22
	s_cbranch_execz .LBB123_339
.LBB123_333:                            ;   Parent Loop BB123_12 Depth=1
                                        ; =>  This Inner Loop Header: Depth=2
	s_mov_b32 s60, exec_lo
	v_cmpx_gt_u64_e64 s[18:19], v[6:7]
	s_cbranch_execz .LBB123_331
; %bb.334:                              ;   in Loop: Header=BB123_333 Depth=2
	ds_read_u8 v9, v8
	s_waitcnt lgkmcnt(0)
	v_and_b32_e32 v10, v9, v29
	v_cmp_eq_u32_sdwa s40, v10, v26 src0_sel:BYTE_0 src1_sel:DWORD
	s_and_b32 exec_lo, exec_lo, s40
	s_cbranch_execz .LBB123_331
; %bb.335:                              ;   in Loop: Header=BB123_333 Depth=2
	v_lshlrev_b16 v9, 8, v9
	v_or_b32_e32 v9, 1, v9
	ds_write_b16 v3, v9 offset:3072
	s_branch .LBB123_331
.LBB123_336:                            ;   in Loop: Header=BB123_333 Depth=2
	v_add_co_u32 v6, vcc_lo, v6, s33
	v_add_co_ci_u32_e64 v7, null, 0, v7, vcc_lo
	v_add_nc_u32_e32 v8, s33, v8
	s_mov_b32 s41, 0
	v_cmp_le_u64_e32 vcc_lo, s[20:21], v[6:7]
	s_orn2_b32 s40, vcc_lo, exec_lo
	s_branch .LBB123_332
.LBB123_337:                            ;   in Loop: Header=BB123_12 Depth=1
                                        ; implicit-def: $sgpr24_sgpr25
	s_branch .LBB123_284
.LBB123_338:                            ;   in Loop: Header=BB123_12 Depth=1
                                        ; implicit-def: $sgpr20_sgpr21
	s_branch .LBB123_299
.LBB123_339:                            ;   in Loop: Header=BB123_12 Depth=1
	s_inst_prefetch 0x2
	s_or_b32 exec_lo, exec_lo, s22
	v_lshrrev_b32_sdwa v30, v28, v9 dst_sel:DWORD dst_unused:UNUSED_PAD src0_sel:DWORD src1_sel:WORD_0
	s_and_b32 s22, s59, exec_lo
.LBB123_340:                            ;   in Loop: Header=BB123_12 Depth=1
	s_or_b32 exec_lo, exec_lo, s58
.LBB123_341:                            ;   in Loop: Header=BB123_12 Depth=1
	s_and_b32 vcc_lo, exec_lo, s23
	s_cbranch_vccz .LBB123_355
; %bb.342:                              ;   in Loop: Header=BB123_12 Depth=1
	s_mov_b32 s62, s61
	s_cmp_lg_u64 s[62:63], 0
	s_cbranch_scc0 .LBB123_383
; %bb.343:                              ;   in Loop: Header=BB123_12 Depth=1
	v_cvt_f32_u32_e32 v6, s33
	s_sub_u32 s20, 0, s33
	s_subb_u32 s21, 0, 0
	v_fmac_f32_e64 v6, 0x4f800000, 0
	v_rcp_f32_e32 v6, v6
	v_mul_f32_e32 v6, 0x5f7ffffc, v6
	v_mul_f32_e32 v7, 0x2f800000, v6
	v_trunc_f32_e32 v7, v7
	v_fmac_f32_e32 v6, 0xcf800000, v7
	v_cvt_u32_f32_e32 v7, v7
	v_cvt_u32_f32_e32 v6, v6
	v_readfirstlane_b32 s18, v7
	v_readfirstlane_b32 s19, v6
	s_mul_i32 s23, s20, s18
	s_mul_hi_u32 s40, s20, s19
	s_mul_i32 s25, s21, s19
	s_add_i32 s23, s40, s23
	s_mul_i32 s41, s20, s19
	s_add_i32 s23, s23, s25
	s_mul_hi_u32 s40, s19, s41
	s_mul_i32 s43, s19, s23
	s_mul_hi_u32 s42, s18, s41
	s_mul_i32 s25, s18, s41
	s_mul_hi_u32 s41, s19, s23
	s_add_u32 s40, s40, s43
	s_addc_u32 s41, 0, s41
	s_mul_hi_u32 s58, s18, s23
	s_add_u32 s25, s40, s25
	s_mul_i32 s23, s18, s23
	s_addc_u32 s25, s41, s42
	s_addc_u32 s40, s58, 0
	s_add_u32 s23, s25, s23
	s_addc_u32 s25, 0, s40
	s_add_u32 s19, s19, s23
	s_cselect_b32 s23, -1, 0
	s_mul_hi_u32 s40, s20, s19
	s_cmp_lg_u32 s23, 0
	s_mul_i32 s23, s20, s19
	s_addc_u32 s18, s18, s25
	s_mul_i32 s21, s21, s19
	s_mul_i32 s20, s20, s18
	s_mul_hi_u32 s25, s19, s23
	s_add_i32 s20, s40, s20
	s_mul_hi_u32 s40, s18, s23
	s_add_i32 s20, s20, s21
	s_mul_i32 s21, s18, s23
	s_mul_i32 s42, s19, s20
	s_mul_hi_u32 s41, s19, s20
	s_add_u32 s25, s25, s42
	s_addc_u32 s41, 0, s41
	s_mul_hi_u32 s23, s18, s20
	s_add_u32 s21, s25, s21
	s_mul_i32 s20, s18, s20
	s_addc_u32 s21, s41, s40
	s_addc_u32 s23, s23, 0
	s_add_u32 s20, s21, s20
	s_addc_u32 s21, 0, s23
	s_add_u32 s19, s19, s20
	s_cselect_b32 s20, -1, 0
	s_mul_hi_u32 s23, s84, s19
	s_cmp_lg_u32 s20, 0
	s_mul_hi_u32 s20, s63, s19
	s_addc_u32 s18, s18, s21
	s_mul_i32 s19, s63, s19
	s_mul_i32 s25, s84, s18
	s_mul_hi_u32 s21, s84, s18
	s_add_u32 s23, s23, s25
	s_addc_u32 s21, 0, s21
	s_mul_hi_u32 s40, s63, s18
	s_add_u32 s19, s23, s19
	s_mul_i32 s18, s63, s18
	s_addc_u32 s19, s21, s20
	s_addc_u32 s20, s40, 0
	s_add_u32 s18, s19, s18
	s_addc_u32 s19, 0, s20
	s_mul_hi_u32 s20, s33, s18
	s_mul_i32 s19, s33, s19
	s_mul_i32 s18, s33, s18
	s_add_i32 s20, s20, s19
	s_sub_u32 s18, s84, s18
	s_cselect_b32 s19, -1, 0
	s_cmp_lg_u32 s19, 0
	s_subb_u32 s19, s63, s20
	s_sub_u32 s20, s18, s33
	s_cselect_b32 s21, -1, 0
	s_cmp_lg_u32 s21, 0
	s_subb_u32 s21, s19, 0
	;; [unrolled: 4-line block ×3, first 2 shown]
	s_cmp_ge_u32 s20, s33
	s_cselect_b32 s40, -1, 0
	s_cmp_eq_u32 s21, 0
	s_cselect_b32 s40, s40, -1
	s_cmp_lg_u32 s40, 0
	s_cselect_b32 s21, s25, s21
	s_cselect_b32 s20, s23, s20
	s_cmp_ge_u32 s18, s33
	s_cselect_b32 s23, -1, 0
	s_cmp_eq_u32 s19, 0
	s_cselect_b32 s23, s23, -1
	s_cmp_lg_u32 s23, 0
	s_cselect_b32 s19, s21, s19
	s_cselect_b32 s18, s20, s18
	s_cbranch_execnz .LBB123_345
.LBB123_344:                            ;   in Loop: Header=BB123_12 Depth=1
	v_cvt_f32_u32_e32 v6, s33
	s_sub_i32 s19, 0, s33
	v_rcp_iflag_f32_e32 v6, v6
	v_mul_f32_e32 v6, 0x4f7ffffe, v6
	v_cvt_u32_f32_e32 v6, v6
	v_readfirstlane_b32 s18, v6
	s_mul_i32 s19, s19, s18
	s_mul_hi_u32 s19, s18, s19
	s_add_i32 s18, s18, s19
	s_mul_hi_u32 s18, s84, s18
	s_mul_i32 s18, s18, s33
	s_sub_i32 s18, s84, s18
	s_sub_i32 s19, s18, s33
	s_cmp_ge_u32 s18, s33
	s_cselect_b32 s18, s19, s18
	s_sub_i32 s19, s18, s33
	s_cmp_ge_u32 s18, s33
	s_cselect_b32 s60, s19, s18
	s_mov_b64 s[18:19], s[60:61]
.LBB123_345:                            ;   in Loop: Header=BB123_12 Depth=1
	s_sub_u32 s18, s84, s18
	s_subb_u32 s19, s63, s19
	s_mov_b32 s20, exec_lo
                                        ; implicit-def: $vgpr30
	v_cmpx_gt_u64_e64 s[18:19], v[0:1]
	s_cbranch_execz .LBB123_354
; %bb.346:                              ;   in Loop: Header=BB123_12 Depth=1
	v_mov_b32_e32 v7, v1
	v_mov_b32_e32 v6, v0
	s_mov_b32 s21, 0
                                        ; implicit-def: $sgpr23
	s_branch .LBB123_349
.LBB123_347:                            ;   in Loop: Header=BB123_349 Depth=2
	s_or_b32 exec_lo, exec_lo, s25
	s_waitcnt lgkmcnt(0)
	s_barrier
	buffer_gl0_inv
	ds_read_u16 v8, v3 offset:3072
	s_mov_b32 s40, -1
	s_waitcnt lgkmcnt(0)
	s_barrier
	buffer_gl0_inv
	v_cmp_eq_u32_sdwa s25, v8, v3 src0_sel:BYTE_0 src1_sel:DWORD
	s_and_b32 vcc_lo, exec_lo, s25
	s_mov_b32 s25, -1
	s_cbranch_vccnz .LBB123_352
.LBB123_348:                            ;   in Loop: Header=BB123_349 Depth=2
	s_and_b32 s8, exec_lo, s40
	s_or_b32 s21, s8, s21
	s_andn2_b32 s8, s23, exec_lo
	s_and_b32 s23, s25, exec_lo
	s_or_b32 s23, s8, s23
	s_andn2_b32 exec_lo, exec_lo, s21
	s_cbranch_execz .LBB123_353
.LBB123_349:                            ;   Parent Loop BB123_12 Depth=1
                                        ; =>  This Inner Loop Header: Depth=2
	s_mov_b32 s25, exec_lo
	v_cmpx_gt_u64_e64 s[36:37], v[6:7]
	s_cbranch_execz .LBB123_347
; %bb.350:                              ;   in Loop: Header=BB123_349 Depth=2
	v_mad_u64_u32 v[8:9], null, v6, s30, s[28:29]
	v_mul_lo_u32 v10, v6, s31
	v_mul_lo_u32 v11, v7, s30
	v_add3_u32 v9, v11, v9, v10
	global_load_ubyte v8, v[8:9], off
	s_waitcnt vmcnt(0)
	v_and_b32_e32 v9, v8, v29
	v_cmp_eq_u32_sdwa s40, v9, v26 src0_sel:BYTE_0 src1_sel:DWORD
	s_and_b32 exec_lo, exec_lo, s40
	s_cbranch_execz .LBB123_347
; %bb.351:                              ;   in Loop: Header=BB123_349 Depth=2
	v_lshlrev_b16 v8, 8, v8
	v_or_b32_e32 v8, 1, v8
	ds_write_b16 v3, v8 offset:3072
	s_branch .LBB123_347
.LBB123_352:                            ;   in Loop: Header=BB123_349 Depth=2
	v_add_co_u32 v6, vcc_lo, v6, s33
	v_add_co_ci_u32_e64 v7, null, 0, v7, vcc_lo
	s_mov_b32 s25, 0
	v_cmp_le_u64_e32 vcc_lo, s[18:19], v[6:7]
	s_orn2_b32 s40, vcc_lo, exec_lo
	s_branch .LBB123_348
.LBB123_353:                            ;   in Loop: Header=BB123_12 Depth=1
	s_or_b32 exec_lo, exec_lo, s21
	v_lshrrev_b32_sdwa v30, v28, v8 dst_sel:DWORD dst_unused:UNUSED_PAD src0_sel:DWORD src1_sel:WORD_0
	s_andn2_b32 s8, s22, exec_lo
	s_and_b32 s18, s23, exec_lo
	s_or_b32 s22, s8, s18
.LBB123_354:                            ;   in Loop: Header=BB123_12 Depth=1
	s_or_b32 exec_lo, exec_lo, s20
	s_mov_b32 s25, 0
	s_mov_b32 s67, -1
.LBB123_355:                            ;   in Loop: Header=BB123_12 Depth=1
	s_orn2_b32 s18, s22, exec_lo
.LBB123_356:                            ;   in Loop: Header=BB123_12 Depth=1
	s_or_b32 exec_lo, exec_lo, s69
	s_mov_b32 s19, 0
	s_and_saveexec_b32 s22, s18
	s_cbranch_execz .LBB123_465
; %bb.357:                              ;   in Loop: Header=BB123_12 Depth=1
	v_mov_b32_e32 v6, 1
	v_mov_b32_e32 v7, 0
	;; [unrolled: 1-line block ×3, first 2 shown]
	s_xor_b32 s20, s68, -1
	s_and_saveexec_b32 s18, s20
	s_cbranch_execz .LBB123_366
; %bb.358:                              ;   in Loop: Header=BB123_12 Depth=1
	s_mov_b32 s19, exec_lo
	v_cmpx_ge_u64_e64 s[16:17], v[4:5]
	s_xor_b32 s19, exec_lo, s19
	s_cbranch_execz .LBB123_363
; %bb.359:                              ;   in Loop: Header=BB123_12 Depth=1
	ds_read_b64 v[6:7], v3 offset:5120
	s_lshl_b32 s20, 2, s93
	v_or_b32_e32 v29, s11, v29
	v_and_or_b32 v26, v26, s26, s20
	s_waitcnt lgkmcnt(0)
	v_cmp_ne_u64_e32 vcc_lo, 0, v[6:7]
	s_cbranch_vccnz .LBB123_363
; %bb.360:                              ;   in Loop: Header=BB123_12 Depth=1
	s_and_saveexec_b32 s20, s3
; %bb.361:                              ;   in Loop: Header=BB123_12 Depth=1
	v_mov_b32_e32 v6, s16
	v_mov_b32_e32 v7, s17
	ds_write_b64 v3, v[6:7] offset:5128
; %bb.362:                              ;   in Loop: Header=BB123_12 Depth=1
	s_or_b32 exec_lo, exec_lo, s20
	s_waitcnt lgkmcnt(0)
	s_barrier
	buffer_gl0_inv
.LBB123_363:                            ;   in Loop: Header=BB123_12 Depth=1
	s_or_saveexec_b32 s19, s19
	v_mov_b32_e32 v2, 5
	s_mov_b32 s20, 0
	s_xor_b32 exec_lo, exec_lo, s19
; %bb.364:                              ;   in Loop: Header=BB123_12 Depth=1
	v_sub_co_u32 v4, vcc_lo, v4, s16
	v_subrev_co_ci_u32_e64 v5, null, s17, v5, vcc_lo
	v_mov_b32_e32 v2, 0
	s_mov_b32 s20, exec_lo
; %bb.365:                              ;   in Loop: Header=BB123_12 Depth=1
	s_or_b32 exec_lo, exec_lo, s19
	v_mov_b32_e32 v7, v5
	v_mov_b32_e32 v6, v4
	s_and_b32 s19, s20, exec_lo
.LBB123_366:                            ;   in Loop: Header=BB123_12 Depth=1
	s_or_b32 exec_lo, exec_lo, s18
	s_mov_b32 s16, -1
                                        ; implicit-def: $sgpr68
                                        ; implicit-def: $sgpr69
	s_and_saveexec_b32 s23, s19
	s_cbranch_execz .LBB123_464
; %bb.367:                              ;   in Loop: Header=BB123_12 Depth=1
	v_cmp_eq_u64_e32 vcc_lo, 1, v[6:7]
	s_cmp_eq_u64 s[14:15], 1
                                        ; implicit-def: $sgpr69
                                        ; implicit-def: $sgpr68
	s_cselect_b32 s16, -1, 0
	s_and_b32 s70, s16, vcc_lo
	s_mov_b32 s16, -1
	s_and_saveexec_b32 s71, s70
	s_cbranch_execz .LBB123_401
; %bb.368:                              ;   in Loop: Header=BB123_12 Depth=1
	ds_read_b64 v[4:5], v3 offset:5120
	s_waitcnt lgkmcnt(0)
	s_barrier
	buffer_gl0_inv
	v_readfirstlane_b32 s16, v4
	v_readfirstlane_b32 s17, v5
	s_and_saveexec_b32 s18, s10
; %bb.369:                              ;   in Loop: Header=BB123_12 Depth=1
	ds_write_b8 v0, v3 offset:3072
; %bb.370:                              ;   in Loop: Header=BB123_12 Depth=1
	s_or_b32 exec_lo, exec_lo, s18
	s_lshl_b32 s18, 1, s93
	v_or_b32_e32 v29, s11, v29
	v_and_or_b32 v26, v26, s26, s18
	s_mov_b32 s68, -1
	s_mov_b32 s69, 0
	s_cmp_eq_u64 s[16:17], 0
	s_mov_b32 s20, 0
	s_mov_b32 s21, -1
	s_waitcnt lgkmcnt(0)
	s_barrier
	buffer_gl0_inv
                                        ; implicit-def: $vgpr30
	s_cbranch_scc1 .LBB123_386
; %bb.371:                              ;   in Loop: Header=BB123_12 Depth=1
	s_add_u32 s62, s16, s82
	s_addc_u32 s19, s17, s83
	s_mov_b32 s18, s61
	s_cmp_lg_u64 s[18:19], 0
	s_cbranch_scc0 .LBB123_418
; %bb.372:                              ;   in Loop: Header=BB123_12 Depth=1
	v_cvt_f32_u32_e32 v4, s33
	s_sub_u32 s21, 0, s33
	s_subb_u32 s40, 0, 0
	v_fmac_f32_e64 v4, 0x4f800000, 0
	v_rcp_f32_e32 v4, v4
	v_mul_f32_e32 v4, 0x5f7ffffc, v4
	v_mul_f32_e32 v5, 0x2f800000, v4
	v_trunc_f32_e32 v5, v5
	v_fmac_f32_e32 v4, 0xcf800000, v5
	v_cvt_u32_f32_e32 v5, v5
	v_cvt_u32_f32_e32 v4, v4
	v_readfirstlane_b32 s18, v5
	v_readfirstlane_b32 s20, v4
	s_mul_i32 s41, s21, s18
	s_mul_hi_u32 s43, s21, s20
	s_mul_i32 s42, s40, s20
	s_add_i32 s41, s43, s41
	s_mul_i32 s58, s21, s20
	s_add_i32 s41, s41, s42
	s_mul_hi_u32 s43, s20, s58
	s_mul_i32 s60, s20, s41
	s_mul_hi_u32 s59, s18, s58
	s_mul_i32 s42, s18, s58
	s_mul_hi_u32 s58, s20, s41
	s_add_u32 s43, s43, s60
	s_addc_u32 s58, 0, s58
	s_mul_hi_u32 s72, s18, s41
	s_add_u32 s42, s43, s42
	s_mul_i32 s41, s18, s41
	s_addc_u32 s42, s58, s59
	s_addc_u32 s43, s72, 0
	s_add_u32 s41, s42, s41
	s_addc_u32 s42, 0, s43
	s_add_u32 s20, s20, s41
	s_cselect_b32 s41, -1, 0
	s_mul_hi_u32 s43, s21, s20
	s_cmp_lg_u32 s41, 0
	s_mul_i32 s41, s21, s20
	s_addc_u32 s18, s18, s42
	s_mul_i32 s40, s40, s20
	s_mul_i32 s21, s21, s18
	s_mul_hi_u32 s42, s20, s41
	s_add_i32 s21, s43, s21
	s_mul_hi_u32 s43, s18, s41
	s_add_i32 s21, s21, s40
	s_mul_i32 s40, s18, s41
	s_mul_i32 s59, s20, s21
	s_mul_hi_u32 s58, s20, s21
	s_add_u32 s42, s42, s59
	s_addc_u32 s58, 0, s58
	s_mul_hi_u32 s41, s18, s21
	s_add_u32 s40, s42, s40
	s_mul_i32 s21, s18, s21
	s_addc_u32 s40, s58, s43
	s_addc_u32 s41, s41, 0
	s_add_u32 s21, s40, s21
	s_addc_u32 s40, 0, s41
	s_add_u32 s20, s20, s21
	s_cselect_b32 s21, -1, 0
	s_mul_hi_u32 s41, s62, s20
	s_cmp_lg_u32 s21, 0
	s_mul_hi_u32 s21, s19, s20
	s_addc_u32 s18, s18, s40
	s_mul_i32 s20, s19, s20
	s_mul_i32 s42, s62, s18
	s_mul_hi_u32 s40, s62, s18
	s_add_u32 s41, s41, s42
	s_addc_u32 s40, 0, s40
	s_mul_hi_u32 s43, s19, s18
	s_add_u32 s20, s41, s20
	s_mul_i32 s18, s19, s18
	s_addc_u32 s20, s40, s21
	s_addc_u32 s21, s43, 0
	s_add_u32 s18, s20, s18
	s_addc_u32 s20, 0, s21
	s_mul_hi_u32 s21, s33, s18
	s_mul_i32 s20, s33, s20
	s_mul_i32 s18, s33, s18
	s_add_i32 s21, s21, s20
	s_sub_u32 s18, s62, s18
	s_cselect_b32 s20, -1, 0
	s_cmp_lg_u32 s20, 0
	s_subb_u32 s20, s19, s21
	s_sub_u32 s21, s18, s33
	s_cselect_b32 s40, -1, 0
	s_cmp_lg_u32 s40, 0
	s_subb_u32 s40, s20, 0
	;; [unrolled: 4-line block ×3, first 2 shown]
	s_cmp_ge_u32 s21, s33
	s_cselect_b32 s43, -1, 0
	s_cmp_eq_u32 s40, 0
	s_cselect_b32 s43, s43, -1
	s_cmp_lg_u32 s43, 0
	s_cselect_b32 s40, s42, s40
	s_cselect_b32 s41, s41, s21
	s_cmp_ge_u32 s18, s33
	s_cselect_b32 s21, -1, 0
	s_cmp_eq_u32 s20, 0
	s_cselect_b32 s21, s21, -1
	s_cmp_lg_u32 s21, 0
	s_cselect_b32 s21, s40, s20
	s_cselect_b32 s20, s41, s18
	s_cbranch_execnz .LBB123_374
.LBB123_373:                            ;   in Loop: Header=BB123_12 Depth=1
	v_cvt_f32_u32_e32 v4, s33
	s_sub_i32 s20, 0, s33
	v_rcp_iflag_f32_e32 v4, v4
	v_mul_f32_e32 v4, 0x4f7ffffe, v4
	v_cvt_u32_f32_e32 v4, v4
	v_readfirstlane_b32 s18, v4
	s_mul_i32 s20, s20, s18
	s_mul_hi_u32 s20, s18, s20
	s_add_i32 s18, s18, s20
	s_mul_hi_u32 s18, s62, s18
	s_mul_i32 s18, s18, s33
	s_sub_i32 s18, s62, s18
	s_sub_i32 s20, s18, s33
	s_cmp_ge_u32 s18, s33
	s_cselect_b32 s18, s20, s18
	s_sub_i32 s20, s18, s33
	s_cmp_ge_u32 s18, s33
	s_cselect_b32 s60, s20, s18
	s_mov_b64 s[20:21], s[60:61]
.LBB123_374:                            ;   in Loop: Header=BB123_12 Depth=1
	s_sub_u32 s18, s62, s20
	s_subb_u32 s19, s19, s21
	s_mov_b32 s21, 0
	s_mov_b32 s20, 0
	s_mov_b32 s58, exec_lo
                                        ; implicit-def: $vgpr30
	v_cmpx_gt_u64_e64 s[18:19], v[0:1]
	s_cbranch_execz .LBB123_385
; %bb.375:                              ;   in Loop: Header=BB123_12 Depth=1
	v_mov_b32_e32 v5, v1
	v_mov_b32_e32 v8, v0
	;; [unrolled: 1-line block ×3, first 2 shown]
                                        ; implicit-def: $sgpr59
	s_inst_prefetch 0x1
	s_branch .LBB123_378
	.p2align	6
.LBB123_376:                            ;   in Loop: Header=BB123_378 Depth=2
	s_or_b32 exec_lo, exec_lo, s60
	s_waitcnt lgkmcnt(0)
	s_barrier
	buffer_gl0_inv
	ds_read_u16 v9, v3 offset:3072
	s_mov_b32 s40, -1
	s_waitcnt lgkmcnt(0)
	s_barrier
	buffer_gl0_inv
	v_cmp_ne_u32_sdwa s41, v9, v3 src0_sel:BYTE_0 src1_sel:DWORD
	s_and_b32 vcc_lo, exec_lo, s41
	s_mov_b32 s41, -1
	s_cbranch_vccz .LBB123_381
.LBB123_377:                            ;   in Loop: Header=BB123_378 Depth=2
	s_and_b32 s8, exec_lo, s40
	s_or_b32 s20, s8, s20
	s_andn2_b32 s8, s59, exec_lo
	s_and_b32 s40, s41, exec_lo
	s_or_b32 s59, s8, s40
	s_andn2_b32 exec_lo, exec_lo, s20
	s_cbranch_execz .LBB123_384
.LBB123_378:                            ;   Parent Loop BB123_12 Depth=1
                                        ; =>  This Inner Loop Header: Depth=2
	s_mov_b32 s60, exec_lo
	v_cmpx_gt_u64_e64 s[16:17], v[4:5]
	s_cbranch_execz .LBB123_376
; %bb.379:                              ;   in Loop: Header=BB123_378 Depth=2
	ds_read_u8 v9, v8
	s_waitcnt lgkmcnt(0)
	v_and_b32_e32 v10, v9, v29
	v_cmp_eq_u32_sdwa s40, v10, v26 src0_sel:BYTE_0 src1_sel:DWORD
	s_and_b32 exec_lo, exec_lo, s40
	s_cbranch_execz .LBB123_376
; %bb.380:                              ;   in Loop: Header=BB123_378 Depth=2
	v_lshlrev_b16 v9, 8, v9
	v_or_b32_e32 v9, 1, v9
	ds_write_b16 v3, v9 offset:3072
	s_branch .LBB123_376
.LBB123_381:                            ;   in Loop: Header=BB123_378 Depth=2
	v_add_co_u32 v4, vcc_lo, v4, s33
	v_add_co_ci_u32_e64 v5, null, 0, v5, vcc_lo
	v_add_nc_u32_e32 v8, s33, v8
	s_mov_b32 s41, 0
	v_cmp_le_u64_e32 vcc_lo, s[18:19], v[4:5]
	s_orn2_b32 s40, vcc_lo, exec_lo
	s_branch .LBB123_377
.LBB123_382:                            ;   in Loop: Header=BB123_12 Depth=1
                                        ; implicit-def: $sgpr22_sgpr23
	s_branch .LBB123_328
.LBB123_383:                            ;   in Loop: Header=BB123_12 Depth=1
                                        ; implicit-def: $sgpr18_sgpr19
	s_branch .LBB123_344
.LBB123_384:                            ;   in Loop: Header=BB123_12 Depth=1
	s_inst_prefetch 0x2
	s_or_b32 exec_lo, exec_lo, s20
	v_lshrrev_b32_sdwa v30, v28, v9 dst_sel:DWORD dst_unused:UNUSED_PAD src0_sel:DWORD src1_sel:WORD_0
	s_and_b32 s20, s59, exec_lo
.LBB123_385:                            ;   in Loop: Header=BB123_12 Depth=1
	s_or_b32 exec_lo, exec_lo, s58
.LBB123_386:                            ;   in Loop: Header=BB123_12 Depth=1
	s_and_b32 vcc_lo, exec_lo, s21
	s_cbranch_vccz .LBB123_400
; %bb.387:                              ;   in Loop: Header=BB123_12 Depth=1
	s_mov_b32 s62, s61
	s_cmp_lg_u64 s[62:63], 0
	s_cbranch_scc0 .LBB123_419
; %bb.388:                              ;   in Loop: Header=BB123_12 Depth=1
	v_cvt_f32_u32_e32 v4, s33
	s_sub_u32 s18, 0, s33
	s_subb_u32 s19, 0, 0
	v_fmac_f32_e64 v4, 0x4f800000, 0
	v_rcp_f32_e32 v4, v4
	v_mul_f32_e32 v4, 0x5f7ffffc, v4
	v_mul_f32_e32 v5, 0x2f800000, v4
	v_trunc_f32_e32 v5, v5
	v_fmac_f32_e32 v4, 0xcf800000, v5
	v_cvt_u32_f32_e32 v5, v5
	v_cvt_u32_f32_e32 v4, v4
	v_readfirstlane_b32 s16, v5
	v_readfirstlane_b32 s17, v4
	s_mul_i32 s21, s18, s16
	s_mul_hi_u32 s41, s18, s17
	s_mul_i32 s40, s19, s17
	s_add_i32 s21, s41, s21
	s_mul_i32 s42, s18, s17
	s_add_i32 s21, s21, s40
	s_mul_hi_u32 s41, s17, s42
	s_mul_i32 s58, s17, s21
	s_mul_hi_u32 s43, s16, s42
	s_mul_i32 s40, s16, s42
	s_mul_hi_u32 s42, s17, s21
	s_add_u32 s41, s41, s58
	s_addc_u32 s42, 0, s42
	s_mul_hi_u32 s59, s16, s21
	s_add_u32 s40, s41, s40
	s_mul_i32 s21, s16, s21
	s_addc_u32 s40, s42, s43
	s_addc_u32 s41, s59, 0
	s_add_u32 s21, s40, s21
	s_addc_u32 s40, 0, s41
	s_add_u32 s17, s17, s21
	s_cselect_b32 s21, -1, 0
	s_mul_hi_u32 s41, s18, s17
	s_cmp_lg_u32 s21, 0
	s_mul_i32 s21, s18, s17
	s_addc_u32 s16, s16, s40
	s_mul_i32 s19, s19, s17
	s_mul_i32 s18, s18, s16
	s_mul_hi_u32 s40, s17, s21
	s_add_i32 s18, s41, s18
	s_mul_hi_u32 s41, s16, s21
	s_add_i32 s18, s18, s19
	s_mul_i32 s19, s16, s21
	s_mul_i32 s43, s17, s18
	s_mul_hi_u32 s42, s17, s18
	s_add_u32 s40, s40, s43
	s_addc_u32 s42, 0, s42
	s_mul_hi_u32 s21, s16, s18
	s_add_u32 s19, s40, s19
	s_mul_i32 s18, s16, s18
	s_addc_u32 s19, s42, s41
	s_addc_u32 s21, s21, 0
	s_add_u32 s18, s19, s18
	s_addc_u32 s19, 0, s21
	s_add_u32 s17, s17, s18
	s_cselect_b32 s18, -1, 0
	s_mul_hi_u32 s21, s84, s17
	s_cmp_lg_u32 s18, 0
	s_mul_hi_u32 s18, s63, s17
	s_addc_u32 s16, s16, s19
	s_mul_i32 s17, s63, s17
	s_mul_i32 s40, s84, s16
	s_mul_hi_u32 s19, s84, s16
	s_add_u32 s21, s21, s40
	s_addc_u32 s19, 0, s19
	s_mul_hi_u32 s41, s63, s16
	s_add_u32 s17, s21, s17
	s_mul_i32 s16, s63, s16
	s_addc_u32 s17, s19, s18
	s_addc_u32 s18, s41, 0
	s_add_u32 s16, s17, s16
	s_addc_u32 s17, 0, s18
	s_mul_hi_u32 s18, s33, s16
	s_mul_i32 s17, s33, s17
	s_mul_i32 s16, s33, s16
	s_add_i32 s18, s18, s17
	s_sub_u32 s16, s84, s16
	s_cselect_b32 s17, -1, 0
	s_cmp_lg_u32 s17, 0
	s_subb_u32 s17, s63, s18
	s_sub_u32 s18, s16, s33
	s_cselect_b32 s19, -1, 0
	s_cmp_lg_u32 s19, 0
	s_subb_u32 s19, s17, 0
	;; [unrolled: 4-line block ×3, first 2 shown]
	s_cmp_ge_u32 s18, s33
	s_cselect_b32 s41, -1, 0
	s_cmp_eq_u32 s19, 0
	s_cselect_b32 s41, s41, -1
	s_cmp_lg_u32 s41, 0
	s_cselect_b32 s19, s40, s19
	s_cselect_b32 s18, s21, s18
	s_cmp_ge_u32 s16, s33
	s_cselect_b32 s21, -1, 0
	s_cmp_eq_u32 s17, 0
	s_cselect_b32 s21, s21, -1
	s_cmp_lg_u32 s21, 0
	s_cselect_b32 s17, s19, s17
	s_cselect_b32 s16, s18, s16
	s_cbranch_execnz .LBB123_390
.LBB123_389:                            ;   in Loop: Header=BB123_12 Depth=1
	v_cvt_f32_u32_e32 v4, s33
	s_sub_i32 s17, 0, s33
	v_rcp_iflag_f32_e32 v4, v4
	v_mul_f32_e32 v4, 0x4f7ffffe, v4
	v_cvt_u32_f32_e32 v4, v4
	v_readfirstlane_b32 s16, v4
	s_mul_i32 s17, s17, s16
	s_mul_hi_u32 s17, s16, s17
	s_add_i32 s16, s16, s17
	s_mul_hi_u32 s16, s84, s16
	s_mul_i32 s16, s16, s33
	s_sub_i32 s16, s84, s16
	s_sub_i32 s17, s16, s33
	s_cmp_ge_u32 s16, s33
	s_cselect_b32 s16, s17, s16
	s_sub_i32 s17, s16, s33
	s_cmp_ge_u32 s16, s33
	s_cselect_b32 s60, s17, s16
	s_mov_b64 s[16:17], s[60:61]
.LBB123_390:                            ;   in Loop: Header=BB123_12 Depth=1
	s_sub_u32 s16, s84, s16
	s_subb_u32 s17, s63, s17
	s_mov_b32 s18, exec_lo
                                        ; implicit-def: $vgpr30
	v_cmpx_gt_u64_e64 s[16:17], v[0:1]
	s_cbranch_execz .LBB123_399
; %bb.391:                              ;   in Loop: Header=BB123_12 Depth=1
	v_mov_b32_e32 v5, v1
	v_mov_b32_e32 v4, v0
	s_mov_b32 s19, 0
                                        ; implicit-def: $sgpr21
	s_branch .LBB123_394
.LBB123_392:                            ;   in Loop: Header=BB123_394 Depth=2
	s_or_b32 exec_lo, exec_lo, s58
	s_waitcnt lgkmcnt(0)
	s_barrier
	buffer_gl0_inv
	ds_read_u16 v8, v3 offset:3072
	s_mov_b32 s41, -1
	s_waitcnt lgkmcnt(0)
	s_barrier
	buffer_gl0_inv
	v_cmp_eq_u32_sdwa s40, v8, v3 src0_sel:BYTE_0 src1_sel:DWORD
	s_and_b32 vcc_lo, exec_lo, s40
	s_mov_b32 s40, -1
	s_cbranch_vccnz .LBB123_397
.LBB123_393:                            ;   in Loop: Header=BB123_394 Depth=2
	s_and_b32 s8, exec_lo, s41
	s_or_b32 s19, s8, s19
	s_andn2_b32 s8, s21, exec_lo
	s_and_b32 s21, s40, exec_lo
	s_or_b32 s21, s8, s21
	s_andn2_b32 exec_lo, exec_lo, s19
	s_cbranch_execz .LBB123_398
.LBB123_394:                            ;   Parent Loop BB123_12 Depth=1
                                        ; =>  This Inner Loop Header: Depth=2
	s_mov_b32 s58, exec_lo
	v_cmpx_gt_u64_e64 s[36:37], v[4:5]
	s_cbranch_execz .LBB123_392
; %bb.395:                              ;   in Loop: Header=BB123_394 Depth=2
	v_mad_u64_u32 v[8:9], null, v4, s30, s[28:29]
	v_mul_lo_u32 v10, v4, s31
	v_mul_lo_u32 v11, v5, s30
	v_add3_u32 v9, v11, v9, v10
	global_load_ubyte v8, v[8:9], off
	s_waitcnt vmcnt(0)
	v_and_b32_e32 v9, v8, v29
	v_cmp_eq_u32_sdwa s40, v9, v26 src0_sel:BYTE_0 src1_sel:DWORD
	s_and_b32 exec_lo, exec_lo, s40
	s_cbranch_execz .LBB123_392
; %bb.396:                              ;   in Loop: Header=BB123_394 Depth=2
	v_lshlrev_b16 v8, 8, v8
	v_or_b32_e32 v8, 1, v8
	ds_write_b16 v3, v8 offset:3072
	s_branch .LBB123_392
.LBB123_397:                            ;   in Loop: Header=BB123_394 Depth=2
	v_add_co_u32 v4, vcc_lo, v4, s33
	v_add_co_ci_u32_e64 v5, null, 0, v5, vcc_lo
	s_mov_b32 s40, 0
	v_cmp_le_u64_e32 vcc_lo, s[16:17], v[4:5]
	s_orn2_b32 s41, vcc_lo, exec_lo
	s_branch .LBB123_393
.LBB123_398:                            ;   in Loop: Header=BB123_12 Depth=1
	s_or_b32 exec_lo, exec_lo, s19
	v_lshrrev_b32_sdwa v30, v28, v8 dst_sel:DWORD dst_unused:UNUSED_PAD src0_sel:DWORD src1_sel:WORD_0
	s_andn2_b32 s8, s20, exec_lo
	s_and_b32 s16, s21, exec_lo
	s_or_b32 s20, s8, s16
.LBB123_399:                            ;   in Loop: Header=BB123_12 Depth=1
	s_or_b32 exec_lo, exec_lo, s18
	s_mov_b32 s68, 0
	s_mov_b32 s69, -1
.LBB123_400:                            ;   in Loop: Header=BB123_12 Depth=1
	s_orn2_b32 s16, s20, exec_lo
.LBB123_401:                            ;   in Loop: Header=BB123_12 Depth=1
	s_or_b32 exec_lo, exec_lo, s71
	s_mov_b32 s17, 0
	s_and_saveexec_b32 s20, s16
	s_cbranch_execz .LBB123_463
; %bb.402:                              ;   in Loop: Header=BB123_12 Depth=1
	v_mov_b32_e32 v4, 1
	v_mov_b32_e32 v5, 0
	;; [unrolled: 1-line block ×3, first 2 shown]
	s_xor_b32 s18, s70, -1
	s_and_saveexec_b32 s16, s18
	s_cbranch_execz .LBB123_411
; %bb.403:                              ;   in Loop: Header=BB123_12 Depth=1
	s_mov_b32 s17, exec_lo
	v_cmpx_ge_u64_e64 s[14:15], v[6:7]
	s_xor_b32 s17, exec_lo, s17
	s_cbranch_execz .LBB123_408
; %bb.404:                              ;   in Loop: Header=BB123_12 Depth=1
	ds_read_b64 v[4:5], v3 offset:5120
	s_lshl_b32 s18, 1, s93
	v_or_b32_e32 v29, s11, v29
	v_and_or_b32 v26, v26, s26, s18
	s_waitcnt lgkmcnt(0)
	v_cmp_ne_u64_e32 vcc_lo, 0, v[4:5]
	s_cbranch_vccnz .LBB123_408
; %bb.405:                              ;   in Loop: Header=BB123_12 Depth=1
	s_and_saveexec_b32 s18, s3
; %bb.406:                              ;   in Loop: Header=BB123_12 Depth=1
	v_mov_b32_e32 v4, s14
	v_mov_b32_e32 v5, s15
	ds_write_b64 v3, v[4:5] offset:5128
; %bb.407:                              ;   in Loop: Header=BB123_12 Depth=1
	s_or_b32 exec_lo, exec_lo, s18
	s_waitcnt lgkmcnt(0)
	s_barrier
	buffer_gl0_inv
.LBB123_408:                            ;   in Loop: Header=BB123_12 Depth=1
	s_or_saveexec_b32 s17, s17
	v_mov_b32_e32 v2, 5
	s_mov_b32 s18, 0
	s_xor_b32 exec_lo, exec_lo, s17
; %bb.409:                              ;   in Loop: Header=BB123_12 Depth=1
	v_sub_co_u32 v6, vcc_lo, v6, s14
	v_subrev_co_ci_u32_e64 v7, null, s15, v7, vcc_lo
	v_mov_b32_e32 v2, 0
	s_mov_b32 s18, exec_lo
; %bb.410:                              ;   in Loop: Header=BB123_12 Depth=1
	s_or_b32 exec_lo, exec_lo, s17
	v_mov_b32_e32 v4, v6
	v_mov_b32_e32 v5, v7
	s_and_b32 s17, s18, exec_lo
.LBB123_411:                            ;   in Loop: Header=BB123_12 Depth=1
	s_or_b32 exec_lo, exec_lo, s16
	s_mov_b32 s14, -1
                                        ; implicit-def: $sgpr72
                                        ; implicit-def: $sgpr62
	s_and_saveexec_b32 s21, s17
	s_cbranch_execz .LBB123_462
; %bb.412:                              ;   in Loop: Header=BB123_12 Depth=1
	v_cmp_eq_u64_e32 vcc_lo, 1, v[4:5]
	s_cmp_eq_u64 s[12:13], 1
	s_mov_b32 s15, -1
	s_cselect_b32 s14, -1, 0
                                        ; implicit-def: $sgpr72
                                        ; implicit-def: $sgpr62
	s_and_b32 s70, s14, vcc_lo
	s_and_saveexec_b32 s71, s70
	s_cbranch_execz .LBB123_450
; %bb.413:                              ;   in Loop: Header=BB123_12 Depth=1
	ds_read_b64 v[6:7], v3 offset:5120
	s_waitcnt lgkmcnt(0)
	s_barrier
	buffer_gl0_inv
	v_readfirstlane_b32 s14, v6
	v_readfirstlane_b32 s15, v7
	s_and_saveexec_b32 s16, s10
; %bb.414:                              ;   in Loop: Header=BB123_12 Depth=1
	ds_write_b8 v0, v3 offset:3072
; %bb.415:                              ;   in Loop: Header=BB123_12 Depth=1
	s_or_b32 exec_lo, exec_lo, s16
	v_and_b32_e32 v26, s26, v26
	v_or_b32_e32 v29, s11, v29
	s_mov_b32 s62, -1
	s_mov_b32 s72, 0
	s_cmp_eq_u64 s[14:15], 0
	s_mov_b32 s18, 0
	s_mov_b32 s19, -1
	s_waitcnt lgkmcnt(0)
	s_barrier
	buffer_gl0_inv
                                        ; implicit-def: $vgpr30
	s_cbranch_scc1 .LBB123_433
; %bb.416:                              ;   in Loop: Header=BB123_12 Depth=1
	s_add_u32 s73, s14, s82
	s_addc_u32 s17, s15, s83
	s_mov_b32 s16, s61
	s_cmp_lg_u64 s[16:17], 0
	s_cbranch_scc0 .LBB123_420
; %bb.417:                              ;   in Loop: Header=BB123_12 Depth=1
	v_cvt_f32_u32_e32 v6, s33
	s_sub_u32 s19, 0, s33
	s_subb_u32 s40, 0, 0
	v_fmac_f32_e64 v6, 0x4f800000, 0
	v_rcp_f32_e32 v6, v6
	v_mul_f32_e32 v6, 0x5f7ffffc, v6
	v_mul_f32_e32 v7, 0x2f800000, v6
	v_trunc_f32_e32 v7, v7
	v_fmac_f32_e32 v6, 0xcf800000, v7
	v_cvt_u32_f32_e32 v7, v7
	v_cvt_u32_f32_e32 v6, v6
	v_readfirstlane_b32 s16, v7
	v_readfirstlane_b32 s18, v6
	s_mul_i32 s41, s19, s16
	s_mul_hi_u32 s43, s19, s18
	s_mul_i32 s42, s40, s18
	s_add_i32 s41, s43, s41
	s_mul_i32 s58, s19, s18
	s_add_i32 s41, s41, s42
	s_mul_hi_u32 s43, s18, s58
	s_mul_i32 s60, s18, s41
	s_mul_hi_u32 s59, s16, s58
	s_mul_i32 s42, s16, s58
	s_mul_hi_u32 s58, s18, s41
	s_add_u32 s43, s43, s60
	s_addc_u32 s58, 0, s58
	s_mul_hi_u32 s74, s16, s41
	s_add_u32 s42, s43, s42
	s_mul_i32 s41, s16, s41
	s_addc_u32 s42, s58, s59
	s_addc_u32 s43, s74, 0
	s_add_u32 s41, s42, s41
	s_addc_u32 s42, 0, s43
	s_add_u32 s18, s18, s41
	s_cselect_b32 s41, -1, 0
	s_mul_hi_u32 s43, s19, s18
	s_cmp_lg_u32 s41, 0
	s_mul_i32 s41, s19, s18
	s_addc_u32 s16, s16, s42
	s_mul_i32 s40, s40, s18
	s_mul_i32 s19, s19, s16
	s_mul_hi_u32 s42, s18, s41
	s_add_i32 s19, s43, s19
	s_mul_hi_u32 s43, s16, s41
	s_add_i32 s19, s19, s40
	s_mul_i32 s40, s16, s41
	s_mul_i32 s59, s18, s19
	s_mul_hi_u32 s58, s18, s19
	s_add_u32 s42, s42, s59
	s_addc_u32 s58, 0, s58
	s_mul_hi_u32 s41, s16, s19
	s_add_u32 s40, s42, s40
	s_mul_i32 s19, s16, s19
	s_addc_u32 s40, s58, s43
	s_addc_u32 s41, s41, 0
	s_add_u32 s19, s40, s19
	s_addc_u32 s40, 0, s41
	s_add_u32 s18, s18, s19
	s_cselect_b32 s19, -1, 0
	s_mul_hi_u32 s41, s73, s18
	s_cmp_lg_u32 s19, 0
	s_mul_hi_u32 s19, s17, s18
	s_addc_u32 s16, s16, s40
	s_mul_i32 s18, s17, s18
	s_mul_i32 s42, s73, s16
	s_mul_hi_u32 s40, s73, s16
	s_add_u32 s41, s41, s42
	s_addc_u32 s40, 0, s40
	s_mul_hi_u32 s43, s17, s16
	s_add_u32 s18, s41, s18
	s_mul_i32 s16, s17, s16
	s_addc_u32 s18, s40, s19
	s_addc_u32 s19, s43, 0
	s_add_u32 s16, s18, s16
	s_addc_u32 s18, 0, s19
	s_mul_hi_u32 s19, s33, s16
	s_mul_i32 s18, s33, s18
	s_mul_i32 s16, s33, s16
	s_add_i32 s19, s19, s18
	s_sub_u32 s16, s73, s16
	s_cselect_b32 s18, -1, 0
	s_cmp_lg_u32 s18, 0
	s_subb_u32 s18, s17, s19
	s_sub_u32 s19, s16, s33
	s_cselect_b32 s40, -1, 0
	s_cmp_lg_u32 s40, 0
	s_subb_u32 s40, s18, 0
	;; [unrolled: 4-line block ×3, first 2 shown]
	s_cmp_ge_u32 s19, s33
	s_cselect_b32 s43, -1, 0
	s_cmp_eq_u32 s40, 0
	s_cselect_b32 s43, s43, -1
	s_cmp_lg_u32 s43, 0
	s_cselect_b32 s40, s42, s40
	s_cselect_b32 s41, s41, s19
	s_cmp_ge_u32 s16, s33
	s_cselect_b32 s19, -1, 0
	s_cmp_eq_u32 s18, 0
	s_cselect_b32 s19, s19, -1
	s_cmp_lg_u32 s19, 0
	s_cselect_b32 s19, s40, s18
	s_cselect_b32 s18, s41, s16
	s_mov_b32 s16, 0
	s_branch .LBB123_421
.LBB123_418:                            ;   in Loop: Header=BB123_12 Depth=1
                                        ; implicit-def: $sgpr20_sgpr21
	s_branch .LBB123_373
.LBB123_419:                            ;   in Loop: Header=BB123_12 Depth=1
                                        ; implicit-def: $sgpr16_sgpr17
	s_branch .LBB123_389
.LBB123_420:                            ;   in Loop: Header=BB123_12 Depth=1
	s_mov_b32 s16, -1
                                        ; implicit-def: $sgpr18_sgpr19
.LBB123_421:                            ;   in Loop: Header=BB123_12 Depth=1
	s_andn2_b32 vcc_lo, exec_lo, s16
	s_cbranch_vccnz .LBB123_423
; %bb.422:                              ;   in Loop: Header=BB123_12 Depth=1
	v_cvt_f32_u32_e32 v6, s33
	s_sub_i32 s18, 0, s33
	v_rcp_iflag_f32_e32 v6, v6
	v_mul_f32_e32 v6, 0x4f7ffffe, v6
	v_cvt_u32_f32_e32 v6, v6
	v_readfirstlane_b32 s16, v6
	s_mul_i32 s18, s18, s16
	s_mul_hi_u32 s18, s16, s18
	s_add_i32 s16, s16, s18
	s_mul_hi_u32 s16, s73, s16
	s_mul_i32 s16, s16, s33
	s_sub_i32 s16, s73, s16
	s_sub_i32 s18, s16, s33
	s_cmp_ge_u32 s16, s33
	s_cselect_b32 s16, s18, s16
	s_sub_i32 s18, s16, s33
	s_cmp_ge_u32 s16, s33
	s_cselect_b32 s60, s18, s16
	s_mov_b64 s[18:19], s[60:61]
.LBB123_423:                            ;   in Loop: Header=BB123_12 Depth=1
	s_sub_u32 s16, s73, s18
	s_subb_u32 s17, s17, s19
	s_mov_b32 s19, 0
	s_mov_b32 s18, 0
	s_mov_b32 s58, exec_lo
                                        ; implicit-def: $vgpr30
	v_cmpx_gt_u64_e64 s[16:17], v[0:1]
	s_cbranch_execz .LBB123_432
; %bb.424:                              ;   in Loop: Header=BB123_12 Depth=1
	v_mov_b32_e32 v7, v1
	v_mov_b32_e32 v8, v0
	;; [unrolled: 1-line block ×3, first 2 shown]
                                        ; implicit-def: $sgpr59
	s_inst_prefetch 0x1
	s_branch .LBB123_427
	.p2align	6
.LBB123_425:                            ;   in Loop: Header=BB123_427 Depth=2
	s_or_b32 exec_lo, exec_lo, s60
	s_waitcnt lgkmcnt(0)
	s_barrier
	buffer_gl0_inv
	ds_read_u16 v9, v3 offset:3072
	s_mov_b32 s40, -1
	s_waitcnt lgkmcnt(0)
	s_barrier
	buffer_gl0_inv
	v_cmp_ne_u32_sdwa s41, v9, v3 src0_sel:BYTE_0 src1_sel:DWORD
	s_and_b32 vcc_lo, exec_lo, s41
	s_mov_b32 s41, -1
	s_cbranch_vccz .LBB123_430
.LBB123_426:                            ;   in Loop: Header=BB123_427 Depth=2
	s_and_b32 s8, exec_lo, s40
	s_or_b32 s18, s8, s18
	s_andn2_b32 s8, s59, exec_lo
	s_and_b32 s40, s41, exec_lo
	s_or_b32 s59, s8, s40
	s_andn2_b32 exec_lo, exec_lo, s18
	s_cbranch_execz .LBB123_431
.LBB123_427:                            ;   Parent Loop BB123_12 Depth=1
                                        ; =>  This Inner Loop Header: Depth=2
	s_mov_b32 s60, exec_lo
	v_cmpx_gt_u64_e64 s[14:15], v[6:7]
	s_cbranch_execz .LBB123_425
; %bb.428:                              ;   in Loop: Header=BB123_427 Depth=2
	ds_read_u8 v9, v8
	s_waitcnt lgkmcnt(0)
	v_and_b32_e32 v10, v9, v29
	v_cmp_eq_u32_sdwa s40, v10, v26 src0_sel:BYTE_0 src1_sel:DWORD
	s_and_b32 exec_lo, exec_lo, s40
	s_cbranch_execz .LBB123_425
; %bb.429:                              ;   in Loop: Header=BB123_427 Depth=2
	v_lshlrev_b16 v9, 8, v9
	v_or_b32_e32 v9, 1, v9
	ds_write_b16 v3, v9 offset:3072
	s_branch .LBB123_425
.LBB123_430:                            ;   in Loop: Header=BB123_427 Depth=2
	v_add_co_u32 v6, vcc_lo, v6, s33
	v_add_co_ci_u32_e64 v7, null, 0, v7, vcc_lo
	v_add_nc_u32_e32 v8, s33, v8
	s_mov_b32 s41, 0
	v_cmp_le_u64_e32 vcc_lo, s[16:17], v[6:7]
	s_orn2_b32 s40, vcc_lo, exec_lo
	s_branch .LBB123_426
.LBB123_431:                            ;   in Loop: Header=BB123_12 Depth=1
	s_inst_prefetch 0x2
	s_or_b32 exec_lo, exec_lo, s18
	v_lshrrev_b32_sdwa v30, v28, v9 dst_sel:DWORD dst_unused:UNUSED_PAD src0_sel:DWORD src1_sel:WORD_0
	s_and_b32 s18, s59, exec_lo
.LBB123_432:                            ;   in Loop: Header=BB123_12 Depth=1
	s_or_b32 exec_lo, exec_lo, s58
.LBB123_433:                            ;   in Loop: Header=BB123_12 Depth=1
	s_and_b32 vcc_lo, exec_lo, s19
	s_cbranch_vccz .LBB123_449
; %bb.434:                              ;   in Loop: Header=BB123_12 Depth=1
	s_mov_b32 s62, s61
	s_cmp_lg_u64 s[62:63], 0
	s_cbranch_scc0 .LBB123_436
; %bb.435:                              ;   in Loop: Header=BB123_12 Depth=1
	v_cvt_f32_u32_e32 v6, s33
	s_sub_u32 s16, 0, s33
	s_subb_u32 s17, 0, 0
	v_fmac_f32_e64 v6, 0x4f800000, 0
	v_rcp_f32_e32 v6, v6
	v_mul_f32_e32 v6, 0x5f7ffffc, v6
	v_mul_f32_e32 v7, 0x2f800000, v6
	v_trunc_f32_e32 v7, v7
	v_fmac_f32_e32 v6, 0xcf800000, v7
	v_cvt_u32_f32_e32 v7, v7
	v_cvt_u32_f32_e32 v6, v6
	v_readfirstlane_b32 s14, v7
	v_readfirstlane_b32 s15, v6
	s_mul_i32 s19, s16, s14
	s_mul_hi_u32 s41, s16, s15
	s_mul_i32 s40, s17, s15
	s_add_i32 s19, s41, s19
	s_mul_i32 s42, s16, s15
	s_add_i32 s19, s19, s40
	s_mul_hi_u32 s41, s15, s42
	s_mul_i32 s58, s15, s19
	s_mul_hi_u32 s43, s14, s42
	s_mul_i32 s40, s14, s42
	s_mul_hi_u32 s42, s15, s19
	s_add_u32 s41, s41, s58
	s_addc_u32 s42, 0, s42
	s_mul_hi_u32 s59, s14, s19
	s_add_u32 s40, s41, s40
	s_mul_i32 s19, s14, s19
	s_addc_u32 s40, s42, s43
	s_addc_u32 s41, s59, 0
	s_add_u32 s19, s40, s19
	s_addc_u32 s40, 0, s41
	s_add_u32 s15, s15, s19
	s_cselect_b32 s19, -1, 0
	s_mul_hi_u32 s41, s16, s15
	s_cmp_lg_u32 s19, 0
	s_mul_i32 s19, s16, s15
	s_addc_u32 s14, s14, s40
	s_mul_i32 s17, s17, s15
	s_mul_i32 s16, s16, s14
	s_mul_hi_u32 s40, s15, s19
	s_add_i32 s16, s41, s16
	s_mul_hi_u32 s41, s14, s19
	s_add_i32 s16, s16, s17
	s_mul_i32 s17, s14, s19
	s_mul_i32 s43, s15, s16
	s_mul_hi_u32 s42, s15, s16
	s_add_u32 s40, s40, s43
	s_addc_u32 s42, 0, s42
	s_mul_hi_u32 s19, s14, s16
	s_add_u32 s17, s40, s17
	s_mul_i32 s16, s14, s16
	s_addc_u32 s17, s42, s41
	s_addc_u32 s19, s19, 0
	s_add_u32 s16, s17, s16
	s_addc_u32 s17, 0, s19
	s_add_u32 s15, s15, s16
	s_cselect_b32 s16, -1, 0
	s_mul_hi_u32 s19, s84, s15
	s_cmp_lg_u32 s16, 0
	s_mul_hi_u32 s16, s63, s15
	s_addc_u32 s14, s14, s17
	s_mul_i32 s15, s63, s15
	s_mul_i32 s40, s84, s14
	s_mul_hi_u32 s17, s84, s14
	s_add_u32 s19, s19, s40
	s_addc_u32 s17, 0, s17
	s_mul_hi_u32 s41, s63, s14
	s_add_u32 s15, s19, s15
	s_mul_i32 s14, s63, s14
	s_addc_u32 s15, s17, s16
	s_addc_u32 s16, s41, 0
	s_add_u32 s14, s15, s14
	s_addc_u32 s15, 0, s16
	s_mul_hi_u32 s16, s33, s14
	s_mul_i32 s15, s33, s15
	s_mul_i32 s14, s33, s14
	s_add_i32 s16, s16, s15
	s_sub_u32 s14, s84, s14
	s_cselect_b32 s15, -1, 0
	s_cmp_lg_u32 s15, 0
	s_subb_u32 s15, s63, s16
	s_sub_u32 s16, s14, s33
	s_cselect_b32 s17, -1, 0
	s_cmp_lg_u32 s17, 0
	s_subb_u32 s17, s15, 0
	;; [unrolled: 4-line block ×3, first 2 shown]
	s_cmp_ge_u32 s16, s33
	s_cselect_b32 s41, -1, 0
	s_cmp_eq_u32 s17, 0
	s_cselect_b32 s41, s41, -1
	s_cmp_lg_u32 s41, 0
	s_cselect_b32 s17, s40, s17
	s_cselect_b32 s16, s19, s16
	s_cmp_ge_u32 s14, s33
	s_cselect_b32 s19, -1, 0
	s_cmp_eq_u32 s15, 0
	s_cselect_b32 s19, s19, -1
	s_cmp_lg_u32 s19, 0
	s_cselect_b32 s15, s17, s15
	s_cselect_b32 s14, s16, s14
	s_mov_b32 s16, 0
	s_branch .LBB123_437
.LBB123_436:                            ;   in Loop: Header=BB123_12 Depth=1
	s_mov_b32 s16, -1
                                        ; implicit-def: $sgpr14_sgpr15
.LBB123_437:                            ;   in Loop: Header=BB123_12 Depth=1
	s_andn2_b32 vcc_lo, exec_lo, s16
	s_cbranch_vccnz .LBB123_439
; %bb.438:                              ;   in Loop: Header=BB123_12 Depth=1
	v_cvt_f32_u32_e32 v6, s33
	s_sub_i32 s15, 0, s33
	v_rcp_iflag_f32_e32 v6, v6
	v_mul_f32_e32 v6, 0x4f7ffffe, v6
	v_cvt_u32_f32_e32 v6, v6
	v_readfirstlane_b32 s14, v6
	s_mul_i32 s15, s15, s14
	s_mul_hi_u32 s15, s14, s15
	s_add_i32 s14, s14, s15
	s_mul_hi_u32 s14, s84, s14
	s_mul_i32 s14, s14, s33
	s_sub_i32 s14, s84, s14
	s_sub_i32 s15, s14, s33
	s_cmp_ge_u32 s14, s33
	s_cselect_b32 s14, s15, s14
	s_sub_i32 s15, s14, s33
	s_cmp_ge_u32 s14, s33
	s_cselect_b32 s60, s15, s14
	s_mov_b64 s[14:15], s[60:61]
.LBB123_439:                            ;   in Loop: Header=BB123_12 Depth=1
	s_sub_u32 s14, s84, s14
	s_subb_u32 s15, s63, s15
	s_mov_b32 s16, exec_lo
                                        ; implicit-def: $vgpr30
	v_cmpx_gt_u64_e64 s[14:15], v[0:1]
	s_cbranch_execz .LBB123_448
; %bb.440:                              ;   in Loop: Header=BB123_12 Depth=1
	v_mov_b32_e32 v7, v1
	v_mov_b32_e32 v6, v0
	s_mov_b32 s17, 0
                                        ; implicit-def: $sgpr19
	s_branch .LBB123_443
.LBB123_441:                            ;   in Loop: Header=BB123_443 Depth=2
	s_or_b32 exec_lo, exec_lo, s58
	s_waitcnt lgkmcnt(0)
	s_barrier
	buffer_gl0_inv
	ds_read_u16 v8, v3 offset:3072
	s_mov_b32 s41, -1
	s_waitcnt lgkmcnt(0)
	s_barrier
	buffer_gl0_inv
	v_cmp_eq_u32_sdwa s40, v8, v3 src0_sel:BYTE_0 src1_sel:DWORD
	s_and_b32 vcc_lo, exec_lo, s40
	s_mov_b32 s40, -1
	s_cbranch_vccnz .LBB123_446
.LBB123_442:                            ;   in Loop: Header=BB123_443 Depth=2
	s_and_b32 s8, exec_lo, s41
	s_or_b32 s17, s8, s17
	s_andn2_b32 s8, s19, exec_lo
	s_and_b32 s19, s40, exec_lo
	s_or_b32 s19, s8, s19
	s_andn2_b32 exec_lo, exec_lo, s17
	s_cbranch_execz .LBB123_447
.LBB123_443:                            ;   Parent Loop BB123_12 Depth=1
                                        ; =>  This Inner Loop Header: Depth=2
	s_mov_b32 s58, exec_lo
	v_cmpx_gt_u64_e64 s[36:37], v[6:7]
	s_cbranch_execz .LBB123_441
; %bb.444:                              ;   in Loop: Header=BB123_443 Depth=2
	v_mad_u64_u32 v[8:9], null, v6, s30, s[28:29]
	v_mul_lo_u32 v10, v6, s31
	v_mul_lo_u32 v11, v7, s30
	v_add3_u32 v9, v11, v9, v10
	global_load_ubyte v8, v[8:9], off
	s_waitcnt vmcnt(0)
	v_and_b32_e32 v9, v8, v29
	v_cmp_eq_u32_sdwa s40, v9, v26 src0_sel:BYTE_0 src1_sel:DWORD
	s_and_b32 exec_lo, exec_lo, s40
	s_cbranch_execz .LBB123_441
; %bb.445:                              ;   in Loop: Header=BB123_443 Depth=2
	v_lshlrev_b16 v8, 8, v8
	v_or_b32_e32 v8, 1, v8
	ds_write_b16 v3, v8 offset:3072
	s_branch .LBB123_441
.LBB123_446:                            ;   in Loop: Header=BB123_443 Depth=2
	v_add_co_u32 v6, vcc_lo, v6, s33
	v_add_co_ci_u32_e64 v7, null, 0, v7, vcc_lo
	s_mov_b32 s40, 0
	v_cmp_le_u64_e32 vcc_lo, s[14:15], v[6:7]
	s_orn2_b32 s41, vcc_lo, exec_lo
	s_branch .LBB123_442
.LBB123_447:                            ;   in Loop: Header=BB123_12 Depth=1
	s_or_b32 exec_lo, exec_lo, s17
	v_lshrrev_b32_sdwa v30, v28, v8 dst_sel:DWORD dst_unused:UNUSED_PAD src0_sel:DWORD src1_sel:WORD_0
	s_andn2_b32 s8, s18, exec_lo
	s_and_b32 s14, s19, exec_lo
	s_or_b32 s18, s8, s14
.LBB123_448:                            ;   in Loop: Header=BB123_12 Depth=1
	s_or_b32 exec_lo, exec_lo, s16
	s_mov_b32 s62, 0
	s_mov_b32 s72, -1
.LBB123_449:                            ;   in Loop: Header=BB123_12 Depth=1
	s_orn2_b32 s15, s18, exec_lo
.LBB123_450:                            ;   in Loop: Header=BB123_12 Depth=1
	s_or_b32 exec_lo, exec_lo, s71
	s_mov_b32 s16, 0
	s_and_saveexec_b32 s14, s15
	s_cbranch_execz .LBB123_461
; %bb.451:                              ;   in Loop: Header=BB123_12 Depth=1
	v_mov_b32_e32 v6, 1
	v_mov_b32_e32 v7, 0
	;; [unrolled: 1-line block ×3, first 2 shown]
	s_xor_b32 s16, s70, -1
	s_and_saveexec_b32 s15, s16
	s_cbranch_execz .LBB123_460
; %bb.452:                              ;   in Loop: Header=BB123_12 Depth=1
	s_mov_b32 s16, exec_lo
	v_cmpx_ge_u64_e64 s[12:13], v[4:5]
	s_xor_b32 s16, exec_lo, s16
	s_cbranch_execz .LBB123_457
; %bb.453:                              ;   in Loop: Header=BB123_12 Depth=1
	ds_read_b64 v[6:7], v3 offset:5120
	v_and_b32_e32 v26, s26, v26
	v_or_b32_e32 v29, s11, v29
	s_waitcnt lgkmcnt(0)
	v_cmp_ne_u64_e32 vcc_lo, 0, v[6:7]
	s_cbranch_vccnz .LBB123_457
; %bb.454:                              ;   in Loop: Header=BB123_12 Depth=1
	s_and_saveexec_b32 s11, s3
; %bb.455:                              ;   in Loop: Header=BB123_12 Depth=1
	v_mov_b32_e32 v6, s12
	v_mov_b32_e32 v7, s13
	ds_write_b64 v3, v[6:7] offset:5128
; %bb.456:                              ;   in Loop: Header=BB123_12 Depth=1
	s_or_b32 exec_lo, exec_lo, s11
	s_waitcnt lgkmcnt(0)
	s_barrier
	buffer_gl0_inv
.LBB123_457:                            ;   in Loop: Header=BB123_12 Depth=1
	s_andn2_saveexec_b32 s11, s16
; %bb.458:                              ;   in Loop: Header=BB123_12 Depth=1
	v_sub_co_u32 v4, vcc_lo, v4, s12
	v_subrev_co_ci_u32_e64 v5, null, s13, v5, vcc_lo
; %bb.459:                              ;   in Loop: Header=BB123_12 Depth=1
	s_or_b32 exec_lo, exec_lo, s11
	v_mov_b32_e32 v7, v5
	v_mov_b32_e32 v2, 5
	;; [unrolled: 1-line block ×3, first 2 shown]
.LBB123_460:                            ;   in Loop: Header=BB123_12 Depth=1
	s_or_b32 exec_lo, exec_lo, s15
	v_mov_b32_e32 v4, v6
	v_mov_b32_e32 v5, v7
	s_mov_b32 s16, exec_lo
.LBB123_461:                            ;   in Loop: Header=BB123_12 Depth=1
	s_or_b32 exec_lo, exec_lo, s14
	s_orn2_b32 s14, s16, exec_lo
.LBB123_462:                            ;   in Loop: Header=BB123_12 Depth=1
	s_or_b32 exec_lo, exec_lo, s21
	v_mov_b32_e32 v7, v5
	v_mov_b32_e32 v6, v4
	s_andn2_b32 s11, s69, exec_lo
	s_and_b32 s12, s72, exec_lo
	s_andn2_b32 s13, s68, exec_lo
	s_and_b32 s15, s62, exec_lo
	s_or_b32 s69, s11, s12
	s_or_b32 s68, s13, s15
	s_and_b32 s17, s14, exec_lo
.LBB123_463:                            ;   in Loop: Header=BB123_12 Depth=1
	s_or_b32 exec_lo, exec_lo, s20
	s_orn2_b32 s16, s17, exec_lo
.LBB123_464:                            ;   in Loop: Header=BB123_12 Depth=1
	s_or_b32 exec_lo, exec_lo, s23
	v_mov_b32_e32 v4, v6
	v_mov_b32_e32 v5, v7
	s_andn2_b32 s11, s67, exec_lo
	s_and_b32 s12, s69, exec_lo
	s_andn2_b32 s13, s25, exec_lo
	s_and_b32 s14, s68, exec_lo
	s_or_b32 s67, s11, s12
	s_or_b32 s25, s13, s14
	s_and_b32 s19, s16, exec_lo
.LBB123_465:                            ;   in Loop: Header=BB123_12 Depth=1
	s_or_b32 exec_lo, exec_lo, s22
	s_orn2_b32 s18, s19, exec_lo
.LBB123_466:                            ;   in Loop: Header=BB123_12 Depth=1
	s_or_b32 exec_lo, exec_lo, s6
	s_mov_b32 s6, s66
	s_mov_b32 s11, s57
	s_and_saveexec_b32 s12, s18
; %bb.467:                              ;   in Loop: Header=BB123_12 Depth=1
	v_cmp_ne_u32_e32 vcc_lo, 5, v2
	v_cmp_eq_u32_e64 s6, 5, v2
	s_andn2_b32 s11, s57, exec_lo
	s_andn2_b32 s13, s66, exec_lo
	s_and_b32 s14, vcc_lo, exec_lo
	s_and_b32 s6, s6, exec_lo
	s_or_b32 s11, s11, s14
	s_or_b32 s6, s13, s6
; %bb.468:                              ;   in Loop: Header=BB123_12 Depth=1
	s_or_b32 exec_lo, exec_lo, s12
	s_andn2_b32 s8, s9, exec_lo
	s_and_b32 s9, s67, exec_lo
	s_andn2_b32 s12, s27, exec_lo
	s_and_b32 s13, s25, exec_lo
	s_or_b32 s9, s8, s9
	s_or_b32 s27, s12, s13
	s_andn2_b32 s8, s57, exec_lo
	s_and_b32 s11, s11, exec_lo
	s_andn2_b32 s12, s66, exec_lo
	s_and_b32 s6, s6, exec_lo
	s_or_b32 s57, s8, s11
	s_or_b32 s66, s12, s6
.LBB123_469:                            ;   in Loop: Header=BB123_12 Depth=1
	s_or_b32 exec_lo, exec_lo, s24
	s_mov_b32 s67, 0
	s_mov_b32 s68, 0
	s_and_saveexec_b32 s6, s66
.LBB123_470:                            ;   in Loop: Header=BB123_12 Depth=1
	v_mov_b32_e32 v2, 0
	s_or_b32 s57, s57, exec_lo
.LBB123_471:                            ;   in Loop: Header=BB123_12 Depth=1
	s_or_b32 exec_lo, exec_lo, s6
	s_andn2_b32 s6, s46, exec_lo
	s_and_b32 s8, s9, exec_lo
	s_andn2_b32 s9, s44, exec_lo
	s_and_b32 s12, s27, exec_lo
	v_mov_b32_e32 v20, v5
	v_mov_b32_e32 v19, v4
	s_or_b32 s46, s6, s8
	s_or_b32 s44, s9, s12
	s_andn2_b32 s6, s56, exec_lo
	s_and_b32 s8, s68, exec_lo
	s_andn2_b32 s9, s47, exec_lo
	s_and_b32 s12, s67, exec_lo
	s_mov_b32 s11, -1
	s_andn2_b32 s45, s45, exec_lo
	s_or_b32 s56, s6, s8
	s_or_b32 s47, s9, s12
	s_and_saveexec_b32 s6, s57
	s_xor_b32 s6, exec_lo, s6
	s_cbranch_execz .LBB123_11
; %bb.472:                              ;   in Loop: Header=BB123_12 Depth=1
	s_mov_b32 s9, -1
	s_mov_b32 s12, exec_lo
	v_cmpx_eq_u32_e32 0, v2
	s_cbranch_execz .LBB123_10
; %bb.473:                              ;   in Loop: Header=BB123_12 Depth=1
	s_xor_b32 s97, s97, 1
	s_add_i32 s13, s93, -2
	s_cmp_eq_u32 s93, 0
	s_mov_b32 s93, s13
	s_cselect_b32 s9, -1, 0
	s_xor_b32 s11, exec_lo, -1
	s_orn2_b32 s9, s9, exec_lo
	s_branch .LBB123_10
.LBB123_474:
	s_or_b32 exec_lo, exec_lo, s94
	s_xor_b32 s7, vcc_hi, -1
	s_xor_b32 s9, s99, -1
	s_xor_b32 s10, s104, -1
	;; [unrolled: 1-line block ×4, first 2 shown]
	s_mov_b32 s8, 0
	s_and_saveexec_b32 s12, s11
	s_xor_b32 s14, exec_lo, s12
	s_cbranch_execnz .LBB123_479
; %bb.475:
	s_andn2_saveexec_b32 s0, s14
	s_cbranch_execnz .LBB123_498
.LBB123_476:
	s_or_b32 exec_lo, exec_lo, s0
	s_and_saveexec_b32 s0, s8
.LBB123_477:
	; divergent unreachable
.LBB123_478:
	s_endpgm
.LBB123_479:
	s_and_saveexec_b32 s11, s10
	s_xor_b32 s15, exec_lo, s11
	s_cbranch_execz .LBB123_496
; %bb.480:
	s_and_saveexec_b32 s10, s9
	s_xor_b32 s16, exec_lo, s10
	s_cbranch_execz .LBB123_494
; %bb.481:
	;; [unrolled: 4-line block ×3, first 2 shown]
	s_and_saveexec_b32 s7, s6
	s_xor_b32 s6, exec_lo, s7
; %bb.483:
	v_mov_b32_e32 v30, v26
; %bb.484:
	s_or_b32 exec_lo, exec_lo, s6
	s_and_saveexec_b32 s6, s3
; %bb.485:
	v_mov_b32_e32 v2, 0
	v_mov_b32_e32 v3, v2
	ds_write_b64 v2, v[2:3] offset:5136
; %bb.486:
	s_or_b32 exec_lo, exec_lo, s6
	v_mov_b32_e32 v14, 0
	s_waitcnt lgkmcnt(0)
	s_barrier
	buffer_gl0_inv
	s_and_saveexec_b32 s3, s1
	s_cbranch_execz .LBB123_488
; %bb.487:
	global_load_ubyte v14, v[12:13], off
.LBB123_488:
	s_or_b32 exec_lo, exec_lo, s3
	s_clause 0x1
	s_load_dwordx4 s[40:43], s[4:5], 0x298
	s_load_dwordx4 s[24:27], s[4:5], 0x440
	s_add_u32 s3, s36, 31
	s_addc_u32 s7, s37, 0
	s_and_b32 s6, s3, 0xffffffe0
	s_mul_i32 s3, s50, s53
	s_mul_hi_u32 s8, s50, s52
	s_mul_i32 s9, s50, s52
	s_add_i32 s8, s8, s3
	s_sub_u32 s3, s34, s9
	s_subb_u32 s8, 0, s8
	v_cmp_gt_u64_e32 vcc_lo, s[6:7], v[0:1]
	s_waitcnt lgkmcnt(0)
	s_mul_i32 s9, s3, s43
	s_mul_hi_u32 s10, s3, s42
	s_mul_i32 s8, s8, s42
	s_add_i32 s9, s10, s9
	s_mul_i32 s10, s50, s41
	s_mul_hi_u32 s11, s50, s40
	s_add_i32 s13, s9, s8
	s_mul_i32 s8, s54, s49
	s_mul_hi_u32 s9, s54, s48
	s_add_i32 s12, s11, s10
	s_mul_i32 s10, s54, s48
	s_add_i32 s9, s9, s8
	s_sub_u32 s18, s34, s10
	s_subb_u32 s9, 0, s9
	s_mul_i32 s8, s18, s27
	s_mul_hi_u32 s10, s18, s26
	s_mul_i32 s9, s9, s26
	s_add_i32 s8, s10, s8
	s_mul_i32 s21, s54, s25
	s_mul_hi_u32 s22, s54, s24
	s_add_i32 s19, s8, s9
	s_clause 0x1
	s_load_dwordx2 s[8:9], s[4:5], 0x368
	s_load_dwordx2 s[10:11], s[4:5], 0x510
	s_add_i32 s5, s22, s21
	v_readlane_b32 s22, v49, 2
	v_readlane_b32 s23, v49, 3
	s_mul_i32 s20, s50, s40
	s_mul_i32 s3, s3, s42
	;; [unrolled: 1-line block ×3, first 2 shown]
	s_add_u32 s20, s22, s20
	s_addc_u32 s21, s23, s12
	s_add_u32 s12, s20, s3
	s_addc_u32 s13, s21, s13
	v_readlane_b32 s20, v49, 0
	v_readlane_b32 s21, v49, 1
	s_lshl_b64 s[4:5], s[4:5], 3
	s_mul_i32 s18, s18, s26
	s_add_u32 s3, s20, s4
	s_addc_u32 s4, s21, s5
	s_lshl_b64 s[18:19], s[18:19], 3
	s_add_u32 s5, s3, s18
	s_addc_u32 s18, s4, s19
	s_mov_b32 s4, -1
	s_mov_b32 s19, 0
	s_mov_b32 s3, 0
	s_and_saveexec_b32 s20, vcc_lo
	s_cbranch_execnz .LBB123_499
; %bb.489:
	s_or_b32 exec_lo, exec_lo, s20
	s_and_saveexec_b32 s2, s4
	s_cbranch_execnz .LBB123_514
.LBB123_490:
	s_or_b32 exec_lo, exec_lo, s2
	s_and_saveexec_b32 s0, s3
	s_xor_b32 s0, exec_lo, s0
	s_cbranch_execnz .LBB123_537
.LBB123_491:
	s_or_b32 exec_lo, exec_lo, s0
	s_waitcnt lgkmcnt(0)
	s_and_b32 s8, s19, exec_lo
.LBB123_492:
	s_andn2_saveexec_b32 s0, s17
	s_cbranch_execnz .LBB123_539
.LBB123_493:
	s_or_b32 exec_lo, exec_lo, s0
	s_and_b32 s8, s8, exec_lo
.LBB123_494:
	s_andn2_saveexec_b32 s0, s16
	s_cbranch_execnz .LBB123_538
.LBB123_495:
	s_or_b32 exec_lo, exec_lo, s0
	s_and_b32 s8, s8, exec_lo
.LBB123_496:
	s_andn2_saveexec_b32 s0, s15
	s_cbranch_execnz .LBB123_533
.LBB123_497:
	s_or_b32 exec_lo, exec_lo, s0
	s_and_b32 s8, s8, exec_lo
	s_andn2_saveexec_b32 s0, s14
	s_cbranch_execz .LBB123_476
.LBB123_498:
	s_or_b32 s8, s8, exec_lo
	s_trap 2
	s_or_b32 exec_lo, exec_lo, s0
	s_and_saveexec_b32 s0, s8
	s_cbranch_execnz .LBB123_477
	s_branch .LBB123_478
.LBB123_499:
	v_mov_b32_e32 v9, v1
	v_mov_b32_e32 v3, 0
	;; [unrolled: 1-line block ×3, first 2 shown]
	s_mov_b32 s21, 0
                                        ; implicit-def: $sgpr22
                                        ; implicit-def: $vgpr6_vgpr7
	s_branch .LBB123_501
.LBB123_500:                            ;   in Loop: Header=BB123_501 Depth=1
	s_or_b32 exec_lo, exec_lo, s24
	s_xor_b32 s3, s23, -1
	s_and_b32 s4, exec_lo, s4
	v_mov_b32_e32 v9, v5
	v_mov_b32_e32 v14, v15
	s_or_b32 s21, s4, s21
	v_mov_b32_e32 v8, v4
	s_andn2_b32 s4, s22, exec_lo
	s_and_b32 s3, s3, exec_lo
	s_or_b32 s22, s4, s3
	s_andn2_b32 exec_lo, exec_lo, s21
	s_cbranch_execz .LBB123_513
.LBB123_501:                            ; =>This Inner Loop Header: Depth=1
	v_add_co_u32 v4, s3, v8, s33
	v_add_co_ci_u32_e64 v5, null, 0, v9, s3
	v_mov_b32_e32 v15, 0
	s_mov_b32 s4, exec_lo
	v_cmpx_gt_u64_e64 s[36:37], v[4:5]
	s_cbranch_execz .LBB123_503
; %bb.502:                              ;   in Loop: Header=BB123_501 Depth=1
	v_mad_u64_u32 v[10:11], null, v4, s30, s[28:29]
	v_mul_lo_u32 v2, v4, s31
	v_mul_lo_u32 v15, v5, s30
	v_add3_u32 v11, v15, v11, v2
	global_load_ubyte v15, v[10:11], off
.LBB123_503:                            ;   in Loop: Header=BB123_501 Depth=1
	s_or_b32 exec_lo, exec_lo, s4
	s_waitcnt vmcnt(0)
	v_cmp_gt_u16_sdwa s3, v14, v30 src0_sel:BYTE_0 src1_sel:BYTE_0
	v_cndmask_b32_e64 v2, 0, 1, s3
	v_cmp_lt_u16_sdwa s3, v14, v30 src0_sel:BYTE_0 src1_sel:BYTE_0
	v_cndmask_b32_e64 v10, 0, 1, s3
	v_cmp_gt_u64_e64 s3, s[36:37], v[8:9]
	v_cndmask_b32_e64 v2, v10, v2, s2
	v_and_b32_e32 v2, 1, v2
	v_cmp_eq_u32_e64 s4, 1, v2
	s_and_b32 s23, s3, s4
	v_cndmask_b32_e64 v2, 0, 1, s23
	v_cmp_ne_u32_e64 s3, 0, v2
	s_cmp_lg_u32 s3, 0
	s_cselect_b32 s4, -1, 0
	s_and_b32 s4, s0, s4
	s_and_saveexec_b32 s24, s4
	s_cbranch_execz .LBB123_507
; %bb.504:                              ;   in Loop: Header=BB123_501 Depth=1
	s_mov_b32 s27, exec_lo
	s_bcnt1_i32_b32 s25, s3
	v_mbcnt_lo_u32_b32 v10, s27, 0
	s_mov_b32 s26, exec_lo
                                        ; implicit-def: $vgpr6_vgpr7
	v_cmpx_eq_u32_e32 0, v10
	s_cbranch_execz .LBB123_506
; %bb.505:                              ;   in Loop: Header=BB123_501 Depth=1
	s_bcnt1_i32_b32 s4, s27
	s_mul_i32 s4, s25, s4
	v_mov_b32_e32 v2, s4
	s_waitcnt lgkmcnt(0)
	ds_add_rtn_u64 v[6:7], v3, v[2:3] offset:5136
.LBB123_506:                            ;   in Loop: Header=BB123_501 Depth=1
	s_or_b32 exec_lo, exec_lo, s26
	s_waitcnt lgkmcnt(0)
	v_readfirstlane_b32 s27, v7
	v_readfirstlane_b32 s26, v6
	v_mad_u64_u32 v[6:7], null, s25, v10, s[26:27]
.LBB123_507:                            ;   in Loop: Header=BB123_501 Depth=1
	s_or_b32 exec_lo, exec_lo, s24
	s_waitcnt lgkmcnt(0)
	ds_bpermute_b32 v6, v3, v6
	ds_bpermute_b32 v7, v3, v7
	s_mov_b32 s4, -1
	s_mov_b32 s25, -1
	s_and_saveexec_b32 s24, s23
	s_cbranch_execz .LBB123_511
; %bb.508:                              ;   in Loop: Header=BB123_501 Depth=1
	v_and_b32_e32 v2, s3, v23
	s_mov_b32 s23, 0
	s_mov_b32 s25, exec_lo
	v_bcnt_u32_b32 v2, v2, 0
	s_waitcnt lgkmcnt(0)
	v_add_co_u32 v10, s3, v6, v2
	v_add_co_ci_u32_e64 v11, null, 0, v7, s3
	v_cmpx_gt_u64_e64 s[38:39], v[10:11]
; %bb.509:                              ;   in Loop: Header=BB123_501 Depth=1
	v_mul_lo_u32 v2, v11, s10
	v_mul_lo_u32 v20, v10, s11
	v_mad_u64_u32 v[16:17], null, v10, s10, 0
	v_mad_u64_u32 v[18:19], null, v10, s8, s[12:13]
	v_mul_lo_u32 v21, v10, s9
	s_mov_b32 s23, exec_lo
	v_add3_u32 v17, v17, v20, v2
	v_mul_lo_u32 v2, v11, s8
	v_lshlrev_b64 v[10:11], 3, v[16:17]
	v_add3_u32 v19, v2, v19, v21
	v_add_co_u32 v10, s3, s5, v10
	v_add_co_ci_u32_e64 v11, null, s18, v11, s3
	global_store_byte v[18:19], v14, off
	global_store_dwordx2 v[10:11], v[8:9], off
; %bb.510:                              ;   in Loop: Header=BB123_501 Depth=1
	s_or_b32 exec_lo, exec_lo, s25
	s_orn2_b32 s25, s23, exec_lo
.LBB123_511:                            ;   in Loop: Header=BB123_501 Depth=1
	s_or_b32 exec_lo, exec_lo, s24
	s_mov_b32 s23, -1
	s_and_saveexec_b32 s24, s25
	s_cbranch_execz .LBB123_500
; %bb.512:                              ;   in Loop: Header=BB123_501 Depth=1
	v_cmp_le_u64_e64 s3, s[6:7], v[4:5]
	s_xor_b32 s23, exec_lo, -1
	s_orn2_b32 s4, s3, exec_lo
	s_branch .LBB123_500
.LBB123_513:
	s_or_b32 exec_lo, exec_lo, s21
	s_mov_b32 s3, exec_lo
	s_orn2_b32 s4, s22, exec_lo
	s_or_b32 exec_lo, exec_lo, s20
	s_and_saveexec_b32 s2, s4
	s_cbranch_execz .LBB123_490
.LBB123_514:
	v_mov_b32_e32 v2, 0
	s_waitcnt vmcnt(0) lgkmcnt(0)
	s_waitcnt_vscnt null, 0x0
	s_barrier
	buffer_gl0_inv
	s_and_saveexec_b32 s4, s1
	s_cbranch_execz .LBB123_516
; %bb.515:
	global_load_ubyte v2, v[12:13], off
.LBB123_516:
	s_or_b32 exec_lo, exec_lo, s4
	s_mov_b32 s1, 0
	s_and_saveexec_b32 s4, vcc_lo
	s_cbranch_execz .LBB123_536
; %bb.517:
	v_mov_b32_e32 v3, 0
	s_mov_b32 s19, 0
                                        ; implicit-def: $sgpr20
                                        ; implicit-def: $vgpr6_vgpr7
	s_branch .LBB123_520
.LBB123_518:                            ;   in Loop: Header=BB123_520 Depth=1
	s_or_b32 exec_lo, exec_lo, s21
	s_orn2_b32 s23, s24, exec_lo
	s_orn2_b32 s22, s22, exec_lo
.LBB123_519:                            ;   in Loop: Header=BB123_520 Depth=1
	s_or_b32 exec_lo, exec_lo, s1
	s_xor_b32 s1, s23, -1
	s_and_b32 s21, exec_lo, s22
	v_mov_b32_e32 v0, v4
	v_mov_b32_e32 v1, v5
	s_or_b32 s19, s21, s19
	v_mov_b32_e32 v2, v10
	s_andn2_b32 s20, s20, exec_lo
	s_and_b32 s1, s1, exec_lo
	s_or_b32 s20, s20, s1
	s_andn2_b32 exec_lo, exec_lo, s19
	s_cbranch_execz .LBB123_534
.LBB123_520:                            ; =>This Inner Loop Header: Depth=1
	v_add_co_u32 v4, vcc_lo, v0, s33
	v_add_co_ci_u32_e64 v5, null, 0, v1, vcc_lo
	v_mov_b32_e32 v10, 0
	s_mov_b32 s1, exec_lo
	v_cmpx_gt_u64_e64 s[36:37], v[4:5]
	s_cbranch_execz .LBB123_522
; %bb.521:                              ;   in Loop: Header=BB123_520 Depth=1
	v_mad_u64_u32 v[8:9], null, v4, s30, s[28:29]
	v_mul_lo_u32 v10, v4, s31
	v_mul_lo_u32 v11, v5, s30
	v_add3_u32 v9, v11, v9, v10
	global_load_ubyte v10, v[8:9], off
.LBB123_522:                            ;   in Loop: Header=BB123_520 Depth=1
	s_or_b32 exec_lo, exec_lo, s1
	v_cmp_gt_u64_e32 vcc_lo, s[36:37], v[0:1]
	s_waitcnt vmcnt(0)
	v_cmp_eq_u16_sdwa s1, v2, v30 src0_sel:BYTE_0 src1_sel:BYTE_0
	s_and_b32 s21, vcc_lo, s1
	v_cndmask_b32_e64 v2, 0, 1, s21
	v_cmp_ne_u32_e32 vcc_lo, 0, v2
	s_cmp_lg_u32 vcc_lo, 0
	s_cselect_b32 s1, -1, 0
	s_and_b32 s1, s0, s1
	s_and_saveexec_b32 s22, s1
	s_cbranch_execz .LBB123_526
; %bb.523:                              ;   in Loop: Header=BB123_520 Depth=1
	s_mov_b32 s25, exec_lo
	s_bcnt1_i32_b32 s23, vcc_lo
	v_mbcnt_lo_u32_b32 v8, s25, 0
	s_mov_b32 s24, exec_lo
                                        ; implicit-def: $vgpr6_vgpr7
	v_cmpx_eq_u32_e32 0, v8
; %bb.524:                              ;   in Loop: Header=BB123_520 Depth=1
	s_bcnt1_i32_b32 s1, s25
	s_mul_i32 s1, s23, s1
	v_mov_b32_e32 v2, s1
	ds_add_rtn_u64 v[6:7], v3, v[2:3] offset:5136
; %bb.525:                              ;   in Loop: Header=BB123_520 Depth=1
	s_or_b32 exec_lo, exec_lo, s24
	s_waitcnt lgkmcnt(0)
	v_readfirstlane_b32 s25, v7
	v_readfirstlane_b32 s24, v6
	v_mad_u64_u32 v[6:7], null, s23, v8, s[24:25]
.LBB123_526:                            ;   in Loop: Header=BB123_520 Depth=1
	s_or_b32 exec_lo, exec_lo, s22
	ds_bpermute_b32 v6, v3, v6
	ds_bpermute_b32 v7, v3, v7
	s_cmp_eq_u32 vcc_lo, 0
	s_mov_b32 s22, -1
	s_cselect_b32 s23, -1, 0
	s_waitcnt lgkmcnt(0)
	v_cmp_gt_u64_e64 s1, s[38:39], v[6:7]
	s_or_b32 s24, s23, s1
	s_mov_b32 s23, -1
	s_and_saveexec_b32 s1, s24
	s_cbranch_execz .LBB123_519
; %bb.527:                              ;   in Loop: Header=BB123_520 Depth=1
	v_and_b32_e32 v2, vcc_lo, v23
	v_sub_co_u32 v8, vcc_lo, s38, v6
	v_sub_co_ci_u32_e64 v9, null, s39, v7, vcc_lo
	v_bcnt_u32_b32 v2, v2, 0
	s_mov_b32 s24, -1
	v_bcnt_u32_b32 v2, 0, v2
	v_cmp_gt_u64_e32 vcc_lo, v[8:9], v[2:3]
	s_and_b32 s25, s21, vcc_lo
	s_and_saveexec_b32 s21, s25
	s_cbranch_execz .LBB123_531
; %bb.528:                              ;   in Loop: Header=BB123_520 Depth=1
	v_add_co_u32 v8, vcc_lo, v6, v2
	v_add_co_ci_u32_e64 v9, null, 0, v7, vcc_lo
	s_mov_b32 s23, 0
	s_mov_b32 s24, exec_lo
	v_cmpx_gt_u64_e64 s[38:39], v[8:9]
; %bb.529:                              ;   in Loop: Header=BB123_520 Depth=1
	v_mul_lo_u32 v2, v9, s10
	v_mul_lo_u32 v15, v8, s11
	v_mad_u64_u32 v[11:12], null, v8, s10, 0
	v_mad_u64_u32 v[13:14], null, v8, s8, s[12:13]
	v_mul_lo_u32 v16, v8, s9
	s_mov_b32 s23, exec_lo
	v_add3_u32 v12, v12, v15, v2
	v_mul_lo_u32 v2, v9, s8
	v_lshlrev_b64 v[8:9], 3, v[11:12]
	v_add3_u32 v14, v2, v14, v16
	v_add_co_u32 v8, vcc_lo, s5, v8
	v_add_co_ci_u32_e64 v9, null, s18, v9, vcc_lo
	global_store_byte v[13:14], v30, off
	global_store_dwordx2 v[8:9], v[0:1], off
; %bb.530:                              ;   in Loop: Header=BB123_520 Depth=1
	s_or_b32 exec_lo, exec_lo, s24
	s_xor_b32 s24, exec_lo, -1
	s_orn2_b32 s23, s23, exec_lo
.LBB123_531:                            ;   in Loop: Header=BB123_520 Depth=1
	s_or_b32 exec_lo, exec_lo, s21
	s_and_saveexec_b32 s21, s23
	s_cbranch_execz .LBB123_518
; %bb.532:                              ;   in Loop: Header=BB123_520 Depth=1
	v_cmp_le_u64_e32 vcc_lo, s[6:7], v[4:5]
	s_or_b32 s24, s24, exec_lo
	s_orn2_b32 s22, vcc_lo, exec_lo
	s_branch .LBB123_518
.LBB123_533:
	s_or_b32 s8, s8, exec_lo
	s_trap 2
	s_branch .LBB123_497
.LBB123_534:
	s_or_b32 exec_lo, exec_lo, s19
	s_mov_b32 s0, 0
	s_and_saveexec_b32 s1, s20
	s_xor_b32 s1, exec_lo, s1
	s_cbranch_execnz .LBB123_540
.LBB123_535:
	s_or_b32 exec_lo, exec_lo, s1
	s_and_b32 s1, s0, exec_lo
.LBB123_536:
	s_or_b32 exec_lo, exec_lo, s4
	s_and_b32 s19, s1, exec_lo
	s_andn2_b32 s3, s3, exec_lo
	s_or_b32 exec_lo, exec_lo, s2
	s_and_saveexec_b32 s0, s3
	s_xor_b32 s0, exec_lo, s0
	s_cbranch_execz .LBB123_491
.LBB123_537:
	s_or_b32 s19, s19, exec_lo
	s_trap 2
	s_branch .LBB123_491
.LBB123_538:
	s_or_b32 s8, s8, exec_lo
	s_trap 2
	s_branch .LBB123_495
.LBB123_539:
	s_or_b32 s8, s8, exec_lo
	s_trap 2
	s_branch .LBB123_493
.LBB123_540:
	s_mov_b32 s0, exec_lo
	s_trap 2
	s_branch .LBB123_535
	.section	.rodata,"a",@progbits
	.p2align	6, 0x0
	.amdhsa_kernel _ZN2at6native6sbtopk10gatherTopKIhmLi2ELb0EEEvNS_4cuda6detail10TensorInfoIKT_T0_EES8_S8_bS8_S8_NS5_IS6_S8_EES8_NS5_IlS8_EES8_PS6_
		.amdhsa_group_segment_fixed_size 5152
		.amdhsa_private_segment_fixed_size 0
		.amdhsa_kernarg_size 1568
		.amdhsa_user_sgpr_count 6
		.amdhsa_user_sgpr_private_segment_buffer 1
		.amdhsa_user_sgpr_dispatch_ptr 0
		.amdhsa_user_sgpr_queue_ptr 0
		.amdhsa_user_sgpr_kernarg_segment_ptr 1
		.amdhsa_user_sgpr_dispatch_id 0
		.amdhsa_user_sgpr_flat_scratch_init 0
		.amdhsa_user_sgpr_private_segment_size 0
		.amdhsa_wavefront_size32 1
		.amdhsa_uses_dynamic_stack 0
		.amdhsa_system_sgpr_private_segment_wavefront_offset 0
		.amdhsa_system_sgpr_workgroup_id_x 1
		.amdhsa_system_sgpr_workgroup_id_y 1
		.amdhsa_system_sgpr_workgroup_id_z 1
		.amdhsa_system_sgpr_workgroup_info 0
		.amdhsa_system_vgpr_workitem_id 0
		.amdhsa_next_free_vgpr 50
		.amdhsa_next_free_sgpr 105
		.amdhsa_reserve_vcc 1
		.amdhsa_reserve_flat_scratch 0
		.amdhsa_float_round_mode_32 0
		.amdhsa_float_round_mode_16_64 0
		.amdhsa_float_denorm_mode_32 3
		.amdhsa_float_denorm_mode_16_64 3
		.amdhsa_dx10_clamp 1
		.amdhsa_ieee_mode 1
		.amdhsa_fp16_overflow 0
		.amdhsa_workgroup_processor_mode 1
		.amdhsa_memory_ordered 1
		.amdhsa_forward_progress 1
		.amdhsa_shared_vgpr_count 0
		.amdhsa_exception_fp_ieee_invalid_op 0
		.amdhsa_exception_fp_denorm_src 0
		.amdhsa_exception_fp_ieee_div_zero 0
		.amdhsa_exception_fp_ieee_overflow 0
		.amdhsa_exception_fp_ieee_underflow 0
		.amdhsa_exception_fp_ieee_inexact 0
		.amdhsa_exception_int_div_zero 0
	.end_amdhsa_kernel
	.section	.text._ZN2at6native6sbtopk10gatherTopKIhmLi2ELb0EEEvNS_4cuda6detail10TensorInfoIKT_T0_EES8_S8_bS8_S8_NS5_IS6_S8_EES8_NS5_IlS8_EES8_PS6_,"axG",@progbits,_ZN2at6native6sbtopk10gatherTopKIhmLi2ELb0EEEvNS_4cuda6detail10TensorInfoIKT_T0_EES8_S8_bS8_S8_NS5_IS6_S8_EES8_NS5_IlS8_EES8_PS6_,comdat
.Lfunc_end123:
	.size	_ZN2at6native6sbtopk10gatherTopKIhmLi2ELb0EEEvNS_4cuda6detail10TensorInfoIKT_T0_EES8_S8_bS8_S8_NS5_IS6_S8_EES8_NS5_IlS8_EES8_PS6_, .Lfunc_end123-_ZN2at6native6sbtopk10gatherTopKIhmLi2ELb0EEEvNS_4cuda6detail10TensorInfoIKT_T0_EES8_S8_bS8_S8_NS5_IS6_S8_EES8_NS5_IlS8_EES8_PS6_
                                        ; -- End function
	.set _ZN2at6native6sbtopk10gatherTopKIhmLi2ELb0EEEvNS_4cuda6detail10TensorInfoIKT_T0_EES8_S8_bS8_S8_NS5_IS6_S8_EES8_NS5_IlS8_EES8_PS6_.num_vgpr, 50
	.set _ZN2at6native6sbtopk10gatherTopKIhmLi2ELb0EEEvNS_4cuda6detail10TensorInfoIKT_T0_EES8_S8_bS8_S8_NS5_IS6_S8_EES8_NS5_IlS8_EES8_PS6_.num_agpr, 0
	.set _ZN2at6native6sbtopk10gatherTopKIhmLi2ELb0EEEvNS_4cuda6detail10TensorInfoIKT_T0_EES8_S8_bS8_S8_NS5_IS6_S8_EES8_NS5_IlS8_EES8_PS6_.numbered_sgpr, 105
	.set _ZN2at6native6sbtopk10gatherTopKIhmLi2ELb0EEEvNS_4cuda6detail10TensorInfoIKT_T0_EES8_S8_bS8_S8_NS5_IS6_S8_EES8_NS5_IlS8_EES8_PS6_.num_named_barrier, 0
	.set _ZN2at6native6sbtopk10gatherTopKIhmLi2ELb0EEEvNS_4cuda6detail10TensorInfoIKT_T0_EES8_S8_bS8_S8_NS5_IS6_S8_EES8_NS5_IlS8_EES8_PS6_.private_seg_size, 0
	.set _ZN2at6native6sbtopk10gatherTopKIhmLi2ELb0EEEvNS_4cuda6detail10TensorInfoIKT_T0_EES8_S8_bS8_S8_NS5_IS6_S8_EES8_NS5_IlS8_EES8_PS6_.uses_vcc, 1
	.set _ZN2at6native6sbtopk10gatherTopKIhmLi2ELb0EEEvNS_4cuda6detail10TensorInfoIKT_T0_EES8_S8_bS8_S8_NS5_IS6_S8_EES8_NS5_IlS8_EES8_PS6_.uses_flat_scratch, 0
	.set _ZN2at6native6sbtopk10gatherTopKIhmLi2ELb0EEEvNS_4cuda6detail10TensorInfoIKT_T0_EES8_S8_bS8_S8_NS5_IS6_S8_EES8_NS5_IlS8_EES8_PS6_.has_dyn_sized_stack, 0
	.set _ZN2at6native6sbtopk10gatherTopKIhmLi2ELb0EEEvNS_4cuda6detail10TensorInfoIKT_T0_EES8_S8_bS8_S8_NS5_IS6_S8_EES8_NS5_IlS8_EES8_PS6_.has_recursion, 0
	.set _ZN2at6native6sbtopk10gatherTopKIhmLi2ELb0EEEvNS_4cuda6detail10TensorInfoIKT_T0_EES8_S8_bS8_S8_NS5_IS6_S8_EES8_NS5_IlS8_EES8_PS6_.has_indirect_call, 0
	.section	.AMDGPU.csdata,"",@progbits
; Kernel info:
; codeLenInByte = 25312
; TotalNumSgprs: 107
; NumVgprs: 50
; ScratchSize: 0
; MemoryBound: 0
; FloatMode: 240
; IeeeMode: 1
; LDSByteSize: 5152 bytes/workgroup (compile time only)
; SGPRBlocks: 0
; VGPRBlocks: 6
; NumSGPRsForWavesPerEU: 107
; NumVGPRsForWavesPerEU: 50
; Occupancy: 16
; WaveLimiterHint : 1
; COMPUTE_PGM_RSRC2:SCRATCH_EN: 0
; COMPUTE_PGM_RSRC2:USER_SGPR: 6
; COMPUTE_PGM_RSRC2:TRAP_HANDLER: 0
; COMPUTE_PGM_RSRC2:TGID_X_EN: 1
; COMPUTE_PGM_RSRC2:TGID_Y_EN: 1
; COMPUTE_PGM_RSRC2:TGID_Z_EN: 1
; COMPUTE_PGM_RSRC2:TIDIG_COMP_CNT: 0
	.section	.text._ZN2at6native6mbtopk23computeBlockDigitCountsIhmjLi3EEEvNS_4cuda6detail10TensorInfoIKT_T0_EEjPjjS8_iijT1_PSB_Ps,"axG",@progbits,_ZN2at6native6mbtopk23computeBlockDigitCountsIhmjLi3EEEvNS_4cuda6detail10TensorInfoIKT_T0_EEjPjjS8_iijT1_PSB_Ps,comdat
	.protected	_ZN2at6native6mbtopk23computeBlockDigitCountsIhmjLi3EEEvNS_4cuda6detail10TensorInfoIKT_T0_EEjPjjS8_iijT1_PSB_Ps ; -- Begin function _ZN2at6native6mbtopk23computeBlockDigitCountsIhmjLi3EEEvNS_4cuda6detail10TensorInfoIKT_T0_EEjPjjS8_iijT1_PSB_Ps
	.globl	_ZN2at6native6mbtopk23computeBlockDigitCountsIhmjLi3EEEvNS_4cuda6detail10TensorInfoIKT_T0_EEjPjjS8_iijT1_PSB_Ps
	.p2align	8
	.type	_ZN2at6native6mbtopk23computeBlockDigitCountsIhmjLi3EEEvNS_4cuda6detail10TensorInfoIKT_T0_EEjPjjS8_iijT1_PSB_Ps,@function
_ZN2at6native6mbtopk23computeBlockDigitCountsIhmjLi3EEEvNS_4cuda6detail10TensorInfoIKT_T0_EEjPjjS8_iijT1_PSB_Ps: ; @_ZN2at6native6mbtopk23computeBlockDigitCountsIhmjLi3EEEvNS_4cuda6detail10TensorInfoIKT_T0_EEjPjjS8_iijT1_PSB_Ps
; %bb.0:
	s_clause 0x2
	s_load_dwordx4 s[0:3], s[4:5], 0x1c0
	s_load_dword s12, s[4:5], 0x1b0
	s_load_dwordx2 s[10:11], s[4:5], 0x1e0
	s_waitcnt lgkmcnt(0)
	v_cvt_f32_u32_e32 v1, s2
	s_mul_i32 s8, s11, s8
	s_sub_i32 s11, 0, s2
	s_add_i32 s7, s8, s7
	v_rcp_iflag_f32_e32 v1, v1
	s_mul_i32 s24, s7, s10
	s_add_i32 s24, s24, s6
	v_mul_f32_e32 v1, 0x4f7ffffe, v1
	v_cvt_u32_f32_e32 v1, v1
	v_readfirstlane_b32 s9, v1
	s_mul_i32 s11, s11, s9
	s_mul_hi_u32 s7, s9, s11
	s_add_i32 s9, s9, s7
	s_mul_hi_u32 s6, s24, s9
	s_mul_i32 s7, s6, s2
	s_add_i32 s8, s6, 1
	s_sub_i32 s7, s24, s7
	s_sub_i32 s9, s7, s2
	s_cmp_ge_u32 s7, s2
	s_cselect_b32 s6, s8, s6
	s_cselect_b32 s7, s9, s7
	s_add_i32 s8, s6, 1
	s_cmp_ge_u32 s7, s2
	s_mov_b32 s7, 0
	s_cselect_b32 s6, s8, s6
	s_cmp_ge_u32 s6, s12
	s_cbranch_scc1 .LBB124_29
; %bb.1:
	s_clause 0x1
	s_load_dwordx4 s[12:15], s[4:5], 0x10
	s_load_dwordx4 s[8:11], s[4:5], 0x1d0
	s_lshl_b64 s[16:17], s[6:7], 2
	s_mov_b64 s[20:21], 0
	s_waitcnt lgkmcnt(0)
	v_cmp_lt_u64_e64 s18, s[6:7], s[14:15]
	s_add_u32 s22, s8, s16
	s_addc_u32 s23, s9, s17
	s_mov_b64 s[8:9], 0
	s_and_b32 vcc_lo, exec_lo, s18
	s_cbranch_vccz .LBB124_30
; %bb.2:
	v_cmp_lt_u64_e64 s7, s[20:21], s[12:13]
	s_and_b32 vcc_lo, exec_lo, s7
	s_cbranch_vccz .LBB124_31
.LBB124_3:
	v_cmp_gt_u32_e32 vcc_lo, 0x100, v0
	v_lshlrev_b32_e32 v1, 2, v0
	s_and_saveexec_b32 s7, vcc_lo
.LBB124_4:
	v_mov_b32_e32 v2, 0
	ds_write_b32 v1, v2
.LBB124_5:
	s_or_b32 exec_lo, exec_lo, s7
	s_load_dword s9, s[4:5], 0x1a0
	s_mul_i32 s7, s6, s2
	s_mov_b32 s26, 0
	s_sub_i32 s7, s24, s7
	s_waitcnt lgkmcnt(0)
	s_mul_i32 s16, s1, s7
	s_add_i32 s7, s7, 1
	s_lshl_b32 s25, s16, 8
	s_barrier
	buffer_gl0_inv
	s_sub_i32 s16, s9, s25
	s_add_u32 s16, s16, 0xff
	s_addc_u32 s17, 0, 0
	s_lshr_b64 s[16:17], s[16:17], 8
	s_cmp_lt_u32 s7, s2
	s_cselect_b32 s2, s1, s16
	s_cmp_lt_i32 s2, 1
	s_cbranch_scc1 .LBB124_27
; %bb.6:
	s_clause 0x2
	s_load_dwordx2 s[28:29], s[4:5], 0xe0
	s_load_dwordx4 s[16:19], s[4:5], 0xd0
	s_load_dwordx2 s[30:31], s[4:5], 0x0
	s_load_dword s1, s[22:23], 0x0
	s_mul_i32 s7, s20, s15
	s_mul_hi_u32 s15, s20, s14
	s_mul_i32 s14, s20, s14
	s_add_i32 s15, s15, s7
	s_mul_i32 s13, s8, s13
	s_mul_hi_u32 s22, s8, s12
	s_sub_u32 s6, s6, s14
	s_load_dwordx2 s[4:5], s[4:5], 0x1b8
	s_subb_u32 s7, 0, s15
	s_add_i32 s22, s22, s13
	s_mul_i32 s12, s8, s12
	s_waitcnt lgkmcnt(0)
	s_mul_i32 s13, s6, s29
	s_mul_hi_u32 s14, s6, s28
	s_mul_i32 s7, s7, s28
	s_add_i32 s13, s14, s13
	s_mul_i32 s15, s8, s17
	s_add_i32 s13, s13, s7
	s_sub_u32 s7, s20, s12
	s_mul_hi_u32 s17, s8, s16
	s_mul_i32 s8, s8, s16
	s_subb_u32 s12, s21, s22
	s_mul_i32 s14, s7, s19
	s_mul_hi_u32 s16, s7, s18
	s_mul_i32 s12, s12, s18
	s_add_i32 s14, s16, s14
	s_add_i32 s17, s17, s15
	;; [unrolled: 1-line block ×3, first 2 shown]
	s_mul_i32 s7, s7, s18
	s_add_u32 s8, s30, s8
	s_addc_u32 s12, s31, s17
	s_mul_i32 s6, s6, s28
	s_add_u32 s7, s8, s7
	s_addc_u32 s8, s12, s14
	s_add_u32 s6, s7, s6
	s_addc_u32 s7, s8, s13
	s_and_b32 s8, s0, 0xff
	s_cmp_lt_u32 s2, 4
	s_cbranch_scc1 .LBB124_21
; %bb.7:
	v_add_nc_u32_e32 v2, s25, v0
	v_mov_b32_e32 v3, 1
	s_and_b32 s26, s2, 0x7ffffffc
	s_mov_b32 s12, 0
	s_branch .LBB124_9
.LBB124_8:                              ;   in Loop: Header=BB124_9 Depth=1
	s_or_b32 exec_lo, exec_lo, s13
	v_add_nc_u32_e32 v2, 0x400, v2
	s_add_i32 s12, s12, 4
	s_cmp_eq_u32 s26, s12
	s_cbranch_scc1 .LBB124_21
.LBB124_9:                              ; =>This Inner Loop Header: Depth=1
	s_mov_b32 s13, exec_lo
	v_cmpx_gt_u32_e64 s9, v2
	s_cbranch_execz .LBB124_12
; %bb.10:                               ;   in Loop: Header=BB124_9 Depth=1
	v_mad_u64_u32 v[4:5], null, s4, v2, s[6:7]
	v_mad_u64_u32 v[5:6], null, s5, v2, v[5:6]
	global_load_ubyte v4, v[4:5], off
	s_waitcnt vmcnt(0)
	v_xor_b32_e32 v5, s1, v4
	v_and_b32_e32 v5, s3, v5
	v_cmp_eq_u32_e64 s0, 0, v5
	s_and_b32 exec_lo, exec_lo, s0
; %bb.11:                               ;   in Loop: Header=BB124_9 Depth=1
	v_lshrrev_b32_e32 v4, s8, v4
	v_lshlrev_b32_e32 v4, 2, v4
	ds_add_u32 v4, v3
.LBB124_12:                             ;   in Loop: Header=BB124_9 Depth=1
	s_or_b32 exec_lo, exec_lo, s13
	v_add_nc_u32_e32 v4, 0x100, v2
	s_mov_b32 s13, exec_lo
	v_cmpx_gt_u32_e64 s9, v4
	s_cbranch_execz .LBB124_15
; %bb.13:                               ;   in Loop: Header=BB124_9 Depth=1
	v_mad_u64_u32 v[5:6], null, s4, v4, s[6:7]
	v_mad_u64_u32 v[6:7], null, s5, v4, v[6:7]
	global_load_ubyte v4, v[5:6], off
	s_waitcnt vmcnt(0)
	v_xor_b32_e32 v5, s1, v4
	v_and_b32_e32 v5, s3, v5
	v_cmp_eq_u32_e64 s0, 0, v5
	s_and_b32 exec_lo, exec_lo, s0
; %bb.14:                               ;   in Loop: Header=BB124_9 Depth=1
	v_lshrrev_b32_e32 v4, s8, v4
	v_lshlrev_b32_e32 v4, 2, v4
	ds_add_u32 v4, v3
.LBB124_15:                             ;   in Loop: Header=BB124_9 Depth=1
	s_or_b32 exec_lo, exec_lo, s13
	v_add_nc_u32_e32 v4, 0x200, v2
	;; [unrolled: 19-line block ×3, first 2 shown]
	s_mov_b32 s13, exec_lo
	v_cmpx_gt_u32_e64 s9, v4
	s_cbranch_execz .LBB124_8
; %bb.19:                               ;   in Loop: Header=BB124_9 Depth=1
	v_mad_u64_u32 v[5:6], null, s4, v4, s[6:7]
	v_mad_u64_u32 v[6:7], null, s5, v4, v[6:7]
	global_load_ubyte v4, v[5:6], off
	s_waitcnt vmcnt(0)
	v_xor_b32_e32 v5, s1, v4
	v_and_b32_e32 v5, s3, v5
	v_cmp_eq_u32_e64 s0, 0, v5
	s_and_b32 exec_lo, exec_lo, s0
	s_cbranch_execz .LBB124_8
; %bb.20:                               ;   in Loop: Header=BB124_9 Depth=1
	v_lshrrev_b32_e32 v4, s8, v4
	v_lshlrev_b32_e32 v4, 2, v4
	ds_add_u32 v4, v3
	s_branch .LBB124_8
.LBB124_21:
	s_and_b32 s2, s2, 3
	s_cmp_eq_u32 s2, 0
	s_cbranch_scc1 .LBB124_27
; %bb.22:
	s_lshl_b32 s0, s26, 8
	v_mov_b32_e32 v3, 1
	v_add3_u32 v2, s0, s25, v0
	s_inst_prefetch 0x1
	s_branch .LBB124_24
	.p2align	6
.LBB124_23:                             ;   in Loop: Header=BB124_24 Depth=1
	s_or_b32 exec_lo, exec_lo, s12
	v_add_nc_u32_e32 v2, 0x100, v2
	s_add_i32 s2, s2, -1
	s_cmp_lg_u32 s2, 0
	s_cbranch_scc0 .LBB124_27
.LBB124_24:                             ; =>This Inner Loop Header: Depth=1
	s_mov_b32 s12, exec_lo
	v_cmpx_gt_u32_e64 s9, v2
	s_cbranch_execz .LBB124_23
; %bb.25:                               ;   in Loop: Header=BB124_24 Depth=1
	v_mad_u64_u32 v[4:5], null, s4, v2, s[6:7]
	v_mad_u64_u32 v[5:6], null, s5, v2, v[5:6]
	global_load_ubyte v4, v[4:5], off
	s_waitcnt vmcnt(0)
	v_xor_b32_e32 v5, s1, v4
	v_and_b32_e32 v5, s3, v5
	v_cmp_eq_u32_e64 s0, 0, v5
	s_and_b32 exec_lo, exec_lo, s0
	s_cbranch_execz .LBB124_23
; %bb.26:                               ;   in Loop: Header=BB124_24 Depth=1
	v_lshrrev_b32_e32 v4, s8, v4
	v_lshlrev_b32_e32 v4, 2, v4
	ds_add_u32 v4, v3
	s_branch .LBB124_23
.LBB124_27:
	s_inst_prefetch 0x2
	s_waitcnt lgkmcnt(0)
	s_barrier
	buffer_gl0_inv
	s_and_saveexec_b32 s0, vcc_lo
	s_cbranch_execz .LBB124_29
; %bb.28:
	ds_read_b32 v2, v1
	v_lshl_or_b32 v0, s24, 8, v0
	v_mov_b32_e32 v1, 0
	v_lshlrev_b64 v[0:1], 1, v[0:1]
	v_add_co_u32 v0, vcc_lo, s10, v0
	v_add_co_ci_u32_e64 v1, null, s11, v1, vcc_lo
	s_waitcnt lgkmcnt(0)
	global_store_short v[0:1], v2, off
.LBB124_29:
	s_endpgm
.LBB124_30:
	v_cvt_f32_u32_e32 v1, s14
	s_sub_i32 s9, 0, s14
	s_mov_b32 s21, 0
	v_rcp_iflag_f32_e32 v1, v1
	v_mul_f32_e32 v1, 0x4f7ffffe, v1
	v_cvt_u32_f32_e32 v1, v1
	v_readfirstlane_b32 s7, v1
	s_mul_i32 s9, s9, s7
	s_mul_hi_u32 s9, s7, s9
	s_add_i32 s7, s7, s9
	s_mul_hi_u32 s7, s6, s7
	s_mul_i32 s9, s7, s14
	s_add_i32 s16, s7, 1
	s_sub_i32 s9, s6, s9
	s_sub_i32 s17, s9, s14
	s_cmp_ge_u32 s9, s14
	s_cselect_b32 s7, s16, s7
	s_cselect_b32 s9, s17, s9
	s_add_i32 s16, s7, 1
	s_cmp_ge_u32 s9, s14
	s_cselect_b32 s20, s16, s7
	v_cmp_lt_u64_e64 s7, s[20:21], s[12:13]
	s_and_b32 vcc_lo, exec_lo, s7
	s_cbranch_vccnz .LBB124_3
.LBB124_31:
	v_cvt_f32_u32_e32 v1, s12
	s_sub_i32 s8, 0, s12
	v_rcp_iflag_f32_e32 v1, v1
	v_mul_f32_e32 v1, 0x4f7ffffe, v1
	v_cvt_u32_f32_e32 v1, v1
	v_readfirstlane_b32 s7, v1
	s_mul_i32 s8, s8, s7
	s_mul_hi_u32 s8, s7, s8
	s_add_i32 s7, s7, s8
	s_mul_hi_u32 s7, s20, s7
	s_mul_i32 s8, s7, s12
	s_add_i32 s9, s7, 1
	s_sub_i32 s8, s20, s8
	s_sub_i32 s16, s8, s12
	s_cmp_ge_u32 s8, s12
	s_cselect_b32 s7, s9, s7
	s_cselect_b32 s8, s16, s8
	s_add_i32 s9, s7, 1
	s_cmp_ge_u32 s8, s12
	s_cselect_b32 s8, s9, s7
	v_cmp_gt_u32_e32 vcc_lo, 0x100, v0
	v_lshlrev_b32_e32 v1, 2, v0
	s_and_saveexec_b32 s7, vcc_lo
	s_cbranch_execnz .LBB124_4
	s_branch .LBB124_5
	.section	.rodata,"a",@progbits
	.p2align	6, 0x0
	.amdhsa_kernel _ZN2at6native6mbtopk23computeBlockDigitCountsIhmjLi3EEEvNS_4cuda6detail10TensorInfoIKT_T0_EEjPjjS8_iijT1_PSB_Ps
		.amdhsa_group_segment_fixed_size 1024
		.amdhsa_private_segment_fixed_size 0
		.amdhsa_kernarg_size 736
		.amdhsa_user_sgpr_count 6
		.amdhsa_user_sgpr_private_segment_buffer 1
		.amdhsa_user_sgpr_dispatch_ptr 0
		.amdhsa_user_sgpr_queue_ptr 0
		.amdhsa_user_sgpr_kernarg_segment_ptr 1
		.amdhsa_user_sgpr_dispatch_id 0
		.amdhsa_user_sgpr_flat_scratch_init 0
		.amdhsa_user_sgpr_private_segment_size 0
		.amdhsa_wavefront_size32 1
		.amdhsa_uses_dynamic_stack 0
		.amdhsa_system_sgpr_private_segment_wavefront_offset 0
		.amdhsa_system_sgpr_workgroup_id_x 1
		.amdhsa_system_sgpr_workgroup_id_y 1
		.amdhsa_system_sgpr_workgroup_id_z 1
		.amdhsa_system_sgpr_workgroup_info 0
		.amdhsa_system_vgpr_workitem_id 0
		.amdhsa_next_free_vgpr 8
		.amdhsa_next_free_sgpr 32
		.amdhsa_reserve_vcc 1
		.amdhsa_reserve_flat_scratch 0
		.amdhsa_float_round_mode_32 0
		.amdhsa_float_round_mode_16_64 0
		.amdhsa_float_denorm_mode_32 3
		.amdhsa_float_denorm_mode_16_64 3
		.amdhsa_dx10_clamp 1
		.amdhsa_ieee_mode 1
		.amdhsa_fp16_overflow 0
		.amdhsa_workgroup_processor_mode 1
		.amdhsa_memory_ordered 1
		.amdhsa_forward_progress 1
		.amdhsa_shared_vgpr_count 0
		.amdhsa_exception_fp_ieee_invalid_op 0
		.amdhsa_exception_fp_denorm_src 0
		.amdhsa_exception_fp_ieee_div_zero 0
		.amdhsa_exception_fp_ieee_overflow 0
		.amdhsa_exception_fp_ieee_underflow 0
		.amdhsa_exception_fp_ieee_inexact 0
		.amdhsa_exception_int_div_zero 0
	.end_amdhsa_kernel
	.section	.text._ZN2at6native6mbtopk23computeBlockDigitCountsIhmjLi3EEEvNS_4cuda6detail10TensorInfoIKT_T0_EEjPjjS8_iijT1_PSB_Ps,"axG",@progbits,_ZN2at6native6mbtopk23computeBlockDigitCountsIhmjLi3EEEvNS_4cuda6detail10TensorInfoIKT_T0_EEjPjjS8_iijT1_PSB_Ps,comdat
.Lfunc_end124:
	.size	_ZN2at6native6mbtopk23computeBlockDigitCountsIhmjLi3EEEvNS_4cuda6detail10TensorInfoIKT_T0_EEjPjjS8_iijT1_PSB_Ps, .Lfunc_end124-_ZN2at6native6mbtopk23computeBlockDigitCountsIhmjLi3EEEvNS_4cuda6detail10TensorInfoIKT_T0_EEjPjjS8_iijT1_PSB_Ps
                                        ; -- End function
	.set _ZN2at6native6mbtopk23computeBlockDigitCountsIhmjLi3EEEvNS_4cuda6detail10TensorInfoIKT_T0_EEjPjjS8_iijT1_PSB_Ps.num_vgpr, 8
	.set _ZN2at6native6mbtopk23computeBlockDigitCountsIhmjLi3EEEvNS_4cuda6detail10TensorInfoIKT_T0_EEjPjjS8_iijT1_PSB_Ps.num_agpr, 0
	.set _ZN2at6native6mbtopk23computeBlockDigitCountsIhmjLi3EEEvNS_4cuda6detail10TensorInfoIKT_T0_EEjPjjS8_iijT1_PSB_Ps.numbered_sgpr, 32
	.set _ZN2at6native6mbtopk23computeBlockDigitCountsIhmjLi3EEEvNS_4cuda6detail10TensorInfoIKT_T0_EEjPjjS8_iijT1_PSB_Ps.num_named_barrier, 0
	.set _ZN2at6native6mbtopk23computeBlockDigitCountsIhmjLi3EEEvNS_4cuda6detail10TensorInfoIKT_T0_EEjPjjS8_iijT1_PSB_Ps.private_seg_size, 0
	.set _ZN2at6native6mbtopk23computeBlockDigitCountsIhmjLi3EEEvNS_4cuda6detail10TensorInfoIKT_T0_EEjPjjS8_iijT1_PSB_Ps.uses_vcc, 1
	.set _ZN2at6native6mbtopk23computeBlockDigitCountsIhmjLi3EEEvNS_4cuda6detail10TensorInfoIKT_T0_EEjPjjS8_iijT1_PSB_Ps.uses_flat_scratch, 0
	.set _ZN2at6native6mbtopk23computeBlockDigitCountsIhmjLi3EEEvNS_4cuda6detail10TensorInfoIKT_T0_EEjPjjS8_iijT1_PSB_Ps.has_dyn_sized_stack, 0
	.set _ZN2at6native6mbtopk23computeBlockDigitCountsIhmjLi3EEEvNS_4cuda6detail10TensorInfoIKT_T0_EEjPjjS8_iijT1_PSB_Ps.has_recursion, 0
	.set _ZN2at6native6mbtopk23computeBlockDigitCountsIhmjLi3EEEvNS_4cuda6detail10TensorInfoIKT_T0_EEjPjjS8_iijT1_PSB_Ps.has_indirect_call, 0
	.section	.AMDGPU.csdata,"",@progbits
; Kernel info:
; codeLenInByte = 1436
; TotalNumSgprs: 34
; NumVgprs: 8
; ScratchSize: 0
; MemoryBound: 0
; FloatMode: 240
; IeeeMode: 1
; LDSByteSize: 1024 bytes/workgroup (compile time only)
; SGPRBlocks: 0
; VGPRBlocks: 0
; NumSGPRsForWavesPerEU: 34
; NumVGPRsForWavesPerEU: 8
; Occupancy: 16
; WaveLimiterHint : 1
; COMPUTE_PGM_RSRC2:SCRATCH_EN: 0
; COMPUTE_PGM_RSRC2:USER_SGPR: 6
; COMPUTE_PGM_RSRC2:TRAP_HANDLER: 0
; COMPUTE_PGM_RSRC2:TGID_X_EN: 1
; COMPUTE_PGM_RSRC2:TGID_Y_EN: 1
; COMPUTE_PGM_RSRC2:TGID_Z_EN: 1
; COMPUTE_PGM_RSRC2:TIDIG_COMP_CNT: 0
	.section	.text._ZN2at6native6mbtopk10gatherTopKIhmLi3EEEvNS_4cuda6detail10TensorInfoIKT_T0_EES8_S8_bjS8_NS5_IS6_S8_EES8_NS5_IlS8_EES8_jjPS6_PjSD_j,"axG",@progbits,_ZN2at6native6mbtopk10gatherTopKIhmLi3EEEvNS_4cuda6detail10TensorInfoIKT_T0_EES8_S8_bjS8_NS5_IS6_S8_EES8_NS5_IlS8_EES8_jjPS6_PjSD_j,comdat
	.protected	_ZN2at6native6mbtopk10gatherTopKIhmLi3EEEvNS_4cuda6detail10TensorInfoIKT_T0_EES8_S8_bjS8_NS5_IS6_S8_EES8_NS5_IlS8_EES8_jjPS6_PjSD_j ; -- Begin function _ZN2at6native6mbtopk10gatherTopKIhmLi3EEEvNS_4cuda6detail10TensorInfoIKT_T0_EES8_S8_bjS8_NS5_IS6_S8_EES8_NS5_IlS8_EES8_jjPS6_PjSD_j
	.globl	_ZN2at6native6mbtopk10gatherTopKIhmLi3EEEvNS_4cuda6detail10TensorInfoIKT_T0_EES8_S8_bjS8_NS5_IS6_S8_EES8_NS5_IlS8_EES8_jjPS6_PjSD_j
	.p2align	8
	.type	_ZN2at6native6mbtopk10gatherTopKIhmLi3EEEvNS_4cuda6detail10TensorInfoIKT_T0_EES8_S8_bjS8_NS5_IS6_S8_EES8_NS5_IlS8_EES8_jjPS6_PjSD_j,@function
_ZN2at6native6mbtopk10gatherTopKIhmLi3EEEvNS_4cuda6detail10TensorInfoIKT_T0_EES8_S8_bjS8_NS5_IS6_S8_EES8_NS5_IlS8_EES8_jjPS6_PjSD_j: ; @_ZN2at6native6mbtopk10gatherTopKIhmLi3EEEvNS_4cuda6detail10TensorInfoIKT_T0_EES8_S8_bjS8_NS5_IS6_S8_EES8_NS5_IlS8_EES8_jjPS6_PjSD_j
; %bb.0:
	s_clause 0x1
	s_load_dwordx2 s[0:1], s[4:5], 0x538
	s_load_dword s2, s[4:5], 0x530
	s_waitcnt lgkmcnt(0)
	s_mul_i32 s1, s1, s8
	s_add_i32 s1, s1, s7
	s_mul_i32 s0, s1, s0
	s_add_i32 s0, s0, s6
	s_cmp_ge_u32 s0, s2
	s_cbranch_scc1 .LBB125_54
; %bb.1:
	s_clause 0x2
	s_load_dwordx2 s[6:7], s[4:5], 0x510
	s_load_dwordx4 s[8:11], s[4:5], 0x1a0
	s_load_dwordx4 s[12:15], s[4:5], 0x10
	s_mov_b32 s35, 0
	s_waitcnt lgkmcnt(0)
	v_cvt_f32_u32_e32 v1, s7
	s_sub_i32 s2, 0, s7
	s_lshl_b32 s33, s6, 8
	v_rcp_iflag_f32_e32 v1, v1
	v_mul_f32_e32 v1, 0x4f7ffffe, v1
	v_cvt_u32_f32_e32 v1, v1
	v_readfirstlane_b32 s1, v1
	s_mul_i32 s2, s2, s1
	s_mul_hi_u32 s2, s1, s2
	s_add_i32 s1, s1, s2
	s_mul_hi_u32 s1, s0, s1
	s_mul_i32 s2, s1, s7
	s_add_i32 s3, s1, 1
	s_sub_i32 s2, s0, s2
	s_sub_i32 s16, s2, s7
	s_cmp_ge_u32 s2, s7
	s_cselect_b32 s1, s3, s1
	s_cselect_b32 s2, s16, s2
	s_add_i32 s3, s1, 1
	s_cmp_ge_u32 s2, s7
	s_cselect_b32 s34, s3, s1
	s_mul_i32 s20, s34, s7
	s_sub_i32 s72, s0, s20
	s_add_i32 s0, s72, 1
	s_cmp_lt_u32 s0, s7
	s_cbranch_scc1 .LBB125_3
; %bb.2:
	s_mul_i32 s0, s72, s33
	s_sub_u32 s0, s8, s0
	s_subb_u32 s1, s9, 0
	s_add_u32 s0, s0, 0xff
	s_addc_u32 s1, s1, 0
	s_ashr_i32 s2, s1, 31
	s_lshr_b32 s2, s2, 24
	s_add_u32 s0, s0, s2
	s_addc_u32 s1, s1, 0
	s_lshr_b64 s[0:1], s[0:1], 8
	s_mov_b32 s6, s0
.LBB125_3:
	v_cmp_lt_u64_e64 s0, s[34:35], s[14:15]
	s_mov_b64 s[48:49], 0
	s_mov_b64 s[50:51], 0
	s_and_b32 vcc_lo, exec_lo, s0
	s_cbranch_vccnz .LBB125_5
; %bb.4:
	v_cvt_f32_u32_e32 v1, s14
	s_sub_i32 s1, 0, s14
	s_mov_b32 s51, 0
	v_rcp_iflag_f32_e32 v1, v1
	v_mul_f32_e32 v1, 0x4f7ffffe, v1
	v_cvt_u32_f32_e32 v1, v1
	v_readfirstlane_b32 s0, v1
	s_mul_i32 s1, s1, s0
	s_mul_hi_u32 s1, s0, s1
	s_add_i32 s0, s0, s1
	s_mul_hi_u32 s0, s34, s0
	s_mul_i32 s1, s0, s14
	s_add_i32 s2, s0, 1
	s_sub_i32 s1, s34, s1
	s_sub_i32 s3, s1, s14
	s_cmp_ge_u32 s1, s14
	s_cselect_b32 s0, s2, s0
	s_cselect_b32 s1, s3, s1
	s_add_i32 s2, s0, 1
	s_cmp_ge_u32 s1, s14
	s_cselect_b32 s50, s2, s0
.LBB125_5:
	s_load_dwordx4 s[24:27], s[4:5], 0x1d0
	v_cmp_lt_u64_e64 s0, s[50:51], s[12:13]
	s_and_b32 vcc_lo, exec_lo, s0
	s_cbranch_vccnz .LBB125_7
; %bb.6:
	v_cvt_f32_u32_e32 v1, s12
	s_sub_i32 s1, 0, s12
	v_rcp_iflag_f32_e32 v1, v1
	v_mul_f32_e32 v1, 0x4f7ffffe, v1
	v_cvt_u32_f32_e32 v1, v1
	v_readfirstlane_b32 s0, v1
	s_mul_i32 s1, s1, s0
	s_mul_hi_u32 s1, s0, s1
	s_add_i32 s0, s0, s1
	s_mul_hi_u32 s0, s50, s0
	s_mul_i32 s1, s0, s12
	s_add_i32 s2, s0, 1
	s_sub_i32 s1, s50, s1
	s_sub_i32 s3, s1, s12
	s_cmp_ge_u32 s1, s12
	s_cselect_b32 s0, s2, s0
	s_cselect_b32 s1, s3, s1
	s_add_i32 s2, s0, 1
	s_cmp_ge_u32 s1, s12
	s_cselect_b32 s48, s2, s0
.LBB125_7:
	s_waitcnt lgkmcnt(0)
	v_cmp_lt_u64_e64 s0, s[34:35], s[26:27]
	s_mov_b64 s[54:55], 0
	s_mov_b64 s[56:57], 0
	s_and_b32 vcc_lo, exec_lo, s0
	s_cbranch_vccnz .LBB125_9
; %bb.8:
	v_cvt_f32_u32_e32 v1, s26
	s_sub_i32 s1, 0, s26
	s_mov_b32 s57, 0
	v_rcp_iflag_f32_e32 v1, v1
	v_mul_f32_e32 v1, 0x4f7ffffe, v1
	v_cvt_u32_f32_e32 v1, v1
	v_readfirstlane_b32 s0, v1
	s_mul_i32 s1, s1, s0
	s_mul_hi_u32 s1, s0, s1
	s_add_i32 s0, s0, s1
	s_mul_hi_u32 s0, s34, s0
	s_mul_i32 s1, s0, s26
	s_add_i32 s2, s0, 1
	s_sub_i32 s1, s34, s1
	s_sub_i32 s3, s1, s26
	s_cmp_ge_u32 s1, s26
	s_cselect_b32 s0, s2, s0
	s_cselect_b32 s1, s3, s1
	s_add_i32 s2, s0, 1
	s_cmp_ge_u32 s1, s26
	s_cselect_b32 s56, s2, s0
.LBB125_9:
	s_load_dwordx4 s[28:31], s[4:5], 0x378
	v_cmp_lt_u64_e64 s0, s[56:57], s[24:25]
	s_and_b32 vcc_lo, exec_lo, s0
	s_cbranch_vccnz .LBB125_11
; %bb.10:
	v_cvt_f32_u32_e32 v1, s24
	s_sub_i32 s1, 0, s24
	v_rcp_iflag_f32_e32 v1, v1
	v_mul_f32_e32 v1, 0x4f7ffffe, v1
	v_cvt_u32_f32_e32 v1, v1
	v_readfirstlane_b32 s0, v1
	s_mul_i32 s1, s1, s0
	s_mul_hi_u32 s1, s0, s1
	s_add_i32 s0, s0, s1
	s_mul_hi_u32 s0, s56, s0
	s_mul_i32 s1, s0, s24
	s_add_i32 s2, s0, 1
	s_sub_i32 s1, s56, s1
	s_sub_i32 s3, s1, s24
	s_cmp_ge_u32 s1, s24
	s_cselect_b32 s0, s2, s0
	s_cselect_b32 s1, s3, s1
	s_add_i32 s2, s0, 1
	s_cmp_ge_u32 s1, s24
	s_cselect_b32 s54, s2, s0
.LBB125_11:
	s_waitcnt lgkmcnt(0)
	v_cmp_lt_u64_e64 s0, s[34:35], s[30:31]
	s_mov_b64 s[58:59], 0
	s_mov_b64 s[60:61], 0
	s_and_b32 vcc_lo, exec_lo, s0
	s_cbranch_vccnz .LBB125_13
; %bb.12:
	v_cvt_f32_u32_e32 v1, s30
	s_sub_i32 s1, 0, s30
	s_mov_b32 s61, 0
	v_rcp_iflag_f32_e32 v1, v1
	v_mul_f32_e32 v1, 0x4f7ffffe, v1
	v_cvt_u32_f32_e32 v1, v1
	v_readfirstlane_b32 s0, v1
	s_mul_i32 s1, s1, s0
	s_mul_hi_u32 s1, s0, s1
	s_add_i32 s0, s0, s1
	s_mul_hi_u32 s0, s34, s0
	s_mul_i32 s1, s0, s30
	s_add_i32 s2, s0, 1
	s_sub_i32 s1, s34, s1
	s_sub_i32 s3, s1, s30
	s_cmp_ge_u32 s1, s30
	s_cselect_b32 s0, s2, s0
	s_cselect_b32 s1, s3, s1
	s_add_i32 s2, s0, 1
	s_cmp_ge_u32 s1, s30
	s_cselect_b32 s60, s2, s0
.LBB125_13:
	s_clause 0x5
	s_load_dwordx2 s[62:63], s[4:5], 0xe0
	s_load_dwordx4 s[40:43], s[4:5], 0xd0
	s_load_dwordx2 s[66:67], s[4:5], 0x2a0
	s_load_dwordx4 s[44:47], s[4:5], 0x290
	s_load_dwordx2 s[52:53], s[4:5], 0x448
	s_load_dwordx4 s[36:39], s[4:5], 0x438
	v_cmp_lt_u64_e64 s0, s[60:61], s[28:29]
	s_and_b32 vcc_lo, exec_lo, s0
	s_cbranch_vccnz .LBB125_15
; %bb.14:
	v_cvt_f32_u32_e32 v1, s28
	s_sub_i32 s1, 0, s28
	v_rcp_iflag_f32_e32 v1, v1
	v_mul_f32_e32 v1, 0x4f7ffffe, v1
	v_cvt_u32_f32_e32 v1, v1
	v_readfirstlane_b32 s0, v1
	s_mul_i32 s1, s1, s0
	s_mul_hi_u32 s1, s0, s1
	s_add_i32 s0, s0, s1
	s_mul_hi_u32 s0, s60, s0
	s_mul_i32 s1, s0, s28
	s_add_i32 s2, s0, 1
	s_sub_i32 s1, s60, s1
	s_sub_i32 s3, s1, s28
	s_cmp_ge_u32 s1, s28
	s_cselect_b32 s0, s2, s0
	s_cselect_b32 s1, s3, s1
	s_add_i32 s2, s0, 1
	s_cmp_ge_u32 s1, s28
	s_cselect_b32 s58, s2, s0
.LBB125_15:
	s_clause 0x1
	s_load_dwordx4 s[0:3], s[4:5], 0x518
	s_load_dwordx2 s[64:65], s[4:5], 0x0
	v_mov_b32_e32 v1, 0
	s_mov_b32 s21, 0
	s_waitcnt lgkmcnt(0)
	s_add_u32 s0, s0, s34
	s_addc_u32 s1, s1, 0
	global_load_ubyte v8, v1, s[0:1]
	v_cmp_ne_u32_e64 s0, 0, v0
	v_cmp_eq_u32_e64 s1, 0, v0
	s_and_saveexec_b32 s35, s1
	s_cbranch_execz .LBB125_31
; %bb.16:
	s_load_dwordx2 s[22:23], s[4:5], 0x528
	s_lshl_b64 s[68:69], s[20:21], 2
	s_mov_b32 s20, 0
	s_add_u32 s16, s2, s68
	s_addc_u32 s17, s3, s69
	s_mov_b32 s49, 0
	s_waitcnt lgkmcnt(0)
	s_add_u32 s18, s22, s68
	s_addc_u32 s19, s23, s69
	s_cmp_lt_u32 s7, 4
	s_cbranch_scc1 .LBB125_28
; %bb.17:
	s_mov_b32 s55, 0
.LBB125_18:                             ; =>This Inner Loop Header: Depth=1
	s_add_u32 s16, s2, s68
	s_addc_u32 s17, s3, s69
	s_add_u32 s70, s22, s68
	s_load_dwordx4 s[16:19], s[16:17], 0x0
	s_addc_u32 s71, s23, s69
	s_cmp_ge_u32 s55, s72
	s_cbranch_scc0 .LBB125_25
; %bb.19:                               ;   in Loop: Header=BB125_18 Depth=1
	s_add_i32 s59, s55, 1
	s_cmp_ge_u32 s59, s72
	s_cbranch_scc0 .LBB125_26
.LBB125_20:                             ;   in Loop: Header=BB125_18 Depth=1
	s_add_i32 s59, s59, 1
	s_cmp_ge_u32 s59, s72
	s_cbranch_scc0 .LBB125_27
.LBB125_21:                             ;   in Loop: Header=BB125_18 Depth=1
	s_add_i32 s59, s59, 1
	s_cmp_ge_u32 s59, s72
	s_cbranch_scc1 .LBB125_23
.LBB125_22:                             ;   in Loop: Header=BB125_18 Depth=1
	s_load_dword s70, s[70:71], 0xc
	s_waitcnt lgkmcnt(0)
	s_add_i32 s21, s21, s19
	s_add_i32 s20, s70, s20
.LBB125_23:                             ;   in Loop: Header=BB125_18 Depth=1
	s_waitcnt lgkmcnt(0)
	s_add_i32 s16, s16, s49
	s_add_i32 s16, s16, s17
	;; [unrolled: 1-line block ×4, first 2 shown]
	s_add_u32 s2, s2, 16
	s_addc_u32 s3, s3, 0
	s_add_u32 s22, s22, 16
	s_addc_u32 s23, s23, 0
	s_add_i32 s70, s59, 4
	s_add_u32 s18, s22, s68
	s_addc_u32 s19, s23, s69
	s_add_u32 s16, s2, s68
	s_addc_u32 s17, s3, s69
	s_add_i32 s59, s59, 1
	s_cmp_ge_u32 s70, s7
	s_cbranch_scc1 .LBB125_29
; %bb.24:                               ;   in Loop: Header=BB125_18 Depth=1
	s_mov_b32 s55, s59
	s_branch .LBB125_18
.LBB125_25:                             ;   in Loop: Header=BB125_18 Depth=1
	s_load_dword s59, s[70:71], 0x0
	s_waitcnt lgkmcnt(0)
	s_add_i32 s21, s16, s21
	s_add_i32 s20, s59, s20
	;; [unrolled: 1-line block ×3, first 2 shown]
	s_cmp_ge_u32 s59, s72
	s_cbranch_scc1 .LBB125_20
.LBB125_26:                             ;   in Loop: Header=BB125_18 Depth=1
	s_load_dword s73, s[70:71], 0x4
	s_waitcnt lgkmcnt(0)
	s_add_i32 s21, s21, s17
	s_add_i32 s20, s73, s20
	s_add_i32 s59, s59, 1
	s_cmp_ge_u32 s59, s72
	s_cbranch_scc1 .LBB125_21
.LBB125_27:                             ;   in Loop: Header=BB125_18 Depth=1
	s_load_dword s73, s[70:71], 0x8
	s_waitcnt lgkmcnt(0)
	s_add_i32 s21, s21, s18
	s_add_i32 s20, s73, s20
	;; [unrolled: 1-line block ×3, first 2 shown]
	s_cmp_ge_u32 s59, s72
	s_cbranch_scc0 .LBB125_22
	s_branch .LBB125_23
.LBB125_28:
	s_mov_b32 s2, 0
	s_cmp_ge_u32 s2, s7
	s_cbranch_scc0 .LBB125_52
	s_branch .LBB125_30
.LBB125_29:
	s_add_i32 s2, s55, 4
	s_cmp_ge_u32 s2, s7
	s_cbranch_scc0 .LBB125_52
.LBB125_30:
	v_mov_b32_e32 v1, s20
	v_mov_b32_e32 v2, s49
	v_mov_b32_e32 v3, s21
	v_mov_b32_e32 v4, 0
	ds_write_b96 v4, v[1:3] offset:1056
.LBB125_31:
	s_or_b32 exec_lo, exec_lo, s35
	s_clause 0x1
	s_load_dwordx4 s[16:19], s[4:5], 0x1b8
	s_load_dwordx4 s[20:23], s[4:5], 0x360
	s_cmp_eq_u32 s6, 0
	s_waitcnt vmcnt(0) lgkmcnt(0)
	s_barrier
	buffer_gl0_inv
	s_cbranch_scc1 .LBB125_54
; %bb.32:
	s_mul_i32 s2, s60, s31
	s_mul_hi_u32 s3, s60, s30
	s_mul_i32 s7, s60, s30
	s_add_i32 s3, s3, s2
	s_sub_u32 s2, s34, s7
	s_subb_u32 s3, 0, s3
	s_mul_i32 s7, s2, s53
	s_mul_hi_u32 s30, s2, s52
	s_mul_i32 s3, s3, s52
	s_add_i32 s7, s30, s7
	s_mul_hi_u32 s31, s54, s44
	s_add_i32 s3, s7, s3
	s_mul_i32 s7, s54, s25
	s_mul_hi_u32 s25, s54, s24
	s_mul_i32 s24, s54, s24
	s_add_i32 s25, s25, s7
	s_sub_u32 s7, s56, s24
	s_subb_u32 s25, s57, s25
	s_mul_i32 s24, s7, s47
	s_mul_hi_u32 s30, s7, s46
	s_mul_i32 s25, s25, s46
	s_add_i32 s24, s30, s24
	s_mul_i32 s30, s54, s45
	s_add_i32 s24, s24, s25
	s_mul_i32 s25, s56, s27
	s_mul_hi_u32 s27, s56, s26
	s_mul_i32 s26, s56, s26
	s_add_i32 s31, s31, s30
	s_add_i32 s27, s27, s25
	s_sub_u32 s25, s34, s26
	s_subb_u32 s27, 0, s27
	s_mul_i32 s26, s25, s67
	s_mul_hi_u32 s30, s25, s66
	s_mul_i32 s27, s27, s66
	s_add_i32 s26, s30, s26
	s_mul_i32 s13, s48, s13
	s_add_i32 s35, s26, s27
	s_mul_hi_u32 s26, s48, s12
	s_mul_i32 s12, s48, s12
	s_add_i32 s26, s26, s13
	s_sub_u32 s12, s50, s12
	s_mul_i32 s30, s54, s44
	s_mul_i32 s44, s25, s66
	;; [unrolled: 1-line block ×3, first 2 shown]
	s_mul_hi_u32 s25, s12, s42
	s_subb_u32 s26, s51, s26
	s_add_i32 s13, s25, s13
	s_mul_i32 s25, s48, s41
	s_mul_hi_u32 s27, s48, s40
	s_mul_i32 s26, s26, s42
	s_add_i32 s41, s27, s25
	s_mul_i32 s15, s50, s15
	s_mul_hi_u32 s25, s50, s14
	s_mul_i32 s14, s50, s14
	s_add_i32 s13, s13, s26
	s_add_i32 s25, s25, s15
	s_sub_u32 s14, s34, s14
	s_subb_u32 s25, 0, s25
	s_mul_i32 s15, s14, s63
	s_mul_hi_u32 s26, s14, s62
	s_mul_i32 s25, s25, s62
	s_add_i32 s15, s26, s15
	s_mul_hi_u32 s26, s58, s28
	s_add_i32 s15, s15, s25
	s_mul_i32 s25, s58, s29
	s_mul_i32 s27, s58, s28
	s_add_i32 s26, s26, s25
	s_sub_u32 s28, s60, s27
	s_subb_u32 s26, s61, s26
	s_mul_i32 s25, s28, s39
	s_mul_hi_u32 s27, s28, s38
	s_mul_i32 s26, s26, s38
	s_add_i32 s25, s27, s25
	s_mul_i32 s27, s58, s37
	s_mul_hi_u32 s29, s58, s36
	s_mul_i32 s34, s48, s40
	v_mov_b32_e32 v5, 0
	s_add_i32 s25, s25, s26
	s_add_i32 s27, s29, s27
	s_mul_i32 s12, s12, s42
	s_add_u32 s29, s64, s34
	s_addc_u32 s34, s65, s41
	s_mul_i32 s14, s14, s62
	s_add_u32 s12, s29, s12
	s_addc_u32 s13, s34, s13
	ds_read_b96 v[1:3], v5 offset:1056
	s_add_u32 s12, s12, s14
	s_addc_u32 s13, s13, s15
	s_mul_i32 s7, s7, s46
	s_add_u32 s14, s18, s30
	s_addc_u32 s15, s19, s31
	s_add_u32 s7, s14, s7
	s_mul_i32 s26, s58, s36
	s_addc_u32 s15, s15, s24
	s_add_u32 s14, s7, s44
	s_addc_u32 s15, s15, s35
	s_lshl_b64 s[18:19], s[26:27], 3
	s_mul_i32 s24, s28, s38
	s_add_u32 s7, s22, s18
	s_addc_u32 s22, s23, s19
	s_lshl_b64 s[18:19], s[24:25], 3
	v_add_nc_u32_e32 v4, -1, v0
	s_add_u32 s7, s7, s18
	s_addc_u32 s18, s22, s19
	s_clause 0x1
	s_load_dword s19, s[4:5], 0x1b0
	s_load_dwordx2 s[4:5], s[4:5], 0x508
	v_lshrrev_b32_e32 v6, 3, v0
	v_lshrrev_b32_e32 v7, 3, v4
	s_waitcnt lgkmcnt(0)
	v_add_nc_u32_e32 v1, v1, v2
	s_mul_i32 s2, s2, s52
	v_and_b32_e32 v11, 0xfc, v0
	v_and_b32_e32 v2, 28, v6
	;; [unrolled: 1-line block ×3, first 2 shown]
	v_mad_u64_u32 v[6:7], null, s72, s33, v[0:1]
	v_lshlrev_b32_e32 v12, 5, v0
	v_mbcnt_lo_u32_b32 v9, -1, 0
	s_lshl_b64 s[2:3], s[2:3], 3
	v_lshl_add_u32 v10, v0, 2, v2
	s_add_u32 s7, s7, s2
	s_addc_u32 s18, s18, s3
	v_cmp_gt_u32_e64 s2, 32, v0
	v_lshl_add_u32 v0, v4, 2, v13
	v_add_nc_u32_e32 v11, v11, v12
	v_and_b32_e32 v12, 15, v9
	v_bfe_i32 v13, v9, 4, 1
	v_add_nc_u32_e32 v14, -1, v9
	v_mov_b32_e32 v4, v6
	s_bitcmp1_b32 s19, 0
                                        ; implicit-def: $vgpr15
	s_cselect_b32 s3, -1, 0
	s_branch .LBB125_35
.LBB125_33:                             ;   in Loop: Header=BB125_35 Depth=1
	s_or_b32 exec_lo, exec_lo, s19
	v_add_nc_u32_e32 v1, v2, v1
.LBB125_34:                             ;   in Loop: Header=BB125_35 Depth=1
	v_add_nc_u32_e32 v3, v16, v3
	v_add_nc_u32_e32 v4, 0x100, v4
	s_add_i32 s6, s6, -1
	s_cmp_lg_u32 s6, 0
	s_cbranch_scc0 .LBB125_54
.LBB125_35:                             ; =>This Inner Loop Header: Depth=1
	v_mov_b32_e32 v2, v5
	v_mov_b32_e32 v6, v5
	s_mov_b32 s19, exec_lo
	v_cmpx_gt_u64_e64 s[8:9], v[4:5]
	s_cbranch_execz .LBB125_37
; %bb.36:                               ;   in Loop: Header=BB125_35 Depth=1
	v_mad_u64_u32 v[6:7], null, s16, v4, s[12:13]
	v_mov_b32_e32 v2, v7
	v_mad_u64_u32 v[15:16], null, s17, v4, v[2:3]
	v_mov_b32_e32 v7, v15
	global_load_ubyte v15, v[6:7], off
	s_waitcnt vmcnt(0)
	v_cmp_gt_u16_sdwa s22, v15, v8 src0_sel:DWORD src1_sel:BYTE_0
	v_cndmask_b32_e64 v2, 0, 1, s22
	v_cmp_lt_u16_sdwa s22, v15, v8 src0_sel:DWORD src1_sel:BYTE_0
	v_cndmask_b32_e64 v6, 0, 1, s22
	v_cmp_eq_u16_sdwa s22, v15, v8 src0_sel:DWORD src1_sel:BYTE_0
	v_cndmask_b32_e64 v2, v6, v2, s3
	v_cndmask_b32_e64 v6, 0, 1, s22
	v_and_b32_e32 v2, 1, v2
.LBB125_37:                             ;   in Loop: Header=BB125_35 Depth=1
	s_or_b32 exec_lo, exec_lo, s19
	ds_write_b32 v10, v2
	s_waitcnt lgkmcnt(0)
	s_barrier
	buffer_gl0_inv
	s_and_saveexec_b32 s19, s2
	s_cbranch_execz .LBB125_39
; %bb.38:                               ;   in Loop: Header=BB125_35 Depth=1
	ds_read2_b32 v[16:17], v11 offset1:1
	ds_read2_b32 v[18:19], v11 offset0:2 offset1:3
	ds_read2_b32 v[20:21], v11 offset0:4 offset1:5
	;; [unrolled: 1-line block ×3, first 2 shown]
	v_cmp_ne_u32_e32 vcc_lo, 0, v12
	; wave barrier
	s_waitcnt lgkmcnt(3)
	v_add_nc_u32_e32 v7, v17, v16
	s_waitcnt lgkmcnt(2)
	v_add3_u32 v7, v7, v18, v19
	s_waitcnt lgkmcnt(1)
	v_add3_u32 v7, v7, v20, v21
	;; [unrolled: 2-line block ×3, first 2 shown]
	v_mov_b32_dpp v17, v7 row_shr:1 row_mask:0xf bank_mask:0xf
	v_cndmask_b32_e32 v17, 0, v17, vcc_lo
	v_cmp_lt_u32_e32 vcc_lo, 1, v12
	v_add_nc_u32_e32 v7, v17, v7
	v_mov_b32_dpp v17, v7 row_shr:2 row_mask:0xf bank_mask:0xf
	v_cndmask_b32_e32 v17, 0, v17, vcc_lo
	v_cmp_lt_u32_e32 vcc_lo, 3, v12
	v_add_nc_u32_e32 v7, v7, v17
	;; [unrolled: 4-line block ×3, first 2 shown]
	v_mov_b32_dpp v17, v7 row_shr:8 row_mask:0xf bank_mask:0xf
	v_cndmask_b32_e32 v17, 0, v17, vcc_lo
	v_cmp_gt_i32_e32 vcc_lo, 0, v14
	v_add_nc_u32_e32 v7, v7, v17
	v_cndmask_b32_e32 v18, v14, v9, vcc_lo
	ds_swizzle_b32 v17, v7 offset:swizzle(BROADCAST,32,15)
	v_lshlrev_b32_e32 v18, 2, v18
	s_waitcnt lgkmcnt(0)
	v_and_b32_e32 v17, v13, v17
	v_add_nc_u32_e32 v7, v7, v17
	ds_bpermute_b32 v7, v18, v7
	s_waitcnt lgkmcnt(0)
	v_add_nc_u32_e32 v7, v7, v16
	v_cndmask_b32_e64 v7, v7, v2, s1
	ds_write_b32 v11, v7
	; wave barrier
	ds_read2_b32 v[16:17], v11 offset0:1 offset1:2
	ds_read2_b32 v[18:19], v11 offset0:3 offset1:4
	;; [unrolled: 1-line block ×3, first 2 shown]
	ds_read_b32 v22, v11 offset:28
	s_waitcnt lgkmcnt(3)
	v_add_nc_u32_e32 v7, v16, v7
	v_add_nc_u32_e32 v16, v17, v7
	s_waitcnt lgkmcnt(2)
	v_add_nc_u32_e32 v17, v18, v16
	v_add_nc_u32_e32 v18, v19, v17
	;; [unrolled: 3-line block ×3, first 2 shown]
	s_waitcnt lgkmcnt(0)
	v_add_nc_u32_e32 v21, v22, v20
	ds_write2_b32 v11, v7, v16 offset0:1 offset1:2
	ds_write2_b32 v11, v17, v18 offset0:3 offset1:4
	;; [unrolled: 1-line block ×3, first 2 shown]
	ds_write_b32 v11, v21 offset:28
.LBB125_39:                             ;   in Loop: Header=BB125_35 Depth=1
	s_or_b32 exec_lo, exec_lo, s19
	v_mov_b32_e32 v7, 0
	s_waitcnt lgkmcnt(0)
	s_barrier
	buffer_gl0_inv
	s_and_saveexec_b32 s19, s0
; %bb.40:                               ;   in Loop: Header=BB125_35 Depth=1
	ds_read_b32 v7, v0
; %bb.41:                               ;   in Loop: Header=BB125_35 Depth=1
	s_or_b32 exec_lo, exec_lo, s19
	ds_read_b32 v16, v5 offset:1048
	s_mov_b32 s19, exec_lo
	s_waitcnt lgkmcnt(0)
	s_barrier
	buffer_gl0_inv
	v_cmpx_ne_u32_e32 0, v2
	s_cbranch_execz .LBB125_43
; %bb.42:                               ;   in Loop: Header=BB125_35 Depth=1
	v_add_nc_u32_e32 v7, v7, v3
	v_mad_u64_u32 v[17:18], null, s4, v7, 0
	v_mad_u64_u32 v[19:20], null, s20, v7, s[14:15]
	v_mov_b32_e32 v2, v18
	v_mad_u64_u32 v[21:22], null, s5, v7, v[2:3]
	v_mov_b32_e32 v2, v20
	v_mov_b32_e32 v18, v21
	v_mad_u64_u32 v[20:21], null, s21, v7, v[2:3]
	v_lshlrev_b64 v[17:18], 3, v[17:18]
	v_add_co_u32 v17, vcc_lo, s7, v17
	v_add_co_ci_u32_e64 v18, null, s18, v18, vcc_lo
	global_store_byte v[19:20], v15, off
	global_store_dwordx2 v[17:18], v[4:5], off
.LBB125_43:                             ;   in Loop: Header=BB125_35 Depth=1
	s_or_b32 exec_lo, exec_lo, s19
	v_mov_b32_e32 v2, v5
	v_cmp_le_u64_e32 vcc_lo, s[10:11], v[1:2]
	s_cbranch_vccnz .LBB125_34
; %bb.44:                               ;   in Loop: Header=BB125_35 Depth=1
	ds_write_b32 v10, v6
	s_waitcnt lgkmcnt(0)
	s_waitcnt_vscnt null, 0x0
	s_barrier
	buffer_gl0_inv
	s_and_saveexec_b32 s19, s2
	s_cbranch_execz .LBB125_46
; %bb.45:                               ;   in Loop: Header=BB125_35 Depth=1
	ds_read2_b32 v[17:18], v11 offset1:1
	ds_read2_b32 v[19:20], v11 offset0:2 offset1:3
	ds_read2_b32 v[21:22], v11 offset0:4 offset1:5
	;; [unrolled: 1-line block ×3, first 2 shown]
	v_cmp_ne_u32_e32 vcc_lo, 0, v12
	; wave barrier
	s_waitcnt lgkmcnt(3)
	v_add_nc_u32_e32 v2, v18, v17
	s_waitcnt lgkmcnt(2)
	v_add3_u32 v2, v2, v19, v20
	s_waitcnt lgkmcnt(1)
	v_add3_u32 v2, v2, v21, v22
	;; [unrolled: 2-line block ×3, first 2 shown]
	v_mov_b32_dpp v7, v2 row_shr:1 row_mask:0xf bank_mask:0xf
	v_cndmask_b32_e32 v7, 0, v7, vcc_lo
	v_cmp_lt_u32_e32 vcc_lo, 1, v12
	v_add_nc_u32_e32 v2, v7, v2
	v_mov_b32_dpp v7, v2 row_shr:2 row_mask:0xf bank_mask:0xf
	v_cndmask_b32_e32 v7, 0, v7, vcc_lo
	v_cmp_lt_u32_e32 vcc_lo, 3, v12
	v_add_nc_u32_e32 v2, v2, v7
	;; [unrolled: 4-line block ×3, first 2 shown]
	v_mov_b32_dpp v7, v2 row_shr:8 row_mask:0xf bank_mask:0xf
	v_cndmask_b32_e32 v7, 0, v7, vcc_lo
	v_cmp_gt_i32_e32 vcc_lo, 0, v14
	v_add_nc_u32_e32 v2, v2, v7
	v_cndmask_b32_e32 v18, v14, v9, vcc_lo
	ds_swizzle_b32 v7, v2 offset:swizzle(BROADCAST,32,15)
	v_lshlrev_b32_e32 v18, 2, v18
	s_waitcnt lgkmcnt(0)
	v_and_b32_e32 v7, v13, v7
	v_add_nc_u32_e32 v2, v2, v7
	ds_bpermute_b32 v2, v18, v2
	s_waitcnt lgkmcnt(0)
	v_add_nc_u32_e32 v2, v2, v17
	v_cndmask_b32_e64 v2, v2, v6, s1
	ds_write_b32 v11, v2
	; wave barrier
	ds_read2_b32 v[17:18], v11 offset0:1 offset1:2
	ds_read2_b32 v[19:20], v11 offset0:3 offset1:4
	;; [unrolled: 1-line block ×3, first 2 shown]
	ds_read_b32 v7, v11 offset:28
	s_waitcnt lgkmcnt(3)
	v_add_nc_u32_e32 v2, v17, v2
	v_add_nc_u32_e32 v17, v18, v2
	s_waitcnt lgkmcnt(2)
	v_add_nc_u32_e32 v18, v19, v17
	v_add_nc_u32_e32 v19, v20, v18
	;; [unrolled: 3-line block ×3, first 2 shown]
	s_waitcnt lgkmcnt(0)
	v_add_nc_u32_e32 v7, v7, v21
	ds_write2_b32 v11, v2, v17 offset0:1 offset1:2
	ds_write2_b32 v11, v18, v19 offset0:3 offset1:4
	;; [unrolled: 1-line block ×3, first 2 shown]
	ds_write_b32 v11, v7 offset:28
.LBB125_46:                             ;   in Loop: Header=BB125_35 Depth=1
	s_or_b32 exec_lo, exec_lo, s19
	v_mov_b32_e32 v7, 0
	s_waitcnt lgkmcnt(0)
	s_barrier
	buffer_gl0_inv
	s_and_saveexec_b32 s19, s0
; %bb.47:                               ;   in Loop: Header=BB125_35 Depth=1
	ds_read_b32 v7, v0
; %bb.48:                               ;   in Loop: Header=BB125_35 Depth=1
	s_or_b32 exec_lo, exec_lo, s19
	ds_read_b32 v2, v5 offset:1048
	s_mov_b32 s19, exec_lo
	s_waitcnt lgkmcnt(0)
	s_barrier
	buffer_gl0_inv
	v_cmpx_ne_u32_e32 0, v6
	s_cbranch_execz .LBB125_33
; %bb.49:                               ;   in Loop: Header=BB125_35 Depth=1
	v_add_nc_u32_e32 v6, v7, v1
	v_mov_b32_e32 v7, v5
	v_cmp_gt_u64_e32 vcc_lo, s[10:11], v[6:7]
	s_and_b32 exec_lo, exec_lo, vcc_lo
	s_cbranch_execz .LBB125_33
; %bb.50:                               ;   in Loop: Header=BB125_35 Depth=1
	v_mad_u64_u32 v[17:18], null, s4, v6, 0
	v_mad_u64_u32 v[19:20], null, s20, v6, s[14:15]
	v_mov_b32_e32 v7, v18
	v_mad_u64_u32 v[21:22], null, s5, v6, v[7:8]
	v_mov_b32_e32 v7, v20
	;; [unrolled: 2-line block ×3, first 2 shown]
	v_lshlrev_b64 v[17:18], 3, v[17:18]
	v_mov_b32_e32 v20, v6
	v_add_co_u32 v6, vcc_lo, s7, v17
	v_add_co_ci_u32_e64 v7, null, s18, v18, vcc_lo
	global_store_byte v[19:20], v15, off
	global_store_dwordx2 v[6:7], v[4:5], off
	s_branch .LBB125_33
	.p2align	6
.LBB125_51:                             ;   in Loop: Header=BB125_52 Depth=1
	s_add_u32 s16, s16, 4
	s_addc_u32 s17, s17, 0
	s_waitcnt lgkmcnt(0)
	s_add_i32 s49, s3, s49
	s_add_u32 s18, s18, 4
	s_addc_u32 s19, s19, 0
	s_add_i32 s2, s2, 1
	s_cmp_lt_u32 s2, s7
	s_cbranch_scc0 .LBB125_30
.LBB125_52:                             ; =>This Inner Loop Header: Depth=1
	s_load_dword s3, s[16:17], 0x0
	s_cmp_ge_u32 s2, s72
	s_cbranch_scc1 .LBB125_51
; %bb.53:                               ;   in Loop: Header=BB125_52 Depth=1
	s_load_dword s22, s[18:19], 0x0
	s_waitcnt lgkmcnt(0)
	s_add_i32 s21, s3, s21
	s_add_i32 s20, s22, s20
	s_branch .LBB125_51
.LBB125_54:
	s_endpgm
	.section	.rodata,"a",@progbits
	.p2align	6, 0x0
	.amdhsa_kernel _ZN2at6native6mbtopk10gatherTopKIhmLi3EEEvNS_4cuda6detail10TensorInfoIKT_T0_EES8_S8_bjS8_NS5_IS6_S8_EES8_NS5_IlS8_EES8_jjPS6_PjSD_j
		.amdhsa_group_segment_fixed_size 1068
		.amdhsa_private_segment_fixed_size 0
		.amdhsa_kernarg_size 1592
		.amdhsa_user_sgpr_count 6
		.amdhsa_user_sgpr_private_segment_buffer 1
		.amdhsa_user_sgpr_dispatch_ptr 0
		.amdhsa_user_sgpr_queue_ptr 0
		.amdhsa_user_sgpr_kernarg_segment_ptr 1
		.amdhsa_user_sgpr_dispatch_id 0
		.amdhsa_user_sgpr_flat_scratch_init 0
		.amdhsa_user_sgpr_private_segment_size 0
		.amdhsa_wavefront_size32 1
		.amdhsa_uses_dynamic_stack 0
		.amdhsa_system_sgpr_private_segment_wavefront_offset 0
		.amdhsa_system_sgpr_workgroup_id_x 1
		.amdhsa_system_sgpr_workgroup_id_y 1
		.amdhsa_system_sgpr_workgroup_id_z 1
		.amdhsa_system_sgpr_workgroup_info 0
		.amdhsa_system_vgpr_workitem_id 0
		.amdhsa_next_free_vgpr 25
		.amdhsa_next_free_sgpr 74
		.amdhsa_reserve_vcc 1
		.amdhsa_reserve_flat_scratch 0
		.amdhsa_float_round_mode_32 0
		.amdhsa_float_round_mode_16_64 0
		.amdhsa_float_denorm_mode_32 3
		.amdhsa_float_denorm_mode_16_64 3
		.amdhsa_dx10_clamp 1
		.amdhsa_ieee_mode 1
		.amdhsa_fp16_overflow 0
		.amdhsa_workgroup_processor_mode 1
		.amdhsa_memory_ordered 1
		.amdhsa_forward_progress 1
		.amdhsa_shared_vgpr_count 0
		.amdhsa_exception_fp_ieee_invalid_op 0
		.amdhsa_exception_fp_denorm_src 0
		.amdhsa_exception_fp_ieee_div_zero 0
		.amdhsa_exception_fp_ieee_overflow 0
		.amdhsa_exception_fp_ieee_underflow 0
		.amdhsa_exception_fp_ieee_inexact 0
		.amdhsa_exception_int_div_zero 0
	.end_amdhsa_kernel
	.section	.text._ZN2at6native6mbtopk10gatherTopKIhmLi3EEEvNS_4cuda6detail10TensorInfoIKT_T0_EES8_S8_bjS8_NS5_IS6_S8_EES8_NS5_IlS8_EES8_jjPS6_PjSD_j,"axG",@progbits,_ZN2at6native6mbtopk10gatherTopKIhmLi3EEEvNS_4cuda6detail10TensorInfoIKT_T0_EES8_S8_bjS8_NS5_IS6_S8_EES8_NS5_IlS8_EES8_jjPS6_PjSD_j,comdat
.Lfunc_end125:
	.size	_ZN2at6native6mbtopk10gatherTopKIhmLi3EEEvNS_4cuda6detail10TensorInfoIKT_T0_EES8_S8_bjS8_NS5_IS6_S8_EES8_NS5_IlS8_EES8_jjPS6_PjSD_j, .Lfunc_end125-_ZN2at6native6mbtopk10gatherTopKIhmLi3EEEvNS_4cuda6detail10TensorInfoIKT_T0_EES8_S8_bjS8_NS5_IS6_S8_EES8_NS5_IlS8_EES8_jjPS6_PjSD_j
                                        ; -- End function
	.set _ZN2at6native6mbtopk10gatherTopKIhmLi3EEEvNS_4cuda6detail10TensorInfoIKT_T0_EES8_S8_bjS8_NS5_IS6_S8_EES8_NS5_IlS8_EES8_jjPS6_PjSD_j.num_vgpr, 25
	.set _ZN2at6native6mbtopk10gatherTopKIhmLi3EEEvNS_4cuda6detail10TensorInfoIKT_T0_EES8_S8_bjS8_NS5_IS6_S8_EES8_NS5_IlS8_EES8_jjPS6_PjSD_j.num_agpr, 0
	.set _ZN2at6native6mbtopk10gatherTopKIhmLi3EEEvNS_4cuda6detail10TensorInfoIKT_T0_EES8_S8_bjS8_NS5_IS6_S8_EES8_NS5_IlS8_EES8_jjPS6_PjSD_j.numbered_sgpr, 74
	.set _ZN2at6native6mbtopk10gatherTopKIhmLi3EEEvNS_4cuda6detail10TensorInfoIKT_T0_EES8_S8_bjS8_NS5_IS6_S8_EES8_NS5_IlS8_EES8_jjPS6_PjSD_j.num_named_barrier, 0
	.set _ZN2at6native6mbtopk10gatherTopKIhmLi3EEEvNS_4cuda6detail10TensorInfoIKT_T0_EES8_S8_bjS8_NS5_IS6_S8_EES8_NS5_IlS8_EES8_jjPS6_PjSD_j.private_seg_size, 0
	.set _ZN2at6native6mbtopk10gatherTopKIhmLi3EEEvNS_4cuda6detail10TensorInfoIKT_T0_EES8_S8_bjS8_NS5_IS6_S8_EES8_NS5_IlS8_EES8_jjPS6_PjSD_j.uses_vcc, 1
	.set _ZN2at6native6mbtopk10gatherTopKIhmLi3EEEvNS_4cuda6detail10TensorInfoIKT_T0_EES8_S8_bjS8_NS5_IS6_S8_EES8_NS5_IlS8_EES8_jjPS6_PjSD_j.uses_flat_scratch, 0
	.set _ZN2at6native6mbtopk10gatherTopKIhmLi3EEEvNS_4cuda6detail10TensorInfoIKT_T0_EES8_S8_bjS8_NS5_IS6_S8_EES8_NS5_IlS8_EES8_jjPS6_PjSD_j.has_dyn_sized_stack, 0
	.set _ZN2at6native6mbtopk10gatherTopKIhmLi3EEEvNS_4cuda6detail10TensorInfoIKT_T0_EES8_S8_bjS8_NS5_IS6_S8_EES8_NS5_IlS8_EES8_jjPS6_PjSD_j.has_recursion, 0
	.set _ZN2at6native6mbtopk10gatherTopKIhmLi3EEEvNS_4cuda6detail10TensorInfoIKT_T0_EES8_S8_bjS8_NS5_IS6_S8_EES8_NS5_IlS8_EES8_jjPS6_PjSD_j.has_indirect_call, 0
	.section	.AMDGPU.csdata,"",@progbits
; Kernel info:
; codeLenInByte = 3344
; TotalNumSgprs: 76
; NumVgprs: 25
; ScratchSize: 0
; MemoryBound: 0
; FloatMode: 240
; IeeeMode: 1
; LDSByteSize: 1068 bytes/workgroup (compile time only)
; SGPRBlocks: 0
; VGPRBlocks: 3
; NumSGPRsForWavesPerEU: 76
; NumVGPRsForWavesPerEU: 25
; Occupancy: 16
; WaveLimiterHint : 1
; COMPUTE_PGM_RSRC2:SCRATCH_EN: 0
; COMPUTE_PGM_RSRC2:USER_SGPR: 6
; COMPUTE_PGM_RSRC2:TRAP_HANDLER: 0
; COMPUTE_PGM_RSRC2:TGID_X_EN: 1
; COMPUTE_PGM_RSRC2:TGID_Y_EN: 1
; COMPUTE_PGM_RSRC2:TGID_Z_EN: 1
; COMPUTE_PGM_RSRC2:TIDIG_COMP_CNT: 0
	.section	.text._ZN2at6native6sbtopk10gatherTopKIhmLi3ELb0EEEvNS_4cuda6detail10TensorInfoIKT_T0_EES8_S8_bS8_S8_NS5_IS6_S8_EES8_NS5_IlS8_EES8_PS6_,"axG",@progbits,_ZN2at6native6sbtopk10gatherTopKIhmLi3ELb0EEEvNS_4cuda6detail10TensorInfoIKT_T0_EES8_S8_bS8_S8_NS5_IS6_S8_EES8_NS5_IlS8_EES8_PS6_,comdat
	.protected	_ZN2at6native6sbtopk10gatherTopKIhmLi3ELb0EEEvNS_4cuda6detail10TensorInfoIKT_T0_EES8_S8_bS8_S8_NS5_IS6_S8_EES8_NS5_IlS8_EES8_PS6_ ; -- Begin function _ZN2at6native6sbtopk10gatherTopKIhmLi3ELb0EEEvNS_4cuda6detail10TensorInfoIKT_T0_EES8_S8_bS8_S8_NS5_IS6_S8_EES8_NS5_IlS8_EES8_PS6_
	.globl	_ZN2at6native6sbtopk10gatherTopKIhmLi3ELb0EEEvNS_4cuda6detail10TensorInfoIKT_T0_EES8_S8_bS8_S8_NS5_IS6_S8_EES8_NS5_IlS8_EES8_PS6_
	.p2align	8
	.type	_ZN2at6native6sbtopk10gatherTopKIhmLi3ELb0EEEvNS_4cuda6detail10TensorInfoIKT_T0_EES8_S8_bS8_S8_NS5_IS6_S8_EES8_NS5_IlS8_EES8_PS6_,@function
_ZN2at6native6sbtopk10gatherTopKIhmLi3ELb0EEEvNS_4cuda6detail10TensorInfoIKT_T0_EES8_S8_bS8_S8_NS5_IS6_S8_EES8_NS5_IlS8_EES8_PS6_: ; @_ZN2at6native6sbtopk10gatherTopKIhmLi3ELb0EEEvNS_4cuda6detail10TensorInfoIKT_T0_EES8_S8_bS8_S8_NS5_IS6_S8_EES8_NS5_IlS8_EES8_PS6_
; %bb.0:
	s_clause 0x1
	s_load_dwordx2 s[18:19], s[4:5], 0x520
	s_load_dwordx4 s[28:31], s[4:5], 0x1b8
	s_add_u32 s16, s4, 0x520
	s_addc_u32 s17, s5, 0
	s_mov_b32 s35, 0
	s_waitcnt lgkmcnt(0)
	s_mul_i32 s0, s19, s8
	s_add_i32 s0, s0, s7
	s_mul_i32 s0, s0, s18
	s_add_i32 s34, s0, s6
	v_cmp_le_u64_e64 s0, s[28:29], s[34:35]
	s_and_b32 vcc_lo, exec_lo, s0
	s_cbranch_vccnz .LBB126_484
; %bb.1:
	s_load_dwordx4 s[8:11], s[4:5], 0x10
	s_mov_b64 s[0:1], 0
	s_mov_b64 s[20:21], 0
	s_waitcnt lgkmcnt(0)
	v_cmp_lt_u64_e64 s2, s[34:35], s[10:11]
	s_and_b32 vcc_lo, exec_lo, s2
	s_cbranch_vccnz .LBB126_3
; %bb.2:
	v_cvt_f32_u32_e32 v1, s10
	s_sub_i32 s2, 0, s10
	s_mov_b32 s21, 0
	v_rcp_iflag_f32_e32 v1, v1
	v_mul_f32_e32 v1, 0x4f7ffffe, v1
	v_cvt_u32_f32_e32 v1, v1
	v_readfirstlane_b32 s1, v1
	s_mul_i32 s2, s2, s1
	s_mul_hi_u32 s2, s1, s2
	s_add_i32 s1, s1, s2
	s_mul_hi_u32 s1, s34, s1
	s_mul_i32 s2, s1, s10
	s_add_i32 s3, s1, 1
	s_sub_i32 s2, s34, s2
	s_sub_i32 s7, s2, s10
	s_cmp_ge_u32 s2, s10
	s_cselect_b32 s1, s3, s1
	s_cselect_b32 s2, s7, s2
	s_add_i32 s3, s1, 1
	s_cmp_ge_u32 s2, s10
	s_cselect_b32 s20, s3, s1
.LBB126_3:
	s_load_dwordx4 s[12:15], s[4:5], 0x1d8
	v_cmp_lt_u64_e64 s1, s[20:21], s[8:9]
	s_and_b32 vcc_lo, exec_lo, s1
	s_cbranch_vccnz .LBB126_5
; %bb.4:
	v_cvt_f32_u32_e32 v1, s8
	s_sub_i32 s1, 0, s8
	v_rcp_iflag_f32_e32 v1, v1
	v_mul_f32_e32 v1, 0x4f7ffffe, v1
	v_cvt_u32_f32_e32 v1, v1
	v_readfirstlane_b32 s0, v1
	s_mul_i32 s1, s1, s0
	s_mul_hi_u32 s1, s0, s1
	s_add_i32 s0, s0, s1
	s_mul_hi_u32 s0, s20, s0
	s_mul_i32 s1, s0, s8
	s_add_i32 s2, s0, 1
	s_sub_i32 s1, s20, s1
	s_sub_i32 s3, s1, s8
	s_cmp_ge_u32 s1, s8
	s_cselect_b32 s0, s2, s0
	s_cselect_b32 s1, s3, s1
	s_add_i32 s2, s0, 1
	s_cmp_ge_u32 s1, s8
	s_cselect_b32 s0, s2, s0
.LBB126_5:
	s_waitcnt lgkmcnt(0)
	v_cmp_lt_u64_e64 s1, s[34:35], s[14:15]
	s_mov_b64 s[22:23], 0
	s_mov_b64 s[58:59], 0
	s_and_b32 vcc_lo, exec_lo, s1
	s_cbranch_vccnz .LBB126_7
; %bb.6:
	v_cvt_f32_u32_e32 v1, s14
	s_sub_i32 s2, 0, s14
	s_mov_b32 s59, 0
	v_rcp_iflag_f32_e32 v1, v1
	v_mul_f32_e32 v1, 0x4f7ffffe, v1
	v_cvt_u32_f32_e32 v1, v1
	v_readfirstlane_b32 s1, v1
	s_mul_i32 s2, s2, s1
	s_mul_hi_u32 s2, s1, s2
	s_add_i32 s1, s1, s2
	s_mul_hi_u32 s1, s34, s1
	s_mul_i32 s2, s1, s14
	s_add_i32 s3, s1, 1
	s_sub_i32 s2, s34, s2
	s_sub_i32 s7, s2, s14
	s_cmp_ge_u32 s2, s14
	s_cselect_b32 s1, s3, s1
	s_cselect_b32 s2, s7, s2
	s_add_i32 s3, s1, 1
	s_cmp_ge_u32 s2, s14
	s_cselect_b32 s58, s3, s1
.LBB126_7:
	s_load_dwordx4 s[44:47], s[4:5], 0x380
	v_cmp_lt_u64_e64 s1, s[58:59], s[12:13]
	s_and_b32 vcc_lo, exec_lo, s1
	s_cbranch_vccnz .LBB126_9
; %bb.8:
	v_cvt_f32_u32_e32 v1, s12
	s_sub_i32 s2, 0, s12
	v_rcp_iflag_f32_e32 v1, v1
	v_mul_f32_e32 v1, 0x4f7ffffe, v1
	v_cvt_u32_f32_e32 v1, v1
	v_readfirstlane_b32 s1, v1
	s_mul_i32 s2, s2, s1
	s_mul_hi_u32 s2, s1, s2
	s_add_i32 s1, s1, s2
	s_mul_hi_u32 s1, s58, s1
	s_mul_i32 s2, s1, s12
	s_add_i32 s3, s1, 1
	s_sub_i32 s2, s58, s2
	s_sub_i32 s7, s2, s12
	s_cmp_ge_u32 s2, s12
	s_cselect_b32 s1, s3, s1
	s_cselect_b32 s2, s7, s2
	s_add_i32 s3, s1, 1
	s_cmp_ge_u32 s2, s12
	s_cselect_b32 s22, s3, s1
.LBB126_9:
                                        ; implicit-def: $vgpr49 : SGPR spill to VGPR lane
	s_waitcnt lgkmcnt(0)
	v_cmp_lt_u64_e64 s1, s[34:35], s[46:47]
	v_writelane_b32 v49, s22, 0
	s_mov_b64 s[26:27], 0
	s_mov_b64 s[64:65], 0
	v_writelane_b32 v49, s23, 1
	s_clause 0x1
	s_load_dwordx2 s[22:23], s[4:5], 0xe0
	s_load_dwordx4 s[12:15], s[4:5], 0xd0
	s_and_b32 vcc_lo, exec_lo, s1
	s_cbranch_vccnz .LBB126_11
; %bb.10:
	v_cvt_f32_u32_e32 v1, s46
	s_sub_i32 s2, 0, s46
	s_mov_b32 s65, 0
	v_rcp_iflag_f32_e32 v1, v1
	v_mul_f32_e32 v1, 0x4f7ffffe, v1
	v_cvt_u32_f32_e32 v1, v1
	v_readfirstlane_b32 s1, v1
	s_mul_i32 s2, s2, s1
	s_mul_hi_u32 s2, s1, s2
	s_add_i32 s1, s1, s2
	s_mul_hi_u32 s1, s34, s1
	s_mul_i32 s2, s1, s46
	s_add_i32 s3, s1, 1
	s_sub_i32 s2, s34, s2
	s_sub_i32 s7, s2, s46
	s_cmp_ge_u32 s2, s46
	s_cselect_b32 s1, s3, s1
	s_cselect_b32 s2, s7, s2
	s_add_i32 s3, s1, 1
	s_cmp_ge_u32 s2, s46
	s_cselect_b32 s64, s3, s1
.LBB126_11:
	s_load_dwordx2 s[24:25], s[4:5], 0x0
	v_cmp_lt_u64_e64 s1, s[64:65], s[44:45]
	s_and_b32 vcc_lo, exec_lo, s1
	s_cbranch_vccnz .LBB126_13
; %bb.12:
	v_cvt_f32_u32_e32 v1, s44
	s_sub_i32 s2, 0, s44
	v_rcp_iflag_f32_e32 v1, v1
	v_mul_f32_e32 v1, 0x4f7ffffe, v1
	v_cvt_u32_f32_e32 v1, v1
	v_readfirstlane_b32 s1, v1
	s_mul_i32 s2, s2, s1
	s_mul_hi_u32 s2, s1, s2
	s_add_i32 s1, s1, s2
	s_mul_hi_u32 s1, s64, s1
	s_mul_i32 s2, s1, s44
	s_add_i32 s3, s1, 1
	s_sub_i32 s2, s64, s2
	s_sub_i32 s7, s2, s44
	s_cmp_ge_u32 s2, s44
	s_cselect_b32 s1, s3, s1
	s_cselect_b32 s2, s7, s2
	s_add_i32 s3, s1, 1
	s_cmp_ge_u32 s2, s44
	s_cselect_b32 s26, s3, s1
.LBB126_13:
	s_clause 0x1
	s_load_dwordx2 s[2:3], s[4:5], 0x370
	s_load_dwordx4 s[36:39], s[4:5], 0x1a0
	v_writelane_b32 v49, s26, 2
	s_mov_b32 s73, 0
	v_writelane_b32 v49, s27, 3
	s_waitcnt lgkmcnt(0)
	v_writelane_b32 v49, s2, 4
	v_writelane_b32 v49, s3, 5
	v_cmp_eq_u32_e64 s3, 0, v0
	s_and_saveexec_b32 s1, s3
	s_cbranch_execz .LBB126_15
; %bb.14:
	v_mov_b32_e32 v1, 0
	v_mov_b32_e32 v3, s36
	;; [unrolled: 1-line block ×4, first 2 shown]
	ds_write_b32 v1, v1 offset:5144
	ds_write_b128 v1, v[1:4] offset:5120
.LBB126_15:
	s_or_b32 exec_lo, exec_lo, s1
	s_mul_i32 s1, s0, s9
	s_mul_hi_u32 s2, s0, s8
	s_mul_i32 s7, s0, s8
	s_add_i32 s2, s2, s1
	s_sub_u32 s1, s20, s7
	s_subb_u32 s2, s21, s2
	s_mul_i32 s7, s1, s15
	s_mul_hi_u32 s8, s1, s14
	s_mul_i32 s2, s2, s14
	s_add_i32 s7, s8, s7
	s_mul_i32 s8, s0, s13
	s_mul_hi_u32 s9, s0, s12
	s_add_i32 s7, s7, s2
	s_add_i32 s9, s9, s8
	s_mul_i32 s2, s20, s11
	s_mul_hi_u32 s8, s20, s10
	s_mul_i32 s10, s20, s10
	s_add_i32 s8, s8, s2
	s_sub_u32 s2, s34, s10
	s_subb_u32 s8, 0, s8
	s_mul_i32 s10, s2, s23
	s_mul_hi_u32 s13, s2, s22
	s_mul_i32 s8, s8, s22
	s_add_i32 s10, s13, s10
	s_mul_i32 s0, s0, s12
	s_add_i32 s10, s10, s8
	s_mul_i32 s1, s1, s14
	s_add_u32 s0, s24, s0
	s_addc_u32 s8, s25, s9
	s_mul_i32 s2, s2, s22
	s_add_u32 s0, s0, s1
	s_addc_u32 s1, s8, s7
	s_add_u32 s28, s0, s2
	s_addc_u32 s29, s1, s10
	s_load_dword s11, s[4:5], 0x1b0
	v_mad_u64_u32 v[12:13], null, s30, v0, s[28:29]
	s_waitcnt lgkmcnt(0)
	s_barrier
	buffer_gl0_inv
	s_load_dword s2, s[16:17], 0xc
	v_mbcnt_lo_u32_b32 v24, -1, 0
	v_cmp_gt_u32_e32 vcc_lo, 32, v0
	v_mov_b32_e32 v1, v13
	v_mov_b32_e32 v3, 0
	v_cmp_lt_u64_e64 s63, 0xc00, s[36:37]
	v_cmp_gt_i32_e64 s1, 4, v24
	v_mov_b32_e32 v19, s38
	v_mad_u64_u32 v[4:5], null, s31, v0, v[1:2]
	v_add_nc_u32_e32 v2, 2, v0
	v_mov_b32_e32 v1, v3
	v_lshlrev_b32_e32 v14, 2, v0
	v_mov_b32_e32 v15, v3
	s_bitcmp1_b32 s11, 0
	v_cmp_gt_u32_e64 s10, 2, v0
	s_cselect_b32 s0, -1, 0
	s_and_b32 s57, vcc_lo, s1
	v_mov_b32_e32 v13, v4
	v_lshlrev_b64 v[4:5], v24, -1
	v_cmp_gt_u64_e32 vcc_lo, s[36:37], v[2:3]
	s_waitcnt lgkmcnt(0)
	s_and_b32 s33, s2, 0xffff
	s_xor_b32 s35, s0, -1
	s_bfe_u32 s7, s33, 0x80008
	s_bfe_u32 s2, s2, 0xb0005
	v_not_b32_e32 v23, v4
	v_cndmask_b32_e64 v2, v2, s36, vcc_lo
	v_not_b32_e32 v4, v0
	s_lshl_b32 s92, s7, 3
	v_cndmask_b32_e64 v5, 0, s37, vcc_lo
	s_cmp_gt_u32 s33, 31
	v_writelane_b32 v49, s0, 6
	s_cselect_b32 s93, -1, 0
	s_add_u32 s94, s33, -1
	v_add_co_u32 v4, vcc_lo, v2, v4
	s_addc_u32 s95, 0, -1
	s_add_u32 s96, s94, s36
	v_add_co_ci_u32_e64 v5, null, -1, v5, vcc_lo
	s_addc_u32 s75, s95, s37
	s_cmp_lt_u32 s6, s18
	s_movk_i32 s6, 0x3e0
	s_cselect_b32 s7, 12, 18
	v_and_or_b32 v25, v0, s6, 0xc00
	v_cmp_lt_u64_e64 s6, 3, v[4:5]
	s_add_u32 s76, s16, s7
	v_and_b32_e32 v16, -4, v4
	v_mov_b32_e32 v17, v5
	s_addc_u32 s77, s17, 0
	s_add_i32 s2, s2, -1
	s_bfe_u32 vcc_hi, s33, 0x30005
	s_and_b32 s2, s2, 0xffff
	v_cmp_gt_u64_e64 s1, s[36:37], v[0:1]
	v_writelane_b32 v49, s6, 7
	v_cmp_ne_u64_e64 s6, v[4:5], v[16:17]
	s_cmp_gt_u32 s2, 6
	v_cmp_eq_u32_e64 s0, 0, v24
	v_add_co_u32 v18, vcc_lo, v16, v0
	v_lshl_or_b32 v27, v24, 3, 0xc00
	v_mov_b32_e32 v20, s39
	v_mov_b32_e32 v28, 8
	;; [unrolled: 1-line block ×5, first 2 shown]
	s_cselect_b32 s68, -1, 0
	s_cmp_lg_u32 vcc_hi, 0
	s_mov_b32 s97, s30
	s_mov_b32 s98, s31
	;; [unrolled: 1-line block ×7, first 2 shown]
	s_cselect_b32 s53, -1, 0
	s_mov_b32 s52, 0
	s_mov_b32 s55, 0
	v_add_co_ci_u32_e64 v2, null, 0, v5, vcc_lo
	v_writelane_b32 v49, s6, 8
                                        ; implicit-def: $sgpr54
                                        ; implicit-def: $sgpr60
                                        ; implicit-def: $sgpr67
                                        ; implicit-def: $sgpr61
                                        ; implicit-def: $sgpr66
                                        ; implicit-def: $sgpr51
                                        ; implicit-def: $sgpr8
                                        ; implicit-def: $sgpr48
                                        ; implicit-def: $sgpr50
                                        ; implicit-def: $sgpr49
	s_branch .LBB126_18
.LBB126_16:                             ;   in Loop: Header=BB126_18 Depth=1
	s_or_b32 exec_lo, exec_lo, s2
	v_mov_b32_e32 v20, v5
	v_mov_b32_e32 v19, v4
	s_andn2_b32 s2, s49, exec_lo
	s_and_b32 s7, s11, exec_lo
	s_andn2_b32 s50, s50, exec_lo
	s_or_b32 s49, s2, s7
	s_andn2_b32 s48, s48, exec_lo
	s_andn2_b32 s8, s8, exec_lo
	;; [unrolled: 1-line block ×3, first 2 shown]
	s_orn2_b32 s11, s9, exec_lo
.LBB126_17:                             ;   in Loop: Header=BB126_18 Depth=1
	s_or_b32 exec_lo, exec_lo, s6
	s_and_b32 s2, exec_lo, s11
	s_or_b32 s52, s2, s52
	s_andn2_b32 s2, s66, exec_lo
	s_and_b32 s6, s49, exec_lo
	s_andn2_b32 s7, s61, exec_lo
	s_or_b32 s66, s2, s6
	s_and_b32 s2, s50, exec_lo
	s_andn2_b32 s6, s67, exec_lo
	s_and_b32 s9, s48, exec_lo
	s_or_b32 s61, s7, s2
	s_or_b32 s67, s6, s9
	s_andn2_b32 s2, s60, exec_lo
	s_and_b32 s6, s8, exec_lo
	s_andn2_b32 s7, s54, exec_lo
	s_and_b32 s9, s51, exec_lo
	s_or_b32 s60, s2, s6
	s_or_b32 s54, s7, s9
	s_andn2_b32 exec_lo, exec_lo, s52
	s_cbranch_execz .LBB126_480
.LBB126_18:                             ; =>This Loop Header: Depth=1
                                        ;     Child Loop BB126_23 Depth 2
                                        ;     Child Loop BB126_37 Depth 2
	;; [unrolled: 1-line block ×25, first 2 shown]
	ds_read_b128 v[4:7], v3 offset:5120
	s_waitcnt lgkmcnt(0)
	v_readfirstlane_b32 s79, v5
	v_readfirstlane_b32 s78, v4
	s_cmp_lg_u64 s[78:79], 0
	s_cbranch_scc1 .LBB126_50
; %bb.19:                               ;   in Loop: Header=BB126_18 Depth=1
	s_and_b32 vcc_lo, exec_lo, s63
	s_cbranch_vccz .LBB126_31
; %bb.20:                               ;   in Loop: Header=BB126_18 Depth=1
	v_cmp_gt_u64_e32 vcc_lo, 0xc01, v[6:7]
	s_mov_b32 s9, 0
	s_mov_b32 s6, 0
	s_cbranch_vccz .LBB126_32
; %bb.21:                               ;   in Loop: Header=BB126_18 Depth=1
	global_load_ushort v2, v3, s[76:77]
	global_load_ubyte v6, v[12:13], off
	v_mov_b32_e32 v5, v1
	v_mov_b32_e32 v4, v0
	s_mov_b32 s11, 0
	s_waitcnt vmcnt(1)
	v_and_b32_e32 v2, 0xffff, v2
	s_branch .LBB126_23
.LBB126_22:                             ;   in Loop: Header=BB126_23 Depth=2
	s_or_b32 exec_lo, exec_lo, s2
	v_mov_b32_e32 v6, v7
	s_andn2_b32 exec_lo, exec_lo, s11
	s_cbranch_execz .LBB126_104
.LBB126_23:                             ;   Parent Loop BB126_18 Depth=1
                                        ; =>  This Inner Loop Header: Depth=2
	v_add_co_u32 v4, vcc_lo, v4, v2
	v_add_co_ci_u32_e64 v5, null, 0, v5, vcc_lo
	s_waitcnt lgkmcnt(0)
	v_mov_b32_e32 v8, 0
	v_mov_b32_e32 v7, 0
	s_mov_b32 s2, exec_lo
	v_cmp_le_u64_e32 vcc_lo, s[36:37], v[4:5]
	v_cmpx_gt_u64_e64 s[36:37], v[4:5]
	s_cbranch_execz .LBB126_25
; %bb.24:                               ;   in Loop: Header=BB126_23 Depth=2
	v_mad_u64_u32 v[9:10], null, v4, s30, s[28:29]
	v_mul_lo_u32 v7, v4, s31
	v_mul_lo_u32 v11, v5, s30
	v_add3_u32 v10, v11, v10, v7
	global_load_ubyte v7, v[9:10], off
.LBB126_25:                             ;   in Loop: Header=BB126_23 Depth=2
	s_or_b32 exec_lo, exec_lo, s2
	s_waitcnt vmcnt(0)
	v_and_b32_e32 v9, v6, v29
	v_cmp_eq_u32_sdwa s12, v9, v26 src0_sel:BYTE_0 src1_sel:DWORD
	s_cmp_lg_u32 s12, 0
	s_cselect_b32 s2, -1, 0
	s_and_b32 s2, s0, s2
	s_and_saveexec_b32 s13, s2
	s_cbranch_execz .LBB126_29
; %bb.26:                               ;   in Loop: Header=BB126_23 Depth=2
	s_mov_b32 s14, exec_lo
	s_bcnt1_i32_b32 s2, s12
	v_mbcnt_lo_u32_b32 v8, s14, 0
	s_mov_b32 s7, exec_lo
                                        ; implicit-def: $vgpr9
	v_cmpx_eq_u32_e32 0, v8
; %bb.27:                               ;   in Loop: Header=BB126_23 Depth=2
	s_bcnt1_i32_b32 s6, s14
	s_mul_i32 s6, s2, s6
	v_mov_b32_e32 v9, s6
	ds_add_rtn_u32 v9, v3, v9 offset:5144
; %bb.28:                               ;   in Loop: Header=BB126_23 Depth=2
	s_or_b32 exec_lo, exec_lo, s7
	s_waitcnt lgkmcnt(0)
	v_readfirstlane_b32 s6, v9
	v_mad_u32_u24 v8, s2, v8, s6
.LBB126_29:                             ;   in Loop: Header=BB126_23 Depth=2
	s_or_b32 exec_lo, exec_lo, s13
	ds_bpermute_b32 v8, v3, v8
	s_and_b32 s2, exec_lo, vcc_lo
	s_or_b32 s11, s2, s11
	s_and_saveexec_b32 s2, s12
	s_cbranch_execz .LBB126_22
; %bb.30:                               ;   in Loop: Header=BB126_23 Depth=2
	v_and_b32_e32 v9, s12, v23
	s_waitcnt lgkmcnt(0)
	v_bcnt_u32_b32 v8, v9, v8
	ds_write_b8 v8, v6
	s_branch .LBB126_22
.LBB126_31:                             ;   in Loop: Header=BB126_18 Depth=1
	s_mov_b32 s9, -1
	s_mov_b32 s6, 0
.LBB126_32:                             ;   in Loop: Header=BB126_18 Depth=1
	s_and_b32 vcc_lo, exec_lo, s9
	s_cbranch_vccz .LBB126_48
.LBB126_33:                             ;   in Loop: Header=BB126_18 Depth=1
	s_and_saveexec_b32 s11, s1
	s_cbranch_execz .LBB126_45
; %bb.34:                               ;   in Loop: Header=BB126_18 Depth=1
	global_load_ushort v4, v3, s[76:77]
	global_load_ubyte v31, v[12:13], off
	v_mov_b32_e32 v6, v0
	s_mov_b32 s12, exec_lo
	s_waitcnt vmcnt(1)
	v_add_nc_u32_sdwa v2, v4, v0 dst_sel:DWORD dst_unused:UNUSED_PAD src0_sel:WORD_0 src1_sel:DWORD
	v_readfirstlane_b32 s2, v4
	v_cmpx_gt_u64_e64 s[36:37], v[2:3]
	s_cbranch_execz .LBB126_44
; %bb.35:                               ;   in Loop: Header=BB126_18 Depth=1
	s_and_b32 s13, s2, 0xffff
	v_readlane_b32 s6, v49, 7
	v_mov_b32_e32 v9, v1
	s_cmp_eq_u32 s13, 1
	v_mov_b32_e32 v5, v3
	v_mov_b32_e32 v8, v0
	v_mov_b32_e32 v4, v2
	s_cselect_b32 s2, -1, 0
                                        ; implicit-def: $vgpr6_vgpr7
	s_and_b32 s2, s6, s2
	s_mov_b32 s6, -1
	s_and_saveexec_b32 s14, s2
	s_cbranch_execz .LBB126_39
; %bb.36:                               ;   in Loop: Header=BB126_18 Depth=1
	v_add_co_u32 v8, s2, v2, 3
	v_add_co_ci_u32_e64 v9, null, 0, 0, s2
	v_add_co_u32 v6, s2, v2, 2
	v_add_co_ci_u32_e64 v7, null, 0, 0, s2
	;; [unrolled: 2-line block ×3, first 2 shown]
	v_mov_b32_e32 v22, v17
	v_mov_b32_e32 v11, v9
	s_waitcnt vmcnt(0)
	v_lshlrev_b32_e32 v33, 24, v31
	v_mov_b32_e32 v21, v16
	v_mov_b32_e32 v32, v0
	;; [unrolled: 1-line block ×9, first 2 shown]
	s_mov_b32 s15, 0
.LBB126_37:                             ;   Parent Loop BB126_18 Depth=1
                                        ; =>  This Inner Loop Header: Depth=2
	v_mul_lo_u32 v43, v7, s30
	v_mul_lo_u32 v44, v6, s31
	v_mad_u64_u32 v[36:37], null, v6, s30, 0
	v_mul_lo_u32 v31, v9, s99
	v_mul_lo_u32 v42, v8, s104
	v_mad_u64_u32 v[34:35], null, v8, s99, 0
	;; [unrolled: 3-line block ×3, first 2 shown]
	v_mad_u64_u32 v[40:41], null, v10, s70, s[28:29]
	v_mul_lo_u32 v47, v10, s71
	v_mul_lo_u32 v48, v11, s70
	v_add3_u32 v43, v37, v44, v43
	v_add3_u32 v31, v35, v42, v31
	v_add3_u32 v39, v39, v46, v45
	v_add_co_u32 v42, s9, s28, v36
	v_add_co_u32 v37, s6, s28, v34
	v_add3_u32 v41, v48, v41, v47
	v_add_co_u32 v35, vcc_lo, s28, v38
	v_add_co_ci_u32_e64 v43, null, s29, v43, s9
	v_add_co_ci_u32_e64 v38, null, s29, v31, s6
	v_add_co_ci_u32_e64 v36, null, s29, v39, vcc_lo
	s_clause 0x3
	global_load_ubyte v31, v[40:41], off
	global_load_ubyte v34, v[42:43], off
	;; [unrolled: 1-line block ×4, first 2 shown]
	v_add_co_u32 v10, vcc_lo, v10, 4
	v_add_co_ci_u32_e64 v11, null, 0, v11, vcc_lo
	v_add_co_u32 v8, vcc_lo, v8, 4
	v_add_co_ci_u32_e64 v9, null, 0, v9, vcc_lo
	;; [unrolled: 2-line block ×3, first 2 shown]
	v_add_co_u32 v21, vcc_lo, v21, -4
	v_add_co_ci_u32_e64 v22, null, -1, v22, vcc_lo
	v_add_co_u32 v4, vcc_lo, v4, 4
	v_add_co_ci_u32_e64 v5, null, 0, v5, vcc_lo
	v_cmp_eq_u64_e64 s6, 0, v[21:22]
	s_or_b32 s15, s6, s15
	s_waitcnt vmcnt(0)
	v_perm_b32 v36, v35, v34, 0xc0c0004
	v_perm_b32 v34, v34, v37, 0xc0c0004
	;; [unrolled: 1-line block ×4, first 2 shown]
	v_lshl_or_b32 v33, v34, 16, v33
	v_lshl_or_b32 v34, v35, 16, v36
	ds_write_b32 v32, v33
	v_add_nc_u32_e32 v32, 4, v32
	v_mov_b32_e32 v33, v34
	s_andn2_b32 exec_lo, exec_lo, s15
	s_cbranch_execnz .LBB126_37
; %bb.38:                               ;   in Loop: Header=BB126_18 Depth=1
	s_or_b32 exec_lo, exec_lo, s15
	v_add_co_u32 v4, vcc_lo, v2, v16
	v_readlane_b32 s2, v49, 8
	v_add_co_ci_u32_e64 v5, null, 0, v17, vcc_lo
	v_add_co_u32 v6, vcc_lo, v4, -1
	v_mov_b32_e32 v8, v18
	s_orn2_b32 s6, s2, exec_lo
	v_add_co_ci_u32_e64 v2, null, -1, v5, vcc_lo
	v_mov_b32_e32 v9, v19
.LBB126_39:                             ;   in Loop: Header=BB126_18 Depth=1
	s_or_b32 exec_lo, exec_lo, s14
	s_and_saveexec_b32 s9, s6
	s_cbranch_execz .LBB126_43
; %bb.40:                               ;   in Loop: Header=BB126_18 Depth=1
	s_sub_u32 s14, 0, s13
	s_subb_u32 s16, 0, 0
	s_mov_b32 s15, 0
	.p2align	6
.LBB126_41:                             ;   Parent Loop BB126_18 Depth=1
                                        ; =>  This Inner Loop Header: Depth=2
	v_mov_b32_e32 v7, v5
	v_mov_b32_e32 v6, v4
	s_waitcnt vmcnt(0)
	ds_write_b8 v8, v31
	v_mul_lo_u32 v9, v7, s30
	v_mad_u64_u32 v[4:5], null, v6, s30, s[28:29]
	v_mul_lo_u32 v2, v6, s31
	v_add3_u32 v5, v9, v5, v2
	v_mov_b32_e32 v9, v7
	v_mov_b32_e32 v8, v6
	global_load_ubyte v2, v[4:5], off
	v_add_co_u32 v4, vcc_lo, v6, s13
	v_add_co_ci_u32_e64 v5, null, 0, v7, vcc_lo
	v_add_co_u32 v6, s6, s14, v4
	v_cmp_le_u64_e32 vcc_lo, s[36:37], v[4:5]
	v_add_co_ci_u32_e64 v7, null, s16, v5, s6
	s_or_b32 s15, vcc_lo, s15
	s_waitcnt vmcnt(0)
	v_mov_b32_e32 v31, v2
	s_andn2_b32 exec_lo, exec_lo, s15
	s_cbranch_execnz .LBB126_41
; %bb.42:                               ;   in Loop: Header=BB126_18 Depth=1
	s_or_b32 exec_lo, exec_lo, s15
	v_mov_b32_e32 v31, v2
.LBB126_43:                             ;   in Loop: Header=BB126_18 Depth=1
	s_or_b32 exec_lo, exec_lo, s9
.LBB126_44:                             ;   in Loop: Header=BB126_18 Depth=1
	s_or_b32 exec_lo, exec_lo, s12
	s_waitcnt vmcnt(0)
	ds_write_b8 v6, v31
.LBB126_45:                             ;   in Loop: Header=BB126_18 Depth=1
	s_or_b32 exec_lo, exec_lo, s11
	s_waitcnt lgkmcnt(0)
	s_barrier
	buffer_gl0_inv
	s_and_saveexec_b32 s2, s3
; %bb.46:                               ;   in Loop: Header=BB126_18 Depth=1
	v_mov_b32_e32 v4, s36
	v_mov_b32_e32 v5, s37
	ds_write_b64 v3, v[4:5] offset:5120
; %bb.47:                               ;   in Loop: Header=BB126_18 Depth=1
	s_or_b32 exec_lo, exec_lo, s2
	s_mov_b32 s6, -1
	s_waitcnt lgkmcnt(0)
	s_barrier
.LBB126_48:                             ;   in Loop: Header=BB126_18 Depth=1
	s_and_b32 vcc_lo, exec_lo, s6
	s_mov_b64 s[78:79], 0
	s_cbranch_vccz .LBB126_50
; %bb.49:                               ;   in Loop: Header=BB126_18 Depth=1
	buffer_gl0_inv
	ds_read_b64 v[4:5], v3 offset:5120
	s_waitcnt lgkmcnt(0)
	v_readfirstlane_b32 s78, v4
.LBB126_50:                             ;   in Loop: Header=BB126_18 Depth=1
	s_cmp_lt_i32 s78, 1
	s_mov_b32 s6, -1
                                        ; implicit-def: $vgpr10_vgpr11
                                        ; implicit-def: $vgpr6_vgpr7
	s_cbranch_scc1 .LBB126_60
; %bb.51:                               ;   in Loop: Header=BB126_18 Depth=1
	s_and_b32 vcc_lo, exec_lo, s6
	s_cbranch_vccnz .LBB126_74
.LBB126_52:                             ;   in Loop: Header=BB126_18 Depth=1
	s_lshl_b32 s6, s55, 7
	s_and_saveexec_b32 s2, s0
	s_cbranch_execz .LBB126_54
.LBB126_53:                             ;   in Loop: Header=BB126_18 Depth=1
	v_lshl_add_u32 v2, s6, 3, v25
	ds_write_b128 v2, v[4:7]
	ds_write_b128 v2, v[8:11] offset:16
.LBB126_54:                             ;   in Loop: Header=BB126_18 Depth=1
	s_or_b32 exec_lo, exec_lo, s2
	s_waitcnt lgkmcnt(0)
	s_barrier
	buffer_gl0_inv
	s_and_saveexec_b32 s9, s57
	s_cbranch_execz .LBB126_88
; %bb.55:                               ;   in Loop: Header=BB126_18 Depth=1
	v_mov_b32_e32 v4, 0
	v_mov_b32_e32 v5, 0
	s_andn2_b32 vcc_lo, exec_lo, s93
	s_cbranch_vccnz .LBB126_87
; %bb.56:                               ;   in Loop: Header=BB126_18 Depth=1
	v_mov_b32_e32 v4, 0
	v_mov_b32_e32 v5, 0
	s_andn2_b32 vcc_lo, exec_lo, s68
	s_cbranch_vccnz .LBB126_84
; %bb.57:                               ;   in Loop: Header=BB126_18 Depth=1
	v_lshl_add_u32 v2, s55, 10, v27
	s_mov_b32 s11, 0
	s_inst_prefetch 0x1
	.p2align	6
.LBB126_58:                             ;   Parent Loop BB126_18 Depth=1
                                        ; =>  This Inner Loop Header: Depth=2
	ds_read2_b64 v[6:9], v2 offset1:4
	ds_read2_b64 v[31:34], v2 offset0:8 offset1:12
	ds_read2_b64 v[35:38], v2 offset0:16 offset1:20
	s_add_i32 s11, s11, 8
	s_cmp_eq_u32 s92, s11
	s_waitcnt lgkmcnt(2)
	v_add_co_u32 v4, vcc_lo, v6, v4
	v_add_co_ci_u32_e64 v5, null, v7, v5, vcc_lo
	v_add_co_u32 v8, vcc_lo, v8, v4
	v_add_co_ci_u32_e64 v9, null, v9, v5, vcc_lo
	ds_read2_b64 v[4:7], v2 offset0:24 offset1:28
	s_waitcnt lgkmcnt(2)
	v_add_co_u32 v8, vcc_lo, v31, v8
	v_add_co_ci_u32_e64 v9, null, v32, v9, vcc_lo
	v_add_nc_u32_e32 v2, 0x100, v2
	v_add_co_u32 v8, vcc_lo, v33, v8
	v_add_co_ci_u32_e64 v9, null, v34, v9, vcc_lo
	s_waitcnt lgkmcnt(1)
	v_add_co_u32 v8, vcc_lo, v35, v8
	v_add_co_ci_u32_e64 v9, null, v36, v9, vcc_lo
	v_add_co_u32 v8, vcc_lo, v37, v8
	v_add_co_ci_u32_e64 v9, null, v38, v9, vcc_lo
	s_waitcnt lgkmcnt(0)
	v_add_co_u32 v4, vcc_lo, v4, v8
	v_add_co_ci_u32_e64 v5, null, v5, v9, vcc_lo
	v_add_co_u32 v4, vcc_lo, v6, v4
	v_add_co_ci_u32_e64 v5, null, v7, v5, vcc_lo
	s_cbranch_scc0 .LBB126_58
; %bb.59:                               ;   in Loop: Header=BB126_18 Depth=1
	s_inst_prefetch 0x2
	s_mov_b32 s11, s92
	s_andn2_b32 vcc_lo, exec_lo, s53
	s_cbranch_vccz .LBB126_85
	s_branch .LBB126_87
.LBB126_60:                             ;   in Loop: Header=BB126_18 Depth=1
	global_load_ushort v2, v3, s[76:77]
	s_mov_b32 s6, s73
	s_mov_b32 s7, s37
	s_waitcnt vmcnt(0)
	v_readfirstlane_b32 s2, v2
	s_and_b32 s2, 0xffff, s2
	s_lshl_b32 s74, s2, 2
	s_cmp_lg_u64 s[6:7], 0
	s_cbranch_scc0 .LBB126_83
; %bb.61:                               ;   in Loop: Header=BB126_18 Depth=1
	v_cvt_f32_u32_e32 v4, s74
	s_sub_u32 s7, 0, s74
	s_subb_u32 s9, 0, 0
	v_fmac_f32_e64 v4, 0x4f800000, 0
	v_rcp_f32_e32 v4, v4
	v_mul_f32_e32 v4, 0x5f7ffffc, v4
	v_mul_f32_e32 v5, 0x2f800000, v4
	v_trunc_f32_e32 v5, v5
	v_fmac_f32_e32 v4, 0xcf800000, v5
	v_cvt_u32_f32_e32 v5, v5
	v_cvt_u32_f32_e32 v4, v4
	v_readfirstlane_b32 s2, v5
	v_readfirstlane_b32 s6, v4
	s_mul_i32 s11, s7, s2
	s_mul_hi_u32 s13, s7, s6
	s_mul_i32 s12, s9, s6
	s_add_i32 s11, s13, s11
	s_mul_i32 s14, s7, s6
	s_add_i32 s11, s11, s12
	s_mul_hi_u32 s13, s6, s14
	s_mul_i32 s16, s6, s11
	s_mul_hi_u32 s15, s2, s14
	s_mul_i32 s12, s2, s14
	s_mul_hi_u32 s14, s6, s11
	s_add_u32 s13, s13, s16
	s_addc_u32 s14, 0, s14
	s_mul_hi_u32 s17, s2, s11
	s_add_u32 s12, s13, s12
	s_mul_i32 s11, s2, s11
	s_addc_u32 s12, s14, s15
	s_addc_u32 s13, s17, 0
	s_add_u32 s11, s12, s11
	s_addc_u32 s12, 0, s13
	s_add_u32 s6, s6, s11
	s_cselect_b32 s11, -1, 0
	s_mul_hi_u32 s13, s7, s6
	s_cmp_lg_u32 s11, 0
	s_mul_i32 s11, s7, s6
	s_addc_u32 s2, s2, s12
	s_mul_i32 s9, s9, s6
	s_mul_i32 s7, s7, s2
	s_mul_hi_u32 s12, s6, s11
	s_add_i32 s7, s13, s7
	s_mul_hi_u32 s13, s2, s11
	s_add_i32 s7, s7, s9
	s_mul_i32 s9, s2, s11
	s_mul_i32 s15, s6, s7
	s_mul_hi_u32 s14, s6, s7
	s_add_u32 s12, s12, s15
	s_addc_u32 s14, 0, s14
	s_mul_hi_u32 s11, s2, s7
	s_add_u32 s9, s12, s9
	s_mul_i32 s7, s2, s7
	s_addc_u32 s9, s14, s13
	s_addc_u32 s11, s11, 0
	s_add_u32 s7, s9, s7
	s_addc_u32 s9, 0, s11
	s_add_u32 s6, s6, s7
	s_cselect_b32 s7, -1, 0
	s_mul_hi_u32 s11, s36, s6
	s_cmp_lg_u32 s7, 0
	s_mul_hi_u32 s7, s37, s6
	s_addc_u32 s2, s2, s9
	s_mul_i32 s6, s37, s6
	s_mul_i32 s12, s36, s2
	s_mul_hi_u32 s9, s36, s2
	s_add_u32 s11, s11, s12
	s_addc_u32 s9, 0, s9
	s_mul_hi_u32 s13, s37, s2
	s_add_u32 s6, s11, s6
	s_mul_i32 s2, s37, s2
	s_addc_u32 s6, s9, s7
	s_addc_u32 s7, s13, 0
	s_add_u32 s2, s6, s2
	s_addc_u32 s6, 0, s7
	s_mul_hi_u32 s7, s74, s2
	s_mul_i32 s6, s74, s6
	s_mul_i32 s2, s74, s2
	s_add_i32 s7, s7, s6
	s_sub_u32 s2, s36, s2
	s_cselect_b32 s6, -1, 0
	s_cmp_lg_u32 s6, 0
	s_subb_u32 s6, s37, s7
	s_sub_u32 s7, s2, s74
	s_cselect_b32 s9, -1, 0
	s_cmp_lg_u32 s9, 0
	s_subb_u32 s9, s6, 0
	;; [unrolled: 4-line block ×3, first 2 shown]
	s_cmp_ge_u32 s7, s74
	s_cselect_b32 s13, -1, 0
	s_cmp_eq_u32 s9, 0
	s_cselect_b32 s13, s13, -1
	s_cmp_lg_u32 s13, 0
	s_cselect_b32 s9, s12, s9
	s_cselect_b32 s7, s11, s7
	s_cmp_ge_u32 s2, s74
	s_cselect_b32 s11, -1, 0
	s_cmp_eq_u32 s6, 0
	s_cselect_b32 s11, s11, -1
	s_cmp_lg_u32 s11, 0
	s_cselect_b32 s13, s9, s6
	s_cselect_b32 s12, s7, s2
	s_cbranch_execnz .LBB126_63
.LBB126_62:                             ;   in Loop: Header=BB126_18 Depth=1
	v_cvt_f32_u32_e32 v4, s74
	s_sub_i32 s6, 0, s74
	v_rcp_iflag_f32_e32 v4, v4
	v_mul_f32_e32 v4, 0x4f7ffffe, v4
	v_cvt_u32_f32_e32 v4, v4
	v_readfirstlane_b32 s2, v4
	s_mul_i32 s6, s6, s2
	s_mul_hi_u32 s6, s2, s6
	s_add_i32 s2, s2, s6
	s_mul_hi_u32 s2, s36, s2
	s_mul_i32 s2, s2, s74
	s_sub_i32 s2, s36, s2
	s_sub_i32 s6, s2, s74
	s_cmp_ge_u32 s2, s74
	s_cselect_b32 s2, s6, s2
	s_sub_i32 s6, s2, s74
	s_cmp_ge_u32 s2, s74
	s_cselect_b32 s72, s6, s2
	s_mov_b64 s[12:13], s[72:73]
.LBB126_63:                             ;   in Loop: Header=BB126_18 Depth=1
	v_mov_b32_e32 v4, 0
	v_mov_b32_e32 v6, 0
	;; [unrolled: 1-line block ×8, first 2 shown]
	s_sub_u32 s80, s36, s12
	s_subb_u32 s81, s37, s13
	s_mov_b32 s56, exec_lo
	v_cmpx_gt_u64_e64 s[80:81], v[14:15]
	s_cbranch_execz .LBB126_67
; %bb.64:                               ;   in Loop: Header=BB126_18 Depth=1
	v_mov_b32_e32 v22, v15
	v_mov_b32_e32 v21, v14
	s_mov_b64 s[82:83], 0
	s_mov_b32 s72, 0
	s_mov_b64 s[84:85], 0
	s_mov_b64 s[86:87], 0
	;; [unrolled: 1-line block ×3, first 2 shown]
.LBB126_65:                             ;   Parent Loop BB126_18 Depth=1
                                        ; =>  This Inner Loop Header: Depth=2
	v_mul_lo_u32 v6, v21, s31
	v_mul_lo_u32 v7, v22, s30
	v_mad_u64_u32 v[4:5], null, v21, s30, s[28:29]
	v_add_co_u32 v21, s24, v21, s74
	v_add_co_ci_u32_e64 v22, null, 0, v22, s24
	v_add3_u32 v5, v7, v5, v6
	v_add_co_u32 v6, vcc_lo, v4, s30
	v_cmp_le_u64_e64 s24, s[80:81], v[21:22]
	global_load_ubyte v8, v[4:5], off
	v_add_co_ci_u32_e64 v7, null, s31, v5, vcc_lo
	global_load_ubyte v9, v[6:7], off
	v_add_co_u32 v4, vcc_lo, v6, s30
	v_add_co_ci_u32_e64 v5, null, s31, v7, vcc_lo
	v_add_co_u32 v6, vcc_lo, v4, s30
	v_add_co_ci_u32_e64 v7, null, s31, v5, vcc_lo
	s_clause 0x1
	global_load_ubyte v4, v[4:5], off
	global_load_ubyte v5, v[6:7], off
	s_waitcnt vmcnt(3)
	v_and_b32_e32 v6, v29, v8
	v_cmp_eq_u32_e32 vcc_lo, v6, v26
	v_bfe_u32 v6, v8, s69, 2
	v_cmp_eq_u32_e64 s6, 0, v6
	v_cmp_eq_u32_e64 s9, 1, v6
	;; [unrolled: 1-line block ×4, first 2 shown]
	s_waitcnt vmcnt(2)
	v_and_b32_e32 v6, v29, v9
	s_and_b32 s2, vcc_lo, s6
	v_cmp_eq_u32_e64 s13, v6, v26
	v_bfe_u32 v6, v9, s69, 2
	v_cmp_eq_u32_e64 s14, 0, v6
	v_cmp_eq_u32_e64 s15, 1, v6
	;; [unrolled: 1-line block ×4, first 2 shown]
	s_waitcnt vmcnt(1)
	v_and_b32_e32 v6, v29, v4
	v_bfe_u32 v4, v4, s69, 2
	v_cmp_eq_u32_e64 s18, v6, v26
	v_cmp_eq_u32_e64 s19, 0, v4
	;; [unrolled: 1-line block ×5, first 2 shown]
	v_cndmask_b32_e64 v4, 0, 1, s2
	s_and_b32 s2, s13, s14
	v_cmp_ne_u32_e64 s6, 0, v4
	s_waitcnt vmcnt(0)
	v_and_b32_e32 v4, v29, v5
	v_cmp_eq_u32_e64 s23, v4, v26
	v_bfe_u32 v4, v5, s69, 2
	v_cmp_eq_u32_e64 s14, 0, v4
	v_cmp_eq_u32_e64 s25, 1, v4
	;; [unrolled: 1-line block ×4, first 2 shown]
	v_cndmask_b32_e64 v4, 0, 1, s2
	s_and_b32 s2, s18, s19
	s_and_b32 s7, s23, s14
	v_cmp_ne_u32_e64 s19, 0, v4
	v_cndmask_b32_e64 v4, 0, 1, s2
	s_bcnt1_i32_b32 s2, s6
	v_cmp_ne_u32_e64 s6, 0, v4
	v_cndmask_b32_e64 v4, 0, 1, s7
	s_bcnt1_i32_b32 s7, s19
	s_add_i32 s2, s7, s2
	s_bcnt1_i32_b32 s6, s6
	v_cmp_ne_u32_e64 s14, 0, v4
	s_add_i32 s2, s2, s6
	s_bcnt1_i32_b32 s6, s14
	s_add_i32 s2, s2, s6
	s_add_u32 s88, s88, s2
	s_addc_u32 s89, s89, 0
	s_and_b32 s2, vcc_lo, s9
	s_and_b32 s7, s13, s15
	v_cndmask_b32_e64 v4, 0, 1, s2
	s_and_b32 s14, s18, s20
	s_and_b32 s15, s23, s25
	v_cmp_ne_u32_e64 s6, 0, v4
	v_cndmask_b32_e64 v4, 0, 1, s7
	s_bcnt1_i32_b32 s2, s6
	v_cmp_ne_u32_e64 s9, 0, v4
	v_cndmask_b32_e64 v4, 0, 1, s14
	s_bcnt1_i32_b32 s6, s9
	v_cmp_ne_u32_e64 s14, 0, v4
	v_cndmask_b32_e64 v4, 0, 1, s15
	s_add_i32 s2, s6, s2
	s_bcnt1_i32_b32 s7, s14
	v_cmp_ne_u32_e64 s15, 0, v4
	s_add_i32 s2, s2, s7
	s_bcnt1_i32_b32 s9, s15
	s_add_i32 s2, s2, s9
	s_add_u32 s86, s86, s2
	s_addc_u32 s87, s87, 0
	s_and_b32 s2, vcc_lo, s11
	s_and_b32 s7, s13, s16
	v_cndmask_b32_e64 v4, 0, 1, s2
	s_and_b32 s11, s18, s21
	s_and_b32 s14, s23, s26
	v_mov_b32_e32 v6, s86
	v_mov_b32_e32 v7, s87
	v_cmp_ne_u32_e64 s6, 0, v4
	v_cndmask_b32_e64 v4, 0, 1, s7
	s_bcnt1_i32_b32 s2, s6
	v_cmp_ne_u32_e64 s9, 0, v4
	v_cndmask_b32_e64 v4, 0, 1, s11
	s_bcnt1_i32_b32 s6, s9
	v_cmp_ne_u32_e64 s11, 0, v4
	v_cndmask_b32_e64 v4, 0, 1, s14
	s_add_i32 s2, s6, s2
	s_bcnt1_i32_b32 s7, s11
	v_cmp_ne_u32_e64 s14, 0, v4
	s_add_i32 s2, s2, s7
	s_bcnt1_i32_b32 s9, s14
	s_add_i32 s2, s2, s9
	s_add_u32 s84, s84, s2
	s_addc_u32 s85, s85, 0
	s_and_b32 s2, vcc_lo, s12
	s_and_b32 s6, s13, s17
	v_cndmask_b32_e64 v4, 0, 1, s2
	s_and_b32 s7, s18, s22
	s_and_b32 s11, s23, s27
	v_mov_b32_e32 v8, s84
	v_mov_b32_e32 v9, s85
	v_cmp_ne_u32_e32 vcc_lo, 0, v4
	v_cndmask_b32_e64 v4, 0, 1, s6
	s_bcnt1_i32_b32 s2, vcc_lo
	v_cmp_ne_u32_e64 s6, 0, v4
	v_cndmask_b32_e64 v4, 0, 1, s7
	s_bcnt1_i32_b32 s6, s6
	v_cmp_ne_u32_e64 s9, 0, v4
	v_cndmask_b32_e64 v4, 0, 1, s11
	s_add_i32 s2, s6, s2
	s_bcnt1_i32_b32 s7, s9
	v_cmp_ne_u32_e64 s11, 0, v4
	s_add_i32 s2, s2, s7
	v_mov_b32_e32 v4, s88
	v_mov_b32_e32 v5, s89
	s_bcnt1_i32_b32 s9, s11
	s_add_i32 s2, s2, s9
	s_add_u32 s82, s82, s2
	s_addc_u32 s83, s83, 0
	v_mov_b32_e32 v10, s82
	v_mov_b32_e32 v11, s83
	s_or_b32 s72, s24, s72
	s_andn2_b32 exec_lo, exec_lo, s72
	s_cbranch_execnz .LBB126_65
; %bb.66:                               ;   in Loop: Header=BB126_18 Depth=1
	s_or_b32 exec_lo, exec_lo, s72
.LBB126_67:                             ;   in Loop: Header=BB126_18 Depth=1
	s_or_b32 exec_lo, exec_lo, s56
	v_add_co_u32 v21, s2, s80, v0
	v_and_b32_e32 v2, 0xffff, v2
	v_add_co_ci_u32_e64 v22, null, s81, 0, s2
	s_mov_b32 s12, exec_lo
	v_cmpx_gt_u64_e64 s[36:37], v[21:22]
	s_cbranch_execz .LBB126_73
; %bb.68:                               ;   in Loop: Header=BB126_18 Depth=1
	v_mad_u64_u32 v[31:32], null, v21, s30, s[28:29]
	v_mul_lo_u32 v33, v21, s31
	v_mul_lo_u32 v34, v22, s30
	s_mov_b32 s13, 0
	v_add3_u32 v32, v34, v32, v33
	global_load_ubyte v32, v[31:32], off
	s_branch .LBB126_70
.LBB126_69:                             ;   in Loop: Header=BB126_70 Depth=2
	s_or_b32 exec_lo, exec_lo, s2
	s_waitcnt vmcnt(0)
	v_and_b32_e32 v32, 0xff, v32
	s_and_b32 s2, exec_lo, vcc_lo
	s_or_b32 s13, s2, s13
	v_and_b32_e32 v33, v29, v32
	v_bfe_u32 v32, v32, s69, 2
	v_cmp_eq_u32_e64 s6, v33, v26
	v_cmp_eq_u32_e64 s9, 0, v32
	v_cmp_eq_u32_e32 vcc_lo, 1, v32
	v_cmp_eq_u32_e64 s11, 2, v32
	s_and_b32 s2, s6, s9
	v_cndmask_b32_e64 v33, 0, 1, s2
	s_and_b32 s2, s6, vcc_lo
	v_cmp_eq_u32_e32 vcc_lo, 3, v32
	v_cndmask_b32_e64 v34, 0, 1, s2
	s_and_b32 s2, s6, s11
	v_cmp_ne_u32_e64 s9, 0, v33
	v_cndmask_b32_e64 v32, 0, 1, s2
	s_and_b32 s2, s6, vcc_lo
	v_cmp_ne_u32_e64 s11, 0, v34
	v_cndmask_b32_e64 v33, 0, 1, s2
	s_bcnt1_i32_b32 s2, s9
	v_cmp_ne_u32_e32 vcc_lo, 0, v32
	v_add_co_u32 v4, s6, v4, s2
	s_bcnt1_i32_b32 s7, s11
	v_add_co_ci_u32_e64 v5, null, 0, v5, s6
	s_bcnt1_i32_b32 s2, vcc_lo
	v_cmp_ne_u32_e32 vcc_lo, 0, v33
	v_add_co_u32 v6, s6, v6, s7
	v_add_co_ci_u32_e64 v7, null, 0, v7, s6
	v_add_co_u32 v8, s6, v8, s2
	s_bcnt1_i32_b32 s2, vcc_lo
	v_add_co_ci_u32_e64 v9, null, 0, v9, s6
	v_add_co_u32 v10, vcc_lo, v10, s2
	v_add_co_ci_u32_e64 v11, null, 0, v11, vcc_lo
	v_mov_b32_e32 v32, v31
	s_andn2_b32 exec_lo, exec_lo, s13
	s_cbranch_execz .LBB126_72
.LBB126_70:                             ;   Parent Loop BB126_18 Depth=1
                                        ; =>  This Inner Loop Header: Depth=2
	v_add_co_u32 v21, vcc_lo, v21, v2
	v_add_co_ci_u32_e64 v22, null, 0, v22, vcc_lo
	v_mov_b32_e32 v31, 0
	s_mov_b32 s2, exec_lo
	v_cmp_le_u64_e32 vcc_lo, s[36:37], v[21:22]
	v_cmpx_gt_u64_e64 s[36:37], v[21:22]
	s_cbranch_execz .LBB126_69
; %bb.71:                               ;   in Loop: Header=BB126_70 Depth=2
	v_mad_u64_u32 v[33:34], null, v21, s30, s[28:29]
	v_mul_lo_u32 v31, v21, s31
	v_mul_lo_u32 v35, v22, s30
	v_add3_u32 v34, v35, v34, v31
	global_load_ubyte v31, v[33:34], off
	s_branch .LBB126_69
.LBB126_72:                             ;   in Loop: Header=BB126_18 Depth=1
	s_or_b32 exec_lo, exec_lo, s13
.LBB126_73:                             ;   in Loop: Header=BB126_18 Depth=1
	s_or_b32 exec_lo, exec_lo, s12
	s_branch .LBB126_52
.LBB126_74:                             ;   in Loop: Header=BB126_18 Depth=1
	global_load_ushort v2, v3, s[76:77]
	v_mov_b32_e32 v6, 0
	v_mov_b32_e32 v8, 0
	;; [unrolled: 1-line block ×6, first 2 shown]
	s_mov_b32 s74, exec_lo
	s_waitcnt vmcnt(0)
	v_readfirstlane_b32 s2, v2
	s_and_b32 s56, 0xffff, s2
	s_lshl_b32 s72, s56, 2
	v_cvt_f32_u32_e32 v4, s72
	s_sub_i32 s6, 0, s72
	v_rcp_iflag_f32_e32 v4, v4
	v_mul_f32_e32 v4, 0x4f7ffffe, v4
	v_cvt_u32_f32_e32 v4, v4
	v_readfirstlane_b32 s2, v4
	v_mov_b32_e32 v4, 0
	v_mov_b32_e32 v5, 0
	s_mul_i32 s6, s6, s2
	s_mul_hi_u32 s6, s2, s6
	s_add_i32 s2, s2, s6
	s_mul_hi_u32 s2, s78, s2
	s_mul_i32 s6, s2, s72
	s_add_i32 s7, s2, 1
	s_sub_i32 s6, s78, s6
	s_sub_i32 s9, s6, s72
	s_cmp_ge_u32 s6, s72
	s_cselect_b32 s2, s7, s2
	s_cselect_b32 s6, s9, s6
	s_add_i32 s7, s2, 1
	s_cmp_ge_u32 s6, s72
	s_cselect_b32 s2, s7, s2
	s_mul_hi_u32 s81, s56, s2
	s_mul_i32 s80, s56, s2
	s_lshl_b64 s[82:83], s[80:81], 2
	v_cmpx_gt_u64_e64 s[82:83], v[14:15]
	s_cbranch_execz .LBB126_78
; %bb.75:                               ;   in Loop: Header=BB126_18 Depth=1
	v_mov_b32_e32 v22, v15
	v_mov_b32_e32 v31, v14
	;; [unrolled: 1-line block ×3, first 2 shown]
	s_mov_b64 s[84:85], 0
	s_mov_b32 s79, 0
	s_mov_b64 s[86:87], 0
	s_mov_b64 s[88:89], 0
	;; [unrolled: 1-line block ×3, first 2 shown]
.LBB126_76:                             ;   Parent Loop BB126_18 Depth=1
                                        ; =>  This Inner Loop Header: Depth=2
	ds_read_b32 v4, v31
	v_add_nc_u32_e32 v31, s72, v31
	s_waitcnt lgkmcnt(0)
	v_and_b32_e32 v5, 0xff, v4
	v_and_b32_e32 v6, v29, v5
	v_bfe_u32 v5, v5, s69, 2
	v_cmp_eq_u32_e32 vcc_lo, v6, v26
	v_bfe_u32 v6, v4, 8, 8
	v_cmp_eq_u32_e64 s12, 0, v5
	v_cmp_eq_u32_e64 s13, 1, v5
	;; [unrolled: 1-line block ×4, first 2 shown]
	v_and_b32_e32 v7, v29, v6
	v_bfe_u32 v5, v6, s69, 2
	s_and_b32 s2, vcc_lo, s12
	v_cmp_eq_u32_e64 s6, v7, v26
	v_bfe_u32 v7, v4, 16, 8
	v_lshrrev_b32_e32 v4, 24, v4
	v_cmp_eq_u32_e64 s16, 0, v5
	v_cmp_eq_u32_e64 s17, 1, v5
	v_cmp_eq_u32_e64 s18, 2, v5
	v_and_b32_e32 v8, v29, v7
	v_cmp_eq_u32_e64 s19, 3, v5
	v_bfe_u32 v5, v7, s69, 2
	v_cmp_eq_u32_e64 s9, v8, v26
	v_and_b32_e32 v8, v29, v4
	v_bfe_u32 v4, v4, s69, 2
	v_cmp_eq_u32_e64 s20, 0, v5
	v_cmp_eq_u32_e64 s21, 1, v5
	;; [unrolled: 1-line block ×8, first 2 shown]
	v_cndmask_b32_e64 v4, 0, 1, s2
	s_and_b32 s2, s6, s16
	v_cmp_eq_u32_e64 s23, 3, v5
	v_cmp_ne_u32_e64 s12, 0, v4
	v_cndmask_b32_e64 v4, 0, 1, s2
	s_and_b32 s2, s9, s20
	v_cmp_ne_u32_e64 s16, 0, v4
	v_cndmask_b32_e64 v4, 0, 1, s2
	s_and_b32 s2, s11, s24
	s_bcnt1_i32_b32 s7, s16
	v_cmp_ne_u32_e64 s20, 0, v4
	v_cndmask_b32_e64 v4, 0, 1, s2
	s_bcnt1_i32_b32 s2, s12
	s_add_i32 s2, s7, s2
	s_bcnt1_i32_b32 s12, s20
	v_cmp_ne_u32_e64 s24, 0, v4
	s_add_i32 s2, s2, s12
	s_bcnt1_i32_b32 s16, s24
	s_add_i32 s2, s2, s16
	s_add_u32 s90, s90, s2
	s_addc_u32 s91, s91, 0
	s_and_b32 s2, vcc_lo, s13
	v_cndmask_b32_e64 v4, 0, 1, s2
	s_and_b32 s2, s6, s17
	v_cmp_ne_u32_e64 s12, 0, v4
	v_cndmask_b32_e64 v4, 0, 1, s2
	s_and_b32 s2, s9, s21
	v_cmp_ne_u32_e64 s13, 0, v4
	v_cndmask_b32_e64 v4, 0, 1, s2
	s_and_b32 s2, s11, s25
	s_bcnt1_i32_b32 s7, s13
	v_cmp_ne_u32_e64 s16, 0, v4
	v_cndmask_b32_e64 v4, 0, 1, s2
	s_bcnt1_i32_b32 s2, s12
	s_add_i32 s2, s7, s2
	s_bcnt1_i32_b32 s12, s16
	v_cmp_ne_u32_e64 s17, 0, v4
	s_add_i32 s2, s2, s12
	s_bcnt1_i32_b32 s13, s17
	s_add_i32 s2, s2, s13
	s_add_u32 s88, s88, s2
	s_addc_u32 s89, s89, 0
	s_and_b32 s2, vcc_lo, s14
	v_mov_b32_e32 v6, s88
	v_cndmask_b32_e64 v4, 0, 1, s2
	s_and_b32 s2, s6, s18
	v_mov_b32_e32 v7, s89
	v_cmp_ne_u32_e64 s12, 0, v4
	v_cndmask_b32_e64 v4, 0, 1, s2
	s_and_b32 s2, s9, s22
	v_cmp_ne_u32_e64 s13, 0, v4
	v_cndmask_b32_e64 v4, 0, 1, s2
	s_and_b32 s2, s11, s26
	s_bcnt1_i32_b32 s7, s13
	v_cmp_ne_u32_e64 s14, 0, v4
	v_cndmask_b32_e64 v4, 0, 1, s2
	s_bcnt1_i32_b32 s2, s12
	s_add_i32 s2, s7, s2
	s_bcnt1_i32_b32 s12, s14
	v_cmp_ne_u32_e64 s16, 0, v4
	s_add_i32 s2, s2, s12
	v_add_co_u32 v21, s12, v21, s72
	v_add_co_ci_u32_e64 v22, null, 0, v22, s12
	s_bcnt1_i32_b32 s13, s16
	s_add_i32 s2, s2, s13
	v_cmp_le_u64_e64 s12, s[82:83], v[21:22]
	s_add_u32 s86, s86, s2
	s_addc_u32 s87, s87, 0
	s_and_b32 s2, vcc_lo, s15
	v_mov_b32_e32 v8, s86
	v_cndmask_b32_e64 v4, 0, 1, s2
	s_and_b32 s2, s6, s19
	v_mov_b32_e32 v9, s87
	v_cmp_ne_u32_e32 vcc_lo, 0, v4
	v_cndmask_b32_e64 v4, 0, 1, s2
	s_and_b32 s2, s9, s23
	v_cmp_ne_u32_e64 s6, 0, v4
	v_cndmask_b32_e64 v4, 0, 1, s2
	s_and_b32 s2, s11, s27
	s_bcnt1_i32_b32 s6, s6
	v_cmp_ne_u32_e64 s9, 0, v4
	v_cndmask_b32_e64 v4, 0, 1, s2
	s_bcnt1_i32_b32 s2, vcc_lo
	s_add_i32 s2, s6, s2
	s_bcnt1_i32_b32 s7, s9
	v_cmp_ne_u32_e64 s11, 0, v4
	s_add_i32 s2, s2, s7
	v_mov_b32_e32 v4, s90
	v_mov_b32_e32 v5, s91
	s_bcnt1_i32_b32 s9, s11
	s_add_i32 s2, s2, s9
	s_add_u32 s84, s84, s2
	s_addc_u32 s85, s85, 0
	v_mov_b32_e32 v10, s84
	v_mov_b32_e32 v11, s85
	s_or_b32 s79, s12, s79
	s_andn2_b32 exec_lo, exec_lo, s79
	s_cbranch_execnz .LBB126_76
; %bb.77:                               ;   in Loop: Header=BB126_18 Depth=1
	s_or_b32 exec_lo, exec_lo, s79
.LBB126_78:                             ;   in Loop: Header=BB126_18 Depth=1
	s_or_b32 exec_lo, exec_lo, s74
	v_add_co_u32 v21, s2, s82, v0
	v_and_b32_e32 v2, 0xffff, v2
	v_add_co_ci_u32_e64 v22, null, s83, 0, s2
	s_and_b32 s72, s78, 0x7fffffff
	s_mov_b32 s14, exec_lo
	v_cmpx_gt_u64_e64 s[72:73], v[21:22]
	s_cbranch_execz .LBB126_82
; %bb.79:                               ;   in Loop: Header=BB126_18 Depth=1
	v_lshl_add_u32 v31, s80, 2, v0
	s_mov_b32 s15, 0
.LBB126_80:                             ;   Parent Loop BB126_18 Depth=1
                                        ; =>  This Inner Loop Header: Depth=2
	ds_read_u8 v32, v31
	v_add_co_u32 v21, vcc_lo, v21, v2
	v_add_co_ci_u32_e64 v22, null, 0, v22, vcc_lo
	v_add_nc_u32_e32 v31, s56, v31
	v_cmp_le_u64_e32 vcc_lo, s[72:73], v[21:22]
	s_waitcnt lgkmcnt(0)
	v_and_b32_e32 v33, v29, v32
	v_bfe_u32 v32, v32, s69, 2
	v_cmp_eq_u32_e64 s6, v33, v26
	v_cmp_eq_u32_e64 s9, 0, v32
	;; [unrolled: 1-line block ×5, first 2 shown]
	s_and_b32 s2, s6, s9
	v_cndmask_b32_e64 v32, 0, 1, s2
	s_and_b32 s2, s6, s11
	v_cndmask_b32_e64 v33, 0, 1, s2
	;; [unrolled: 2-line block ×3, first 2 shown]
	s_and_b32 s2, s6, s13
	v_cmp_ne_u32_e64 s6, 0, v32
	v_cndmask_b32_e64 v35, 0, 1, s2
	v_cmp_ne_u32_e64 s9, 0, v33
	v_cmp_ne_u32_e64 s11, 0, v34
	s_bcnt1_i32_b32 s2, s6
	v_cmp_ne_u32_e64 s12, 0, v35
	s_bcnt1_i32_b32 s7, s9
	v_add_co_u32 v4, s6, v4, s2
	s_bcnt1_i32_b32 s9, s11
	v_add_co_ci_u32_e64 v5, null, 0, v5, s6
	v_add_co_u32 v6, s6, v6, s7
	s_bcnt1_i32_b32 s11, s12
	v_add_co_ci_u32_e64 v7, null, 0, v7, s6
	v_add_co_u32 v8, s6, v8, s9
	v_add_co_ci_u32_e64 v9, null, 0, v9, s6
	v_add_co_u32 v10, s6, v10, s11
	v_add_co_ci_u32_e64 v11, null, 0, v11, s6
	s_or_b32 s15, vcc_lo, s15
	s_andn2_b32 exec_lo, exec_lo, s15
	s_cbranch_execnz .LBB126_80
; %bb.81:                               ;   in Loop: Header=BB126_18 Depth=1
	s_or_b32 exec_lo, exec_lo, s15
.LBB126_82:                             ;   in Loop: Header=BB126_18 Depth=1
	s_or_b32 exec_lo, exec_lo, s14
	s_lshl_b32 s6, s55, 7
	s_and_saveexec_b32 s2, s0
	s_cbranch_execnz .LBB126_53
	s_branch .LBB126_54
.LBB126_83:                             ;   in Loop: Header=BB126_18 Depth=1
                                        ; implicit-def: $sgpr12_sgpr13
	s_branch .LBB126_62
.LBB126_84:                             ;   in Loop: Header=BB126_18 Depth=1
	s_mov_b32 s11, 0
	s_andn2_b32 vcc_lo, exec_lo, s53
	s_cbranch_vccnz .LBB126_87
.LBB126_85:                             ;   in Loop: Header=BB126_18 Depth=1
	s_lshl_b32 s2, s55, 10
	s_lshl_b32 s7, s11, 5
	s_mov_b32 s11, vcc_hi
	v_add3_u32 v2, s2, s7, v27
.LBB126_86:                             ;   Parent Loop BB126_18 Depth=1
                                        ; =>  This Inner Loop Header: Depth=2
	ds_read_b64 v[6:7], v2
	v_add_nc_u32_e32 v2, 32, v2
	s_add_i32 s11, s11, -1
	s_cmp_lg_u32 s11, 0
	s_waitcnt lgkmcnt(0)
	v_add_co_u32 v4, vcc_lo, v6, v4
	v_add_co_ci_u32_e64 v5, null, v7, v5, vcc_lo
	s_cbranch_scc1 .LBB126_86
.LBB126_87:                             ;   in Loop: Header=BB126_18 Depth=1
	v_add_lshl_u32 v2, s6, v24, 3
	ds_write_b64 v2, v[4:5] offset:3072
.LBB126_88:                             ;   in Loop: Header=BB126_18 Depth=1
	s_or_b32 exec_lo, exec_lo, s9
	s_lshl_b32 s2, s6, 3
	s_waitcnt lgkmcnt(0)
	v_mov_b32_e32 v2, s2
	s_barrier
	buffer_gl0_inv
	v_cmp_eq_u64_e64 s9, 1, v[19:20]
	s_lshl_b32 s11, 3, s69
	ds_read_b128 v[4:7], v2 offset:3072
	ds_read_b128 v[8:11], v2 offset:3088
	s_mov_b32 s82, -1
	s_not_b32 s26, s11
	s_mov_b32 s27, 0
	s_andn2_b32 vcc_lo, exec_lo, s35
	s_mov_b32 s79, 0
	s_mov_b32 s78, 0
                                        ; implicit-def: $sgpr80
                                        ; implicit-def: $sgpr81
                                        ; implicit-def: $vgpr2
	s_waitcnt lgkmcnt(1)
	v_readfirstlane_b32 s13, v5
	v_readfirstlane_b32 s12, v4
	;; [unrolled: 1-line block ×4, first 2 shown]
	s_waitcnt lgkmcnt(0)
	v_readfirstlane_b32 s17, v9
	v_readfirstlane_b32 s16, v8
	;; [unrolled: 1-line block ×4, first 2 shown]
                                        ; implicit-def: $vgpr4_vgpr5
                                        ; implicit-def: $vgpr8
                                        ; implicit-def: $vgpr9
                                        ; implicit-def: $vgpr10
	s_cbranch_vccnz .LBB126_283
; %bb.89:                               ;   in Loop: Header=BB126_18 Depth=1
	s_cmp_eq_u64 s[12:13], 1
	v_mov_b32_e32 v8, v26
	v_mov_b32_e32 v9, v29
	;; [unrolled: 1-line block ×3, first 2 shown]
	s_cselect_b32 s2, -1, 0
	s_mov_b32 s20, -1
	s_and_b32 s6, s2, s9
                                        ; implicit-def: $sgpr81
                                        ; implicit-def: $sgpr80
	s_and_saveexec_b32 s78, s6
	s_cbranch_execz .LBB126_124
; %bb.90:                               ;   in Loop: Header=BB126_18 Depth=1
	ds_read_b64 v[4:5], v3 offset:5120
	s_waitcnt lgkmcnt(0)
	s_barrier
	buffer_gl0_inv
	v_readfirstlane_b32 s20, v4
	v_readfirstlane_b32 s21, v5
	s_and_saveexec_b32 s2, s10
; %bb.91:                               ;   in Loop: Header=BB126_18 Depth=1
	ds_write_b8 v0, v3 offset:3072
; %bb.92:                               ;   in Loop: Header=BB126_18 Depth=1
	s_or_b32 exec_lo, exec_lo, s2
	v_and_b32_e32 v8, s26, v26
	v_or_b32_e32 v9, s11, v29
	s_mov_b32 s80, -1
	s_mov_b32 s81, 0
	s_cmp_eq_u64 s[20:21], 0
	s_mov_b32 s24, 0
	s_mov_b32 s25, -1
	s_waitcnt lgkmcnt(0)
	s_barrier
	buffer_gl0_inv
                                        ; implicit-def: $vgpr10
	s_cbranch_scc1 .LBB126_109
; %bb.93:                               ;   in Loop: Header=BB126_18 Depth=1
	s_add_u32 s56, s20, s94
	s_addc_u32 s23, s21, s95
	s_mov_b32 s22, s73
	s_cmp_lg_u64 s[22:23], 0
	s_cbranch_scc0 .LBB126_150
; %bb.94:                               ;   in Loop: Header=BB126_18 Depth=1
	v_cvt_f32_u32_e32 v2, s33
	s_sub_u32 s22, 0, s33
	s_subb_u32 s24, 0, 0
	v_fmac_f32_e64 v2, 0x4f800000, 0
	v_rcp_f32_e32 v2, v2
	v_mul_f32_e32 v2, 0x5f7ffffc, v2
	v_mul_f32_e32 v4, 0x2f800000, v2
	v_trunc_f32_e32 v4, v4
	v_fmac_f32_e32 v2, 0xcf800000, v4
	v_cvt_u32_f32_e32 v4, v4
	v_cvt_u32_f32_e32 v2, v2
	v_readfirstlane_b32 s2, v4
	v_readfirstlane_b32 s7, v2
	s_mul_i32 s25, s22, s2
	s_mul_hi_u32 s41, s22, s7
	s_mul_i32 s40, s24, s7
	s_add_i32 s25, s41, s25
	s_mul_i32 s42, s22, s7
	s_add_i32 s25, s25, s40
	s_mul_hi_u32 s41, s7, s42
	s_mul_i32 s62, s7, s25
	s_mul_hi_u32 s43, s2, s42
	s_mul_i32 s40, s2, s42
	s_mul_hi_u32 s42, s7, s25
	s_add_u32 s41, s41, s62
	s_addc_u32 s42, 0, s42
	s_mul_hi_u32 s72, s2, s25
	s_add_u32 s40, s41, s40
	s_mul_i32 s25, s2, s25
	s_addc_u32 s40, s42, s43
	s_addc_u32 s41, s72, 0
	s_add_u32 s25, s40, s25
	s_addc_u32 s40, 0, s41
	s_add_u32 s7, s7, s25
	s_cselect_b32 s25, -1, 0
	s_mul_hi_u32 s41, s22, s7
	s_cmp_lg_u32 s25, 0
	s_mul_i32 s25, s22, s7
	s_addc_u32 s2, s2, s40
	s_mul_i32 s24, s24, s7
	s_mul_i32 s22, s22, s2
	s_mul_hi_u32 s40, s7, s25
	s_add_i32 s22, s41, s22
	s_mul_hi_u32 s41, s2, s25
	s_add_i32 s22, s22, s24
	s_mul_i32 s24, s2, s25
	s_mul_i32 s43, s7, s22
	s_mul_hi_u32 s42, s7, s22
	s_add_u32 s40, s40, s43
	s_addc_u32 s42, 0, s42
	s_mul_hi_u32 s25, s2, s22
	s_add_u32 s24, s40, s24
	s_mul_i32 s22, s2, s22
	s_addc_u32 s24, s42, s41
	s_addc_u32 s25, s25, 0
	s_add_u32 s22, s24, s22
	s_addc_u32 s24, 0, s25
	s_add_u32 s7, s7, s22
	s_cselect_b32 s22, -1, 0
	s_mul_hi_u32 s25, s56, s7
	s_cmp_lg_u32 s22, 0
	s_mul_hi_u32 s22, s23, s7
	s_addc_u32 s2, s2, s24
	s_mul_i32 s7, s23, s7
	s_mul_i32 s40, s56, s2
	s_mul_hi_u32 s24, s56, s2
	s_add_u32 s25, s25, s40
	s_addc_u32 s24, 0, s24
	s_mul_hi_u32 s41, s23, s2
	s_add_u32 s7, s25, s7
	s_mul_i32 s2, s23, s2
	s_addc_u32 s7, s24, s22
	s_addc_u32 s22, s41, 0
	s_add_u32 s2, s7, s2
	s_addc_u32 s7, 0, s22
	s_mul_hi_u32 s22, s33, s2
	s_mul_i32 s7, s33, s7
	s_mul_i32 s2, s33, s2
	s_add_i32 s22, s22, s7
	s_sub_u32 s2, s56, s2
	s_cselect_b32 s7, -1, 0
	s_cmp_lg_u32 s7, 0
	s_subb_u32 s7, s23, s22
	s_sub_u32 s22, s2, s33
	s_cselect_b32 s24, -1, 0
	s_cmp_lg_u32 s24, 0
	s_subb_u32 s24, s7, 0
	;; [unrolled: 4-line block ×3, first 2 shown]
	s_cmp_ge_u32 s22, s33
	s_cselect_b32 s41, -1, 0
	s_cmp_eq_u32 s24, 0
	s_cselect_b32 s41, s41, -1
	s_cmp_lg_u32 s41, 0
	s_cselect_b32 s24, s40, s24
	s_cselect_b32 s22, s25, s22
	s_cmp_ge_u32 s2, s33
	s_cselect_b32 s25, -1, 0
	s_cmp_eq_u32 s7, 0
	s_cselect_b32 s25, s25, -1
	s_cmp_lg_u32 s25, 0
	s_cselect_b32 s25, s24, s7
	s_cselect_b32 s24, s22, s2
	s_cbranch_execnz .LBB126_96
.LBB126_95:                             ;   in Loop: Header=BB126_18 Depth=1
	v_cvt_f32_u32_e32 v2, s33
	s_sub_i32 s7, 0, s33
	v_rcp_iflag_f32_e32 v2, v2
	v_mul_f32_e32 v2, 0x4f7ffffe, v2
	v_cvt_u32_f32_e32 v2, v2
	v_readfirstlane_b32 s2, v2
	s_mul_i32 s7, s7, s2
	s_mul_hi_u32 s7, s2, s7
	s_add_i32 s2, s2, s7
	s_mul_hi_u32 s2, s56, s2
	s_mul_i32 s2, s2, s33
	s_sub_i32 s2, s56, s2
	s_sub_i32 s7, s2, s33
	s_cmp_ge_u32 s2, s33
	s_cselect_b32 s2, s7, s2
	s_sub_i32 s7, s2, s33
	s_cmp_ge_u32 s2, s33
	s_cselect_b32 s72, s7, s2
	s_mov_b64 s[24:25], s[72:73]
.LBB126_96:                             ;   in Loop: Header=BB126_18 Depth=1
	s_sub_u32 s22, s56, s24
	s_subb_u32 s23, s23, s25
	s_mov_b32 s25, 0
	s_mov_b32 s24, 0
	s_mov_b32 s56, exec_lo
                                        ; implicit-def: $vgpr10
	v_cmpx_gt_u64_e64 s[22:23], v[0:1]
	s_cbranch_execz .LBB126_108
; %bb.97:                               ;   in Loop: Header=BB126_18 Depth=1
	v_mov_b32_e32 v5, v1
	v_mov_b32_e32 v2, v0
	;; [unrolled: 1-line block ×3, first 2 shown]
                                        ; implicit-def: $sgpr62
	s_inst_prefetch 0x1
	s_branch .LBB126_100
	.p2align	6
.LBB126_98:                             ;   in Loop: Header=BB126_100 Depth=2
	s_or_b32 exec_lo, exec_lo, s7
	s_waitcnt lgkmcnt(0)
	s_barrier
	buffer_gl0_inv
	ds_read_u16 v6, v3 offset:3072
	s_mov_b32 s7, -1
	s_mov_b32 s72, -1
	s_waitcnt lgkmcnt(0)
	s_barrier
	buffer_gl0_inv
	v_cmp_ne_u32_sdwa s2, v6, v3 src0_sel:BYTE_0 src1_sel:DWORD
	s_and_b32 vcc_lo, exec_lo, s2
	s_cbranch_vccz .LBB126_103
.LBB126_99:                             ;   in Loop: Header=BB126_100 Depth=2
	s_and_b32 s2, exec_lo, s7
	s_or_b32 s24, s2, s24
	s_andn2_b32 s2, s62, exec_lo
	s_and_b32 s7, s72, exec_lo
	s_or_b32 s62, s2, s7
	s_andn2_b32 exec_lo, exec_lo, s24
	s_cbranch_execz .LBB126_107
.LBB126_100:                            ;   Parent Loop BB126_18 Depth=1
                                        ; =>  This Inner Loop Header: Depth=2
	s_mov_b32 s7, exec_lo
	v_cmpx_gt_u64_e64 s[20:21], v[4:5]
	s_cbranch_execz .LBB126_98
; %bb.101:                              ;   in Loop: Header=BB126_100 Depth=2
	ds_read_u8 v6, v2
	s_waitcnt lgkmcnt(0)
	v_and_b32_e32 v7, v6, v9
	v_cmp_eq_u32_sdwa s2, v7, v8 src0_sel:BYTE_0 src1_sel:DWORD
	s_and_b32 exec_lo, exec_lo, s2
	s_cbranch_execz .LBB126_98
; %bb.102:                              ;   in Loop: Header=BB126_100 Depth=2
	v_lshlrev_b16 v6, 8, v6
	v_or_b32_e32 v6, 1, v6
	ds_write_b16 v3, v6 offset:3072
	s_branch .LBB126_98
.LBB126_103:                            ;   in Loop: Header=BB126_100 Depth=2
	v_add_co_u32 v4, vcc_lo, v4, s33
	v_add_co_ci_u32_e64 v5, null, 0, v5, vcc_lo
	v_add_nc_u32_e32 v2, s33, v2
	s_mov_b32 s72, 0
	v_cmp_le_u64_e32 vcc_lo, s[22:23], v[4:5]
	s_orn2_b32 s7, vcc_lo, exec_lo
	s_branch .LBB126_99
.LBB126_104:                            ;   in Loop: Header=BB126_18 Depth=1
	s_or_b32 exec_lo, exec_lo, s11
	s_waitcnt lgkmcnt(0)
	s_barrier
	buffer_gl0_inv
	s_and_saveexec_b32 s2, s3
	s_cbranch_execz .LBB126_106
; %bb.105:                              ;   in Loop: Header=BB126_18 Depth=1
	ds_read_b32 v4, v3 offset:5144
	s_waitcnt lgkmcnt(0)
	v_ashrrev_i32_e32 v5, 31, v4
	ds_write_b64 v3, v[4:5] offset:5120
.LBB126_106:                            ;   in Loop: Header=BB126_18 Depth=1
	s_or_b32 exec_lo, exec_lo, s2
	s_waitcnt lgkmcnt(0)
	s_mov_b32 s6, -1
	s_barrier
	s_and_b32 vcc_lo, exec_lo, s9
	s_cbranch_vccnz .LBB126_33
	s_branch .LBB126_48
.LBB126_107:                            ;   in Loop: Header=BB126_18 Depth=1
	s_inst_prefetch 0x2
	s_or_b32 exec_lo, exec_lo, s24
	v_lshrrev_b32_sdwa v10, v28, v6 dst_sel:DWORD dst_unused:UNUSED_PAD src0_sel:DWORD src1_sel:WORD_0
	s_and_b32 s24, s62, exec_lo
.LBB126_108:                            ;   in Loop: Header=BB126_18 Depth=1
	s_or_b32 exec_lo, exec_lo, s56
.LBB126_109:                            ;   in Loop: Header=BB126_18 Depth=1
	s_and_b32 vcc_lo, exec_lo, s25
	s_cbranch_vccz .LBB126_123
; %bb.110:                              ;   in Loop: Header=BB126_18 Depth=1
	s_mov_b32 s74, s73
	s_cmp_lg_u64 s[74:75], 0
	s_cbranch_scc0 .LBB126_151
; %bb.111:                              ;   in Loop: Header=BB126_18 Depth=1
	v_cvt_f32_u32_e32 v2, s33
	s_sub_u32 s20, 0, s33
	s_subb_u32 s21, 0, 0
	v_fmac_f32_e64 v2, 0x4f800000, 0
	v_rcp_f32_e32 v2, v2
	v_mul_f32_e32 v2, 0x5f7ffffc, v2
	v_mul_f32_e32 v4, 0x2f800000, v2
	v_trunc_f32_e32 v4, v4
	v_fmac_f32_e32 v2, 0xcf800000, v4
	v_cvt_u32_f32_e32 v4, v4
	v_cvt_u32_f32_e32 v2, v2
	v_readfirstlane_b32 s2, v4
	v_readfirstlane_b32 s7, v2
	s_mul_i32 s22, s20, s2
	s_mul_hi_u32 s25, s20, s7
	s_mul_i32 s23, s21, s7
	s_add_i32 s22, s25, s22
	s_mul_i32 s40, s20, s7
	s_add_i32 s22, s22, s23
	s_mul_hi_u32 s25, s7, s40
	s_mul_i32 s42, s7, s22
	s_mul_hi_u32 s41, s2, s40
	s_mul_i32 s23, s2, s40
	s_mul_hi_u32 s40, s7, s22
	s_add_u32 s25, s25, s42
	s_addc_u32 s40, 0, s40
	s_mul_hi_u32 s43, s2, s22
	s_add_u32 s23, s25, s23
	s_mul_i32 s22, s2, s22
	s_addc_u32 s23, s40, s41
	s_addc_u32 s25, s43, 0
	s_add_u32 s22, s23, s22
	s_addc_u32 s23, 0, s25
	s_add_u32 s7, s7, s22
	s_cselect_b32 s22, -1, 0
	s_mul_hi_u32 s25, s20, s7
	s_cmp_lg_u32 s22, 0
	s_mul_i32 s22, s20, s7
	s_addc_u32 s2, s2, s23
	s_mul_i32 s21, s21, s7
	s_mul_i32 s20, s20, s2
	s_mul_hi_u32 s23, s7, s22
	s_add_i32 s20, s25, s20
	s_mul_hi_u32 s25, s2, s22
	s_add_i32 s20, s20, s21
	s_mul_i32 s21, s2, s22
	s_mul_i32 s41, s7, s20
	s_mul_hi_u32 s40, s7, s20
	s_add_u32 s23, s23, s41
	s_addc_u32 s40, 0, s40
	s_mul_hi_u32 s22, s2, s20
	s_add_u32 s21, s23, s21
	s_mul_i32 s20, s2, s20
	s_addc_u32 s21, s40, s25
	s_addc_u32 s22, s22, 0
	s_add_u32 s20, s21, s20
	s_addc_u32 s21, 0, s22
	s_add_u32 s7, s7, s20
	s_cselect_b32 s20, -1, 0
	s_mul_hi_u32 s22, s96, s7
	s_cmp_lg_u32 s20, 0
	s_mul_hi_u32 s20, s75, s7
	s_addc_u32 s2, s2, s21
	s_mul_i32 s7, s75, s7
	s_mul_i32 s23, s96, s2
	s_mul_hi_u32 s21, s96, s2
	s_add_u32 s22, s22, s23
	s_addc_u32 s21, 0, s21
	s_mul_hi_u32 s25, s75, s2
	s_add_u32 s7, s22, s7
	s_mul_i32 s2, s75, s2
	s_addc_u32 s7, s21, s20
	s_addc_u32 s20, s25, 0
	s_add_u32 s2, s7, s2
	s_addc_u32 s7, 0, s20
	s_mul_hi_u32 s20, s33, s2
	s_mul_i32 s7, s33, s7
	s_mul_i32 s2, s33, s2
	s_add_i32 s20, s20, s7
	s_sub_u32 s2, s96, s2
	s_cselect_b32 s7, -1, 0
	s_cmp_lg_u32 s7, 0
	s_subb_u32 s7, s75, s20
	s_sub_u32 s20, s2, s33
	s_cselect_b32 s21, -1, 0
	s_cmp_lg_u32 s21, 0
	s_subb_u32 s21, s7, 0
	;; [unrolled: 4-line block ×3, first 2 shown]
	s_cmp_ge_u32 s20, s33
	s_cselect_b32 s25, -1, 0
	s_cmp_eq_u32 s21, 0
	s_cselect_b32 s25, s25, -1
	s_cmp_lg_u32 s25, 0
	s_cselect_b32 s21, s23, s21
	s_cselect_b32 s20, s22, s20
	s_cmp_ge_u32 s2, s33
	s_cselect_b32 s22, -1, 0
	s_cmp_eq_u32 s7, 0
	s_cselect_b32 s22, s22, -1
	s_cmp_lg_u32 s22, 0
	s_cselect_b32 s21, s21, s7
	s_cselect_b32 s20, s20, s2
	s_cbranch_execnz .LBB126_113
.LBB126_112:                            ;   in Loop: Header=BB126_18 Depth=1
	v_cvt_f32_u32_e32 v2, s33
	s_sub_i32 s7, 0, s33
	v_rcp_iflag_f32_e32 v2, v2
	v_mul_f32_e32 v2, 0x4f7ffffe, v2
	v_cvt_u32_f32_e32 v2, v2
	v_readfirstlane_b32 s2, v2
	s_mul_i32 s7, s7, s2
	s_mul_hi_u32 s7, s2, s7
	s_add_i32 s2, s2, s7
	s_mul_hi_u32 s2, s96, s2
	s_mul_i32 s2, s2, s33
	s_sub_i32 s2, s96, s2
	s_sub_i32 s7, s2, s33
	s_cmp_ge_u32 s2, s33
	s_cselect_b32 s2, s7, s2
	s_sub_i32 s7, s2, s33
	s_cmp_ge_u32 s2, s33
	s_cselect_b32 s72, s7, s2
	s_mov_b64 s[20:21], s[72:73]
.LBB126_113:                            ;   in Loop: Header=BB126_18 Depth=1
	s_sub_u32 s20, s96, s20
	s_subb_u32 s21, s75, s21
	s_mov_b32 s22, exec_lo
                                        ; implicit-def: $vgpr10
	v_cmpx_gt_u64_e64 s[20:21], v[0:1]
	s_cbranch_execz .LBB126_122
; %bb.114:                              ;   in Loop: Header=BB126_18 Depth=1
	v_mov_b32_e32 v5, v1
	v_mov_b32_e32 v4, v0
	s_mov_b32 s23, 0
                                        ; implicit-def: $sgpr25
	s_branch .LBB126_117
.LBB126_115:                            ;   in Loop: Header=BB126_117 Depth=2
	s_or_b32 exec_lo, exec_lo, s56
	s_waitcnt lgkmcnt(0)
	s_barrier
	buffer_gl0_inv
	ds_read_u16 v2, v3 offset:3072
	s_mov_b32 s7, -1
	s_waitcnt lgkmcnt(0)
	s_barrier
	buffer_gl0_inv
	v_cmp_ne_u32_sdwa s2, v2, v3 src0_sel:BYTE_0 src1_sel:DWORD
	s_and_b32 vcc_lo, exec_lo, s2
	s_mov_b32 s2, -1
	s_cbranch_vccz .LBB126_120
.LBB126_116:                            ;   in Loop: Header=BB126_117 Depth=2
	s_and_b32 s7, exec_lo, s7
	s_or_b32 s23, s7, s23
	s_andn2_b32 s7, s25, exec_lo
	s_and_b32 s2, s2, exec_lo
	s_or_b32 s25, s7, s2
	s_andn2_b32 exec_lo, exec_lo, s23
	s_cbranch_execz .LBB126_121
.LBB126_117:                            ;   Parent Loop BB126_18 Depth=1
                                        ; =>  This Inner Loop Header: Depth=2
	s_mov_b32 s56, exec_lo
	v_cmpx_gt_u64_e64 s[36:37], v[4:5]
	s_cbranch_execz .LBB126_115
; %bb.118:                              ;   in Loop: Header=BB126_117 Depth=2
	v_mad_u64_u32 v[6:7], null, v4, s30, s[28:29]
	v_mul_lo_u32 v2, v4, s31
	v_mul_lo_u32 v10, v5, s30
	v_add3_u32 v7, v10, v7, v2
	global_load_ubyte v2, v[6:7], off
	s_waitcnt vmcnt(0)
	v_and_b32_e32 v6, v2, v9
	v_cmp_eq_u32_sdwa s2, v6, v8 src0_sel:BYTE_0 src1_sel:DWORD
	s_and_b32 exec_lo, exec_lo, s2
	s_cbranch_execz .LBB126_115
; %bb.119:                              ;   in Loop: Header=BB126_117 Depth=2
	v_lshlrev_b16 v2, 8, v2
	v_or_b32_e32 v2, 1, v2
	ds_write_b16 v3, v2 offset:3072
	s_branch .LBB126_115
.LBB126_120:                            ;   in Loop: Header=BB126_117 Depth=2
	v_add_co_u32 v4, vcc_lo, v4, s33
	v_add_co_ci_u32_e64 v5, null, 0, v5, vcc_lo
	s_mov_b32 s2, 0
	v_cmp_le_u64_e32 vcc_lo, s[20:21], v[4:5]
	s_orn2_b32 s7, vcc_lo, exec_lo
	s_branch .LBB126_116
.LBB126_121:                            ;   in Loop: Header=BB126_18 Depth=1
	s_or_b32 exec_lo, exec_lo, s23
	v_lshrrev_b32_sdwa v10, v28, v2 dst_sel:DWORD dst_unused:UNUSED_PAD src0_sel:DWORD src1_sel:WORD_0
	s_andn2_b32 s2, s24, exec_lo
	s_and_b32 s7, s25, exec_lo
	s_or_b32 s24, s2, s7
.LBB126_122:                            ;   in Loop: Header=BB126_18 Depth=1
	s_or_b32 exec_lo, exec_lo, s22
	s_mov_b32 s80, 0
	s_mov_b32 s81, -1
.LBB126_123:                            ;   in Loop: Header=BB126_18 Depth=1
	s_orn2_b32 s20, s24, exec_lo
.LBB126_124:                            ;   in Loop: Header=BB126_18 Depth=1
	s_or_b32 exec_lo, exec_lo, s78
	s_mov_b32 s82, 0
	s_mov_b32 s79, 0
	;; [unrolled: 1-line block ×3, first 2 shown]
                                        ; implicit-def: $vgpr4_vgpr5
                                        ; implicit-def: $vgpr2
	s_and_saveexec_b32 s83, s20
	s_cbranch_execz .LBB126_282
; %bb.125:                              ;   in Loop: Header=BB126_18 Depth=1
	v_mov_b32_e32 v4, 1
	v_mov_b32_e32 v5, 0
	;; [unrolled: 1-line block ×3, first 2 shown]
	s_xor_b32 s2, s6, -1
	s_mov_b32 s21, 0
	s_and_saveexec_b32 s6, s2
	s_cbranch_execz .LBB126_134
; %bb.126:                              ;   in Loop: Header=BB126_18 Depth=1
	s_mov_b32 s2, exec_lo
	v_cmpx_ge_u64_e64 s[12:13], v[19:20]
	s_xor_b32 s20, exec_lo, s2
	s_cbranch_execz .LBB126_131
; %bb.127:                              ;   in Loop: Header=BB126_18 Depth=1
	ds_read_b64 v[4:5], v3 offset:5120
	v_and_b32_e32 v8, s26, v8
	v_or_b32_e32 v9, s11, v9
	s_waitcnt lgkmcnt(0)
	v_cmp_ne_u64_e32 vcc_lo, 0, v[4:5]
	s_cbranch_vccnz .LBB126_131
; %bb.128:                              ;   in Loop: Header=BB126_18 Depth=1
	s_and_saveexec_b32 s2, s3
; %bb.129:                              ;   in Loop: Header=BB126_18 Depth=1
	v_mov_b32_e32 v4, s12
	v_mov_b32_e32 v5, s13
	ds_write_b64 v3, v[4:5] offset:5128
; %bb.130:                              ;   in Loop: Header=BB126_18 Depth=1
	s_or_b32 exec_lo, exec_lo, s2
	s_waitcnt lgkmcnt(0)
	s_barrier
	buffer_gl0_inv
.LBB126_131:                            ;   in Loop: Header=BB126_18 Depth=1
	s_or_saveexec_b32 s20, s20
	v_mov_b32_e32 v4, v19
	v_mov_b32_e32 v2, 8
	v_mov_b32_e32 v5, v20
	s_xor_b32 exec_lo, exec_lo, s20
; %bb.132:                              ;   in Loop: Header=BB126_18 Depth=1
	v_sub_co_u32 v4, vcc_lo, v19, s12
	v_subrev_co_ci_u32_e64 v5, null, s13, v20, vcc_lo
	v_mov_b32_e32 v2, 0
	s_mov_b32 s21, exec_lo
; %bb.133:                              ;   in Loop: Header=BB126_18 Depth=1
	s_or_b32 exec_lo, exec_lo, s20
	s_and_b32 s21, s21, exec_lo
.LBB126_134:                            ;   in Loop: Header=BB126_18 Depth=1
	s_or_b32 exec_lo, exec_lo, s6
	s_mov_b32 s20, -1
                                        ; implicit-def: $sgpr78
                                        ; implicit-def: $sgpr79
	s_and_saveexec_b32 s2, s21
	s_xor_b32 s6, exec_lo, s2
	s_cbranch_execz .LBB126_279
; %bb.135:                              ;   in Loop: Header=BB126_18 Depth=1
	v_cmp_eq_u64_e32 vcc_lo, 1, v[4:5]
	s_cmp_eq_u64 s[14:15], 1
                                        ; implicit-def: $sgpr79
                                        ; implicit-def: $sgpr78
	s_cselect_b32 s2, -1, 0
	s_and_b32 s85, s2, vcc_lo
	s_and_saveexec_b32 s84, s85
	s_cbranch_execz .LBB126_169
; %bb.136:                              ;   in Loop: Header=BB126_18 Depth=1
	ds_read_b64 v[6:7], v3 offset:5120
	s_waitcnt lgkmcnt(0)
	s_barrier
	buffer_gl0_inv
	v_readfirstlane_b32 s20, v6
	v_readfirstlane_b32 s21, v7
	s_and_saveexec_b32 s2, s10
; %bb.137:                              ;   in Loop: Header=BB126_18 Depth=1
	ds_write_b8 v0, v3 offset:3072
; %bb.138:                              ;   in Loop: Header=BB126_18 Depth=1
	s_or_b32 exec_lo, exec_lo, s2
	s_lshl_b32 s2, 1, s69
	v_or_b32_e32 v9, s11, v9
	v_and_or_b32 v8, v8, s26, s2
	s_mov_b32 s78, -1
	s_mov_b32 s79, 0
	s_cmp_eq_u64 s[20:21], 0
	s_mov_b32 s24, 0
	s_mov_b32 s25, -1
	s_waitcnt lgkmcnt(0)
	s_barrier
	buffer_gl0_inv
                                        ; implicit-def: $vgpr10
	s_cbranch_scc1 .LBB126_154
; %bb.139:                              ;   in Loop: Header=BB126_18 Depth=1
	s_add_u32 s56, s20, s94
	s_addc_u32 s23, s21, s95
	s_mov_b32 s22, s73
	s_cmp_lg_u64 s[22:23], 0
	s_cbranch_scc0 .LBB126_195
; %bb.140:                              ;   in Loop: Header=BB126_18 Depth=1
	v_cvt_f32_u32_e32 v6, s33
	s_sub_u32 s22, 0, s33
	s_subb_u32 s24, 0, 0
	v_fmac_f32_e64 v6, 0x4f800000, 0
	v_rcp_f32_e32 v6, v6
	v_mul_f32_e32 v6, 0x5f7ffffc, v6
	v_mul_f32_e32 v7, 0x2f800000, v6
	v_trunc_f32_e32 v7, v7
	v_fmac_f32_e32 v6, 0xcf800000, v7
	v_cvt_u32_f32_e32 v7, v7
	v_cvt_u32_f32_e32 v6, v6
	v_readfirstlane_b32 s2, v7
	v_readfirstlane_b32 s7, v6
	s_mul_i32 s25, s22, s2
	s_mul_hi_u32 s72, s22, s7
	s_mul_i32 s62, s24, s7
	s_add_i32 s25, s72, s25
	s_mul_i32 s74, s22, s7
	s_add_i32 s25, s25, s62
	s_mul_hi_u32 s72, s7, s74
	s_mul_i32 s87, s7, s25
	s_mul_hi_u32 s86, s2, s74
	s_mul_i32 s62, s2, s74
	s_mul_hi_u32 s74, s7, s25
	s_add_u32 s72, s72, s87
	s_addc_u32 s74, 0, s74
	s_mul_hi_u32 s88, s2, s25
	s_add_u32 s62, s72, s62
	s_mul_i32 s25, s2, s25
	s_addc_u32 s62, s74, s86
	s_addc_u32 s72, s88, 0
	s_add_u32 s25, s62, s25
	s_addc_u32 s62, 0, s72
	s_add_u32 s7, s7, s25
	s_cselect_b32 s25, -1, 0
	s_mul_hi_u32 s72, s22, s7
	s_cmp_lg_u32 s25, 0
	s_mul_i32 s25, s22, s7
	s_addc_u32 s2, s2, s62
	s_mul_i32 s24, s24, s7
	s_mul_i32 s22, s22, s2
	s_mul_hi_u32 s62, s7, s25
	s_add_i32 s22, s72, s22
	s_mul_hi_u32 s72, s2, s25
	s_add_i32 s22, s22, s24
	s_mul_i32 s24, s2, s25
	s_mul_i32 s86, s7, s22
	s_mul_hi_u32 s74, s7, s22
	s_add_u32 s62, s62, s86
	s_addc_u32 s74, 0, s74
	s_mul_hi_u32 s25, s2, s22
	s_add_u32 s24, s62, s24
	s_mul_i32 s22, s2, s22
	s_addc_u32 s24, s74, s72
	s_addc_u32 s25, s25, 0
	s_add_u32 s22, s24, s22
	s_addc_u32 s24, 0, s25
	s_add_u32 s7, s7, s22
	s_cselect_b32 s22, -1, 0
	s_mul_hi_u32 s25, s56, s7
	s_cmp_lg_u32 s22, 0
	s_mul_hi_u32 s22, s23, s7
	s_addc_u32 s2, s2, s24
	s_mul_i32 s7, s23, s7
	s_mul_i32 s62, s56, s2
	s_mul_hi_u32 s24, s56, s2
	s_add_u32 s25, s25, s62
	s_addc_u32 s24, 0, s24
	s_mul_hi_u32 s72, s23, s2
	s_add_u32 s7, s25, s7
	s_mul_i32 s2, s23, s2
	s_addc_u32 s7, s24, s22
	s_addc_u32 s22, s72, 0
	s_add_u32 s2, s7, s2
	s_addc_u32 s7, 0, s22
	s_mul_hi_u32 s22, s33, s2
	s_mul_i32 s7, s33, s7
	s_mul_i32 s2, s33, s2
	s_add_i32 s22, s22, s7
	s_sub_u32 s2, s56, s2
	s_cselect_b32 s7, -1, 0
	s_cmp_lg_u32 s7, 0
	s_subb_u32 s7, s23, s22
	s_sub_u32 s22, s2, s33
	s_cselect_b32 s24, -1, 0
	s_cmp_lg_u32 s24, 0
	s_subb_u32 s24, s7, 0
	;; [unrolled: 4-line block ×3, first 2 shown]
	s_cmp_ge_u32 s22, s33
	s_cselect_b32 s72, -1, 0
	s_cmp_eq_u32 s24, 0
	s_cselect_b32 s72, s72, -1
	s_cmp_lg_u32 s72, 0
	s_cselect_b32 s24, s62, s24
	s_cselect_b32 s22, s25, s22
	s_cmp_ge_u32 s2, s33
	s_cselect_b32 s25, -1, 0
	s_cmp_eq_u32 s7, 0
	s_cselect_b32 s25, s25, -1
	s_cmp_lg_u32 s25, 0
	s_cselect_b32 s25, s24, s7
	s_cselect_b32 s24, s22, s2
	s_cbranch_execnz .LBB126_142
.LBB126_141:                            ;   in Loop: Header=BB126_18 Depth=1
	v_cvt_f32_u32_e32 v6, s33
	s_sub_i32 s7, 0, s33
	v_rcp_iflag_f32_e32 v6, v6
	v_mul_f32_e32 v6, 0x4f7ffffe, v6
	v_cvt_u32_f32_e32 v6, v6
	v_readfirstlane_b32 s2, v6
	s_mul_i32 s7, s7, s2
	s_mul_hi_u32 s7, s2, s7
	s_add_i32 s2, s2, s7
	s_mul_hi_u32 s2, s56, s2
	s_mul_i32 s2, s2, s33
	s_sub_i32 s2, s56, s2
	s_sub_i32 s7, s2, s33
	s_cmp_ge_u32 s2, s33
	s_cselect_b32 s2, s7, s2
	s_sub_i32 s7, s2, s33
	s_cmp_ge_u32 s2, s33
	s_cselect_b32 s72, s7, s2
	s_mov_b64 s[24:25], s[72:73]
.LBB126_142:                            ;   in Loop: Header=BB126_18 Depth=1
	s_sub_u32 s22, s56, s24
	s_subb_u32 s23, s23, s25
	s_mov_b32 s25, 0
	s_mov_b32 s24, 0
	s_mov_b32 s56, exec_lo
                                        ; implicit-def: $vgpr10
	v_cmpx_gt_u64_e64 s[22:23], v[0:1]
	s_cbranch_execz .LBB126_153
; %bb.143:                              ;   in Loop: Header=BB126_18 Depth=1
	v_mov_b32_e32 v7, v1
	v_mov_b32_e32 v10, v0
	;; [unrolled: 1-line block ×3, first 2 shown]
                                        ; implicit-def: $sgpr62
	s_inst_prefetch 0x1
	s_branch .LBB126_146
	.p2align	6
.LBB126_144:                            ;   in Loop: Header=BB126_146 Depth=2
	s_or_b32 exec_lo, exec_lo, s72
	s_waitcnt lgkmcnt(0)
	s_barrier
	buffer_gl0_inv
	ds_read_u16 v11, v3 offset:3072
	s_mov_b32 s7, -1
	s_mov_b32 s72, -1
	s_waitcnt lgkmcnt(0)
	s_barrier
	buffer_gl0_inv
	v_cmp_ne_u32_sdwa s2, v11, v3 src0_sel:BYTE_0 src1_sel:DWORD
	s_and_b32 vcc_lo, exec_lo, s2
	s_cbranch_vccz .LBB126_149
.LBB126_145:                            ;   in Loop: Header=BB126_146 Depth=2
	s_and_b32 s2, exec_lo, s7
	s_or_b32 s24, s2, s24
	s_andn2_b32 s2, s62, exec_lo
	s_and_b32 s7, s72, exec_lo
	s_or_b32 s62, s2, s7
	s_andn2_b32 exec_lo, exec_lo, s24
	s_cbranch_execz .LBB126_152
.LBB126_146:                            ;   Parent Loop BB126_18 Depth=1
                                        ; =>  This Inner Loop Header: Depth=2
	s_mov_b32 s72, exec_lo
	v_cmpx_gt_u64_e64 s[20:21], v[6:7]
	s_cbranch_execz .LBB126_144
; %bb.147:                              ;   in Loop: Header=BB126_146 Depth=2
	ds_read_u8 v11, v10
	s_waitcnt lgkmcnt(0)
	v_and_b32_e32 v21, v11, v9
	v_cmp_eq_u32_sdwa s2, v21, v8 src0_sel:BYTE_0 src1_sel:DWORD
	s_and_b32 exec_lo, exec_lo, s2
	s_cbranch_execz .LBB126_144
; %bb.148:                              ;   in Loop: Header=BB126_146 Depth=2
	v_lshlrev_b16 v11, 8, v11
	v_or_b32_e32 v11, 1, v11
	ds_write_b16 v3, v11 offset:3072
	s_branch .LBB126_144
.LBB126_149:                            ;   in Loop: Header=BB126_146 Depth=2
	v_add_co_u32 v6, vcc_lo, v6, s33
	v_add_co_ci_u32_e64 v7, null, 0, v7, vcc_lo
	v_add_nc_u32_e32 v10, s33, v10
	s_mov_b32 s72, 0
	v_cmp_le_u64_e32 vcc_lo, s[22:23], v[6:7]
	s_orn2_b32 s7, vcc_lo, exec_lo
	s_branch .LBB126_145
.LBB126_150:                            ;   in Loop: Header=BB126_18 Depth=1
                                        ; implicit-def: $sgpr24_sgpr25
	s_branch .LBB126_95
.LBB126_151:                            ;   in Loop: Header=BB126_18 Depth=1
                                        ; implicit-def: $sgpr20_sgpr21
	s_branch .LBB126_112
.LBB126_152:                            ;   in Loop: Header=BB126_18 Depth=1
	s_inst_prefetch 0x2
	s_or_b32 exec_lo, exec_lo, s24
	v_lshrrev_b32_sdwa v10, v28, v11 dst_sel:DWORD dst_unused:UNUSED_PAD src0_sel:DWORD src1_sel:WORD_0
	s_and_b32 s24, s62, exec_lo
.LBB126_153:                            ;   in Loop: Header=BB126_18 Depth=1
	s_or_b32 exec_lo, exec_lo, s56
.LBB126_154:                            ;   in Loop: Header=BB126_18 Depth=1
	s_and_b32 vcc_lo, exec_lo, s25
	s_cbranch_vccz .LBB126_168
; %bb.155:                              ;   in Loop: Header=BB126_18 Depth=1
	s_mov_b32 s74, s73
	s_cmp_lg_u64 s[74:75], 0
	s_cbranch_scc0 .LBB126_196
; %bb.156:                              ;   in Loop: Header=BB126_18 Depth=1
	v_cvt_f32_u32_e32 v6, s33
	s_sub_u32 s20, 0, s33
	s_subb_u32 s21, 0, 0
	v_fmac_f32_e64 v6, 0x4f800000, 0
	v_rcp_f32_e32 v6, v6
	v_mul_f32_e32 v6, 0x5f7ffffc, v6
	v_mul_f32_e32 v7, 0x2f800000, v6
	v_trunc_f32_e32 v7, v7
	v_fmac_f32_e32 v6, 0xcf800000, v7
	v_cvt_u32_f32_e32 v7, v7
	v_cvt_u32_f32_e32 v6, v6
	v_readfirstlane_b32 s2, v7
	v_readfirstlane_b32 s7, v6
	s_mul_i32 s22, s20, s2
	s_mul_hi_u32 s25, s20, s7
	s_mul_i32 s23, s21, s7
	s_add_i32 s22, s25, s22
	s_mul_i32 s56, s20, s7
	s_add_i32 s22, s22, s23
	s_mul_hi_u32 s25, s7, s56
	s_mul_i32 s72, s7, s22
	s_mul_hi_u32 s62, s2, s56
	s_mul_i32 s23, s2, s56
	s_mul_hi_u32 s56, s7, s22
	s_add_u32 s25, s25, s72
	s_addc_u32 s56, 0, s56
	s_mul_hi_u32 s74, s2, s22
	s_add_u32 s23, s25, s23
	s_mul_i32 s22, s2, s22
	s_addc_u32 s23, s56, s62
	s_addc_u32 s25, s74, 0
	s_add_u32 s22, s23, s22
	s_addc_u32 s23, 0, s25
	s_add_u32 s7, s7, s22
	s_cselect_b32 s22, -1, 0
	s_mul_hi_u32 s25, s20, s7
	s_cmp_lg_u32 s22, 0
	s_mul_i32 s22, s20, s7
	s_addc_u32 s2, s2, s23
	s_mul_i32 s21, s21, s7
	s_mul_i32 s20, s20, s2
	s_mul_hi_u32 s23, s7, s22
	s_add_i32 s20, s25, s20
	s_mul_hi_u32 s25, s2, s22
	s_add_i32 s20, s20, s21
	s_mul_i32 s21, s2, s22
	s_mul_i32 s62, s7, s20
	s_mul_hi_u32 s56, s7, s20
	s_add_u32 s23, s23, s62
	s_addc_u32 s56, 0, s56
	s_mul_hi_u32 s22, s2, s20
	s_add_u32 s21, s23, s21
	s_mul_i32 s20, s2, s20
	s_addc_u32 s21, s56, s25
	s_addc_u32 s22, s22, 0
	s_add_u32 s20, s21, s20
	s_addc_u32 s21, 0, s22
	s_add_u32 s7, s7, s20
	s_cselect_b32 s20, -1, 0
	s_mul_hi_u32 s22, s96, s7
	s_cmp_lg_u32 s20, 0
	s_mul_hi_u32 s20, s75, s7
	s_addc_u32 s2, s2, s21
	s_mul_i32 s7, s75, s7
	s_mul_i32 s23, s96, s2
	s_mul_hi_u32 s21, s96, s2
	s_add_u32 s22, s22, s23
	s_addc_u32 s21, 0, s21
	s_mul_hi_u32 s25, s75, s2
	s_add_u32 s7, s22, s7
	s_mul_i32 s2, s75, s2
	s_addc_u32 s7, s21, s20
	s_addc_u32 s20, s25, 0
	s_add_u32 s2, s7, s2
	s_addc_u32 s7, 0, s20
	s_mul_hi_u32 s20, s33, s2
	s_mul_i32 s7, s33, s7
	s_mul_i32 s2, s33, s2
	s_add_i32 s20, s20, s7
	s_sub_u32 s2, s96, s2
	s_cselect_b32 s7, -1, 0
	s_cmp_lg_u32 s7, 0
	s_subb_u32 s7, s75, s20
	s_sub_u32 s20, s2, s33
	s_cselect_b32 s21, -1, 0
	s_cmp_lg_u32 s21, 0
	s_subb_u32 s21, s7, 0
	;; [unrolled: 4-line block ×3, first 2 shown]
	s_cmp_ge_u32 s20, s33
	s_cselect_b32 s25, -1, 0
	s_cmp_eq_u32 s21, 0
	s_cselect_b32 s25, s25, -1
	s_cmp_lg_u32 s25, 0
	s_cselect_b32 s21, s23, s21
	s_cselect_b32 s20, s22, s20
	s_cmp_ge_u32 s2, s33
	s_cselect_b32 s22, -1, 0
	s_cmp_eq_u32 s7, 0
	s_cselect_b32 s22, s22, -1
	s_cmp_lg_u32 s22, 0
	s_cselect_b32 s21, s21, s7
	s_cselect_b32 s20, s20, s2
	s_cbranch_execnz .LBB126_158
.LBB126_157:                            ;   in Loop: Header=BB126_18 Depth=1
	v_cvt_f32_u32_e32 v6, s33
	s_sub_i32 s7, 0, s33
	v_rcp_iflag_f32_e32 v6, v6
	v_mul_f32_e32 v6, 0x4f7ffffe, v6
	v_cvt_u32_f32_e32 v6, v6
	v_readfirstlane_b32 s2, v6
	s_mul_i32 s7, s7, s2
	s_mul_hi_u32 s7, s2, s7
	s_add_i32 s2, s2, s7
	s_mul_hi_u32 s2, s96, s2
	s_mul_i32 s2, s2, s33
	s_sub_i32 s2, s96, s2
	s_sub_i32 s7, s2, s33
	s_cmp_ge_u32 s2, s33
	s_cselect_b32 s2, s7, s2
	s_sub_i32 s7, s2, s33
	s_cmp_ge_u32 s2, s33
	s_cselect_b32 s72, s7, s2
	s_mov_b64 s[20:21], s[72:73]
.LBB126_158:                            ;   in Loop: Header=BB126_18 Depth=1
	s_sub_u32 s20, s96, s20
	s_subb_u32 s21, s75, s21
	s_mov_b32 s22, exec_lo
                                        ; implicit-def: $vgpr10
	v_cmpx_gt_u64_e64 s[20:21], v[0:1]
	s_cbranch_execz .LBB126_167
; %bb.159:                              ;   in Loop: Header=BB126_18 Depth=1
	v_mov_b32_e32 v7, v1
	v_mov_b32_e32 v6, v0
	s_mov_b32 s23, 0
                                        ; implicit-def: $sgpr25
	s_branch .LBB126_162
.LBB126_160:                            ;   in Loop: Header=BB126_162 Depth=2
	s_or_b32 exec_lo, exec_lo, s56
	s_waitcnt lgkmcnt(0)
	s_barrier
	buffer_gl0_inv
	ds_read_u16 v10, v3 offset:3072
	s_mov_b32 s7, -1
	s_waitcnt lgkmcnt(0)
	s_barrier
	buffer_gl0_inv
	v_cmp_eq_u32_sdwa s2, v10, v3 src0_sel:BYTE_0 src1_sel:DWORD
	s_and_b32 vcc_lo, exec_lo, s2
	s_mov_b32 s2, -1
	s_cbranch_vccnz .LBB126_165
.LBB126_161:                            ;   in Loop: Header=BB126_162 Depth=2
	s_and_b32 s7, exec_lo, s7
	s_or_b32 s23, s7, s23
	s_andn2_b32 s7, s25, exec_lo
	s_and_b32 s2, s2, exec_lo
	s_or_b32 s25, s7, s2
	s_andn2_b32 exec_lo, exec_lo, s23
	s_cbranch_execz .LBB126_166
.LBB126_162:                            ;   Parent Loop BB126_18 Depth=1
                                        ; =>  This Inner Loop Header: Depth=2
	s_mov_b32 s56, exec_lo
	v_cmpx_gt_u64_e64 s[36:37], v[6:7]
	s_cbranch_execz .LBB126_160
; %bb.163:                              ;   in Loop: Header=BB126_162 Depth=2
	v_mul_lo_u32 v21, v6, s31
	v_mul_lo_u32 v22, v7, s30
	v_mad_u64_u32 v[10:11], null, v6, s30, s[28:29]
	v_add3_u32 v11, v22, v11, v21
	global_load_ubyte v10, v[10:11], off
	s_waitcnt vmcnt(0)
	v_and_b32_e32 v11, v10, v9
	v_cmp_eq_u32_sdwa s2, v11, v8 src0_sel:BYTE_0 src1_sel:DWORD
	s_and_b32 exec_lo, exec_lo, s2
	s_cbranch_execz .LBB126_160
; %bb.164:                              ;   in Loop: Header=BB126_162 Depth=2
	v_lshlrev_b16 v10, 8, v10
	v_or_b32_e32 v10, 1, v10
	ds_write_b16 v3, v10 offset:3072
	s_branch .LBB126_160
.LBB126_165:                            ;   in Loop: Header=BB126_162 Depth=2
	v_add_co_u32 v6, vcc_lo, v6, s33
	v_add_co_ci_u32_e64 v7, null, 0, v7, vcc_lo
	s_mov_b32 s2, 0
	v_cmp_le_u64_e32 vcc_lo, s[20:21], v[6:7]
	s_orn2_b32 s7, vcc_lo, exec_lo
	s_branch .LBB126_161
.LBB126_166:                            ;   in Loop: Header=BB126_18 Depth=1
	s_or_b32 exec_lo, exec_lo, s23
	v_lshrrev_b32_sdwa v10, v28, v10 dst_sel:DWORD dst_unused:UNUSED_PAD src0_sel:DWORD src1_sel:WORD_0
	s_andn2_b32 s2, s24, exec_lo
	s_and_b32 s7, s25, exec_lo
	s_or_b32 s24, s2, s7
.LBB126_167:                            ;   in Loop: Header=BB126_18 Depth=1
	s_or_b32 exec_lo, exec_lo, s22
	s_mov_b32 s78, 0
	s_mov_b32 s79, -1
.LBB126_168:                            ;   in Loop: Header=BB126_18 Depth=1
	s_orn2_b32 s20, s24, exec_lo
.LBB126_169:                            ;   in Loop: Header=BB126_18 Depth=1
	s_or_b32 exec_lo, exec_lo, s84
	s_mov_b32 s21, 0
	s_and_saveexec_b32 s84, s20
	s_cbranch_execz .LBB126_278
; %bb.170:                              ;   in Loop: Header=BB126_18 Depth=1
	v_mov_b32_e32 v6, 1
	v_mov_b32_e32 v7, 0
	v_mov_b32_e32 v2, 1
	s_xor_b32 s2, s85, -1
	s_and_saveexec_b32 s20, s2
	s_cbranch_execz .LBB126_179
; %bb.171:                              ;   in Loop: Header=BB126_18 Depth=1
	s_mov_b32 s2, exec_lo
	v_cmpx_ge_u64_e64 s[14:15], v[4:5]
	s_xor_b32 s21, exec_lo, s2
	s_cbranch_execz .LBB126_176
; %bb.172:                              ;   in Loop: Header=BB126_18 Depth=1
	ds_read_b64 v[6:7], v3 offset:5120
	s_lshl_b32 s2, 1, s69
	v_or_b32_e32 v9, s11, v9
	v_and_or_b32 v8, v8, s26, s2
	s_waitcnt lgkmcnt(0)
	v_cmp_ne_u64_e32 vcc_lo, 0, v[6:7]
	s_cbranch_vccnz .LBB126_176
; %bb.173:                              ;   in Loop: Header=BB126_18 Depth=1
	s_and_saveexec_b32 s2, s3
; %bb.174:                              ;   in Loop: Header=BB126_18 Depth=1
	v_mov_b32_e32 v6, s14
	v_mov_b32_e32 v7, s15
	ds_write_b64 v3, v[6:7] offset:5128
; %bb.175:                              ;   in Loop: Header=BB126_18 Depth=1
	s_or_b32 exec_lo, exec_lo, s2
	s_waitcnt lgkmcnt(0)
	s_barrier
	buffer_gl0_inv
.LBB126_176:                            ;   in Loop: Header=BB126_18 Depth=1
	s_or_saveexec_b32 s21, s21
	v_mov_b32_e32 v2, 8
	s_mov_b32 s22, 0
	s_xor_b32 exec_lo, exec_lo, s21
; %bb.177:                              ;   in Loop: Header=BB126_18 Depth=1
	v_sub_co_u32 v4, vcc_lo, v4, s14
	v_subrev_co_ci_u32_e64 v5, null, s15, v5, vcc_lo
	v_mov_b32_e32 v2, 0
	s_mov_b32 s22, exec_lo
; %bb.178:                              ;   in Loop: Header=BB126_18 Depth=1
	s_or_b32 exec_lo, exec_lo, s21
	v_mov_b32_e32 v7, v5
	v_mov_b32_e32 v6, v4
	s_and_b32 s21, s22, exec_lo
.LBB126_179:                            ;   in Loop: Header=BB126_18 Depth=1
	s_or_b32 exec_lo, exec_lo, s20
	s_mov_b32 s20, -1
                                        ; implicit-def: $sgpr86
                                        ; implicit-def: $sgpr87
	s_and_saveexec_b32 s85, s21
	s_cbranch_execz .LBB126_277
; %bb.180:                              ;   in Loop: Header=BB126_18 Depth=1
	v_cmp_eq_u64_e32 vcc_lo, 1, v[6:7]
	s_cmp_eq_u64 s[16:17], 1
                                        ; implicit-def: $sgpr87
                                        ; implicit-def: $sgpr86
	s_cselect_b32 s2, -1, 0
	s_and_b32 s89, s2, vcc_lo
	s_and_saveexec_b32 s88, s89
	s_cbranch_execz .LBB126_214
; %bb.181:                              ;   in Loop: Header=BB126_18 Depth=1
	ds_read_b64 v[4:5], v3 offset:5120
	s_waitcnt lgkmcnt(0)
	s_barrier
	buffer_gl0_inv
	v_readfirstlane_b32 s20, v4
	v_readfirstlane_b32 s21, v5
	s_and_saveexec_b32 s2, s10
; %bb.182:                              ;   in Loop: Header=BB126_18 Depth=1
	ds_write_b8 v0, v3 offset:3072
; %bb.183:                              ;   in Loop: Header=BB126_18 Depth=1
	s_or_b32 exec_lo, exec_lo, s2
	s_lshl_b32 s2, 2, s69
	v_or_b32_e32 v9, s11, v9
	v_and_or_b32 v8, v8, s26, s2
	s_mov_b32 s86, -1
	s_mov_b32 s87, 0
	s_cmp_eq_u64 s[20:21], 0
	s_mov_b32 s24, 0
	s_mov_b32 s25, -1
	s_waitcnt lgkmcnt(0)
	s_barrier
	buffer_gl0_inv
                                        ; implicit-def: $vgpr10
	s_cbranch_scc1 .LBB126_199
; %bb.184:                              ;   in Loop: Header=BB126_18 Depth=1
	s_add_u32 s56, s20, s94
	s_addc_u32 s23, s21, s95
	s_mov_b32 s22, s73
	s_cmp_lg_u64 s[22:23], 0
	s_cbranch_scc0 .LBB126_231
; %bb.185:                              ;   in Loop: Header=BB126_18 Depth=1
	v_cvt_f32_u32_e32 v4, s33
	s_sub_u32 s22, 0, s33
	s_subb_u32 s24, 0, 0
	v_fmac_f32_e64 v4, 0x4f800000, 0
	v_rcp_f32_e32 v4, v4
	v_mul_f32_e32 v4, 0x5f7ffffc, v4
	v_mul_f32_e32 v5, 0x2f800000, v4
	v_trunc_f32_e32 v5, v5
	v_fmac_f32_e32 v4, 0xcf800000, v5
	v_cvt_u32_f32_e32 v5, v5
	v_cvt_u32_f32_e32 v4, v4
	v_readfirstlane_b32 s2, v5
	v_readfirstlane_b32 s7, v4
	s_mul_i32 s25, s22, s2
	s_mul_hi_u32 s72, s22, s7
	s_mul_i32 s62, s24, s7
	s_add_i32 s25, s72, s25
	s_mul_i32 s74, s22, s7
	s_add_i32 s25, s25, s62
	s_mul_hi_u32 s72, s7, s74
	s_mul_i32 s91, s7, s25
	s_mul_hi_u32 s90, s2, s74
	s_mul_i32 s62, s2, s74
	s_mul_hi_u32 s74, s7, s25
	s_add_u32 s72, s72, s91
	s_addc_u32 s74, 0, s74
	s_mul_hi_u32 vcc_lo, s2, s25
	s_add_u32 s62, s72, s62
	s_mul_i32 s25, s2, s25
	s_addc_u32 s62, s74, s90
	s_addc_u32 s72, vcc_lo, 0
	s_add_u32 s25, s62, s25
	s_addc_u32 s62, 0, s72
	s_add_u32 s7, s7, s25
	s_cselect_b32 s25, -1, 0
	s_mul_hi_u32 s72, s22, s7
	s_cmp_lg_u32 s25, 0
	s_mul_i32 s25, s22, s7
	s_addc_u32 s2, s2, s62
	s_mul_i32 s24, s24, s7
	s_mul_i32 s22, s22, s2
	s_mul_hi_u32 s62, s7, s25
	s_add_i32 s22, s72, s22
	s_mul_hi_u32 s72, s2, s25
	s_add_i32 s22, s22, s24
	s_mul_i32 s24, s2, s25
	s_mul_i32 s90, s7, s22
	s_mul_hi_u32 s74, s7, s22
	s_add_u32 s62, s62, s90
	s_addc_u32 s74, 0, s74
	s_mul_hi_u32 s25, s2, s22
	s_add_u32 s24, s62, s24
	s_mul_i32 s22, s2, s22
	s_addc_u32 s24, s74, s72
	s_addc_u32 s25, s25, 0
	s_add_u32 s22, s24, s22
	s_addc_u32 s24, 0, s25
	s_add_u32 s7, s7, s22
	s_cselect_b32 s22, -1, 0
	s_mul_hi_u32 s25, s56, s7
	s_cmp_lg_u32 s22, 0
	s_mul_hi_u32 s22, s23, s7
	s_addc_u32 s2, s2, s24
	s_mul_i32 s7, s23, s7
	s_mul_i32 s62, s56, s2
	s_mul_hi_u32 s24, s56, s2
	s_add_u32 s25, s25, s62
	s_addc_u32 s24, 0, s24
	s_mul_hi_u32 s72, s23, s2
	s_add_u32 s7, s25, s7
	s_mul_i32 s2, s23, s2
	s_addc_u32 s7, s24, s22
	s_addc_u32 s22, s72, 0
	s_add_u32 s2, s7, s2
	s_addc_u32 s7, 0, s22
	s_mul_hi_u32 s22, s33, s2
	s_mul_i32 s7, s33, s7
	s_mul_i32 s2, s33, s2
	s_add_i32 s22, s22, s7
	s_sub_u32 s2, s56, s2
	s_cselect_b32 s7, -1, 0
	s_cmp_lg_u32 s7, 0
	s_subb_u32 s7, s23, s22
	s_sub_u32 s22, s2, s33
	s_cselect_b32 s24, -1, 0
	s_cmp_lg_u32 s24, 0
	s_subb_u32 s24, s7, 0
	s_sub_u32 s25, s22, s33
	s_cselect_b32 s62, -1, 0
	s_cmp_lg_u32 s62, 0
	s_subb_u32 s62, s24, 0
	s_cmp_ge_u32 s22, s33
	s_cselect_b32 s72, -1, 0
	s_cmp_eq_u32 s24, 0
	s_cselect_b32 s72, s72, -1
	s_cmp_lg_u32 s72, 0
	s_cselect_b32 s24, s62, s24
	s_cselect_b32 s22, s25, s22
	s_cmp_ge_u32 s2, s33
	s_cselect_b32 s25, -1, 0
	s_cmp_eq_u32 s7, 0
	s_cselect_b32 s25, s25, -1
	s_cmp_lg_u32 s25, 0
	s_cselect_b32 s25, s24, s7
	s_cselect_b32 s24, s22, s2
	s_cbranch_execnz .LBB126_187
.LBB126_186:                            ;   in Loop: Header=BB126_18 Depth=1
	v_cvt_f32_u32_e32 v4, s33
	s_sub_i32 s7, 0, s33
	v_rcp_iflag_f32_e32 v4, v4
	v_mul_f32_e32 v4, 0x4f7ffffe, v4
	v_cvt_u32_f32_e32 v4, v4
	v_readfirstlane_b32 s2, v4
	s_mul_i32 s7, s7, s2
	s_mul_hi_u32 s7, s2, s7
	s_add_i32 s2, s2, s7
	s_mul_hi_u32 s2, s56, s2
	s_mul_i32 s2, s2, s33
	s_sub_i32 s2, s56, s2
	s_sub_i32 s7, s2, s33
	s_cmp_ge_u32 s2, s33
	s_cselect_b32 s2, s7, s2
	s_sub_i32 s7, s2, s33
	s_cmp_ge_u32 s2, s33
	s_cselect_b32 s72, s7, s2
	s_mov_b64 s[24:25], s[72:73]
.LBB126_187:                            ;   in Loop: Header=BB126_18 Depth=1
	s_sub_u32 s22, s56, s24
	s_subb_u32 s23, s23, s25
	s_mov_b32 s25, 0
	s_mov_b32 s24, 0
	s_mov_b32 s56, exec_lo
                                        ; implicit-def: $vgpr10
	v_cmpx_gt_u64_e64 s[22:23], v[0:1]
	s_cbranch_execz .LBB126_198
; %bb.188:                              ;   in Loop: Header=BB126_18 Depth=1
	v_mov_b32_e32 v5, v1
	v_mov_b32_e32 v10, v0
	;; [unrolled: 1-line block ×3, first 2 shown]
                                        ; implicit-def: $sgpr62
	s_inst_prefetch 0x1
	s_branch .LBB126_191
	.p2align	6
.LBB126_189:                            ;   in Loop: Header=BB126_191 Depth=2
	s_or_b32 exec_lo, exec_lo, s72
	s_waitcnt lgkmcnt(0)
	s_barrier
	buffer_gl0_inv
	ds_read_u16 v11, v3 offset:3072
	s_mov_b32 s7, -1
	s_mov_b32 s72, -1
	s_waitcnt lgkmcnt(0)
	s_barrier
	buffer_gl0_inv
	v_cmp_ne_u32_sdwa s2, v11, v3 src0_sel:BYTE_0 src1_sel:DWORD
	s_and_b32 vcc_lo, exec_lo, s2
	s_cbranch_vccz .LBB126_194
.LBB126_190:                            ;   in Loop: Header=BB126_191 Depth=2
	s_and_b32 s2, exec_lo, s7
	s_or_b32 s24, s2, s24
	s_andn2_b32 s2, s62, exec_lo
	s_and_b32 s7, s72, exec_lo
	s_or_b32 s62, s2, s7
	s_andn2_b32 exec_lo, exec_lo, s24
	s_cbranch_execz .LBB126_197
.LBB126_191:                            ;   Parent Loop BB126_18 Depth=1
                                        ; =>  This Inner Loop Header: Depth=2
	s_mov_b32 s72, exec_lo
	v_cmpx_gt_u64_e64 s[20:21], v[4:5]
	s_cbranch_execz .LBB126_189
; %bb.192:                              ;   in Loop: Header=BB126_191 Depth=2
	ds_read_u8 v11, v10
	s_waitcnt lgkmcnt(0)
	v_and_b32_e32 v21, v11, v9
	v_cmp_eq_u32_sdwa s2, v21, v8 src0_sel:BYTE_0 src1_sel:DWORD
	s_and_b32 exec_lo, exec_lo, s2
	s_cbranch_execz .LBB126_189
; %bb.193:                              ;   in Loop: Header=BB126_191 Depth=2
	v_lshlrev_b16 v11, 8, v11
	v_or_b32_e32 v11, 1, v11
	ds_write_b16 v3, v11 offset:3072
	s_branch .LBB126_189
.LBB126_194:                            ;   in Loop: Header=BB126_191 Depth=2
	v_add_co_u32 v4, vcc_lo, v4, s33
	v_add_co_ci_u32_e64 v5, null, 0, v5, vcc_lo
	v_add_nc_u32_e32 v10, s33, v10
	s_mov_b32 s72, 0
	v_cmp_le_u64_e32 vcc_lo, s[22:23], v[4:5]
	s_orn2_b32 s7, vcc_lo, exec_lo
	s_branch .LBB126_190
.LBB126_195:                            ;   in Loop: Header=BB126_18 Depth=1
                                        ; implicit-def: $sgpr24_sgpr25
	s_branch .LBB126_141
.LBB126_196:                            ;   in Loop: Header=BB126_18 Depth=1
                                        ; implicit-def: $sgpr20_sgpr21
	s_branch .LBB126_157
.LBB126_197:                            ;   in Loop: Header=BB126_18 Depth=1
	s_inst_prefetch 0x2
	s_or_b32 exec_lo, exec_lo, s24
	v_lshrrev_b32_sdwa v10, v28, v11 dst_sel:DWORD dst_unused:UNUSED_PAD src0_sel:DWORD src1_sel:WORD_0
	s_and_b32 s24, s62, exec_lo
.LBB126_198:                            ;   in Loop: Header=BB126_18 Depth=1
	s_or_b32 exec_lo, exec_lo, s56
.LBB126_199:                            ;   in Loop: Header=BB126_18 Depth=1
	s_and_b32 vcc_lo, exec_lo, s25
	s_cbranch_vccz .LBB126_213
; %bb.200:                              ;   in Loop: Header=BB126_18 Depth=1
	s_mov_b32 s74, s73
	s_cmp_lg_u64 s[74:75], 0
	s_cbranch_scc0 .LBB126_232
; %bb.201:                              ;   in Loop: Header=BB126_18 Depth=1
	v_cvt_f32_u32_e32 v4, s33
	s_sub_u32 s20, 0, s33
	s_subb_u32 s21, 0, 0
	v_fmac_f32_e64 v4, 0x4f800000, 0
	v_rcp_f32_e32 v4, v4
	v_mul_f32_e32 v4, 0x5f7ffffc, v4
	v_mul_f32_e32 v5, 0x2f800000, v4
	v_trunc_f32_e32 v5, v5
	v_fmac_f32_e32 v4, 0xcf800000, v5
	v_cvt_u32_f32_e32 v5, v5
	v_cvt_u32_f32_e32 v4, v4
	v_readfirstlane_b32 s2, v5
	v_readfirstlane_b32 s7, v4
	s_mul_i32 s22, s20, s2
	s_mul_hi_u32 s25, s20, s7
	s_mul_i32 s23, s21, s7
	s_add_i32 s22, s25, s22
	s_mul_i32 s56, s20, s7
	s_add_i32 s22, s22, s23
	s_mul_hi_u32 s25, s7, s56
	s_mul_i32 s72, s7, s22
	s_mul_hi_u32 s62, s2, s56
	s_mul_i32 s23, s2, s56
	s_mul_hi_u32 s56, s7, s22
	s_add_u32 s25, s25, s72
	s_addc_u32 s56, 0, s56
	s_mul_hi_u32 s74, s2, s22
	s_add_u32 s23, s25, s23
	s_mul_i32 s22, s2, s22
	s_addc_u32 s23, s56, s62
	s_addc_u32 s25, s74, 0
	s_add_u32 s22, s23, s22
	s_addc_u32 s23, 0, s25
	s_add_u32 s7, s7, s22
	s_cselect_b32 s22, -1, 0
	s_mul_hi_u32 s25, s20, s7
	s_cmp_lg_u32 s22, 0
	s_mul_i32 s22, s20, s7
	s_addc_u32 s2, s2, s23
	s_mul_i32 s21, s21, s7
	s_mul_i32 s20, s20, s2
	s_mul_hi_u32 s23, s7, s22
	s_add_i32 s20, s25, s20
	s_mul_hi_u32 s25, s2, s22
	s_add_i32 s20, s20, s21
	s_mul_i32 s21, s2, s22
	s_mul_i32 s62, s7, s20
	s_mul_hi_u32 s56, s7, s20
	s_add_u32 s23, s23, s62
	s_addc_u32 s56, 0, s56
	s_mul_hi_u32 s22, s2, s20
	s_add_u32 s21, s23, s21
	s_mul_i32 s20, s2, s20
	s_addc_u32 s21, s56, s25
	s_addc_u32 s22, s22, 0
	s_add_u32 s20, s21, s20
	s_addc_u32 s21, 0, s22
	s_add_u32 s7, s7, s20
	s_cselect_b32 s20, -1, 0
	s_mul_hi_u32 s22, s96, s7
	s_cmp_lg_u32 s20, 0
	s_mul_hi_u32 s20, s75, s7
	s_addc_u32 s2, s2, s21
	s_mul_i32 s7, s75, s7
	s_mul_i32 s23, s96, s2
	s_mul_hi_u32 s21, s96, s2
	s_add_u32 s22, s22, s23
	s_addc_u32 s21, 0, s21
	s_mul_hi_u32 s25, s75, s2
	s_add_u32 s7, s22, s7
	s_mul_i32 s2, s75, s2
	s_addc_u32 s7, s21, s20
	s_addc_u32 s20, s25, 0
	s_add_u32 s2, s7, s2
	s_addc_u32 s7, 0, s20
	s_mul_hi_u32 s20, s33, s2
	s_mul_i32 s7, s33, s7
	s_mul_i32 s2, s33, s2
	s_add_i32 s20, s20, s7
	s_sub_u32 s2, s96, s2
	s_cselect_b32 s7, -1, 0
	s_cmp_lg_u32 s7, 0
	s_subb_u32 s7, s75, s20
	s_sub_u32 s20, s2, s33
	s_cselect_b32 s21, -1, 0
	s_cmp_lg_u32 s21, 0
	s_subb_u32 s21, s7, 0
	;; [unrolled: 4-line block ×3, first 2 shown]
	s_cmp_ge_u32 s20, s33
	s_cselect_b32 s25, -1, 0
	s_cmp_eq_u32 s21, 0
	s_cselect_b32 s25, s25, -1
	s_cmp_lg_u32 s25, 0
	s_cselect_b32 s21, s23, s21
	s_cselect_b32 s20, s22, s20
	s_cmp_ge_u32 s2, s33
	s_cselect_b32 s22, -1, 0
	s_cmp_eq_u32 s7, 0
	s_cselect_b32 s22, s22, -1
	s_cmp_lg_u32 s22, 0
	s_cselect_b32 s21, s21, s7
	s_cselect_b32 s20, s20, s2
	s_cbranch_execnz .LBB126_203
.LBB126_202:                            ;   in Loop: Header=BB126_18 Depth=1
	v_cvt_f32_u32_e32 v4, s33
	s_sub_i32 s7, 0, s33
	v_rcp_iflag_f32_e32 v4, v4
	v_mul_f32_e32 v4, 0x4f7ffffe, v4
	v_cvt_u32_f32_e32 v4, v4
	v_readfirstlane_b32 s2, v4
	s_mul_i32 s7, s7, s2
	s_mul_hi_u32 s7, s2, s7
	s_add_i32 s2, s2, s7
	s_mul_hi_u32 s2, s96, s2
	s_mul_i32 s2, s2, s33
	s_sub_i32 s2, s96, s2
	s_sub_i32 s7, s2, s33
	s_cmp_ge_u32 s2, s33
	s_cselect_b32 s2, s7, s2
	s_sub_i32 s7, s2, s33
	s_cmp_ge_u32 s2, s33
	s_cselect_b32 s72, s7, s2
	s_mov_b64 s[20:21], s[72:73]
.LBB126_203:                            ;   in Loop: Header=BB126_18 Depth=1
	s_sub_u32 s20, s96, s20
	s_subb_u32 s21, s75, s21
	s_mov_b32 s22, exec_lo
                                        ; implicit-def: $vgpr10
	v_cmpx_gt_u64_e64 s[20:21], v[0:1]
	s_cbranch_execz .LBB126_212
; %bb.204:                              ;   in Loop: Header=BB126_18 Depth=1
	v_mov_b32_e32 v5, v1
	v_mov_b32_e32 v4, v0
	s_mov_b32 s23, 0
                                        ; implicit-def: $sgpr25
	s_branch .LBB126_207
.LBB126_205:                            ;   in Loop: Header=BB126_207 Depth=2
	s_or_b32 exec_lo, exec_lo, s56
	s_waitcnt lgkmcnt(0)
	s_barrier
	buffer_gl0_inv
	ds_read_u16 v10, v3 offset:3072
	s_mov_b32 s7, -1
	s_waitcnt lgkmcnt(0)
	s_barrier
	buffer_gl0_inv
	v_cmp_eq_u32_sdwa s2, v10, v3 src0_sel:BYTE_0 src1_sel:DWORD
	s_and_b32 vcc_lo, exec_lo, s2
	s_mov_b32 s2, -1
	s_cbranch_vccnz .LBB126_210
.LBB126_206:                            ;   in Loop: Header=BB126_207 Depth=2
	s_and_b32 s7, exec_lo, s7
	s_or_b32 s23, s7, s23
	s_andn2_b32 s7, s25, exec_lo
	s_and_b32 s2, s2, exec_lo
	s_or_b32 s25, s7, s2
	s_andn2_b32 exec_lo, exec_lo, s23
	s_cbranch_execz .LBB126_211
.LBB126_207:                            ;   Parent Loop BB126_18 Depth=1
                                        ; =>  This Inner Loop Header: Depth=2
	s_mov_b32 s56, exec_lo
	v_cmpx_gt_u64_e64 s[36:37], v[4:5]
	s_cbranch_execz .LBB126_205
; %bb.208:                              ;   in Loop: Header=BB126_207 Depth=2
	v_mul_lo_u32 v21, v4, s31
	v_mul_lo_u32 v22, v5, s30
	v_mad_u64_u32 v[10:11], null, v4, s30, s[28:29]
	v_add3_u32 v11, v22, v11, v21
	global_load_ubyte v10, v[10:11], off
	s_waitcnt vmcnt(0)
	v_and_b32_e32 v11, v10, v9
	v_cmp_eq_u32_sdwa s2, v11, v8 src0_sel:BYTE_0 src1_sel:DWORD
	s_and_b32 exec_lo, exec_lo, s2
	s_cbranch_execz .LBB126_205
; %bb.209:                              ;   in Loop: Header=BB126_207 Depth=2
	v_lshlrev_b16 v10, 8, v10
	v_or_b32_e32 v10, 1, v10
	ds_write_b16 v3, v10 offset:3072
	s_branch .LBB126_205
.LBB126_210:                            ;   in Loop: Header=BB126_207 Depth=2
	v_add_co_u32 v4, vcc_lo, v4, s33
	v_add_co_ci_u32_e64 v5, null, 0, v5, vcc_lo
	s_mov_b32 s2, 0
	v_cmp_le_u64_e32 vcc_lo, s[20:21], v[4:5]
	s_orn2_b32 s7, vcc_lo, exec_lo
	s_branch .LBB126_206
.LBB126_211:                            ;   in Loop: Header=BB126_18 Depth=1
	s_or_b32 exec_lo, exec_lo, s23
	v_lshrrev_b32_sdwa v10, v28, v10 dst_sel:DWORD dst_unused:UNUSED_PAD src0_sel:DWORD src1_sel:WORD_0
	s_andn2_b32 s2, s24, exec_lo
	s_and_b32 s7, s25, exec_lo
	s_or_b32 s24, s2, s7
.LBB126_212:                            ;   in Loop: Header=BB126_18 Depth=1
	s_or_b32 exec_lo, exec_lo, s22
	s_mov_b32 s86, 0
	s_mov_b32 s87, -1
.LBB126_213:                            ;   in Loop: Header=BB126_18 Depth=1
	s_orn2_b32 s20, s24, exec_lo
.LBB126_214:                            ;   in Loop: Header=BB126_18 Depth=1
	s_or_b32 exec_lo, exec_lo, s88
	s_mov_b32 s21, 0
	s_and_saveexec_b32 s88, s20
	s_cbranch_execz .LBB126_276
; %bb.215:                              ;   in Loop: Header=BB126_18 Depth=1
	v_mov_b32_e32 v4, 1
	v_mov_b32_e32 v5, 0
	;; [unrolled: 1-line block ×3, first 2 shown]
	s_xor_b32 s2, s89, -1
	s_and_saveexec_b32 s20, s2
	s_cbranch_execz .LBB126_224
; %bb.216:                              ;   in Loop: Header=BB126_18 Depth=1
	s_mov_b32 s2, exec_lo
	v_cmpx_ge_u64_e64 s[16:17], v[6:7]
	s_xor_b32 s21, exec_lo, s2
	s_cbranch_execz .LBB126_221
; %bb.217:                              ;   in Loop: Header=BB126_18 Depth=1
	ds_read_b64 v[4:5], v3 offset:5120
	s_lshl_b32 s2, 2, s69
	v_or_b32_e32 v9, s11, v9
	v_and_or_b32 v8, v8, s26, s2
	s_waitcnt lgkmcnt(0)
	v_cmp_ne_u64_e32 vcc_lo, 0, v[4:5]
	s_cbranch_vccnz .LBB126_221
; %bb.218:                              ;   in Loop: Header=BB126_18 Depth=1
	s_and_saveexec_b32 s2, s3
; %bb.219:                              ;   in Loop: Header=BB126_18 Depth=1
	v_mov_b32_e32 v4, s16
	v_mov_b32_e32 v5, s17
	ds_write_b64 v3, v[4:5] offset:5128
; %bb.220:                              ;   in Loop: Header=BB126_18 Depth=1
	s_or_b32 exec_lo, exec_lo, s2
	s_waitcnt lgkmcnt(0)
	s_barrier
	buffer_gl0_inv
.LBB126_221:                            ;   in Loop: Header=BB126_18 Depth=1
	s_or_saveexec_b32 s21, s21
	v_mov_b32_e32 v2, 8
	s_mov_b32 s22, 0
	s_xor_b32 exec_lo, exec_lo, s21
; %bb.222:                              ;   in Loop: Header=BB126_18 Depth=1
	v_sub_co_u32 v6, vcc_lo, v6, s16
	v_subrev_co_ci_u32_e64 v7, null, s17, v7, vcc_lo
	v_mov_b32_e32 v2, 0
	s_mov_b32 s22, exec_lo
; %bb.223:                              ;   in Loop: Header=BB126_18 Depth=1
	s_or_b32 exec_lo, exec_lo, s21
	v_mov_b32_e32 v4, v6
	v_mov_b32_e32 v5, v7
	s_and_b32 s21, s22, exec_lo
.LBB126_224:                            ;   in Loop: Header=BB126_18 Depth=1
	s_or_b32 exec_lo, exec_lo, s20
	s_mov_b32 s20, -1
                                        ; implicit-def: $sgpr56
                                        ; implicit-def: $sgpr74
	s_and_saveexec_b32 s89, s21
	s_cbranch_execz .LBB126_275
; %bb.225:                              ;   in Loop: Header=BB126_18 Depth=1
	v_cmp_eq_u64_e32 vcc_lo, 1, v[4:5]
	s_cmp_eq_u64 s[18:19], 1
	s_mov_b32 s21, -1
	s_cselect_b32 s2, -1, 0
                                        ; implicit-def: $sgpr56
                                        ; implicit-def: $sgpr74
	s_and_b32 s90, s2, vcc_lo
	s_and_saveexec_b32 s91, s90
	s_cbranch_execz .LBB126_263
; %bb.226:                              ;   in Loop: Header=BB126_18 Depth=1
	ds_read_b64 v[6:7], v3 offset:5120
	s_waitcnt lgkmcnt(0)
	s_barrier
	buffer_gl0_inv
	v_readfirstlane_b32 s20, v6
	v_readfirstlane_b32 s21, v7
	s_and_saveexec_b32 s2, s10
; %bb.227:                              ;   in Loop: Header=BB126_18 Depth=1
	ds_write_b8 v0, v3 offset:3072
; %bb.228:                              ;   in Loop: Header=BB126_18 Depth=1
	s_or_b32 exec_lo, exec_lo, s2
	v_or_b32_e32 v8, s11, v8
	v_or_b32_e32 v9, s11, v9
	s_mov_b32 s74, -1
	s_mov_b32 s56, 0
	s_cmp_eq_u64 s[20:21], 0
	s_mov_b32 s24, 0
	s_mov_b32 s25, -1
	s_waitcnt lgkmcnt(0)
	s_barrier
	buffer_gl0_inv
                                        ; implicit-def: $vgpr10
	s_cbranch_scc1 .LBB126_246
; %bb.229:                              ;   in Loop: Header=BB126_18 Depth=1
	s_add_u32 s62, s20, s94
	s_addc_u32 s23, s21, s95
	s_mov_b32 s22, s73
	s_cmp_lg_u64 s[22:23], 0
	s_cbranch_scc0 .LBB126_233
; %bb.230:                              ;   in Loop: Header=BB126_18 Depth=1
	v_cvt_f32_u32_e32 v6, s33
	s_sub_u32 s22, 0, s33
	s_subb_u32 s24, 0, 0
	v_fmac_f32_e64 v6, 0x4f800000, 0
	v_rcp_f32_e32 v6, v6
	v_mul_f32_e32 v6, 0x5f7ffffc, v6
	v_mul_f32_e32 v7, 0x2f800000, v6
	v_trunc_f32_e32 v7, v7
	v_fmac_f32_e32 v6, 0xcf800000, v7
	v_cvt_u32_f32_e32 v7, v7
	v_cvt_u32_f32_e32 v6, v6
	v_readfirstlane_b32 s2, v7
	v_readfirstlane_b32 s7, v6
	s_mul_i32 s25, s22, s2
	s_mul_hi_u32 vcc_lo, s22, s7
	s_mul_i32 s72, s24, s7
	s_add_i32 s25, vcc_lo, s25
	s_mul_i32 s40, s22, s7
	s_add_i32 s25, s25, s72
	s_mul_hi_u32 s41, s7, s40
	s_mul_i32 s72, s7, s25
	s_mul_hi_u32 s43, s7, s25
	s_mul_hi_u32 s42, s2, s40
	s_mul_i32 s40, s2, s40
	s_add_u32 s41, s41, s72
	s_addc_u32 s43, 0, s43
	s_mul_hi_u32 vcc_lo, s2, s25
	s_add_u32 s40, s41, s40
	s_mul_i32 s25, s2, s25
	s_addc_u32 s40, s43, s42
	s_addc_u32 s41, vcc_lo, 0
	s_add_u32 s25, s40, s25
	s_addc_u32 s40, 0, s41
	s_add_u32 s7, s7, s25
	s_cselect_b32 s25, -1, 0
	s_mul_hi_u32 s41, s22, s7
	s_cmp_lg_u32 s25, 0
	s_mul_i32 s25, s22, s7
	s_addc_u32 s2, s2, s40
	s_mul_i32 s24, s24, s7
	s_mul_i32 s22, s22, s2
	s_mul_hi_u32 s40, s7, s25
	s_add_i32 s22, s41, s22
	s_mul_hi_u32 s41, s2, s25
	s_add_i32 s22, s22, s24
	s_mul_i32 s24, s2, s25
	s_mul_i32 s43, s7, s22
	s_mul_hi_u32 s42, s7, s22
	s_add_u32 s40, s40, s43
	s_addc_u32 s42, 0, s42
	s_mul_hi_u32 s25, s2, s22
	s_add_u32 s24, s40, s24
	s_mul_i32 s22, s2, s22
	s_addc_u32 s24, s42, s41
	s_addc_u32 s25, s25, 0
	s_add_u32 s22, s24, s22
	s_addc_u32 s24, 0, s25
	s_add_u32 s7, s7, s22
	s_cselect_b32 s22, -1, 0
	s_mul_hi_u32 s25, s62, s7
	s_cmp_lg_u32 s22, 0
	s_mul_hi_u32 s22, s23, s7
	s_addc_u32 s2, s2, s24
	s_mul_i32 s7, s23, s7
	s_mul_i32 s40, s62, s2
	s_mul_hi_u32 s24, s62, s2
	s_add_u32 s25, s25, s40
	s_addc_u32 s24, 0, s24
	s_mul_hi_u32 s41, s23, s2
	s_add_u32 s7, s25, s7
	s_mul_i32 s2, s23, s2
	s_addc_u32 s7, s24, s22
	s_addc_u32 s22, s41, 0
	s_add_u32 s2, s7, s2
	s_addc_u32 s7, 0, s22
	s_mul_hi_u32 s22, s33, s2
	s_mul_i32 s7, s33, s7
	s_mul_i32 s2, s33, s2
	s_add_i32 s22, s22, s7
	s_sub_u32 s2, s62, s2
	s_cselect_b32 s7, -1, 0
	s_cmp_lg_u32 s7, 0
	s_subb_u32 s7, s23, s22
	s_sub_u32 s22, s2, s33
	s_cselect_b32 s24, -1, 0
	s_cmp_lg_u32 s24, 0
	s_subb_u32 s24, s7, 0
	;; [unrolled: 4-line block ×3, first 2 shown]
	s_cmp_ge_u32 s22, s33
	s_cselect_b32 s41, -1, 0
	s_cmp_eq_u32 s24, 0
	s_cselect_b32 s41, s41, -1
	s_cmp_lg_u32 s41, 0
	s_cselect_b32 s24, s40, s24
	s_cselect_b32 s22, s25, s22
	s_cmp_ge_u32 s2, s33
	s_cselect_b32 s25, -1, 0
	s_cmp_eq_u32 s7, 0
	s_cselect_b32 s25, s25, -1
	s_cmp_lg_u32 s25, 0
	s_cselect_b32 s25, s24, s7
	s_cselect_b32 s24, s22, s2
	s_mov_b32 s2, 0
	s_branch .LBB126_234
.LBB126_231:                            ;   in Loop: Header=BB126_18 Depth=1
                                        ; implicit-def: $sgpr24_sgpr25
	s_branch .LBB126_186
.LBB126_232:                            ;   in Loop: Header=BB126_18 Depth=1
                                        ; implicit-def: $sgpr20_sgpr21
	s_branch .LBB126_202
.LBB126_233:                            ;   in Loop: Header=BB126_18 Depth=1
	s_mov_b32 s2, -1
                                        ; implicit-def: $sgpr24_sgpr25
.LBB126_234:                            ;   in Loop: Header=BB126_18 Depth=1
	s_andn2_b32 vcc_lo, exec_lo, s2
	s_cbranch_vccnz .LBB126_236
; %bb.235:                              ;   in Loop: Header=BB126_18 Depth=1
	v_cvt_f32_u32_e32 v6, s33
	s_sub_i32 s7, 0, s33
	v_rcp_iflag_f32_e32 v6, v6
	v_mul_f32_e32 v6, 0x4f7ffffe, v6
	v_cvt_u32_f32_e32 v6, v6
	v_readfirstlane_b32 s2, v6
	s_mul_i32 s7, s7, s2
	s_mul_hi_u32 s7, s2, s7
	s_add_i32 s2, s2, s7
	s_mul_hi_u32 s2, s62, s2
	s_mul_i32 s2, s2, s33
	s_sub_i32 s2, s62, s2
	s_sub_i32 s7, s2, s33
	s_cmp_ge_u32 s2, s33
	s_cselect_b32 s2, s7, s2
	s_sub_i32 s7, s2, s33
	s_cmp_ge_u32 s2, s33
	s_cselect_b32 s72, s7, s2
	s_mov_b64 s[24:25], s[72:73]
.LBB126_236:                            ;   in Loop: Header=BB126_18 Depth=1
	s_sub_u32 s22, s62, s24
	s_subb_u32 s23, s23, s25
	s_mov_b32 s25, 0
	s_mov_b32 s24, 0
	s_mov_b32 s62, exec_lo
                                        ; implicit-def: $vgpr10
	v_cmpx_gt_u64_e64 s[22:23], v[0:1]
	s_cbranch_execz .LBB126_245
; %bb.237:                              ;   in Loop: Header=BB126_18 Depth=1
	v_mov_b32_e32 v7, v1
	v_mov_b32_e32 v10, v0
	;; [unrolled: 1-line block ×3, first 2 shown]
                                        ; implicit-def: $sgpr72
	s_inst_prefetch 0x1
	s_branch .LBB126_240
	.p2align	6
.LBB126_238:                            ;   in Loop: Header=BB126_240 Depth=2
	s_or_b32 exec_lo, exec_lo, s7
	s_waitcnt lgkmcnt(0)
	s_barrier
	buffer_gl0_inv
	ds_read_u16 v11, v3 offset:3072
	s_mov_b32 s7, -1
	s_waitcnt lgkmcnt(0)
	s_barrier
	buffer_gl0_inv
	v_cmp_ne_u32_sdwa s2, v11, v3 src0_sel:BYTE_0 src1_sel:DWORD
	s_and_b32 vcc_lo, exec_lo, s2
	s_mov_b32 s2, -1
	s_cbranch_vccz .LBB126_243
.LBB126_239:                            ;   in Loop: Header=BB126_240 Depth=2
	s_and_b32 s7, exec_lo, s7
	s_or_b32 s24, s7, s24
	s_andn2_b32 s7, s72, exec_lo
	s_and_b32 s2, s2, exec_lo
	s_or_b32 s72, s7, s2
	s_andn2_b32 exec_lo, exec_lo, s24
	s_cbranch_execz .LBB126_244
.LBB126_240:                            ;   Parent Loop BB126_18 Depth=1
                                        ; =>  This Inner Loop Header: Depth=2
	s_mov_b32 s7, exec_lo
	v_cmpx_gt_u64_e64 s[20:21], v[6:7]
	s_cbranch_execz .LBB126_238
; %bb.241:                              ;   in Loop: Header=BB126_240 Depth=2
	ds_read_u8 v11, v10
	s_waitcnt lgkmcnt(0)
	v_and_b32_e32 v21, v11, v9
	v_cmp_eq_u32_sdwa s2, v21, v8 src0_sel:BYTE_0 src1_sel:DWORD
	s_and_b32 exec_lo, exec_lo, s2
	s_cbranch_execz .LBB126_238
; %bb.242:                              ;   in Loop: Header=BB126_240 Depth=2
	v_lshlrev_b16 v11, 8, v11
	v_or_b32_e32 v11, 1, v11
	ds_write_b16 v3, v11 offset:3072
	s_branch .LBB126_238
.LBB126_243:                            ;   in Loop: Header=BB126_240 Depth=2
	v_add_co_u32 v6, vcc_lo, v6, s33
	v_add_co_ci_u32_e64 v7, null, 0, v7, vcc_lo
	v_add_nc_u32_e32 v10, s33, v10
	s_mov_b32 s2, 0
	v_cmp_le_u64_e32 vcc_lo, s[22:23], v[6:7]
	s_orn2_b32 s7, vcc_lo, exec_lo
	s_branch .LBB126_239
.LBB126_244:                            ;   in Loop: Header=BB126_18 Depth=1
	s_inst_prefetch 0x2
	s_or_b32 exec_lo, exec_lo, s24
	v_lshrrev_b32_sdwa v10, v28, v11 dst_sel:DWORD dst_unused:UNUSED_PAD src0_sel:DWORD src1_sel:WORD_0
	s_and_b32 s24, s72, exec_lo
.LBB126_245:                            ;   in Loop: Header=BB126_18 Depth=1
	s_or_b32 exec_lo, exec_lo, s62
.LBB126_246:                            ;   in Loop: Header=BB126_18 Depth=1
	s_and_b32 vcc_lo, exec_lo, s25
	s_cbranch_vccz .LBB126_262
; %bb.247:                              ;   in Loop: Header=BB126_18 Depth=1
	s_mov_b32 s74, s73
	s_cmp_lg_u64 s[74:75], 0
	s_cbranch_scc0 .LBB126_249
; %bb.248:                              ;   in Loop: Header=BB126_18 Depth=1
	v_cvt_f32_u32_e32 v6, s33
	s_sub_u32 s20, 0, s33
	s_subb_u32 s21, 0, 0
	v_fmac_f32_e64 v6, 0x4f800000, 0
	v_rcp_f32_e32 v6, v6
	v_mul_f32_e32 v6, 0x5f7ffffc, v6
	v_mul_f32_e32 v7, 0x2f800000, v6
	v_trunc_f32_e32 v7, v7
	v_fmac_f32_e32 v6, 0xcf800000, v7
	v_cvt_u32_f32_e32 v7, v7
	v_cvt_u32_f32_e32 v6, v6
	v_readfirstlane_b32 s2, v7
	v_readfirstlane_b32 s7, v6
	s_mul_i32 s22, s20, s2
	s_mul_hi_u32 s25, s20, s7
	s_mul_i32 s23, s21, s7
	s_add_i32 s22, s25, s22
	s_mul_i32 s40, s20, s7
	s_add_i32 s22, s22, s23
	s_mul_hi_u32 s25, s7, s40
	s_mul_i32 s42, s7, s22
	s_mul_hi_u32 s41, s2, s40
	s_mul_i32 s23, s2, s40
	s_mul_hi_u32 s40, s7, s22
	s_add_u32 s25, s25, s42
	s_addc_u32 s40, 0, s40
	s_mul_hi_u32 s43, s2, s22
	s_add_u32 s23, s25, s23
	s_mul_i32 s22, s2, s22
	s_addc_u32 s23, s40, s41
	s_addc_u32 s25, s43, 0
	s_add_u32 s22, s23, s22
	s_addc_u32 s23, 0, s25
	s_add_u32 s7, s7, s22
	s_cselect_b32 s22, -1, 0
	s_mul_hi_u32 s25, s20, s7
	s_cmp_lg_u32 s22, 0
	s_mul_i32 s22, s20, s7
	s_addc_u32 s2, s2, s23
	s_mul_i32 s21, s21, s7
	s_mul_i32 s20, s20, s2
	s_mul_hi_u32 s23, s7, s22
	s_add_i32 s20, s25, s20
	s_mul_hi_u32 s25, s2, s22
	s_add_i32 s20, s20, s21
	s_mul_i32 s21, s2, s22
	s_mul_i32 s41, s7, s20
	s_mul_hi_u32 s40, s7, s20
	s_add_u32 s23, s23, s41
	s_addc_u32 s40, 0, s40
	s_mul_hi_u32 s22, s2, s20
	s_add_u32 s21, s23, s21
	s_mul_i32 s20, s2, s20
	s_addc_u32 s21, s40, s25
	s_addc_u32 s22, s22, 0
	s_add_u32 s20, s21, s20
	s_addc_u32 s21, 0, s22
	s_add_u32 s7, s7, s20
	s_cselect_b32 s20, -1, 0
	s_mul_hi_u32 s22, s96, s7
	s_cmp_lg_u32 s20, 0
	s_mul_hi_u32 s20, s75, s7
	s_addc_u32 s2, s2, s21
	s_mul_i32 s7, s75, s7
	s_mul_i32 s23, s96, s2
	s_mul_hi_u32 s21, s96, s2
	s_add_u32 s22, s22, s23
	s_addc_u32 s21, 0, s21
	s_mul_hi_u32 s25, s75, s2
	s_add_u32 s7, s22, s7
	s_mul_i32 s2, s75, s2
	s_addc_u32 s7, s21, s20
	s_addc_u32 s20, s25, 0
	s_add_u32 s2, s7, s2
	s_addc_u32 s7, 0, s20
	s_mul_hi_u32 s20, s33, s2
	s_mul_i32 s7, s33, s7
	s_mul_i32 s2, s33, s2
	s_add_i32 s20, s20, s7
	s_sub_u32 s2, s96, s2
	s_cselect_b32 s7, -1, 0
	s_cmp_lg_u32 s7, 0
	s_subb_u32 s7, s75, s20
	s_sub_u32 s20, s2, s33
	s_cselect_b32 s21, -1, 0
	s_cmp_lg_u32 s21, 0
	s_subb_u32 s21, s7, 0
	;; [unrolled: 4-line block ×3, first 2 shown]
	s_cmp_ge_u32 s20, s33
	s_cselect_b32 s25, -1, 0
	s_cmp_eq_u32 s21, 0
	s_cselect_b32 s25, s25, -1
	s_cmp_lg_u32 s25, 0
	s_cselect_b32 s21, s23, s21
	s_cselect_b32 s20, s22, s20
	s_cmp_ge_u32 s2, s33
	s_cselect_b32 s22, -1, 0
	s_cmp_eq_u32 s7, 0
	s_cselect_b32 s22, s22, -1
	s_cmp_lg_u32 s22, 0
	s_cselect_b32 s21, s21, s7
	s_cselect_b32 s20, s20, s2
	s_mov_b32 s2, 0
	s_branch .LBB126_250
.LBB126_249:                            ;   in Loop: Header=BB126_18 Depth=1
	s_mov_b32 s2, -1
                                        ; implicit-def: $sgpr20_sgpr21
.LBB126_250:                            ;   in Loop: Header=BB126_18 Depth=1
	s_andn2_b32 vcc_lo, exec_lo, s2
	s_cbranch_vccnz .LBB126_252
; %bb.251:                              ;   in Loop: Header=BB126_18 Depth=1
	v_cvt_f32_u32_e32 v6, s33
	s_sub_i32 s7, 0, s33
	v_rcp_iflag_f32_e32 v6, v6
	v_mul_f32_e32 v6, 0x4f7ffffe, v6
	v_cvt_u32_f32_e32 v6, v6
	v_readfirstlane_b32 s2, v6
	s_mul_i32 s7, s7, s2
	s_mul_hi_u32 s7, s2, s7
	s_add_i32 s2, s2, s7
	s_mul_hi_u32 s2, s96, s2
	s_mul_i32 s2, s2, s33
	s_sub_i32 s2, s96, s2
	s_sub_i32 s7, s2, s33
	s_cmp_ge_u32 s2, s33
	s_cselect_b32 s2, s7, s2
	s_sub_i32 s7, s2, s33
	s_cmp_ge_u32 s2, s33
	s_cselect_b32 s72, s7, s2
	s_mov_b64 s[20:21], s[72:73]
.LBB126_252:                            ;   in Loop: Header=BB126_18 Depth=1
	s_sub_u32 s20, s96, s20
	s_subb_u32 s21, s75, s21
	s_mov_b32 s22, exec_lo
                                        ; implicit-def: $vgpr10
	v_cmpx_gt_u64_e64 s[20:21], v[0:1]
	s_cbranch_execz .LBB126_261
; %bb.253:                              ;   in Loop: Header=BB126_18 Depth=1
	v_mov_b32_e32 v7, v1
	v_mov_b32_e32 v6, v0
	s_mov_b32 s23, 0
                                        ; implicit-def: $sgpr25
	s_branch .LBB126_256
.LBB126_254:                            ;   in Loop: Header=BB126_256 Depth=2
	s_or_b32 exec_lo, exec_lo, s56
	s_waitcnt lgkmcnt(0)
	s_barrier
	buffer_gl0_inv
	ds_read_u16 v10, v3 offset:3072
	s_mov_b32 s7, -1
	s_waitcnt lgkmcnt(0)
	s_barrier
	buffer_gl0_inv
	v_cmp_eq_u32_sdwa s2, v10, v3 src0_sel:BYTE_0 src1_sel:DWORD
	s_and_b32 vcc_lo, exec_lo, s2
	s_mov_b32 s2, -1
	s_cbranch_vccnz .LBB126_259
.LBB126_255:                            ;   in Loop: Header=BB126_256 Depth=2
	s_and_b32 s7, exec_lo, s7
	s_or_b32 s23, s7, s23
	s_andn2_b32 s7, s25, exec_lo
	s_and_b32 s2, s2, exec_lo
	s_or_b32 s25, s7, s2
	s_andn2_b32 exec_lo, exec_lo, s23
	s_cbranch_execz .LBB126_260
.LBB126_256:                            ;   Parent Loop BB126_18 Depth=1
                                        ; =>  This Inner Loop Header: Depth=2
	s_mov_b32 s56, exec_lo
	v_cmpx_gt_u64_e64 s[36:37], v[6:7]
	s_cbranch_execz .LBB126_254
; %bb.257:                              ;   in Loop: Header=BB126_256 Depth=2
	v_mul_lo_u32 v21, v6, s31
	v_mul_lo_u32 v22, v7, s30
	v_mad_u64_u32 v[10:11], null, v6, s30, s[28:29]
	v_add3_u32 v11, v22, v11, v21
	global_load_ubyte v10, v[10:11], off
	s_waitcnt vmcnt(0)
	v_and_b32_e32 v11, v10, v9
	v_cmp_eq_u32_sdwa s2, v11, v8 src0_sel:BYTE_0 src1_sel:DWORD
	s_and_b32 exec_lo, exec_lo, s2
	s_cbranch_execz .LBB126_254
; %bb.258:                              ;   in Loop: Header=BB126_256 Depth=2
	v_lshlrev_b16 v10, 8, v10
	v_or_b32_e32 v10, 1, v10
	ds_write_b16 v3, v10 offset:3072
	s_branch .LBB126_254
.LBB126_259:                            ;   in Loop: Header=BB126_256 Depth=2
	v_add_co_u32 v6, vcc_lo, v6, s33
	v_add_co_ci_u32_e64 v7, null, 0, v7, vcc_lo
	s_mov_b32 s2, 0
	v_cmp_le_u64_e32 vcc_lo, s[20:21], v[6:7]
	s_orn2_b32 s7, vcc_lo, exec_lo
	s_branch .LBB126_255
.LBB126_260:                            ;   in Loop: Header=BB126_18 Depth=1
	s_or_b32 exec_lo, exec_lo, s23
	v_lshrrev_b32_sdwa v10, v28, v10 dst_sel:DWORD dst_unused:UNUSED_PAD src0_sel:DWORD src1_sel:WORD_0
	s_andn2_b32 s2, s24, exec_lo
	s_and_b32 s7, s25, exec_lo
	s_or_b32 s24, s2, s7
.LBB126_261:                            ;   in Loop: Header=BB126_18 Depth=1
	s_or_b32 exec_lo, exec_lo, s22
	s_mov_b32 s74, 0
	s_mov_b32 s56, -1
.LBB126_262:                            ;   in Loop: Header=BB126_18 Depth=1
	s_orn2_b32 s21, s24, exec_lo
.LBB126_263:                            ;   in Loop: Header=BB126_18 Depth=1
	s_or_b32 exec_lo, exec_lo, s91
	s_mov_b32 s22, 0
	s_and_saveexec_b32 s20, s21
	s_cbranch_execz .LBB126_274
; %bb.264:                              ;   in Loop: Header=BB126_18 Depth=1
	v_mov_b32_e32 v6, 1
	v_mov_b32_e32 v7, 0
	;; [unrolled: 1-line block ×3, first 2 shown]
	s_xor_b32 s2, s90, -1
	s_and_saveexec_b32 s21, s2
	s_cbranch_execz .LBB126_273
; %bb.265:                              ;   in Loop: Header=BB126_18 Depth=1
	s_mov_b32 s2, exec_lo
	v_cmpx_ge_u64_e64 s[18:19], v[4:5]
	s_xor_b32 s22, exec_lo, s2
	s_cbranch_execz .LBB126_270
; %bb.266:                              ;   in Loop: Header=BB126_18 Depth=1
	ds_read_b64 v[6:7], v3 offset:5120
	v_or_b32_e32 v8, s11, v8
	v_or_b32_e32 v9, s11, v9
	s_waitcnt lgkmcnt(0)
	v_cmp_ne_u64_e32 vcc_lo, 0, v[6:7]
	s_cbranch_vccnz .LBB126_270
; %bb.267:                              ;   in Loop: Header=BB126_18 Depth=1
	s_and_saveexec_b32 s2, s3
; %bb.268:                              ;   in Loop: Header=BB126_18 Depth=1
	v_mov_b32_e32 v6, s18
	v_mov_b32_e32 v7, s19
	ds_write_b64 v3, v[6:7] offset:5128
; %bb.269:                              ;   in Loop: Header=BB126_18 Depth=1
	s_or_b32 exec_lo, exec_lo, s2
	s_waitcnt lgkmcnt(0)
	s_barrier
	buffer_gl0_inv
.LBB126_270:                            ;   in Loop: Header=BB126_18 Depth=1
	s_andn2_saveexec_b32 s22, s22
; %bb.271:                              ;   in Loop: Header=BB126_18 Depth=1
	v_sub_co_u32 v4, vcc_lo, v4, s18
	v_subrev_co_ci_u32_e64 v5, null, s19, v5, vcc_lo
; %bb.272:                              ;   in Loop: Header=BB126_18 Depth=1
	s_or_b32 exec_lo, exec_lo, s22
	v_mov_b32_e32 v7, v5
	v_mov_b32_e32 v2, 8
	;; [unrolled: 1-line block ×3, first 2 shown]
.LBB126_273:                            ;   in Loop: Header=BB126_18 Depth=1
	s_or_b32 exec_lo, exec_lo, s21
	v_mov_b32_e32 v4, v6
	v_mov_b32_e32 v5, v7
	s_mov_b32 s22, exec_lo
.LBB126_274:                            ;   in Loop: Header=BB126_18 Depth=1
	s_or_b32 exec_lo, exec_lo, s20
	s_orn2_b32 s20, s22, exec_lo
.LBB126_275:                            ;   in Loop: Header=BB126_18 Depth=1
	s_or_b32 exec_lo, exec_lo, s89
	v_mov_b32_e32 v7, v5
	v_mov_b32_e32 v6, v4
	s_andn2_b32 s2, s87, exec_lo
	s_and_b32 s7, s56, exec_lo
	s_andn2_b32 s21, s86, exec_lo
	s_and_b32 s22, s74, exec_lo
	s_or_b32 s87, s2, s7
	s_or_b32 s86, s21, s22
	s_and_b32 s21, s20, exec_lo
.LBB126_276:                            ;   in Loop: Header=BB126_18 Depth=1
	s_or_b32 exec_lo, exec_lo, s88
	s_orn2_b32 s20, s21, exec_lo
.LBB126_277:                            ;   in Loop: Header=BB126_18 Depth=1
	s_or_b32 exec_lo, exec_lo, s85
	v_mov_b32_e32 v4, v6
	v_mov_b32_e32 v5, v7
	s_andn2_b32 s2, s79, exec_lo
	s_and_b32 s7, s87, exec_lo
	s_andn2_b32 s21, s78, exec_lo
	s_and_b32 s22, s86, exec_lo
	s_or_b32 s79, s2, s7
	s_or_b32 s78, s21, s22
	s_and_b32 s21, s20, exec_lo
.LBB126_278:                            ;   in Loop: Header=BB126_18 Depth=1
	s_or_b32 exec_lo, exec_lo, s84
	s_orn2_b32 s20, s21, exec_lo
.LBB126_279:                            ;   in Loop: Header=BB126_18 Depth=1
	s_or_b32 exec_lo, exec_lo, s6
	s_mov_b32 s6, 0
	s_mov_b32 s21, 0
	s_and_saveexec_b32 s2, s20
	s_xor_b32 s2, exec_lo, s2
; %bb.280:                              ;   in Loop: Header=BB126_18 Depth=1
	v_cmp_ne_u32_e32 vcc_lo, 8, v2
	v_cmp_eq_u32_e64 s6, 8, v2
	s_and_b32 s21, vcc_lo, exec_lo
	s_and_b32 s6, s6, exec_lo
; %bb.281:                              ;   in Loop: Header=BB126_18 Depth=1
	s_or_b32 exec_lo, exec_lo, s2
	s_andn2_b32 s2, s81, exec_lo
	s_and_b32 s7, s79, exec_lo
	s_andn2_b32 s20, s80, exec_lo
	s_and_b32 s22, s78, exec_lo
	s_or_b32 s81, s2, s7
	s_or_b32 s80, s20, s22
	s_and_b32 s78, s21, exec_lo
	s_and_b32 s79, s6, exec_lo
.LBB126_282:                            ;   in Loop: Header=BB126_18 Depth=1
	s_or_b32 exec_lo, exec_lo, s83
.LBB126_283:                            ;   in Loop: Header=BB126_18 Depth=1
	s_and_b32 vcc_lo, exec_lo, s82
	s_cbranch_vccz .LBB126_299
; %bb.284:                              ;   in Loop: Header=BB126_18 Depth=1
	s_cmp_eq_u64 s[18:19], 1
	s_mov_b32 s20, -1
	s_cselect_b32 s2, -1, 0
                                        ; implicit-def: $sgpr27
	s_and_b32 s6, s2, s9
                                        ; implicit-def: $sgpr9
	s_and_saveexec_b32 s80, s6
	s_cbranch_execz .LBB126_317
; %bb.285:                              ;   in Loop: Header=BB126_18 Depth=1
	ds_read_b64 v[4:5], v3 offset:5120
	s_waitcnt lgkmcnt(0)
	s_barrier
	buffer_gl0_inv
	v_readfirstlane_b32 s20, v4
	v_readfirstlane_b32 s21, v5
	s_and_saveexec_b32 s2, s10
; %bb.286:                              ;   in Loop: Header=BB126_18 Depth=1
	ds_write_b8 v0, v3 offset:3072
; %bb.287:                              ;   in Loop: Header=BB126_18 Depth=1
	s_or_b32 exec_lo, exec_lo, s2
	v_or_b32_e32 v26, s11, v26
	v_or_b32_e32 v29, s11, v29
	s_mov_b32 s27, -1
	s_mov_b32 s9, 0
	s_cmp_eq_u64 s[20:21], 0
	s_mov_b32 s24, 0
	s_mov_b32 s25, -1
	s_waitcnt lgkmcnt(0)
	s_barrier
	buffer_gl0_inv
                                        ; implicit-def: $vgpr30
	s_cbranch_scc1 .LBB126_302
; %bb.288:                              ;   in Loop: Header=BB126_18 Depth=1
	s_add_u32 s56, s20, s94
	s_addc_u32 s23, s21, s95
	s_mov_b32 s22, s73
	s_cmp_lg_u64 s[22:23], 0
	s_cbranch_scc0 .LBB126_343
; %bb.289:                              ;   in Loop: Header=BB126_18 Depth=1
	v_cvt_f32_u32_e32 v2, s33
	s_sub_u32 s22, 0, s33
	s_subb_u32 s24, 0, 0
	v_fmac_f32_e64 v2, 0x4f800000, 0
	v_rcp_f32_e32 v2, v2
	v_mul_f32_e32 v2, 0x5f7ffffc, v2
	v_mul_f32_e32 v4, 0x2f800000, v2
	v_trunc_f32_e32 v4, v4
	v_fmac_f32_e32 v2, 0xcf800000, v4
	v_cvt_u32_f32_e32 v4, v4
	v_cvt_u32_f32_e32 v2, v2
	v_readfirstlane_b32 s2, v4
	v_readfirstlane_b32 s7, v2
	s_mul_i32 s25, s22, s2
	s_mul_hi_u32 s72, s22, s7
	s_mul_i32 s62, s24, s7
	s_add_i32 s25, s72, s25
	s_mul_i32 s74, s22, s7
	s_add_i32 s25, s25, s62
	s_mul_hi_u32 s72, s7, s74
	s_mul_i32 s82, s7, s25
	s_mul_hi_u32 s81, s2, s74
	s_mul_i32 s62, s2, s74
	s_mul_hi_u32 s74, s7, s25
	s_add_u32 s72, s72, s82
	s_addc_u32 s74, 0, s74
	s_mul_hi_u32 s83, s2, s25
	s_add_u32 s62, s72, s62
	s_mul_i32 s25, s2, s25
	s_addc_u32 s62, s74, s81
	s_addc_u32 s72, s83, 0
	s_add_u32 s25, s62, s25
	s_addc_u32 s62, 0, s72
	s_add_u32 s7, s7, s25
	s_cselect_b32 s25, -1, 0
	s_mul_hi_u32 s72, s22, s7
	s_cmp_lg_u32 s25, 0
	s_mul_i32 s25, s22, s7
	s_addc_u32 s2, s2, s62
	s_mul_i32 s24, s24, s7
	s_mul_i32 s22, s22, s2
	s_mul_hi_u32 s62, s7, s25
	s_add_i32 s22, s72, s22
	s_mul_hi_u32 s72, s2, s25
	s_add_i32 s22, s22, s24
	s_mul_i32 s24, s2, s25
	s_mul_i32 s81, s7, s22
	s_mul_hi_u32 s74, s7, s22
	s_add_u32 s62, s62, s81
	s_addc_u32 s74, 0, s74
	s_mul_hi_u32 s25, s2, s22
	s_add_u32 s24, s62, s24
	s_mul_i32 s22, s2, s22
	s_addc_u32 s24, s74, s72
	s_addc_u32 s25, s25, 0
	s_add_u32 s22, s24, s22
	s_addc_u32 s24, 0, s25
	s_add_u32 s7, s7, s22
	s_cselect_b32 s22, -1, 0
	s_mul_hi_u32 s25, s56, s7
	s_cmp_lg_u32 s22, 0
	s_mul_hi_u32 s22, s23, s7
	s_addc_u32 s2, s2, s24
	s_mul_i32 s7, s23, s7
	s_mul_i32 s62, s56, s2
	s_mul_hi_u32 s24, s56, s2
	s_add_u32 s25, s25, s62
	s_addc_u32 s24, 0, s24
	s_mul_hi_u32 s72, s23, s2
	s_add_u32 s7, s25, s7
	s_mul_i32 s2, s23, s2
	s_addc_u32 s7, s24, s22
	s_addc_u32 s22, s72, 0
	s_add_u32 s2, s7, s2
	s_addc_u32 s7, 0, s22
	s_mul_hi_u32 s22, s33, s2
	s_mul_i32 s7, s33, s7
	s_mul_i32 s2, s33, s2
	s_add_i32 s22, s22, s7
	s_sub_u32 s2, s56, s2
	s_cselect_b32 s7, -1, 0
	s_cmp_lg_u32 s7, 0
	s_subb_u32 s7, s23, s22
	s_sub_u32 s22, s2, s33
	s_cselect_b32 s24, -1, 0
	s_cmp_lg_u32 s24, 0
	s_subb_u32 s24, s7, 0
	;; [unrolled: 4-line block ×3, first 2 shown]
	s_cmp_ge_u32 s22, s33
	s_cselect_b32 s72, -1, 0
	s_cmp_eq_u32 s24, 0
	s_cselect_b32 s72, s72, -1
	s_cmp_lg_u32 s72, 0
	s_cselect_b32 s24, s62, s24
	s_cselect_b32 s22, s25, s22
	s_cmp_ge_u32 s2, s33
	s_cselect_b32 s25, -1, 0
	s_cmp_eq_u32 s7, 0
	s_cselect_b32 s25, s25, -1
	s_cmp_lg_u32 s25, 0
	s_cselect_b32 s25, s24, s7
	s_cselect_b32 s24, s22, s2
	s_cbranch_execnz .LBB126_291
.LBB126_290:                            ;   in Loop: Header=BB126_18 Depth=1
	v_cvt_f32_u32_e32 v2, s33
	s_sub_i32 s7, 0, s33
	v_rcp_iflag_f32_e32 v2, v2
	v_mul_f32_e32 v2, 0x4f7ffffe, v2
	v_cvt_u32_f32_e32 v2, v2
	v_readfirstlane_b32 s2, v2
	s_mul_i32 s7, s7, s2
	s_mul_hi_u32 s7, s2, s7
	s_add_i32 s2, s2, s7
	s_mul_hi_u32 s2, s56, s2
	s_mul_i32 s2, s2, s33
	s_sub_i32 s2, s56, s2
	s_sub_i32 s7, s2, s33
	s_cmp_ge_u32 s2, s33
	s_cselect_b32 s2, s7, s2
	s_sub_i32 s7, s2, s33
	s_cmp_ge_u32 s2, s33
	s_cselect_b32 s72, s7, s2
	s_mov_b64 s[24:25], s[72:73]
.LBB126_291:                            ;   in Loop: Header=BB126_18 Depth=1
	s_sub_u32 s22, s56, s24
	s_subb_u32 s23, s23, s25
	s_mov_b32 s25, 0
	s_mov_b32 s24, 0
	s_mov_b32 s56, exec_lo
                                        ; implicit-def: $vgpr30
	v_cmpx_gt_u64_e64 s[22:23], v[0:1]
	s_cbranch_execz .LBB126_301
; %bb.292:                              ;   in Loop: Header=BB126_18 Depth=1
	v_mov_b32_e32 v5, v1
	v_mov_b32_e32 v2, v0
	;; [unrolled: 1-line block ×3, first 2 shown]
                                        ; implicit-def: $sgpr62
	s_inst_prefetch 0x1
	s_branch .LBB126_295
	.p2align	6
.LBB126_293:                            ;   in Loop: Header=BB126_295 Depth=2
	s_or_b32 exec_lo, exec_lo, s72
	s_waitcnt lgkmcnt(0)
	s_barrier
	buffer_gl0_inv
	ds_read_u16 v6, v3 offset:3072
	s_mov_b32 s2, -1
	s_waitcnt lgkmcnt(0)
	s_barrier
	buffer_gl0_inv
	v_cmp_ne_u32_sdwa s7, v6, v3 src0_sel:BYTE_0 src1_sel:DWORD
	s_and_b32 vcc_lo, exec_lo, s7
	s_mov_b32 s7, -1
	s_cbranch_vccz .LBB126_298
.LBB126_294:                            ;   in Loop: Header=BB126_295 Depth=2
	s_and_b32 s2, exec_lo, s2
	s_or_b32 s24, s2, s24
	s_andn2_b32 s2, s62, exec_lo
	s_and_b32 s7, s7, exec_lo
	s_or_b32 s62, s2, s7
	s_andn2_b32 exec_lo, exec_lo, s24
	s_cbranch_execz .LBB126_300
.LBB126_295:                            ;   Parent Loop BB126_18 Depth=1
                                        ; =>  This Inner Loop Header: Depth=2
	s_mov_b32 s72, exec_lo
	v_cmpx_gt_u64_e64 s[20:21], v[4:5]
	s_cbranch_execz .LBB126_293
; %bb.296:                              ;   in Loop: Header=BB126_295 Depth=2
	ds_read_u8 v6, v2
	s_waitcnt lgkmcnt(0)
	v_and_b32_e32 v7, v6, v29
	v_cmp_eq_u32_sdwa s2, v7, v26 src0_sel:BYTE_0 src1_sel:DWORD
	s_and_b32 exec_lo, exec_lo, s2
	s_cbranch_execz .LBB126_293
; %bb.297:                              ;   in Loop: Header=BB126_295 Depth=2
	v_lshlrev_b16 v6, 8, v6
	v_or_b32_e32 v6, 1, v6
	ds_write_b16 v3, v6 offset:3072
	s_branch .LBB126_293
.LBB126_298:                            ;   in Loop: Header=BB126_295 Depth=2
	v_add_co_u32 v4, vcc_lo, v4, s33
	v_add_co_ci_u32_e64 v5, null, 0, v5, vcc_lo
	v_add_nc_u32_e32 v2, s33, v2
	s_mov_b32 s7, 0
	v_cmp_le_u64_e32 vcc_lo, s[22:23], v[4:5]
	s_orn2_b32 s2, vcc_lo, exec_lo
	s_branch .LBB126_294
.LBB126_299:                            ;   in Loop: Header=BB126_18 Depth=1
	v_mov_b32_e32 v26, v8
	v_mov_b32_e32 v29, v9
	;; [unrolled: 1-line block ×3, first 2 shown]
	s_mov_b32 s9, 0
	s_and_saveexec_b32 s2, s79
	s_cbranch_execnz .LBB126_476
	s_branch .LBB126_477
.LBB126_300:                            ;   in Loop: Header=BB126_18 Depth=1
	s_inst_prefetch 0x2
	s_or_b32 exec_lo, exec_lo, s24
	v_lshrrev_b32_sdwa v30, v28, v6 dst_sel:DWORD dst_unused:UNUSED_PAD src0_sel:DWORD src1_sel:WORD_0
	s_and_b32 s24, s62, exec_lo
.LBB126_301:                            ;   in Loop: Header=BB126_18 Depth=1
	s_or_b32 exec_lo, exec_lo, s56
.LBB126_302:                            ;   in Loop: Header=BB126_18 Depth=1
	s_and_b32 vcc_lo, exec_lo, s25
	s_cbranch_vccz .LBB126_316
; %bb.303:                              ;   in Loop: Header=BB126_18 Depth=1
	s_mov_b32 s74, s73
	s_cmp_lg_u64 s[74:75], 0
	s_cbranch_scc0 .LBB126_344
; %bb.304:                              ;   in Loop: Header=BB126_18 Depth=1
	v_cvt_f32_u32_e32 v2, s33
	s_sub_u32 s9, 0, s33
	s_subb_u32 s20, 0, 0
	v_fmac_f32_e64 v2, 0x4f800000, 0
	v_rcp_f32_e32 v2, v2
	v_mul_f32_e32 v2, 0x5f7ffffc, v2
	v_mul_f32_e32 v4, 0x2f800000, v2
	v_trunc_f32_e32 v4, v4
	v_fmac_f32_e32 v2, 0xcf800000, v4
	v_cvt_u32_f32_e32 v4, v4
	v_cvt_u32_f32_e32 v2, v2
	v_readfirstlane_b32 s2, v4
	v_readfirstlane_b32 s7, v2
	s_mul_i32 s21, s9, s2
	s_mul_hi_u32 s23, s9, s7
	s_mul_i32 s22, s20, s7
	s_add_i32 s21, s23, s21
	s_mul_i32 s25, s9, s7
	s_add_i32 s21, s21, s22
	s_mul_hi_u32 s23, s7, s25
	s_mul_i32 s56, s7, s21
	s_mul_hi_u32 s27, s2, s25
	s_mul_i32 s22, s2, s25
	s_mul_hi_u32 s25, s7, s21
	s_add_u32 s23, s23, s56
	s_addc_u32 s25, 0, s25
	s_mul_hi_u32 s62, s2, s21
	s_add_u32 s22, s23, s22
	s_mul_i32 s21, s2, s21
	s_addc_u32 s22, s25, s27
	s_addc_u32 s23, s62, 0
	s_add_u32 s21, s22, s21
	s_addc_u32 s22, 0, s23
	s_add_u32 s7, s7, s21
	s_cselect_b32 s21, -1, 0
	s_mul_hi_u32 s23, s9, s7
	s_cmp_lg_u32 s21, 0
	s_mul_i32 s21, s9, s7
	s_addc_u32 s2, s2, s22
	s_mul_i32 s20, s20, s7
	s_mul_i32 s9, s9, s2
	s_mul_hi_u32 s22, s7, s21
	s_add_i32 s9, s23, s9
	s_mul_hi_u32 s23, s2, s21
	s_add_i32 s9, s9, s20
	s_mul_i32 s20, s2, s21
	s_mul_i32 s27, s7, s9
	s_mul_hi_u32 s25, s7, s9
	s_add_u32 s22, s22, s27
	s_addc_u32 s25, 0, s25
	s_mul_hi_u32 s21, s2, s9
	s_add_u32 s20, s22, s20
	s_mul_i32 s9, s2, s9
	s_addc_u32 s20, s25, s23
	s_addc_u32 s21, s21, 0
	s_add_u32 s9, s20, s9
	s_addc_u32 s20, 0, s21
	s_add_u32 s7, s7, s9
	s_cselect_b32 s9, -1, 0
	s_mul_hi_u32 s21, s96, s7
	s_cmp_lg_u32 s9, 0
	s_mul_hi_u32 s9, s75, s7
	s_addc_u32 s2, s2, s20
	s_mul_i32 s7, s75, s7
	s_mul_i32 s22, s96, s2
	s_mul_hi_u32 s20, s96, s2
	s_add_u32 s21, s21, s22
	s_addc_u32 s20, 0, s20
	s_mul_hi_u32 s23, s75, s2
	s_add_u32 s7, s21, s7
	s_mul_i32 s2, s75, s2
	s_addc_u32 s7, s20, s9
	s_addc_u32 s9, s23, 0
	s_add_u32 s2, s7, s2
	s_addc_u32 s7, 0, s9
	s_mul_hi_u32 s9, s33, s2
	s_mul_i32 s7, s33, s7
	s_mul_i32 s2, s33, s2
	s_add_i32 s9, s9, s7
	s_sub_u32 s2, s96, s2
	s_cselect_b32 s7, -1, 0
	s_cmp_lg_u32 s7, 0
	s_subb_u32 s7, s75, s9
	s_sub_u32 s9, s2, s33
	s_cselect_b32 s20, -1, 0
	s_cmp_lg_u32 s20, 0
	s_subb_u32 s20, s7, 0
	;; [unrolled: 4-line block ×3, first 2 shown]
	s_cmp_ge_u32 s9, s33
	s_cselect_b32 s23, -1, 0
	s_cmp_eq_u32 s20, 0
	s_cselect_b32 s23, s23, -1
	s_cmp_lg_u32 s23, 0
	s_cselect_b32 s20, s22, s20
	s_cselect_b32 s9, s21, s9
	s_cmp_ge_u32 s2, s33
	s_cselect_b32 s21, -1, 0
	s_cmp_eq_u32 s7, 0
	s_cselect_b32 s21, s21, -1
	s_cmp_lg_u32 s21, 0
	s_cselect_b32 s21, s20, s7
	s_cselect_b32 s20, s9, s2
	s_cbranch_execnz .LBB126_306
.LBB126_305:                            ;   in Loop: Header=BB126_18 Depth=1
	v_cvt_f32_u32_e32 v2, s33
	s_sub_i32 s7, 0, s33
	v_rcp_iflag_f32_e32 v2, v2
	v_mul_f32_e32 v2, 0x4f7ffffe, v2
	v_cvt_u32_f32_e32 v2, v2
	v_readfirstlane_b32 s2, v2
	s_mul_i32 s7, s7, s2
	s_mul_hi_u32 s7, s2, s7
	s_add_i32 s2, s2, s7
	s_mul_hi_u32 s2, s96, s2
	s_mul_i32 s2, s2, s33
	s_sub_i32 s2, s96, s2
	s_sub_i32 s7, s2, s33
	s_cmp_ge_u32 s2, s33
	s_cselect_b32 s2, s7, s2
	s_sub_i32 s7, s2, s33
	s_cmp_ge_u32 s2, s33
	s_cselect_b32 s72, s7, s2
	s_mov_b64 s[20:21], s[72:73]
.LBB126_306:                            ;   in Loop: Header=BB126_18 Depth=1
	s_sub_u32 s20, s96, s20
	s_subb_u32 s21, s75, s21
	s_mov_b32 s9, exec_lo
                                        ; implicit-def: $vgpr30
	v_cmpx_gt_u64_e64 s[20:21], v[0:1]
	s_cbranch_execz .LBB126_315
; %bb.307:                              ;   in Loop: Header=BB126_18 Depth=1
	v_mov_b32_e32 v5, v1
	v_mov_b32_e32 v4, v0
	s_mov_b32 s22, 0
                                        ; implicit-def: $sgpr23
	s_branch .LBB126_310
.LBB126_308:                            ;   in Loop: Header=BB126_310 Depth=2
	s_or_b32 exec_lo, exec_lo, s25
	s_waitcnt lgkmcnt(0)
	s_barrier
	buffer_gl0_inv
	ds_read_u16 v2, v3 offset:3072
	s_mov_b32 s7, -1
	s_waitcnt lgkmcnt(0)
	s_barrier
	buffer_gl0_inv
	v_cmp_ne_u32_sdwa s2, v2, v3 src0_sel:BYTE_0 src1_sel:DWORD
	s_and_b32 vcc_lo, exec_lo, s2
	s_mov_b32 s2, -1
	s_cbranch_vccz .LBB126_313
.LBB126_309:                            ;   in Loop: Header=BB126_310 Depth=2
	s_and_b32 s7, exec_lo, s7
	s_or_b32 s22, s7, s22
	s_andn2_b32 s7, s23, exec_lo
	s_and_b32 s2, s2, exec_lo
	s_or_b32 s23, s7, s2
	s_andn2_b32 exec_lo, exec_lo, s22
	s_cbranch_execz .LBB126_314
.LBB126_310:                            ;   Parent Loop BB126_18 Depth=1
                                        ; =>  This Inner Loop Header: Depth=2
	s_mov_b32 s25, exec_lo
	v_cmpx_gt_u64_e64 s[36:37], v[4:5]
	s_cbranch_execz .LBB126_308
; %bb.311:                              ;   in Loop: Header=BB126_310 Depth=2
	v_mad_u64_u32 v[6:7], null, v4, s30, s[28:29]
	v_mul_lo_u32 v2, v4, s31
	v_mul_lo_u32 v8, v5, s30
	v_add3_u32 v7, v8, v7, v2
	global_load_ubyte v2, v[6:7], off
	s_waitcnt vmcnt(0)
	v_and_b32_e32 v6, v2, v29
	v_cmp_eq_u32_sdwa s2, v6, v26 src0_sel:BYTE_0 src1_sel:DWORD
	s_and_b32 exec_lo, exec_lo, s2
	s_cbranch_execz .LBB126_308
; %bb.312:                              ;   in Loop: Header=BB126_310 Depth=2
	v_lshlrev_b16 v2, 8, v2
	v_or_b32_e32 v2, 1, v2
	ds_write_b16 v3, v2 offset:3072
	s_branch .LBB126_308
.LBB126_313:                            ;   in Loop: Header=BB126_310 Depth=2
	v_add_co_u32 v4, vcc_lo, v4, s33
	v_add_co_ci_u32_e64 v5, null, 0, v5, vcc_lo
	s_mov_b32 s2, 0
	v_cmp_le_u64_e32 vcc_lo, s[20:21], v[4:5]
	s_orn2_b32 s7, vcc_lo, exec_lo
	s_branch .LBB126_309
.LBB126_314:                            ;   in Loop: Header=BB126_18 Depth=1
	s_or_b32 exec_lo, exec_lo, s22
	v_lshrrev_b32_sdwa v30, v28, v2 dst_sel:DWORD dst_unused:UNUSED_PAD src0_sel:DWORD src1_sel:WORD_0
	s_andn2_b32 s2, s24, exec_lo
	s_and_b32 s7, s23, exec_lo
	s_or_b32 s24, s2, s7
.LBB126_315:                            ;   in Loop: Header=BB126_18 Depth=1
	s_or_b32 exec_lo, exec_lo, s9
	s_mov_b32 s27, 0
	s_mov_b32 s9, -1
.LBB126_316:                            ;   in Loop: Header=BB126_18 Depth=1
	s_orn2_b32 s20, s24, exec_lo
.LBB126_317:                            ;   in Loop: Header=BB126_18 Depth=1
	s_or_b32 exec_lo, exec_lo, s80
                                        ; implicit-def: $vgpr4_vgpr5
                                        ; implicit-def: $vgpr2
	s_and_saveexec_b32 s24, s20
	s_cbranch_execz .LBB126_475
; %bb.318:                              ;   in Loop: Header=BB126_18 Depth=1
	v_mov_b32_e32 v4, 1
	v_mov_b32_e32 v5, 0
	;; [unrolled: 1-line block ×3, first 2 shown]
	s_xor_b32 s2, s6, -1
	s_mov_b32 s20, 0
	s_and_saveexec_b32 s6, s2
	s_cbranch_execz .LBB126_327
; %bb.319:                              ;   in Loop: Header=BB126_18 Depth=1
	s_mov_b32 s2, exec_lo
	v_cmpx_ge_u64_e64 s[18:19], v[19:20]
	s_xor_b32 s20, exec_lo, s2
	s_cbranch_execz .LBB126_324
; %bb.320:                              ;   in Loop: Header=BB126_18 Depth=1
	ds_read_b64 v[4:5], v3 offset:5120
	v_or_b32_e32 v26, s11, v26
	v_or_b32_e32 v29, s11, v29
	s_waitcnt lgkmcnt(0)
	v_cmp_ne_u64_e32 vcc_lo, 0, v[4:5]
	s_cbranch_vccnz .LBB126_324
; %bb.321:                              ;   in Loop: Header=BB126_18 Depth=1
	s_and_saveexec_b32 s2, s3
; %bb.322:                              ;   in Loop: Header=BB126_18 Depth=1
	v_mov_b32_e32 v4, s18
	v_mov_b32_e32 v5, s19
	ds_write_b64 v3, v[4:5] offset:5128
; %bb.323:                              ;   in Loop: Header=BB126_18 Depth=1
	s_or_b32 exec_lo, exec_lo, s2
	s_waitcnt lgkmcnt(0)
	s_barrier
	buffer_gl0_inv
.LBB126_324:                            ;   in Loop: Header=BB126_18 Depth=1
	s_or_saveexec_b32 s20, s20
	v_mov_b32_e32 v2, 5
	s_mov_b32 s21, 0
	s_xor_b32 exec_lo, exec_lo, s20
; %bb.325:                              ;   in Loop: Header=BB126_18 Depth=1
	v_sub_co_u32 v19, vcc_lo, v19, s18
	v_subrev_co_ci_u32_e64 v20, null, s19, v20, vcc_lo
	v_mov_b32_e32 v2, 0
	s_mov_b32 s21, exec_lo
; %bb.326:                              ;   in Loop: Header=BB126_18 Depth=1
	s_or_b32 exec_lo, exec_lo, s20
	v_mov_b32_e32 v4, v19
	v_mov_b32_e32 v5, v20
	s_and_b32 s20, s21, exec_lo
.LBB126_327:                            ;   in Loop: Header=BB126_18 Depth=1
	s_or_b32 exec_lo, exec_lo, s6
	s_mov_b32 s18, -1
                                        ; implicit-def: $sgpr25
                                        ; implicit-def: $sgpr80
	s_and_saveexec_b32 s2, s20
	s_xor_b32 s6, exec_lo, s2
	s_cbranch_execz .LBB126_472
; %bb.328:                              ;   in Loop: Header=BB126_18 Depth=1
	v_cmp_eq_u64_e32 vcc_lo, 1, v[4:5]
	s_cmp_eq_u64 s[16:17], 1
                                        ; implicit-def: $sgpr80
                                        ; implicit-def: $sgpr25
	s_cselect_b32 s2, -1, 0
	s_and_b32 s81, s2, vcc_lo
	s_and_saveexec_b32 s82, s81
	s_cbranch_execz .LBB126_362
; %bb.329:                              ;   in Loop: Header=BB126_18 Depth=1
	ds_read_b64 v[6:7], v3 offset:5120
	s_waitcnt lgkmcnt(0)
	s_barrier
	buffer_gl0_inv
	v_readfirstlane_b32 s18, v6
	v_readfirstlane_b32 s19, v7
	s_and_saveexec_b32 s2, s10
; %bb.330:                              ;   in Loop: Header=BB126_18 Depth=1
	ds_write_b8 v0, v3 offset:3072
; %bb.331:                              ;   in Loop: Header=BB126_18 Depth=1
	s_or_b32 exec_lo, exec_lo, s2
	s_lshl_b32 s2, 2, s69
	v_or_b32_e32 v29, s11, v29
	v_and_or_b32 v26, v26, s26, s2
	s_mov_b32 s25, -1
	s_mov_b32 s80, 0
	s_cmp_eq_u64 s[18:19], 0
	s_mov_b32 s22, 0
	s_mov_b32 s23, -1
	s_waitcnt lgkmcnt(0)
	s_barrier
	buffer_gl0_inv
                                        ; implicit-def: $vgpr30
	s_cbranch_scc1 .LBB126_347
; %bb.332:                              ;   in Loop: Header=BB126_18 Depth=1
	s_add_u32 s56, s18, s94
	s_addc_u32 s21, s19, s95
	s_mov_b32 s20, s73
	s_cmp_lg_u64 s[20:21], 0
	s_cbranch_scc0 .LBB126_388
; %bb.333:                              ;   in Loop: Header=BB126_18 Depth=1
	v_cvt_f32_u32_e32 v6, s33
	s_sub_u32 s20, 0, s33
	s_subb_u32 s22, 0, 0
	v_fmac_f32_e64 v6, 0x4f800000, 0
	v_rcp_f32_e32 v6, v6
	v_mul_f32_e32 v6, 0x5f7ffffc, v6
	v_mul_f32_e32 v7, 0x2f800000, v6
	v_trunc_f32_e32 v7, v7
	v_fmac_f32_e32 v6, 0xcf800000, v7
	v_cvt_u32_f32_e32 v7, v7
	v_cvt_u32_f32_e32 v6, v6
	v_readfirstlane_b32 s2, v7
	v_readfirstlane_b32 s7, v6
	s_mul_i32 s23, s20, s2
	s_mul_hi_u32 s72, s20, s7
	s_mul_i32 s62, s22, s7
	s_add_i32 s23, s72, s23
	s_mul_i32 s74, s20, s7
	s_add_i32 s23, s23, s62
	s_mul_hi_u32 s72, s7, s74
	s_mul_i32 s84, s7, s23
	s_mul_hi_u32 s83, s2, s74
	s_mul_i32 s62, s2, s74
	s_mul_hi_u32 s74, s7, s23
	s_add_u32 s72, s72, s84
	s_addc_u32 s74, 0, s74
	s_mul_hi_u32 s85, s2, s23
	s_add_u32 s62, s72, s62
	s_mul_i32 s23, s2, s23
	s_addc_u32 s62, s74, s83
	s_addc_u32 s72, s85, 0
	s_add_u32 s23, s62, s23
	s_addc_u32 s62, 0, s72
	s_add_u32 s7, s7, s23
	s_cselect_b32 s23, -1, 0
	s_mul_hi_u32 s72, s20, s7
	s_cmp_lg_u32 s23, 0
	s_mul_i32 s23, s20, s7
	s_addc_u32 s2, s2, s62
	s_mul_i32 s22, s22, s7
	s_mul_i32 s20, s20, s2
	s_mul_hi_u32 s62, s7, s23
	s_add_i32 s20, s72, s20
	s_mul_hi_u32 s72, s2, s23
	s_add_i32 s20, s20, s22
	s_mul_i32 s22, s2, s23
	s_mul_i32 s83, s7, s20
	s_mul_hi_u32 s74, s7, s20
	s_add_u32 s62, s62, s83
	s_addc_u32 s74, 0, s74
	s_mul_hi_u32 s23, s2, s20
	s_add_u32 s22, s62, s22
	s_mul_i32 s20, s2, s20
	s_addc_u32 s22, s74, s72
	s_addc_u32 s23, s23, 0
	s_add_u32 s20, s22, s20
	s_addc_u32 s22, 0, s23
	s_add_u32 s7, s7, s20
	s_cselect_b32 s20, -1, 0
	s_mul_hi_u32 s23, s56, s7
	s_cmp_lg_u32 s20, 0
	s_mul_hi_u32 s20, s21, s7
	s_addc_u32 s2, s2, s22
	s_mul_i32 s7, s21, s7
	s_mul_i32 s62, s56, s2
	s_mul_hi_u32 s22, s56, s2
	s_add_u32 s23, s23, s62
	s_addc_u32 s22, 0, s22
	s_mul_hi_u32 s72, s21, s2
	s_add_u32 s7, s23, s7
	s_mul_i32 s2, s21, s2
	s_addc_u32 s7, s22, s20
	s_addc_u32 s20, s72, 0
	s_add_u32 s2, s7, s2
	s_addc_u32 s7, 0, s20
	s_mul_hi_u32 s20, s33, s2
	s_mul_i32 s7, s33, s7
	s_mul_i32 s2, s33, s2
	s_add_i32 s20, s20, s7
	s_sub_u32 s2, s56, s2
	s_cselect_b32 s7, -1, 0
	s_cmp_lg_u32 s7, 0
	s_subb_u32 s7, s21, s20
	s_sub_u32 s20, s2, s33
	s_cselect_b32 s22, -1, 0
	s_cmp_lg_u32 s22, 0
	s_subb_u32 s22, s7, 0
	;; [unrolled: 4-line block ×3, first 2 shown]
	s_cmp_ge_u32 s20, s33
	s_cselect_b32 s72, -1, 0
	s_cmp_eq_u32 s22, 0
	s_cselect_b32 s72, s72, -1
	s_cmp_lg_u32 s72, 0
	s_cselect_b32 s22, s62, s22
	s_cselect_b32 s20, s23, s20
	s_cmp_ge_u32 s2, s33
	s_cselect_b32 s23, -1, 0
	s_cmp_eq_u32 s7, 0
	s_cselect_b32 s23, s23, -1
	s_cmp_lg_u32 s23, 0
	s_cselect_b32 s23, s22, s7
	s_cselect_b32 s22, s20, s2
	s_cbranch_execnz .LBB126_335
.LBB126_334:                            ;   in Loop: Header=BB126_18 Depth=1
	v_cvt_f32_u32_e32 v6, s33
	s_sub_i32 s7, 0, s33
	v_rcp_iflag_f32_e32 v6, v6
	v_mul_f32_e32 v6, 0x4f7ffffe, v6
	v_cvt_u32_f32_e32 v6, v6
	v_readfirstlane_b32 s2, v6
	s_mul_i32 s7, s7, s2
	s_mul_hi_u32 s7, s2, s7
	s_add_i32 s2, s2, s7
	s_mul_hi_u32 s2, s56, s2
	s_mul_i32 s2, s2, s33
	s_sub_i32 s2, s56, s2
	s_sub_i32 s7, s2, s33
	s_cmp_ge_u32 s2, s33
	s_cselect_b32 s2, s7, s2
	s_sub_i32 s7, s2, s33
	s_cmp_ge_u32 s2, s33
	s_cselect_b32 s72, s7, s2
	s_mov_b64 s[22:23], s[72:73]
.LBB126_335:                            ;   in Loop: Header=BB126_18 Depth=1
	s_sub_u32 s20, s56, s22
	s_subb_u32 s21, s21, s23
	s_mov_b32 s23, 0
	s_mov_b32 s22, 0
	s_mov_b32 s56, exec_lo
                                        ; implicit-def: $vgpr30
	v_cmpx_gt_u64_e64 s[20:21], v[0:1]
	s_cbranch_execz .LBB126_346
; %bb.336:                              ;   in Loop: Header=BB126_18 Depth=1
	v_mov_b32_e32 v7, v1
	v_mov_b32_e32 v8, v0
	;; [unrolled: 1-line block ×3, first 2 shown]
                                        ; implicit-def: $sgpr62
	s_inst_prefetch 0x1
	s_branch .LBB126_339
	.p2align	6
.LBB126_337:                            ;   in Loop: Header=BB126_339 Depth=2
	s_or_b32 exec_lo, exec_lo, s72
	s_waitcnt lgkmcnt(0)
	s_barrier
	buffer_gl0_inv
	ds_read_u16 v9, v3 offset:3072
	s_mov_b32 s2, -1
	s_waitcnt lgkmcnt(0)
	s_barrier
	buffer_gl0_inv
	v_cmp_ne_u32_sdwa s7, v9, v3 src0_sel:BYTE_0 src1_sel:DWORD
	s_and_b32 vcc_lo, exec_lo, s7
	s_mov_b32 s7, -1
	s_cbranch_vccz .LBB126_342
.LBB126_338:                            ;   in Loop: Header=BB126_339 Depth=2
	s_and_b32 s2, exec_lo, s2
	s_or_b32 s22, s2, s22
	s_andn2_b32 s2, s62, exec_lo
	s_and_b32 s7, s7, exec_lo
	s_or_b32 s62, s2, s7
	s_andn2_b32 exec_lo, exec_lo, s22
	s_cbranch_execz .LBB126_345
.LBB126_339:                            ;   Parent Loop BB126_18 Depth=1
                                        ; =>  This Inner Loop Header: Depth=2
	s_mov_b32 s72, exec_lo
	v_cmpx_gt_u64_e64 s[18:19], v[6:7]
	s_cbranch_execz .LBB126_337
; %bb.340:                              ;   in Loop: Header=BB126_339 Depth=2
	ds_read_u8 v9, v8
	s_waitcnt lgkmcnt(0)
	v_and_b32_e32 v10, v9, v29
	v_cmp_eq_u32_sdwa s2, v10, v26 src0_sel:BYTE_0 src1_sel:DWORD
	s_and_b32 exec_lo, exec_lo, s2
	s_cbranch_execz .LBB126_337
; %bb.341:                              ;   in Loop: Header=BB126_339 Depth=2
	v_lshlrev_b16 v9, 8, v9
	v_or_b32_e32 v9, 1, v9
	ds_write_b16 v3, v9 offset:3072
	s_branch .LBB126_337
.LBB126_342:                            ;   in Loop: Header=BB126_339 Depth=2
	v_add_co_u32 v6, vcc_lo, v6, s33
	v_add_co_ci_u32_e64 v7, null, 0, v7, vcc_lo
	v_add_nc_u32_e32 v8, s33, v8
	s_mov_b32 s7, 0
	v_cmp_le_u64_e32 vcc_lo, s[20:21], v[6:7]
	s_orn2_b32 s2, vcc_lo, exec_lo
	s_branch .LBB126_338
.LBB126_343:                            ;   in Loop: Header=BB126_18 Depth=1
                                        ; implicit-def: $sgpr24_sgpr25
	s_branch .LBB126_290
.LBB126_344:                            ;   in Loop: Header=BB126_18 Depth=1
                                        ; implicit-def: $sgpr20_sgpr21
	s_branch .LBB126_305
.LBB126_345:                            ;   in Loop: Header=BB126_18 Depth=1
	s_inst_prefetch 0x2
	s_or_b32 exec_lo, exec_lo, s22
	v_lshrrev_b32_sdwa v30, v28, v9 dst_sel:DWORD dst_unused:UNUSED_PAD src0_sel:DWORD src1_sel:WORD_0
	s_and_b32 s22, s62, exec_lo
.LBB126_346:                            ;   in Loop: Header=BB126_18 Depth=1
	s_or_b32 exec_lo, exec_lo, s56
.LBB126_347:                            ;   in Loop: Header=BB126_18 Depth=1
	s_and_b32 vcc_lo, exec_lo, s23
	s_cbranch_vccz .LBB126_361
; %bb.348:                              ;   in Loop: Header=BB126_18 Depth=1
	s_mov_b32 s74, s73
	s_cmp_lg_u64 s[74:75], 0
	s_cbranch_scc0 .LBB126_389
; %bb.349:                              ;   in Loop: Header=BB126_18 Depth=1
	v_cvt_f32_u32_e32 v6, s33
	s_sub_u32 s18, 0, s33
	s_subb_u32 s19, 0, 0
	v_fmac_f32_e64 v6, 0x4f800000, 0
	v_rcp_f32_e32 v6, v6
	v_mul_f32_e32 v6, 0x5f7ffffc, v6
	v_mul_f32_e32 v7, 0x2f800000, v6
	v_trunc_f32_e32 v7, v7
	v_fmac_f32_e32 v6, 0xcf800000, v7
	v_cvt_u32_f32_e32 v7, v7
	v_cvt_u32_f32_e32 v6, v6
	v_readfirstlane_b32 s2, v7
	v_readfirstlane_b32 s7, v6
	s_mul_i32 s20, s18, s2
	s_mul_hi_u32 s23, s18, s7
	s_mul_i32 s21, s19, s7
	s_add_i32 s20, s23, s20
	s_mul_i32 s25, s18, s7
	s_add_i32 s20, s20, s21
	s_mul_hi_u32 s23, s7, s25
	s_mul_i32 s62, s7, s20
	s_mul_hi_u32 s56, s2, s25
	s_mul_i32 s21, s2, s25
	s_mul_hi_u32 s25, s7, s20
	s_add_u32 s23, s23, s62
	s_addc_u32 s25, 0, s25
	s_mul_hi_u32 s72, s2, s20
	s_add_u32 s21, s23, s21
	s_mul_i32 s20, s2, s20
	s_addc_u32 s21, s25, s56
	s_addc_u32 s23, s72, 0
	s_add_u32 s20, s21, s20
	s_addc_u32 s21, 0, s23
	s_add_u32 s7, s7, s20
	s_cselect_b32 s20, -1, 0
	s_mul_hi_u32 s23, s18, s7
	s_cmp_lg_u32 s20, 0
	s_mul_i32 s20, s18, s7
	s_addc_u32 s2, s2, s21
	s_mul_i32 s19, s19, s7
	s_mul_i32 s18, s18, s2
	s_mul_hi_u32 s21, s7, s20
	s_add_i32 s18, s23, s18
	s_mul_hi_u32 s23, s2, s20
	s_add_i32 s18, s18, s19
	s_mul_i32 s19, s2, s20
	s_mul_i32 s56, s7, s18
	s_mul_hi_u32 s25, s7, s18
	s_add_u32 s21, s21, s56
	s_addc_u32 s25, 0, s25
	s_mul_hi_u32 s20, s2, s18
	s_add_u32 s19, s21, s19
	s_mul_i32 s18, s2, s18
	s_addc_u32 s19, s25, s23
	s_addc_u32 s20, s20, 0
	s_add_u32 s18, s19, s18
	s_addc_u32 s19, 0, s20
	s_add_u32 s7, s7, s18
	s_cselect_b32 s18, -1, 0
	s_mul_hi_u32 s20, s96, s7
	s_cmp_lg_u32 s18, 0
	s_mul_hi_u32 s18, s75, s7
	s_addc_u32 s2, s2, s19
	s_mul_i32 s7, s75, s7
	s_mul_i32 s21, s96, s2
	s_mul_hi_u32 s19, s96, s2
	s_add_u32 s20, s20, s21
	s_addc_u32 s19, 0, s19
	s_mul_hi_u32 s23, s75, s2
	s_add_u32 s7, s20, s7
	s_mul_i32 s2, s75, s2
	s_addc_u32 s7, s19, s18
	s_addc_u32 s18, s23, 0
	s_add_u32 s2, s7, s2
	s_addc_u32 s7, 0, s18
	s_mul_hi_u32 s18, s33, s2
	s_mul_i32 s7, s33, s7
	s_mul_i32 s2, s33, s2
	s_add_i32 s18, s18, s7
	s_sub_u32 s2, s96, s2
	s_cselect_b32 s7, -1, 0
	s_cmp_lg_u32 s7, 0
	s_subb_u32 s7, s75, s18
	s_sub_u32 s18, s2, s33
	s_cselect_b32 s19, -1, 0
	s_cmp_lg_u32 s19, 0
	s_subb_u32 s19, s7, 0
	;; [unrolled: 4-line block ×3, first 2 shown]
	s_cmp_ge_u32 s18, s33
	s_cselect_b32 s23, -1, 0
	s_cmp_eq_u32 s19, 0
	s_cselect_b32 s23, s23, -1
	s_cmp_lg_u32 s23, 0
	s_cselect_b32 s19, s21, s19
	s_cselect_b32 s18, s20, s18
	s_cmp_ge_u32 s2, s33
	s_cselect_b32 s20, -1, 0
	s_cmp_eq_u32 s7, 0
	s_cselect_b32 s20, s20, -1
	s_cmp_lg_u32 s20, 0
	s_cselect_b32 s19, s19, s7
	s_cselect_b32 s18, s18, s2
	s_cbranch_execnz .LBB126_351
.LBB126_350:                            ;   in Loop: Header=BB126_18 Depth=1
	v_cvt_f32_u32_e32 v6, s33
	s_sub_i32 s7, 0, s33
	v_rcp_iflag_f32_e32 v6, v6
	v_mul_f32_e32 v6, 0x4f7ffffe, v6
	v_cvt_u32_f32_e32 v6, v6
	v_readfirstlane_b32 s2, v6
	s_mul_i32 s7, s7, s2
	s_mul_hi_u32 s7, s2, s7
	s_add_i32 s2, s2, s7
	s_mul_hi_u32 s2, s96, s2
	s_mul_i32 s2, s2, s33
	s_sub_i32 s2, s96, s2
	s_sub_i32 s7, s2, s33
	s_cmp_ge_u32 s2, s33
	s_cselect_b32 s2, s7, s2
	s_sub_i32 s7, s2, s33
	s_cmp_ge_u32 s2, s33
	s_cselect_b32 s72, s7, s2
	s_mov_b64 s[18:19], s[72:73]
.LBB126_351:                            ;   in Loop: Header=BB126_18 Depth=1
	s_sub_u32 s18, s96, s18
	s_subb_u32 s19, s75, s19
	s_mov_b32 s20, exec_lo
                                        ; implicit-def: $vgpr30
	v_cmpx_gt_u64_e64 s[18:19], v[0:1]
	s_cbranch_execz .LBB126_360
; %bb.352:                              ;   in Loop: Header=BB126_18 Depth=1
	v_mov_b32_e32 v7, v1
	v_mov_b32_e32 v6, v0
	s_mov_b32 s21, 0
                                        ; implicit-def: $sgpr23
	s_branch .LBB126_355
.LBB126_353:                            ;   in Loop: Header=BB126_355 Depth=2
	s_or_b32 exec_lo, exec_lo, s25
	s_waitcnt lgkmcnt(0)
	s_barrier
	buffer_gl0_inv
	ds_read_u16 v8, v3 offset:3072
	s_mov_b32 s7, -1
	s_waitcnt lgkmcnt(0)
	s_barrier
	buffer_gl0_inv
	v_cmp_eq_u32_sdwa s2, v8, v3 src0_sel:BYTE_0 src1_sel:DWORD
	s_and_b32 vcc_lo, exec_lo, s2
	s_mov_b32 s2, -1
	s_cbranch_vccnz .LBB126_358
.LBB126_354:                            ;   in Loop: Header=BB126_355 Depth=2
	s_and_b32 s7, exec_lo, s7
	s_or_b32 s21, s7, s21
	s_andn2_b32 s7, s23, exec_lo
	s_and_b32 s2, s2, exec_lo
	s_or_b32 s23, s7, s2
	s_andn2_b32 exec_lo, exec_lo, s21
	s_cbranch_execz .LBB126_359
.LBB126_355:                            ;   Parent Loop BB126_18 Depth=1
                                        ; =>  This Inner Loop Header: Depth=2
	s_mov_b32 s25, exec_lo
	v_cmpx_gt_u64_e64 s[36:37], v[6:7]
	s_cbranch_execz .LBB126_353
; %bb.356:                              ;   in Loop: Header=BB126_355 Depth=2
	v_mul_lo_u32 v10, v6, s31
	v_mul_lo_u32 v11, v7, s30
	v_mad_u64_u32 v[8:9], null, v6, s30, s[28:29]
	v_add3_u32 v9, v11, v9, v10
	global_load_ubyte v8, v[8:9], off
	s_waitcnt vmcnt(0)
	v_and_b32_e32 v9, v8, v29
	v_cmp_eq_u32_sdwa s2, v9, v26 src0_sel:BYTE_0 src1_sel:DWORD
	s_and_b32 exec_lo, exec_lo, s2
	s_cbranch_execz .LBB126_353
; %bb.357:                              ;   in Loop: Header=BB126_355 Depth=2
	v_lshlrev_b16 v8, 8, v8
	v_or_b32_e32 v8, 1, v8
	ds_write_b16 v3, v8 offset:3072
	s_branch .LBB126_353
.LBB126_358:                            ;   in Loop: Header=BB126_355 Depth=2
	v_add_co_u32 v6, vcc_lo, v6, s33
	v_add_co_ci_u32_e64 v7, null, 0, v7, vcc_lo
	s_mov_b32 s2, 0
	v_cmp_le_u64_e32 vcc_lo, s[18:19], v[6:7]
	s_orn2_b32 s7, vcc_lo, exec_lo
	s_branch .LBB126_354
.LBB126_359:                            ;   in Loop: Header=BB126_18 Depth=1
	s_or_b32 exec_lo, exec_lo, s21
	v_lshrrev_b32_sdwa v30, v28, v8 dst_sel:DWORD dst_unused:UNUSED_PAD src0_sel:DWORD src1_sel:WORD_0
	s_andn2_b32 s2, s22, exec_lo
	s_and_b32 s7, s23, exec_lo
	s_or_b32 s22, s2, s7
.LBB126_360:                            ;   in Loop: Header=BB126_18 Depth=1
	s_or_b32 exec_lo, exec_lo, s20
	s_mov_b32 s25, 0
	s_mov_b32 s80, -1
.LBB126_361:                            ;   in Loop: Header=BB126_18 Depth=1
	s_orn2_b32 s18, s22, exec_lo
.LBB126_362:                            ;   in Loop: Header=BB126_18 Depth=1
	s_or_b32 exec_lo, exec_lo, s82
	s_mov_b32 s19, 0
	s_and_saveexec_b32 s22, s18
	s_cbranch_execz .LBB126_471
; %bb.363:                              ;   in Loop: Header=BB126_18 Depth=1
	v_mov_b32_e32 v6, 1
	v_mov_b32_e32 v7, 0
	;; [unrolled: 1-line block ×3, first 2 shown]
	s_xor_b32 s2, s81, -1
	s_and_saveexec_b32 s18, s2
	s_cbranch_execz .LBB126_372
; %bb.364:                              ;   in Loop: Header=BB126_18 Depth=1
	s_mov_b32 s2, exec_lo
	v_cmpx_ge_u64_e64 s[16:17], v[4:5]
	s_xor_b32 s19, exec_lo, s2
	s_cbranch_execz .LBB126_369
; %bb.365:                              ;   in Loop: Header=BB126_18 Depth=1
	ds_read_b64 v[6:7], v3 offset:5120
	s_lshl_b32 s2, 2, s69
	v_or_b32_e32 v29, s11, v29
	v_and_or_b32 v26, v26, s26, s2
	s_waitcnt lgkmcnt(0)
	v_cmp_ne_u64_e32 vcc_lo, 0, v[6:7]
	s_cbranch_vccnz .LBB126_369
; %bb.366:                              ;   in Loop: Header=BB126_18 Depth=1
	s_and_saveexec_b32 s2, s3
; %bb.367:                              ;   in Loop: Header=BB126_18 Depth=1
	v_mov_b32_e32 v6, s16
	v_mov_b32_e32 v7, s17
	ds_write_b64 v3, v[6:7] offset:5128
; %bb.368:                              ;   in Loop: Header=BB126_18 Depth=1
	s_or_b32 exec_lo, exec_lo, s2
	s_waitcnt lgkmcnt(0)
	s_barrier
	buffer_gl0_inv
.LBB126_369:                            ;   in Loop: Header=BB126_18 Depth=1
	s_or_saveexec_b32 s19, s19
	v_mov_b32_e32 v2, 5
	s_mov_b32 s20, 0
	s_xor_b32 exec_lo, exec_lo, s19
; %bb.370:                              ;   in Loop: Header=BB126_18 Depth=1
	v_sub_co_u32 v4, vcc_lo, v4, s16
	v_subrev_co_ci_u32_e64 v5, null, s17, v5, vcc_lo
	v_mov_b32_e32 v2, 0
	s_mov_b32 s20, exec_lo
; %bb.371:                              ;   in Loop: Header=BB126_18 Depth=1
	s_or_b32 exec_lo, exec_lo, s19
	v_mov_b32_e32 v7, v5
	v_mov_b32_e32 v6, v4
	s_and_b32 s19, s20, exec_lo
.LBB126_372:                            ;   in Loop: Header=BB126_18 Depth=1
	s_or_b32 exec_lo, exec_lo, s18
	s_mov_b32 s16, -1
                                        ; implicit-def: $sgpr81
                                        ; implicit-def: $sgpr82
	s_and_saveexec_b32 s23, s19
	s_cbranch_execz .LBB126_470
; %bb.373:                              ;   in Loop: Header=BB126_18 Depth=1
	v_cmp_eq_u64_e32 vcc_lo, 1, v[6:7]
	s_cmp_eq_u64 s[14:15], 1
                                        ; implicit-def: $sgpr82
                                        ; implicit-def: $sgpr81
	s_cselect_b32 s2, -1, 0
	s_and_b32 s83, s2, vcc_lo
	s_and_saveexec_b32 s84, s83
	s_cbranch_execz .LBB126_407
; %bb.374:                              ;   in Loop: Header=BB126_18 Depth=1
	ds_read_b64 v[4:5], v3 offset:5120
	s_waitcnt lgkmcnt(0)
	s_barrier
	buffer_gl0_inv
	v_readfirstlane_b32 s16, v4
	v_readfirstlane_b32 s17, v5
	s_and_saveexec_b32 s2, s10
; %bb.375:                              ;   in Loop: Header=BB126_18 Depth=1
	ds_write_b8 v0, v3 offset:3072
; %bb.376:                              ;   in Loop: Header=BB126_18 Depth=1
	s_or_b32 exec_lo, exec_lo, s2
	s_lshl_b32 s2, 1, s69
	v_or_b32_e32 v29, s11, v29
	v_and_or_b32 v26, v26, s26, s2
	s_mov_b32 s81, -1
	s_mov_b32 s82, 0
	s_cmp_eq_u64 s[16:17], 0
	s_mov_b32 s20, 0
	s_mov_b32 s21, -1
	s_waitcnt lgkmcnt(0)
	s_barrier
	buffer_gl0_inv
                                        ; implicit-def: $vgpr30
	s_cbranch_scc1 .LBB126_392
; %bb.377:                              ;   in Loop: Header=BB126_18 Depth=1
	s_add_u32 s56, s16, s94
	s_addc_u32 s19, s17, s95
	s_mov_b32 s18, s73
	s_cmp_lg_u64 s[18:19], 0
	s_cbranch_scc0 .LBB126_424
; %bb.378:                              ;   in Loop: Header=BB126_18 Depth=1
	v_cvt_f32_u32_e32 v4, s33
	s_sub_u32 s18, 0, s33
	s_subb_u32 s20, 0, 0
	v_fmac_f32_e64 v4, 0x4f800000, 0
	v_rcp_f32_e32 v4, v4
	v_mul_f32_e32 v4, 0x5f7ffffc, v4
	v_mul_f32_e32 v5, 0x2f800000, v4
	v_trunc_f32_e32 v5, v5
	v_fmac_f32_e32 v4, 0xcf800000, v5
	v_cvt_u32_f32_e32 v5, v5
	v_cvt_u32_f32_e32 v4, v4
	v_readfirstlane_b32 s2, v5
	v_readfirstlane_b32 s7, v4
	s_mul_i32 s21, s18, s2
	s_mul_hi_u32 s72, s18, s7
	s_mul_i32 s62, s20, s7
	s_add_i32 s21, s72, s21
	s_mul_i32 s74, s18, s7
	s_add_i32 s21, s21, s62
	s_mul_hi_u32 s72, s7, s74
	s_mul_i32 s86, s7, s21
	s_mul_hi_u32 s85, s2, s74
	s_mul_i32 s62, s2, s74
	s_mul_hi_u32 s74, s7, s21
	s_add_u32 s72, s72, s86
	s_addc_u32 s74, 0, s74
	s_mul_hi_u32 s87, s2, s21
	s_add_u32 s62, s72, s62
	s_mul_i32 s21, s2, s21
	s_addc_u32 s62, s74, s85
	s_addc_u32 s72, s87, 0
	s_add_u32 s21, s62, s21
	s_addc_u32 s62, 0, s72
	s_add_u32 s7, s7, s21
	s_cselect_b32 s21, -1, 0
	s_mul_hi_u32 s72, s18, s7
	s_cmp_lg_u32 s21, 0
	s_mul_i32 s21, s18, s7
	s_addc_u32 s2, s2, s62
	s_mul_i32 s20, s20, s7
	s_mul_i32 s18, s18, s2
	s_mul_hi_u32 s62, s7, s21
	s_add_i32 s18, s72, s18
	s_mul_hi_u32 s72, s2, s21
	s_add_i32 s18, s18, s20
	s_mul_i32 s20, s2, s21
	s_mul_i32 s85, s7, s18
	s_mul_hi_u32 s74, s7, s18
	s_add_u32 s62, s62, s85
	s_addc_u32 s74, 0, s74
	s_mul_hi_u32 s21, s2, s18
	s_add_u32 s20, s62, s20
	s_mul_i32 s18, s2, s18
	s_addc_u32 s20, s74, s72
	s_addc_u32 s21, s21, 0
	s_add_u32 s18, s20, s18
	s_addc_u32 s20, 0, s21
	s_add_u32 s7, s7, s18
	s_cselect_b32 s18, -1, 0
	s_mul_hi_u32 s21, s56, s7
	s_cmp_lg_u32 s18, 0
	s_mul_hi_u32 s18, s19, s7
	s_addc_u32 s2, s2, s20
	s_mul_i32 s7, s19, s7
	s_mul_i32 s62, s56, s2
	s_mul_hi_u32 s20, s56, s2
	s_add_u32 s21, s21, s62
	s_addc_u32 s20, 0, s20
	s_mul_hi_u32 s72, s19, s2
	s_add_u32 s7, s21, s7
	s_mul_i32 s2, s19, s2
	s_addc_u32 s7, s20, s18
	s_addc_u32 s18, s72, 0
	s_add_u32 s2, s7, s2
	s_addc_u32 s7, 0, s18
	s_mul_hi_u32 s18, s33, s2
	s_mul_i32 s7, s33, s7
	s_mul_i32 s2, s33, s2
	s_add_i32 s18, s18, s7
	s_sub_u32 s2, s56, s2
	s_cselect_b32 s7, -1, 0
	s_cmp_lg_u32 s7, 0
	s_subb_u32 s7, s19, s18
	s_sub_u32 s18, s2, s33
	s_cselect_b32 s20, -1, 0
	s_cmp_lg_u32 s20, 0
	s_subb_u32 s20, s7, 0
	;; [unrolled: 4-line block ×3, first 2 shown]
	s_cmp_ge_u32 s18, s33
	s_cselect_b32 s72, -1, 0
	s_cmp_eq_u32 s20, 0
	s_cselect_b32 s72, s72, -1
	s_cmp_lg_u32 s72, 0
	s_cselect_b32 s20, s62, s20
	s_cselect_b32 s18, s21, s18
	s_cmp_ge_u32 s2, s33
	s_cselect_b32 s21, -1, 0
	s_cmp_eq_u32 s7, 0
	s_cselect_b32 s21, s21, -1
	s_cmp_lg_u32 s21, 0
	s_cselect_b32 s21, s20, s7
	s_cselect_b32 s20, s18, s2
	s_cbranch_execnz .LBB126_380
.LBB126_379:                            ;   in Loop: Header=BB126_18 Depth=1
	v_cvt_f32_u32_e32 v4, s33
	s_sub_i32 s7, 0, s33
	v_rcp_iflag_f32_e32 v4, v4
	v_mul_f32_e32 v4, 0x4f7ffffe, v4
	v_cvt_u32_f32_e32 v4, v4
	v_readfirstlane_b32 s2, v4
	s_mul_i32 s7, s7, s2
	s_mul_hi_u32 s7, s2, s7
	s_add_i32 s2, s2, s7
	s_mul_hi_u32 s2, s56, s2
	s_mul_i32 s2, s2, s33
	s_sub_i32 s2, s56, s2
	s_sub_i32 s7, s2, s33
	s_cmp_ge_u32 s2, s33
	s_cselect_b32 s2, s7, s2
	s_sub_i32 s7, s2, s33
	s_cmp_ge_u32 s2, s33
	s_cselect_b32 s72, s7, s2
	s_mov_b64 s[20:21], s[72:73]
.LBB126_380:                            ;   in Loop: Header=BB126_18 Depth=1
	s_sub_u32 s18, s56, s20
	s_subb_u32 s19, s19, s21
	s_mov_b32 s21, 0
	s_mov_b32 s20, 0
	s_mov_b32 s56, exec_lo
                                        ; implicit-def: $vgpr30
	v_cmpx_gt_u64_e64 s[18:19], v[0:1]
	s_cbranch_execz .LBB126_391
; %bb.381:                              ;   in Loop: Header=BB126_18 Depth=1
	v_mov_b32_e32 v5, v1
	v_mov_b32_e32 v8, v0
	;; [unrolled: 1-line block ×3, first 2 shown]
                                        ; implicit-def: $sgpr62
	s_inst_prefetch 0x1
	s_branch .LBB126_384
	.p2align	6
.LBB126_382:                            ;   in Loop: Header=BB126_384 Depth=2
	s_or_b32 exec_lo, exec_lo, s72
	s_waitcnt lgkmcnt(0)
	s_barrier
	buffer_gl0_inv
	ds_read_u16 v9, v3 offset:3072
	s_mov_b32 s2, -1
	s_waitcnt lgkmcnt(0)
	s_barrier
	buffer_gl0_inv
	v_cmp_ne_u32_sdwa s7, v9, v3 src0_sel:BYTE_0 src1_sel:DWORD
	s_and_b32 vcc_lo, exec_lo, s7
	s_mov_b32 s7, -1
	s_cbranch_vccz .LBB126_387
.LBB126_383:                            ;   in Loop: Header=BB126_384 Depth=2
	s_and_b32 s2, exec_lo, s2
	s_or_b32 s20, s2, s20
	s_andn2_b32 s2, s62, exec_lo
	s_and_b32 s7, s7, exec_lo
	s_or_b32 s62, s2, s7
	s_andn2_b32 exec_lo, exec_lo, s20
	s_cbranch_execz .LBB126_390
.LBB126_384:                            ;   Parent Loop BB126_18 Depth=1
                                        ; =>  This Inner Loop Header: Depth=2
	s_mov_b32 s72, exec_lo
	v_cmpx_gt_u64_e64 s[16:17], v[4:5]
	s_cbranch_execz .LBB126_382
; %bb.385:                              ;   in Loop: Header=BB126_384 Depth=2
	ds_read_u8 v9, v8
	s_waitcnt lgkmcnt(0)
	v_and_b32_e32 v10, v9, v29
	v_cmp_eq_u32_sdwa s2, v10, v26 src0_sel:BYTE_0 src1_sel:DWORD
	s_and_b32 exec_lo, exec_lo, s2
	s_cbranch_execz .LBB126_382
; %bb.386:                              ;   in Loop: Header=BB126_384 Depth=2
	v_lshlrev_b16 v9, 8, v9
	v_or_b32_e32 v9, 1, v9
	ds_write_b16 v3, v9 offset:3072
	s_branch .LBB126_382
.LBB126_387:                            ;   in Loop: Header=BB126_384 Depth=2
	v_add_co_u32 v4, vcc_lo, v4, s33
	v_add_co_ci_u32_e64 v5, null, 0, v5, vcc_lo
	v_add_nc_u32_e32 v8, s33, v8
	s_mov_b32 s7, 0
	v_cmp_le_u64_e32 vcc_lo, s[18:19], v[4:5]
	s_orn2_b32 s2, vcc_lo, exec_lo
	s_branch .LBB126_383
.LBB126_388:                            ;   in Loop: Header=BB126_18 Depth=1
                                        ; implicit-def: $sgpr22_sgpr23
	s_branch .LBB126_334
.LBB126_389:                            ;   in Loop: Header=BB126_18 Depth=1
                                        ; implicit-def: $sgpr18_sgpr19
	s_branch .LBB126_350
.LBB126_390:                            ;   in Loop: Header=BB126_18 Depth=1
	s_inst_prefetch 0x2
	s_or_b32 exec_lo, exec_lo, s20
	v_lshrrev_b32_sdwa v30, v28, v9 dst_sel:DWORD dst_unused:UNUSED_PAD src0_sel:DWORD src1_sel:WORD_0
	s_and_b32 s20, s62, exec_lo
.LBB126_391:                            ;   in Loop: Header=BB126_18 Depth=1
	s_or_b32 exec_lo, exec_lo, s56
.LBB126_392:                            ;   in Loop: Header=BB126_18 Depth=1
	s_and_b32 vcc_lo, exec_lo, s21
	s_cbranch_vccz .LBB126_406
; %bb.393:                              ;   in Loop: Header=BB126_18 Depth=1
	s_mov_b32 s74, s73
	s_cmp_lg_u64 s[74:75], 0
	s_cbranch_scc0 .LBB126_425
; %bb.394:                              ;   in Loop: Header=BB126_18 Depth=1
	v_cvt_f32_u32_e32 v4, s33
	s_sub_u32 s16, 0, s33
	s_subb_u32 s17, 0, 0
	v_fmac_f32_e64 v4, 0x4f800000, 0
	v_rcp_f32_e32 v4, v4
	v_mul_f32_e32 v4, 0x5f7ffffc, v4
	v_mul_f32_e32 v5, 0x2f800000, v4
	v_trunc_f32_e32 v5, v5
	v_fmac_f32_e32 v4, 0xcf800000, v5
	v_cvt_u32_f32_e32 v5, v5
	v_cvt_u32_f32_e32 v4, v4
	v_readfirstlane_b32 s2, v5
	v_readfirstlane_b32 s7, v4
	s_mul_i32 s18, s16, s2
	s_mul_hi_u32 s21, s16, s7
	s_mul_i32 s19, s17, s7
	s_add_i32 s18, s21, s18
	s_mul_i32 s56, s16, s7
	s_add_i32 s18, s18, s19
	s_mul_hi_u32 s21, s7, s56
	s_mul_i32 s72, s7, s18
	s_mul_hi_u32 s62, s2, s56
	s_mul_i32 s19, s2, s56
	s_mul_hi_u32 s56, s7, s18
	s_add_u32 s21, s21, s72
	s_addc_u32 s56, 0, s56
	s_mul_hi_u32 s74, s2, s18
	s_add_u32 s19, s21, s19
	s_mul_i32 s18, s2, s18
	s_addc_u32 s19, s56, s62
	s_addc_u32 s21, s74, 0
	s_add_u32 s18, s19, s18
	s_addc_u32 s19, 0, s21
	s_add_u32 s7, s7, s18
	s_cselect_b32 s18, -1, 0
	s_mul_hi_u32 s21, s16, s7
	s_cmp_lg_u32 s18, 0
	s_mul_i32 s18, s16, s7
	s_addc_u32 s2, s2, s19
	s_mul_i32 s17, s17, s7
	s_mul_i32 s16, s16, s2
	s_mul_hi_u32 s19, s7, s18
	s_add_i32 s16, s21, s16
	s_mul_hi_u32 s21, s2, s18
	s_add_i32 s16, s16, s17
	s_mul_i32 s17, s2, s18
	s_mul_i32 s62, s7, s16
	s_mul_hi_u32 s56, s7, s16
	s_add_u32 s19, s19, s62
	s_addc_u32 s56, 0, s56
	s_mul_hi_u32 s18, s2, s16
	s_add_u32 s17, s19, s17
	s_mul_i32 s16, s2, s16
	s_addc_u32 s17, s56, s21
	s_addc_u32 s18, s18, 0
	s_add_u32 s16, s17, s16
	s_addc_u32 s17, 0, s18
	s_add_u32 s7, s7, s16
	s_cselect_b32 s16, -1, 0
	s_mul_hi_u32 s18, s96, s7
	s_cmp_lg_u32 s16, 0
	s_mul_hi_u32 s16, s75, s7
	s_addc_u32 s2, s2, s17
	s_mul_i32 s7, s75, s7
	s_mul_i32 s19, s96, s2
	s_mul_hi_u32 s17, s96, s2
	s_add_u32 s18, s18, s19
	s_addc_u32 s17, 0, s17
	s_mul_hi_u32 s21, s75, s2
	s_add_u32 s7, s18, s7
	s_mul_i32 s2, s75, s2
	s_addc_u32 s7, s17, s16
	s_addc_u32 s16, s21, 0
	s_add_u32 s2, s7, s2
	s_addc_u32 s7, 0, s16
	s_mul_hi_u32 s16, s33, s2
	s_mul_i32 s7, s33, s7
	s_mul_i32 s2, s33, s2
	s_add_i32 s16, s16, s7
	s_sub_u32 s2, s96, s2
	s_cselect_b32 s7, -1, 0
	s_cmp_lg_u32 s7, 0
	s_subb_u32 s7, s75, s16
	s_sub_u32 s16, s2, s33
	s_cselect_b32 s17, -1, 0
	s_cmp_lg_u32 s17, 0
	s_subb_u32 s17, s7, 0
	;; [unrolled: 4-line block ×3, first 2 shown]
	s_cmp_ge_u32 s16, s33
	s_cselect_b32 s21, -1, 0
	s_cmp_eq_u32 s17, 0
	s_cselect_b32 s21, s21, -1
	s_cmp_lg_u32 s21, 0
	s_cselect_b32 s17, s19, s17
	s_cselect_b32 s16, s18, s16
	s_cmp_ge_u32 s2, s33
	s_cselect_b32 s18, -1, 0
	s_cmp_eq_u32 s7, 0
	s_cselect_b32 s18, s18, -1
	s_cmp_lg_u32 s18, 0
	s_cselect_b32 s17, s17, s7
	s_cselect_b32 s16, s16, s2
	s_cbranch_execnz .LBB126_396
.LBB126_395:                            ;   in Loop: Header=BB126_18 Depth=1
	v_cvt_f32_u32_e32 v4, s33
	s_sub_i32 s7, 0, s33
	v_rcp_iflag_f32_e32 v4, v4
	v_mul_f32_e32 v4, 0x4f7ffffe, v4
	v_cvt_u32_f32_e32 v4, v4
	v_readfirstlane_b32 s2, v4
	s_mul_i32 s7, s7, s2
	s_mul_hi_u32 s7, s2, s7
	s_add_i32 s2, s2, s7
	s_mul_hi_u32 s2, s96, s2
	s_mul_i32 s2, s2, s33
	s_sub_i32 s2, s96, s2
	s_sub_i32 s7, s2, s33
	s_cmp_ge_u32 s2, s33
	s_cselect_b32 s2, s7, s2
	s_sub_i32 s7, s2, s33
	s_cmp_ge_u32 s2, s33
	s_cselect_b32 s72, s7, s2
	s_mov_b64 s[16:17], s[72:73]
.LBB126_396:                            ;   in Loop: Header=BB126_18 Depth=1
	s_sub_u32 s16, s96, s16
	s_subb_u32 s17, s75, s17
	s_mov_b32 s18, exec_lo
                                        ; implicit-def: $vgpr30
	v_cmpx_gt_u64_e64 s[16:17], v[0:1]
	s_cbranch_execz .LBB126_405
; %bb.397:                              ;   in Loop: Header=BB126_18 Depth=1
	v_mov_b32_e32 v5, v1
	v_mov_b32_e32 v4, v0
	s_mov_b32 s19, 0
                                        ; implicit-def: $sgpr21
	s_branch .LBB126_400
.LBB126_398:                            ;   in Loop: Header=BB126_400 Depth=2
	s_or_b32 exec_lo, exec_lo, s56
	s_waitcnt lgkmcnt(0)
	s_barrier
	buffer_gl0_inv
	ds_read_u16 v8, v3 offset:3072
	s_mov_b32 s7, -1
	s_waitcnt lgkmcnt(0)
	s_barrier
	buffer_gl0_inv
	v_cmp_eq_u32_sdwa s2, v8, v3 src0_sel:BYTE_0 src1_sel:DWORD
	s_and_b32 vcc_lo, exec_lo, s2
	s_mov_b32 s2, -1
	s_cbranch_vccnz .LBB126_403
.LBB126_399:                            ;   in Loop: Header=BB126_400 Depth=2
	s_and_b32 s7, exec_lo, s7
	s_or_b32 s19, s7, s19
	s_andn2_b32 s7, s21, exec_lo
	s_and_b32 s2, s2, exec_lo
	s_or_b32 s21, s7, s2
	s_andn2_b32 exec_lo, exec_lo, s19
	s_cbranch_execz .LBB126_404
.LBB126_400:                            ;   Parent Loop BB126_18 Depth=1
                                        ; =>  This Inner Loop Header: Depth=2
	s_mov_b32 s56, exec_lo
	v_cmpx_gt_u64_e64 s[36:37], v[4:5]
	s_cbranch_execz .LBB126_398
; %bb.401:                              ;   in Loop: Header=BB126_400 Depth=2
	v_mul_lo_u32 v10, v4, s31
	v_mul_lo_u32 v11, v5, s30
	v_mad_u64_u32 v[8:9], null, v4, s30, s[28:29]
	v_add3_u32 v9, v11, v9, v10
	global_load_ubyte v8, v[8:9], off
	s_waitcnt vmcnt(0)
	v_and_b32_e32 v9, v8, v29
	v_cmp_eq_u32_sdwa s2, v9, v26 src0_sel:BYTE_0 src1_sel:DWORD
	s_and_b32 exec_lo, exec_lo, s2
	s_cbranch_execz .LBB126_398
; %bb.402:                              ;   in Loop: Header=BB126_400 Depth=2
	v_lshlrev_b16 v8, 8, v8
	v_or_b32_e32 v8, 1, v8
	ds_write_b16 v3, v8 offset:3072
	s_branch .LBB126_398
.LBB126_403:                            ;   in Loop: Header=BB126_400 Depth=2
	v_add_co_u32 v4, vcc_lo, v4, s33
	v_add_co_ci_u32_e64 v5, null, 0, v5, vcc_lo
	s_mov_b32 s2, 0
	v_cmp_le_u64_e32 vcc_lo, s[16:17], v[4:5]
	s_orn2_b32 s7, vcc_lo, exec_lo
	s_branch .LBB126_399
.LBB126_404:                            ;   in Loop: Header=BB126_18 Depth=1
	s_or_b32 exec_lo, exec_lo, s19
	v_lshrrev_b32_sdwa v30, v28, v8 dst_sel:DWORD dst_unused:UNUSED_PAD src0_sel:DWORD src1_sel:WORD_0
	s_andn2_b32 s2, s20, exec_lo
	s_and_b32 s7, s21, exec_lo
	s_or_b32 s20, s2, s7
.LBB126_405:                            ;   in Loop: Header=BB126_18 Depth=1
	s_or_b32 exec_lo, exec_lo, s18
	s_mov_b32 s81, 0
	s_mov_b32 s82, -1
.LBB126_406:                            ;   in Loop: Header=BB126_18 Depth=1
	s_orn2_b32 s16, s20, exec_lo
.LBB126_407:                            ;   in Loop: Header=BB126_18 Depth=1
	s_or_b32 exec_lo, exec_lo, s84
	s_mov_b32 s17, 0
	s_and_saveexec_b32 s20, s16
	s_cbranch_execz .LBB126_469
; %bb.408:                              ;   in Loop: Header=BB126_18 Depth=1
	v_mov_b32_e32 v4, 1
	v_mov_b32_e32 v5, 0
	v_mov_b32_e32 v2, 1
	s_xor_b32 s2, s83, -1
	s_and_saveexec_b32 s16, s2
	s_cbranch_execz .LBB126_417
; %bb.409:                              ;   in Loop: Header=BB126_18 Depth=1
	s_mov_b32 s2, exec_lo
	v_cmpx_ge_u64_e64 s[14:15], v[6:7]
	s_xor_b32 s17, exec_lo, s2
	s_cbranch_execz .LBB126_414
; %bb.410:                              ;   in Loop: Header=BB126_18 Depth=1
	ds_read_b64 v[4:5], v3 offset:5120
	s_lshl_b32 s2, 1, s69
	v_or_b32_e32 v29, s11, v29
	v_and_or_b32 v26, v26, s26, s2
	s_waitcnt lgkmcnt(0)
	v_cmp_ne_u64_e32 vcc_lo, 0, v[4:5]
	s_cbranch_vccnz .LBB126_414
; %bb.411:                              ;   in Loop: Header=BB126_18 Depth=1
	s_and_saveexec_b32 s2, s3
; %bb.412:                              ;   in Loop: Header=BB126_18 Depth=1
	v_mov_b32_e32 v4, s14
	v_mov_b32_e32 v5, s15
	ds_write_b64 v3, v[4:5] offset:5128
; %bb.413:                              ;   in Loop: Header=BB126_18 Depth=1
	s_or_b32 exec_lo, exec_lo, s2
	s_waitcnt lgkmcnt(0)
	s_barrier
	buffer_gl0_inv
.LBB126_414:                            ;   in Loop: Header=BB126_18 Depth=1
	s_or_saveexec_b32 s17, s17
	v_mov_b32_e32 v2, 5
	s_mov_b32 s18, 0
	s_xor_b32 exec_lo, exec_lo, s17
; %bb.415:                              ;   in Loop: Header=BB126_18 Depth=1
	v_sub_co_u32 v6, vcc_lo, v6, s14
	v_subrev_co_ci_u32_e64 v7, null, s15, v7, vcc_lo
	v_mov_b32_e32 v2, 0
	s_mov_b32 s18, exec_lo
; %bb.416:                              ;   in Loop: Header=BB126_18 Depth=1
	s_or_b32 exec_lo, exec_lo, s17
	v_mov_b32_e32 v4, v6
	v_mov_b32_e32 v5, v7
	s_and_b32 s17, s18, exec_lo
.LBB126_417:                            ;   in Loop: Header=BB126_18 Depth=1
	s_or_b32 exec_lo, exec_lo, s16
	s_mov_b32 s14, -1
                                        ; implicit-def: $sgpr85
                                        ; implicit-def: $sgpr74
	s_and_saveexec_b32 s21, s17
	s_cbranch_execz .LBB126_468
; %bb.418:                              ;   in Loop: Header=BB126_18 Depth=1
	v_cmp_eq_u64_e32 vcc_lo, 1, v[4:5]
	s_cmp_eq_u64 s[12:13], 1
	s_mov_b32 s15, -1
	s_cselect_b32 s2, -1, 0
                                        ; implicit-def: $sgpr85
                                        ; implicit-def: $sgpr74
	s_and_b32 s83, s2, vcc_lo
	s_and_saveexec_b32 s84, s83
	s_cbranch_execz .LBB126_456
; %bb.419:                              ;   in Loop: Header=BB126_18 Depth=1
	ds_read_b64 v[6:7], v3 offset:5120
	s_waitcnt lgkmcnt(0)
	s_barrier
	buffer_gl0_inv
	v_readfirstlane_b32 s14, v6
	v_readfirstlane_b32 s15, v7
	s_and_saveexec_b32 s2, s10
; %bb.420:                              ;   in Loop: Header=BB126_18 Depth=1
	ds_write_b8 v0, v3 offset:3072
; %bb.421:                              ;   in Loop: Header=BB126_18 Depth=1
	s_or_b32 exec_lo, exec_lo, s2
	v_and_b32_e32 v26, s26, v26
	v_or_b32_e32 v29, s11, v29
	s_mov_b32 s74, -1
	s_mov_b32 s85, 0
	s_cmp_eq_u64 s[14:15], 0
	s_mov_b32 s18, 0
	s_mov_b32 s19, -1
	s_waitcnt lgkmcnt(0)
	s_barrier
	buffer_gl0_inv
                                        ; implicit-def: $vgpr30
	s_cbranch_scc1 .LBB126_439
; %bb.422:                              ;   in Loop: Header=BB126_18 Depth=1
	s_add_u32 s56, s14, s94
	s_addc_u32 s17, s15, s95
	s_mov_b32 s16, s73
	s_cmp_lg_u64 s[16:17], 0
	s_cbranch_scc0 .LBB126_426
; %bb.423:                              ;   in Loop: Header=BB126_18 Depth=1
	v_cvt_f32_u32_e32 v6, s33
	s_sub_u32 s16, 0, s33
	s_subb_u32 s18, 0, 0
	v_fmac_f32_e64 v6, 0x4f800000, 0
	v_rcp_f32_e32 v6, v6
	v_mul_f32_e32 v6, 0x5f7ffffc, v6
	v_mul_f32_e32 v7, 0x2f800000, v6
	v_trunc_f32_e32 v7, v7
	v_fmac_f32_e32 v6, 0xcf800000, v7
	v_cvt_u32_f32_e32 v7, v7
	v_cvt_u32_f32_e32 v6, v6
	v_readfirstlane_b32 s2, v7
	v_readfirstlane_b32 s7, v6
	s_mul_i32 s19, s16, s2
	s_mul_hi_u32 s72, s16, s7
	s_mul_i32 s62, s18, s7
	s_add_i32 s19, s72, s19
	s_mul_i32 s86, s16, s7
	s_add_i32 s19, s19, s62
	s_mul_hi_u32 s72, s7, s86
	s_mul_i32 s88, s7, s19
	s_mul_hi_u32 s87, s2, s86
	s_mul_i32 s62, s2, s86
	s_mul_hi_u32 s86, s7, s19
	s_add_u32 s72, s72, s88
	s_addc_u32 s86, 0, s86
	s_mul_hi_u32 s89, s2, s19
	s_add_u32 s62, s72, s62
	s_mul_i32 s19, s2, s19
	s_addc_u32 s62, s86, s87
	s_addc_u32 s72, s89, 0
	s_add_u32 s19, s62, s19
	s_addc_u32 s62, 0, s72
	s_add_u32 s7, s7, s19
	s_cselect_b32 s19, -1, 0
	s_mul_hi_u32 s72, s16, s7
	s_cmp_lg_u32 s19, 0
	s_mul_i32 s19, s16, s7
	s_addc_u32 s2, s2, s62
	s_mul_i32 s18, s18, s7
	s_mul_i32 s16, s16, s2
	s_mul_hi_u32 s62, s7, s19
	s_add_i32 s16, s72, s16
	s_mul_hi_u32 s72, s2, s19
	s_add_i32 s16, s16, s18
	s_mul_i32 s18, s2, s19
	s_mul_i32 s87, s7, s16
	s_mul_hi_u32 s86, s7, s16
	s_add_u32 s62, s62, s87
	s_addc_u32 s86, 0, s86
	s_mul_hi_u32 s19, s2, s16
	s_add_u32 s18, s62, s18
	s_mul_i32 s16, s2, s16
	s_addc_u32 s18, s86, s72
	s_addc_u32 s19, s19, 0
	s_add_u32 s16, s18, s16
	s_addc_u32 s18, 0, s19
	s_add_u32 s7, s7, s16
	s_cselect_b32 s16, -1, 0
	s_mul_hi_u32 s19, s56, s7
	s_cmp_lg_u32 s16, 0
	s_mul_hi_u32 s16, s17, s7
	s_addc_u32 s2, s2, s18
	s_mul_i32 s7, s17, s7
	s_mul_i32 s62, s56, s2
	s_mul_hi_u32 s18, s56, s2
	s_add_u32 s19, s19, s62
	s_addc_u32 s18, 0, s18
	s_mul_hi_u32 s72, s17, s2
	s_add_u32 s7, s19, s7
	s_mul_i32 s2, s17, s2
	s_addc_u32 s7, s18, s16
	s_addc_u32 s16, s72, 0
	s_add_u32 s2, s7, s2
	s_addc_u32 s7, 0, s16
	s_mul_hi_u32 s16, s33, s2
	s_mul_i32 s7, s33, s7
	s_mul_i32 s2, s33, s2
	s_add_i32 s16, s16, s7
	s_sub_u32 s2, s56, s2
	s_cselect_b32 s7, -1, 0
	s_cmp_lg_u32 s7, 0
	s_subb_u32 s7, s17, s16
	s_sub_u32 s16, s2, s33
	s_cselect_b32 s18, -1, 0
	s_cmp_lg_u32 s18, 0
	s_subb_u32 s18, s7, 0
	;; [unrolled: 4-line block ×3, first 2 shown]
	s_cmp_ge_u32 s16, s33
	s_cselect_b32 s72, -1, 0
	s_cmp_eq_u32 s18, 0
	s_cselect_b32 s72, s72, -1
	s_cmp_lg_u32 s72, 0
	s_cselect_b32 s18, s62, s18
	s_cselect_b32 s16, s19, s16
	s_cmp_ge_u32 s2, s33
	s_cselect_b32 s19, -1, 0
	s_cmp_eq_u32 s7, 0
	s_cselect_b32 s19, s19, -1
	s_cmp_lg_u32 s19, 0
	s_cselect_b32 s19, s18, s7
	s_cselect_b32 s18, s16, s2
	s_mov_b32 s2, 0
	s_branch .LBB126_427
.LBB126_424:                            ;   in Loop: Header=BB126_18 Depth=1
                                        ; implicit-def: $sgpr20_sgpr21
	s_branch .LBB126_379
.LBB126_425:                            ;   in Loop: Header=BB126_18 Depth=1
                                        ; implicit-def: $sgpr16_sgpr17
	s_branch .LBB126_395
.LBB126_426:                            ;   in Loop: Header=BB126_18 Depth=1
	s_mov_b32 s2, -1
                                        ; implicit-def: $sgpr18_sgpr19
.LBB126_427:                            ;   in Loop: Header=BB126_18 Depth=1
	s_andn2_b32 vcc_lo, exec_lo, s2
	s_cbranch_vccnz .LBB126_429
; %bb.428:                              ;   in Loop: Header=BB126_18 Depth=1
	v_cvt_f32_u32_e32 v6, s33
	s_sub_i32 s7, 0, s33
	v_rcp_iflag_f32_e32 v6, v6
	v_mul_f32_e32 v6, 0x4f7ffffe, v6
	v_cvt_u32_f32_e32 v6, v6
	v_readfirstlane_b32 s2, v6
	s_mul_i32 s7, s7, s2
	s_mul_hi_u32 s7, s2, s7
	s_add_i32 s2, s2, s7
	s_mul_hi_u32 s2, s56, s2
	s_mul_i32 s2, s2, s33
	s_sub_i32 s2, s56, s2
	s_sub_i32 s7, s2, s33
	s_cmp_ge_u32 s2, s33
	s_cselect_b32 s2, s7, s2
	s_sub_i32 s7, s2, s33
	s_cmp_ge_u32 s2, s33
	s_cselect_b32 s72, s7, s2
	s_mov_b64 s[18:19], s[72:73]
.LBB126_429:                            ;   in Loop: Header=BB126_18 Depth=1
	s_sub_u32 s16, s56, s18
	s_subb_u32 s17, s17, s19
	s_mov_b32 s19, 0
	s_mov_b32 s18, 0
	s_mov_b32 s56, exec_lo
                                        ; implicit-def: $vgpr30
	v_cmpx_gt_u64_e64 s[16:17], v[0:1]
	s_cbranch_execz .LBB126_438
; %bb.430:                              ;   in Loop: Header=BB126_18 Depth=1
	v_mov_b32_e32 v7, v1
	v_mov_b32_e32 v8, v0
	;; [unrolled: 1-line block ×3, first 2 shown]
                                        ; implicit-def: $sgpr62
	s_inst_prefetch 0x1
	s_branch .LBB126_433
	.p2align	6
.LBB126_431:                            ;   in Loop: Header=BB126_433 Depth=2
	s_or_b32 exec_lo, exec_lo, s72
	s_waitcnt lgkmcnt(0)
	s_barrier
	buffer_gl0_inv
	ds_read_u16 v9, v3 offset:3072
	s_mov_b32 s2, -1
	s_waitcnt lgkmcnt(0)
	s_barrier
	buffer_gl0_inv
	v_cmp_ne_u32_sdwa s7, v9, v3 src0_sel:BYTE_0 src1_sel:DWORD
	s_and_b32 vcc_lo, exec_lo, s7
	s_mov_b32 s7, -1
	s_cbranch_vccz .LBB126_436
.LBB126_432:                            ;   in Loop: Header=BB126_433 Depth=2
	s_and_b32 s2, exec_lo, s2
	s_or_b32 s18, s2, s18
	s_andn2_b32 s2, s62, exec_lo
	s_and_b32 s7, s7, exec_lo
	s_or_b32 s62, s2, s7
	s_andn2_b32 exec_lo, exec_lo, s18
	s_cbranch_execz .LBB126_437
.LBB126_433:                            ;   Parent Loop BB126_18 Depth=1
                                        ; =>  This Inner Loop Header: Depth=2
	s_mov_b32 s72, exec_lo
	v_cmpx_gt_u64_e64 s[14:15], v[6:7]
	s_cbranch_execz .LBB126_431
; %bb.434:                              ;   in Loop: Header=BB126_433 Depth=2
	ds_read_u8 v9, v8
	s_waitcnt lgkmcnt(0)
	v_and_b32_e32 v10, v9, v29
	v_cmp_eq_u32_sdwa s2, v10, v26 src0_sel:BYTE_0 src1_sel:DWORD
	s_and_b32 exec_lo, exec_lo, s2
	s_cbranch_execz .LBB126_431
; %bb.435:                              ;   in Loop: Header=BB126_433 Depth=2
	v_lshlrev_b16 v9, 8, v9
	v_or_b32_e32 v9, 1, v9
	ds_write_b16 v3, v9 offset:3072
	s_branch .LBB126_431
.LBB126_436:                            ;   in Loop: Header=BB126_433 Depth=2
	v_add_co_u32 v6, vcc_lo, v6, s33
	v_add_co_ci_u32_e64 v7, null, 0, v7, vcc_lo
	v_add_nc_u32_e32 v8, s33, v8
	s_mov_b32 s7, 0
	v_cmp_le_u64_e32 vcc_lo, s[16:17], v[6:7]
	s_orn2_b32 s2, vcc_lo, exec_lo
	s_branch .LBB126_432
.LBB126_437:                            ;   in Loop: Header=BB126_18 Depth=1
	s_inst_prefetch 0x2
	s_or_b32 exec_lo, exec_lo, s18
	v_lshrrev_b32_sdwa v30, v28, v9 dst_sel:DWORD dst_unused:UNUSED_PAD src0_sel:DWORD src1_sel:WORD_0
	s_and_b32 s18, s62, exec_lo
.LBB126_438:                            ;   in Loop: Header=BB126_18 Depth=1
	s_or_b32 exec_lo, exec_lo, s56
.LBB126_439:                            ;   in Loop: Header=BB126_18 Depth=1
	s_and_b32 vcc_lo, exec_lo, s19
	s_cbranch_vccz .LBB126_455
; %bb.440:                              ;   in Loop: Header=BB126_18 Depth=1
	s_mov_b32 s74, s73
	s_cmp_lg_u64 s[74:75], 0
	s_cbranch_scc0 .LBB126_442
; %bb.441:                              ;   in Loop: Header=BB126_18 Depth=1
	v_cvt_f32_u32_e32 v6, s33
	s_sub_u32 s14, 0, s33
	s_subb_u32 s15, 0, 0
	v_fmac_f32_e64 v6, 0x4f800000, 0
	v_rcp_f32_e32 v6, v6
	v_mul_f32_e32 v6, 0x5f7ffffc, v6
	v_mul_f32_e32 v7, 0x2f800000, v6
	v_trunc_f32_e32 v7, v7
	v_fmac_f32_e32 v6, 0xcf800000, v7
	v_cvt_u32_f32_e32 v7, v7
	v_cvt_u32_f32_e32 v6, v6
	v_readfirstlane_b32 s2, v7
	v_readfirstlane_b32 s7, v6
	s_mul_i32 s16, s14, s2
	s_mul_hi_u32 s19, s14, s7
	s_mul_i32 s17, s15, s7
	s_add_i32 s16, s19, s16
	s_mul_i32 s56, s14, s7
	s_add_i32 s16, s16, s17
	s_mul_hi_u32 s19, s7, s56
	s_mul_i32 s72, s7, s16
	s_mul_hi_u32 s62, s2, s56
	s_mul_i32 s17, s2, s56
	s_mul_hi_u32 s56, s7, s16
	s_add_u32 s19, s19, s72
	s_addc_u32 s56, 0, s56
	s_mul_hi_u32 s74, s2, s16
	s_add_u32 s17, s19, s17
	s_mul_i32 s16, s2, s16
	s_addc_u32 s17, s56, s62
	s_addc_u32 s19, s74, 0
	s_add_u32 s16, s17, s16
	s_addc_u32 s17, 0, s19
	s_add_u32 s7, s7, s16
	s_cselect_b32 s16, -1, 0
	s_mul_hi_u32 s19, s14, s7
	s_cmp_lg_u32 s16, 0
	s_mul_i32 s16, s14, s7
	s_addc_u32 s2, s2, s17
	s_mul_i32 s15, s15, s7
	s_mul_i32 s14, s14, s2
	s_mul_hi_u32 s17, s7, s16
	s_add_i32 s14, s19, s14
	s_mul_hi_u32 s19, s2, s16
	s_add_i32 s14, s14, s15
	s_mul_i32 s15, s2, s16
	s_mul_i32 s62, s7, s14
	s_mul_hi_u32 s56, s7, s14
	s_add_u32 s17, s17, s62
	s_addc_u32 s56, 0, s56
	s_mul_hi_u32 s16, s2, s14
	s_add_u32 s15, s17, s15
	s_mul_i32 s14, s2, s14
	s_addc_u32 s15, s56, s19
	s_addc_u32 s16, s16, 0
	s_add_u32 s14, s15, s14
	s_addc_u32 s15, 0, s16
	s_add_u32 s7, s7, s14
	s_cselect_b32 s14, -1, 0
	s_mul_hi_u32 s16, s96, s7
	s_cmp_lg_u32 s14, 0
	s_mul_hi_u32 s14, s75, s7
	s_addc_u32 s2, s2, s15
	s_mul_i32 s7, s75, s7
	s_mul_i32 s17, s96, s2
	s_mul_hi_u32 s15, s96, s2
	s_add_u32 s16, s16, s17
	s_addc_u32 s15, 0, s15
	s_mul_hi_u32 s19, s75, s2
	s_add_u32 s7, s16, s7
	s_mul_i32 s2, s75, s2
	s_addc_u32 s7, s15, s14
	s_addc_u32 s14, s19, 0
	s_add_u32 s2, s7, s2
	s_addc_u32 s7, 0, s14
	s_mul_hi_u32 s14, s33, s2
	s_mul_i32 s7, s33, s7
	s_mul_i32 s2, s33, s2
	s_add_i32 s14, s14, s7
	s_sub_u32 s2, s96, s2
	s_cselect_b32 s7, -1, 0
	s_cmp_lg_u32 s7, 0
	s_subb_u32 s7, s75, s14
	s_sub_u32 s14, s2, s33
	s_cselect_b32 s15, -1, 0
	s_cmp_lg_u32 s15, 0
	s_subb_u32 s15, s7, 0
	;; [unrolled: 4-line block ×3, first 2 shown]
	s_cmp_ge_u32 s14, s33
	s_cselect_b32 s19, -1, 0
	s_cmp_eq_u32 s15, 0
	s_cselect_b32 s19, s19, -1
	s_cmp_lg_u32 s19, 0
	s_cselect_b32 s15, s17, s15
	s_cselect_b32 s14, s16, s14
	s_cmp_ge_u32 s2, s33
	s_cselect_b32 s16, -1, 0
	s_cmp_eq_u32 s7, 0
	s_cselect_b32 s16, s16, -1
	s_cmp_lg_u32 s16, 0
	s_cselect_b32 s15, s15, s7
	s_cselect_b32 s14, s14, s2
	s_mov_b32 s2, 0
	s_branch .LBB126_443
.LBB126_442:                            ;   in Loop: Header=BB126_18 Depth=1
	s_mov_b32 s2, -1
                                        ; implicit-def: $sgpr14_sgpr15
.LBB126_443:                            ;   in Loop: Header=BB126_18 Depth=1
	s_andn2_b32 vcc_lo, exec_lo, s2
	s_cbranch_vccnz .LBB126_445
; %bb.444:                              ;   in Loop: Header=BB126_18 Depth=1
	v_cvt_f32_u32_e32 v6, s33
	s_sub_i32 s7, 0, s33
	v_rcp_iflag_f32_e32 v6, v6
	v_mul_f32_e32 v6, 0x4f7ffffe, v6
	v_cvt_u32_f32_e32 v6, v6
	v_readfirstlane_b32 s2, v6
	s_mul_i32 s7, s7, s2
	s_mul_hi_u32 s7, s2, s7
	s_add_i32 s2, s2, s7
	s_mul_hi_u32 s2, s96, s2
	s_mul_i32 s2, s2, s33
	s_sub_i32 s2, s96, s2
	s_sub_i32 s7, s2, s33
	s_cmp_ge_u32 s2, s33
	s_cselect_b32 s2, s7, s2
	s_sub_i32 s7, s2, s33
	s_cmp_ge_u32 s2, s33
	s_cselect_b32 s72, s7, s2
	s_mov_b64 s[14:15], s[72:73]
.LBB126_445:                            ;   in Loop: Header=BB126_18 Depth=1
	s_sub_u32 s14, s96, s14
	s_subb_u32 s15, s75, s15
	s_mov_b32 s16, exec_lo
                                        ; implicit-def: $vgpr30
	v_cmpx_gt_u64_e64 s[14:15], v[0:1]
	s_cbranch_execz .LBB126_454
; %bb.446:                              ;   in Loop: Header=BB126_18 Depth=1
	v_mov_b32_e32 v7, v1
	v_mov_b32_e32 v6, v0
	s_mov_b32 s17, 0
                                        ; implicit-def: $sgpr19
	s_branch .LBB126_449
.LBB126_447:                            ;   in Loop: Header=BB126_449 Depth=2
	s_or_b32 exec_lo, exec_lo, s56
	s_waitcnt lgkmcnt(0)
	s_barrier
	buffer_gl0_inv
	ds_read_u16 v8, v3 offset:3072
	s_mov_b32 s7, -1
	s_waitcnt lgkmcnt(0)
	s_barrier
	buffer_gl0_inv
	v_cmp_eq_u32_sdwa s2, v8, v3 src0_sel:BYTE_0 src1_sel:DWORD
	s_and_b32 vcc_lo, exec_lo, s2
	s_mov_b32 s2, -1
	s_cbranch_vccnz .LBB126_452
.LBB126_448:                            ;   in Loop: Header=BB126_449 Depth=2
	s_and_b32 s7, exec_lo, s7
	s_or_b32 s17, s7, s17
	s_andn2_b32 s7, s19, exec_lo
	s_and_b32 s2, s2, exec_lo
	s_or_b32 s19, s7, s2
	s_andn2_b32 exec_lo, exec_lo, s17
	s_cbranch_execz .LBB126_453
.LBB126_449:                            ;   Parent Loop BB126_18 Depth=1
                                        ; =>  This Inner Loop Header: Depth=2
	s_mov_b32 s56, exec_lo
	v_cmpx_gt_u64_e64 s[36:37], v[6:7]
	s_cbranch_execz .LBB126_447
; %bb.450:                              ;   in Loop: Header=BB126_449 Depth=2
	v_mul_lo_u32 v10, v6, s31
	v_mul_lo_u32 v11, v7, s30
	v_mad_u64_u32 v[8:9], null, v6, s30, s[28:29]
	v_add3_u32 v9, v11, v9, v10
	global_load_ubyte v8, v[8:9], off
	s_waitcnt vmcnt(0)
	v_and_b32_e32 v9, v8, v29
	v_cmp_eq_u32_sdwa s2, v9, v26 src0_sel:BYTE_0 src1_sel:DWORD
	s_and_b32 exec_lo, exec_lo, s2
	s_cbranch_execz .LBB126_447
; %bb.451:                              ;   in Loop: Header=BB126_449 Depth=2
	v_lshlrev_b16 v8, 8, v8
	v_or_b32_e32 v8, 1, v8
	ds_write_b16 v3, v8 offset:3072
	s_branch .LBB126_447
.LBB126_452:                            ;   in Loop: Header=BB126_449 Depth=2
	v_add_co_u32 v6, vcc_lo, v6, s33
	v_add_co_ci_u32_e64 v7, null, 0, v7, vcc_lo
	s_mov_b32 s2, 0
	v_cmp_le_u64_e32 vcc_lo, s[14:15], v[6:7]
	s_orn2_b32 s7, vcc_lo, exec_lo
	s_branch .LBB126_448
.LBB126_453:                            ;   in Loop: Header=BB126_18 Depth=1
	s_or_b32 exec_lo, exec_lo, s17
	v_lshrrev_b32_sdwa v30, v28, v8 dst_sel:DWORD dst_unused:UNUSED_PAD src0_sel:DWORD src1_sel:WORD_0
	s_andn2_b32 s2, s18, exec_lo
	s_and_b32 s7, s19, exec_lo
	s_or_b32 s18, s2, s7
.LBB126_454:                            ;   in Loop: Header=BB126_18 Depth=1
	s_or_b32 exec_lo, exec_lo, s16
	s_mov_b32 s74, 0
	s_mov_b32 s85, -1
.LBB126_455:                            ;   in Loop: Header=BB126_18 Depth=1
	s_orn2_b32 s15, s18, exec_lo
.LBB126_456:                            ;   in Loop: Header=BB126_18 Depth=1
	s_or_b32 exec_lo, exec_lo, s84
	s_mov_b32 s16, 0
	s_and_saveexec_b32 s14, s15
	s_cbranch_execz .LBB126_467
; %bb.457:                              ;   in Loop: Header=BB126_18 Depth=1
	v_mov_b32_e32 v6, 1
	v_mov_b32_e32 v7, 0
	;; [unrolled: 1-line block ×3, first 2 shown]
	s_xor_b32 s2, s83, -1
	s_and_saveexec_b32 s15, s2
	s_cbranch_execz .LBB126_466
; %bb.458:                              ;   in Loop: Header=BB126_18 Depth=1
	s_mov_b32 s2, exec_lo
	v_cmpx_ge_u64_e64 s[12:13], v[4:5]
	s_xor_b32 s16, exec_lo, s2
	s_cbranch_execz .LBB126_463
; %bb.459:                              ;   in Loop: Header=BB126_18 Depth=1
	ds_read_b64 v[6:7], v3 offset:5120
	v_and_b32_e32 v26, s26, v26
	v_or_b32_e32 v29, s11, v29
	s_waitcnt lgkmcnt(0)
	v_cmp_ne_u64_e32 vcc_lo, 0, v[6:7]
	s_cbranch_vccnz .LBB126_463
; %bb.460:                              ;   in Loop: Header=BB126_18 Depth=1
	s_and_saveexec_b32 s2, s3
; %bb.461:                              ;   in Loop: Header=BB126_18 Depth=1
	v_mov_b32_e32 v6, s12
	v_mov_b32_e32 v7, s13
	ds_write_b64 v3, v[6:7] offset:5128
; %bb.462:                              ;   in Loop: Header=BB126_18 Depth=1
	s_or_b32 exec_lo, exec_lo, s2
	s_waitcnt lgkmcnt(0)
	s_barrier
	buffer_gl0_inv
.LBB126_463:                            ;   in Loop: Header=BB126_18 Depth=1
	s_andn2_saveexec_b32 s11, s16
; %bb.464:                              ;   in Loop: Header=BB126_18 Depth=1
	v_sub_co_u32 v4, vcc_lo, v4, s12
	v_subrev_co_ci_u32_e64 v5, null, s13, v5, vcc_lo
; %bb.465:                              ;   in Loop: Header=BB126_18 Depth=1
	s_or_b32 exec_lo, exec_lo, s11
	v_mov_b32_e32 v7, v5
	v_mov_b32_e32 v2, 5
	;; [unrolled: 1-line block ×3, first 2 shown]
.LBB126_466:                            ;   in Loop: Header=BB126_18 Depth=1
	s_or_b32 exec_lo, exec_lo, s15
	v_mov_b32_e32 v4, v6
	v_mov_b32_e32 v5, v7
	s_mov_b32 s16, exec_lo
.LBB126_467:                            ;   in Loop: Header=BB126_18 Depth=1
	s_or_b32 exec_lo, exec_lo, s14
	s_orn2_b32 s14, s16, exec_lo
.LBB126_468:                            ;   in Loop: Header=BB126_18 Depth=1
	s_or_b32 exec_lo, exec_lo, s21
	v_mov_b32_e32 v7, v5
	v_mov_b32_e32 v6, v4
	s_andn2_b32 s2, s82, exec_lo
	s_and_b32 s7, s85, exec_lo
	s_andn2_b32 s11, s81, exec_lo
	s_and_b32 s12, s74, exec_lo
	s_or_b32 s82, s2, s7
	s_or_b32 s81, s11, s12
	s_and_b32 s17, s14, exec_lo
.LBB126_469:                            ;   in Loop: Header=BB126_18 Depth=1
	s_or_b32 exec_lo, exec_lo, s20
	s_orn2_b32 s16, s17, exec_lo
.LBB126_470:                            ;   in Loop: Header=BB126_18 Depth=1
	s_or_b32 exec_lo, exec_lo, s23
	v_mov_b32_e32 v4, v6
	v_mov_b32_e32 v5, v7
	s_andn2_b32 s2, s80, exec_lo
	s_and_b32 s7, s82, exec_lo
	s_andn2_b32 s11, s25, exec_lo
	s_and_b32 s12, s81, exec_lo
	s_or_b32 s80, s2, s7
	s_or_b32 s25, s11, s12
	s_and_b32 s19, s16, exec_lo
.LBB126_471:                            ;   in Loop: Header=BB126_18 Depth=1
	s_or_b32 exec_lo, exec_lo, s22
	s_orn2_b32 s18, s19, exec_lo
.LBB126_472:                            ;   in Loop: Header=BB126_18 Depth=1
	s_or_b32 exec_lo, exec_lo, s6
	s_mov_b32 s6, s79
	s_mov_b32 s11, s78
	s_and_saveexec_b32 s12, s18
; %bb.473:                              ;   in Loop: Header=BB126_18 Depth=1
	v_cmp_ne_u32_e32 vcc_lo, 5, v2
	v_cmp_eq_u32_e64 s6, 5, v2
	s_andn2_b32 s2, s78, exec_lo
	s_andn2_b32 s7, s79, exec_lo
	s_and_b32 s11, vcc_lo, exec_lo
	s_and_b32 s6, s6, exec_lo
	s_or_b32 s11, s2, s11
	s_or_b32 s6, s7, s6
; %bb.474:                              ;   in Loop: Header=BB126_18 Depth=1
	s_or_b32 exec_lo, exec_lo, s12
	s_andn2_b32 s2, s9, exec_lo
	s_and_b32 s7, s80, exec_lo
	s_andn2_b32 s12, s27, exec_lo
	s_and_b32 s13, s25, exec_lo
	s_or_b32 s9, s2, s7
	s_andn2_b32 s2, s78, exec_lo
	s_and_b32 s7, s11, exec_lo
	s_andn2_b32 s11, s79, exec_lo
	s_and_b32 s6, s6, exec_lo
	s_or_b32 s27, s12, s13
	s_or_b32 s78, s2, s7
	;; [unrolled: 1-line block ×3, first 2 shown]
.LBB126_475:                            ;   in Loop: Header=BB126_18 Depth=1
	s_or_b32 exec_lo, exec_lo, s24
	s_mov_b32 s80, 0
	s_mov_b32 s81, 0
	s_and_saveexec_b32 s2, s79
.LBB126_476:                            ;   in Loop: Header=BB126_18 Depth=1
	v_mov_b32_e32 v2, 0
	s_or_b32 s78, s78, exec_lo
.LBB126_477:                            ;   in Loop: Header=BB126_18 Depth=1
	s_or_b32 exec_lo, exec_lo, s2
	s_andn2_b32 s2, s50, exec_lo
	s_and_b32 s6, s9, exec_lo
	s_andn2_b32 s7, s48, exec_lo
	s_and_b32 s9, s27, exec_lo
	v_mov_b32_e32 v20, v5
	v_mov_b32_e32 v19, v4
	s_or_b32 s50, s2, s6
	s_or_b32 s48, s7, s9
	s_andn2_b32 s2, s8, exec_lo
	s_and_b32 s6, s81, exec_lo
	s_andn2_b32 s7, s51, exec_lo
	s_and_b32 s9, s80, exec_lo
	s_mov_b32 s11, -1
	s_andn2_b32 s49, s49, exec_lo
	s_or_b32 s8, s2, s6
	s_or_b32 s51, s7, s9
	s_and_saveexec_b32 s2, s78
	s_xor_b32 s6, exec_lo, s2
	s_cbranch_execz .LBB126_17
; %bb.478:                              ;   in Loop: Header=BB126_18 Depth=1
	s_mov_b32 s9, -1
	s_mov_b32 s2, exec_lo
	v_cmpx_eq_u32_e32 0, v2
	s_cbranch_execz .LBB126_16
; %bb.479:                              ;   in Loop: Header=BB126_18 Depth=1
	s_xor_b32 s55, s55, 1
	s_add_i32 s7, s69, -2
	s_cmp_eq_u32 s69, 0
	s_mov_b32 s69, s7
	s_cselect_b32 s9, -1, 0
	s_xor_b32 s11, exec_lo, -1
	s_orn2_b32 s9, s9, exec_lo
	s_branch .LBB126_16
.LBB126_480:
	s_or_b32 exec_lo, exec_lo, s52
	s_xor_b32 s7, s61, -1
	s_xor_b32 s9, s67, -1
	;; [unrolled: 1-line block ×5, first 2 shown]
	s_mov_b32 s8, 0
	s_and_saveexec_b32 s11, s10
	s_xor_b32 s14, exec_lo, s11
	s_cbranch_execnz .LBB126_485
; %bb.481:
	s_andn2_saveexec_b32 s0, s14
	s_cbranch_execnz .LBB126_504
.LBB126_482:
	s_or_b32 exec_lo, exec_lo, s0
	s_and_saveexec_b32 s0, s8
.LBB126_483:
	; divergent unreachable
.LBB126_484:
	s_endpgm
.LBB126_485:
	s_and_saveexec_b32 s10, s2
	s_xor_b32 s15, exec_lo, s10
	s_cbranch_execz .LBB126_502
; %bb.486:
	s_and_saveexec_b32 s2, s9
	s_xor_b32 s16, exec_lo, s2
	s_cbranch_execz .LBB126_500
; %bb.487:
	;; [unrolled: 4-line block ×3, first 2 shown]
	s_and_saveexec_b32 s2, s6
	s_xor_b32 s2, exec_lo, s2
; %bb.489:
	v_mov_b32_e32 v30, v26
; %bb.490:
	s_or_b32 exec_lo, exec_lo, s2
	s_and_saveexec_b32 s2, s3
	v_readlane_b32 s35, v49, 6
; %bb.491:
	v_mov_b32_e32 v2, 0
	v_mov_b32_e32 v3, v2
	ds_write_b64 v2, v[2:3] offset:5136
; %bb.492:
	s_or_b32 exec_lo, exec_lo, s2
	v_mov_b32_e32 v14, 0
	s_waitcnt lgkmcnt(0)
	s_barrier
	buffer_gl0_inv
	s_and_saveexec_b32 s2, s1
	s_cbranch_execz .LBB126_494
; %bb.493:
	global_load_ubyte v14, v[12:13], off
.LBB126_494:
	s_or_b32 exec_lo, exec_lo, s2
	s_clause 0x3
	s_load_dwordx2 s[26:27], s[4:5], 0x450
	s_load_dwordx2 s[40:41], s[4:5], 0x2a8
	s_load_dwordx4 s[20:23], s[4:5], 0x1d8
	s_load_dwordx4 s[48:51], s[4:5], 0x298
	s_add_u32 s2, s36, 31
	s_addc_u32 s7, s37, 0
	s_and_b32 s6, s2, 0xffffffe0
	s_mul_i32 s2, s64, s47
	s_mul_hi_u32 s3, s64, s46
	s_mul_i32 s8, s64, s46
	s_add_i32 s3, s3, s2
	s_sub_u32 s2, s34, s8
	s_subb_u32 s3, 0, s3
	v_cmp_gt_u64_e32 vcc_lo, s[6:7], v[0:1]
	s_waitcnt lgkmcnt(0)
	s_mul_i32 s8, s2, s27
	s_mul_hi_u32 s9, s2, s26
	s_mul_i32 s3, s3, s26
	s_add_i32 s8, s9, s8
	s_mul_i32 s13, s58, s22
	s_add_i32 s3, s8, s3
	v_readlane_b32 s8, v49, 0
	v_readlane_b32 s9, v49, 1
	s_mul_i32 s2, s2, s26
	s_mov_b32 s24, s8
	s_mul_i32 s8, s8, s21
	s_mul_hi_u32 s9, s24, s20
	s_mul_i32 s10, s24, s20
	s_add_i32 s9, s9, s8
	s_sub_u32 s8, s58, s10
	s_subb_u32 s9, s59, s9
	s_mul_i32 s10, s8, s51
	s_mul_hi_u32 s11, s8, s50
	s_mul_i32 s9, s9, s50
	s_add_i32 s10, s11, s10
	s_mul_i32 s11, s24, s49
	s_mul_hi_u32 s12, s24, s48
	s_add_i32 s10, s10, s9
	s_add_i32 s12, s12, s11
	s_mul_i32 s9, s58, s23
	s_mul_hi_u32 s11, s58, s22
	v_readlane_b32 s20, v49, 2
	s_add_i32 s11, s11, s9
	s_sub_u32 s9, s34, s13
	s_subb_u32 s11, 0, s11
	s_mul_i32 s13, s9, s41
	s_mul_hi_u32 s18, s9, s40
	s_mul_i32 s11, s11, s40
	s_mul_i32 s23, s9, s40
	s_load_dwordx4 s[40:43], s[4:5], 0x440
	s_add_i32 s13, s18, s13
	s_mul_hi_u32 s19, s20, s44
	s_add_i32 s13, s13, s11
	s_mul_i32 s11, s20, s45
	s_mul_i32 s18, s24, s48
	s_mov_b32 s24, s20
	s_mul_i32 s20, s20, s44
	s_add_i32 s19, s19, s11
	s_sub_u32 s22, s64, s20
	s_subb_u32 s19, s65, s19
	v_readlane_b32 s21, v49, 3
	s_mul_i32 s8, s8, s50
	s_waitcnt lgkmcnt(0)
	s_mul_i32 s9, s22, s43
	s_mul_hi_u32 s11, s22, s42
	s_mul_hi_u32 s20, s24, s40
	s_add_i32 s9, s11, s9
	s_mul_i32 s11, s24, s41
	s_mul_i32 s19, s19, s42
	s_add_i32 s21, s20, s11
	s_mul_i32 s20, s24, s40
	s_load_dwordx2 s[24:25], s[4:5], 0x1c8
	s_add_i32 s19, s9, s19
	s_waitcnt lgkmcnt(0)
	s_add_u32 s9, s24, s18
	s_addc_u32 s11, s25, s12
	s_add_u32 s12, s9, s8
	s_addc_u32 s18, s11, s10
	s_clause 0x1
	s_load_dwordx2 s[8:9], s[4:5], 0x368
	s_load_dwordx2 s[10:11], s[4:5], 0x510
	s_add_u32 s12, s12, s23
	s_addc_u32 s13, s18, s13
	s_lshl_b64 s[4:5], s[20:21], 3
	v_readlane_b32 s20, v49, 4
	v_readlane_b32 s21, v49, 5
	s_mul_i32 s18, s22, s42
	s_add_u32 s20, s20, s4
	s_addc_u32 s21, s21, s5
	s_lshl_b64 s[4:5], s[18:19], 3
	s_mov_b32 s19, 0
	s_add_u32 s4, s20, s4
	s_addc_u32 s18, s21, s5
	s_lshl_b64 s[2:3], s[2:3], 3
	s_add_u32 s5, s4, s2
	s_addc_u32 s18, s18, s3
	s_mov_b32 s4, -1
	s_mov_b32 s3, 0
	s_and_saveexec_b32 s20, vcc_lo
	s_cbranch_execnz .LBB126_505
; %bb.495:
	s_or_b32 exec_lo, exec_lo, s20
	s_and_saveexec_b32 s2, s4
	s_cbranch_execnz .LBB126_520
.LBB126_496:
	s_or_b32 exec_lo, exec_lo, s2
	s_and_saveexec_b32 s0, s3
	s_xor_b32 s0, exec_lo, s0
	s_cbranch_execnz .LBB126_543
.LBB126_497:
	s_or_b32 exec_lo, exec_lo, s0
	s_waitcnt lgkmcnt(0)
	s_and_b32 s8, s19, exec_lo
.LBB126_498:
	s_andn2_saveexec_b32 s0, s17
	s_cbranch_execnz .LBB126_545
.LBB126_499:
	s_or_b32 exec_lo, exec_lo, s0
	s_and_b32 s8, s8, exec_lo
.LBB126_500:
	s_andn2_saveexec_b32 s0, s16
	s_cbranch_execnz .LBB126_544
.LBB126_501:
	s_or_b32 exec_lo, exec_lo, s0
	s_and_b32 s8, s8, exec_lo
.LBB126_502:
	s_andn2_saveexec_b32 s0, s15
	s_cbranch_execnz .LBB126_539
.LBB126_503:
	s_or_b32 exec_lo, exec_lo, s0
	s_and_b32 s8, s8, exec_lo
	s_andn2_saveexec_b32 s0, s14
	s_cbranch_execz .LBB126_482
.LBB126_504:
	s_or_b32 s8, s8, exec_lo
	s_trap 2
	s_or_b32 exec_lo, exec_lo, s0
	s_and_saveexec_b32 s0, s8
	s_cbranch_execnz .LBB126_483
	s_branch .LBB126_484
.LBB126_505:
	v_mov_b32_e32 v9, v1
	v_mov_b32_e32 v3, 0
	;; [unrolled: 1-line block ×3, first 2 shown]
	s_mov_b32 s21, 0
                                        ; implicit-def: $sgpr22
                                        ; implicit-def: $vgpr6_vgpr7
	s_branch .LBB126_507
.LBB126_506:                            ;   in Loop: Header=BB126_507 Depth=1
	s_or_b32 exec_lo, exec_lo, s24
	s_xor_b32 s2, s23, -1
	s_and_b32 s3, exec_lo, s4
	v_mov_b32_e32 v9, v5
	v_mov_b32_e32 v14, v15
	s_or_b32 s21, s3, s21
	v_mov_b32_e32 v8, v4
	s_andn2_b32 s3, s22, exec_lo
	s_and_b32 s2, s2, exec_lo
	s_or_b32 s22, s3, s2
	s_andn2_b32 exec_lo, exec_lo, s21
	s_cbranch_execz .LBB126_519
.LBB126_507:                            ; =>This Inner Loop Header: Depth=1
	v_add_co_u32 v4, s3, v8, s33
	v_add_co_ci_u32_e64 v5, null, 0, v9, s3
	v_mov_b32_e32 v15, 0
	s_mov_b32 s2, exec_lo
	v_cmpx_gt_u64_e64 s[36:37], v[4:5]
	s_cbranch_execz .LBB126_509
; %bb.508:                              ;   in Loop: Header=BB126_507 Depth=1
	v_mad_u64_u32 v[10:11], null, v4, s30, s[28:29]
	v_mul_lo_u32 v2, v4, s31
	v_mul_lo_u32 v15, v5, s30
	v_add3_u32 v11, v15, v11, v2
	global_load_ubyte v15, v[10:11], off
.LBB126_509:                            ;   in Loop: Header=BB126_507 Depth=1
	s_or_b32 exec_lo, exec_lo, s2
	s_waitcnt vmcnt(0)
	v_cmp_gt_u16_sdwa s2, v14, v30 src0_sel:BYTE_0 src1_sel:BYTE_0
	v_cmp_gt_u64_e64 s3, s[36:37], v[8:9]
	v_cndmask_b32_e64 v2, 0, 1, s2
	v_cmp_lt_u16_sdwa s2, v14, v30 src0_sel:BYTE_0 src1_sel:BYTE_0
	v_cndmask_b32_e64 v10, 0, 1, s2
	v_cndmask_b32_e64 v2, v10, v2, s35
	v_and_b32_e32 v2, 1, v2
	v_cmp_eq_u32_e64 s4, 1, v2
	s_and_b32 s23, s3, s4
	v_cndmask_b32_e64 v2, 0, 1, s23
	v_cmp_ne_u32_e64 s3, 0, v2
	s_cmp_lg_u32 s3, 0
	s_cselect_b32 s2, -1, 0
	s_and_b32 s2, s0, s2
	s_and_saveexec_b32 s24, s2
	s_cbranch_execz .LBB126_513
; %bb.510:                              ;   in Loop: Header=BB126_507 Depth=1
	s_mov_b32 s26, exec_lo
	s_bcnt1_i32_b32 s25, s3
	v_mbcnt_lo_u32_b32 v10, s26, 0
	s_mov_b32 s2, exec_lo
                                        ; implicit-def: $vgpr6_vgpr7
	v_cmpx_eq_u32_e32 0, v10
	s_cbranch_execz .LBB126_512
; %bb.511:                              ;   in Loop: Header=BB126_507 Depth=1
	s_bcnt1_i32_b32 s4, s26
	s_mul_i32 s4, s25, s4
	v_mov_b32_e32 v2, s4
	s_waitcnt lgkmcnt(0)
	ds_add_rtn_u64 v[6:7], v3, v[2:3] offset:5136
.LBB126_512:                            ;   in Loop: Header=BB126_507 Depth=1
	s_or_b32 exec_lo, exec_lo, s2
	s_waitcnt lgkmcnt(0)
	v_readfirstlane_b32 s27, v7
	v_readfirstlane_b32 s26, v6
	v_mad_u64_u32 v[6:7], null, s25, v10, s[26:27]
.LBB126_513:                            ;   in Loop: Header=BB126_507 Depth=1
	s_or_b32 exec_lo, exec_lo, s24
	s_waitcnt lgkmcnt(0)
	ds_bpermute_b32 v6, v3, v6
	ds_bpermute_b32 v7, v3, v7
	s_mov_b32 s4, -1
	s_mov_b32 s2, -1
	s_and_saveexec_b32 s24, s23
	s_cbranch_execz .LBB126_517
; %bb.514:                              ;   in Loop: Header=BB126_507 Depth=1
	v_and_b32_e32 v2, s3, v23
	s_mov_b32 s23, 0
	s_mov_b32 s25, exec_lo
	v_bcnt_u32_b32 v2, v2, 0
	s_waitcnt lgkmcnt(0)
	v_add_co_u32 v10, s3, v6, v2
	v_add_co_ci_u32_e64 v11, null, 0, v7, s3
	v_cmpx_gt_u64_e64 s[38:39], v[10:11]
; %bb.515:                              ;   in Loop: Header=BB126_507 Depth=1
	v_mul_lo_u32 v2, v11, s10
	v_mul_lo_u32 v20, v10, s11
	v_mad_u64_u32 v[16:17], null, v10, s10, 0
	v_mad_u64_u32 v[18:19], null, v10, s8, s[12:13]
	v_mul_lo_u32 v21, v10, s9
	s_mov_b32 s23, exec_lo
	v_add3_u32 v17, v17, v20, v2
	v_mul_lo_u32 v2, v11, s8
	v_lshlrev_b64 v[10:11], 3, v[16:17]
	v_add3_u32 v19, v2, v19, v21
	v_add_co_u32 v10, s3, s5, v10
	v_add_co_ci_u32_e64 v11, null, s18, v11, s3
	global_store_byte v[18:19], v14, off
	global_store_dwordx2 v[10:11], v[8:9], off
; %bb.516:                              ;   in Loop: Header=BB126_507 Depth=1
	s_or_b32 exec_lo, exec_lo, s25
	s_orn2_b32 s2, s23, exec_lo
.LBB126_517:                            ;   in Loop: Header=BB126_507 Depth=1
	s_or_b32 exec_lo, exec_lo, s24
	s_mov_b32 s23, -1
	s_and_saveexec_b32 s24, s2
	s_cbranch_execz .LBB126_506
; %bb.518:                              ;   in Loop: Header=BB126_507 Depth=1
	v_cmp_le_u64_e64 s3, s[6:7], v[4:5]
	s_xor_b32 s23, exec_lo, -1
	s_orn2_b32 s4, s3, exec_lo
	s_branch .LBB126_506
.LBB126_519:
	s_or_b32 exec_lo, exec_lo, s21
	s_mov_b32 s3, exec_lo
	s_orn2_b32 s4, s22, exec_lo
	s_or_b32 exec_lo, exec_lo, s20
	s_and_saveexec_b32 s2, s4
	s_cbranch_execz .LBB126_496
.LBB126_520:
	v_mov_b32_e32 v2, 0
	s_waitcnt vmcnt(0) lgkmcnt(0)
	s_waitcnt_vscnt null, 0x0
	s_barrier
	buffer_gl0_inv
	s_and_saveexec_b32 s4, s1
	s_cbranch_execz .LBB126_522
; %bb.521:
	global_load_ubyte v2, v[12:13], off
.LBB126_522:
	s_or_b32 exec_lo, exec_lo, s4
	s_mov_b32 s1, 0
	s_and_saveexec_b32 s4, vcc_lo
	s_cbranch_execz .LBB126_542
; %bb.523:
	v_mov_b32_e32 v3, 0
	s_mov_b32 s19, 0
                                        ; implicit-def: $sgpr20
                                        ; implicit-def: $vgpr6_vgpr7
	s_branch .LBB126_526
.LBB126_524:                            ;   in Loop: Header=BB126_526 Depth=1
	s_or_b32 exec_lo, exec_lo, s21
	s_orn2_b32 s23, s24, exec_lo
	s_orn2_b32 s22, s22, exec_lo
.LBB126_525:                            ;   in Loop: Header=BB126_526 Depth=1
	s_or_b32 exec_lo, exec_lo, s1
	s_xor_b32 s1, s23, -1
	s_and_b32 s21, exec_lo, s22
	v_mov_b32_e32 v0, v4
	v_mov_b32_e32 v1, v5
	s_or_b32 s19, s21, s19
	v_mov_b32_e32 v2, v10
	s_andn2_b32 s20, s20, exec_lo
	s_and_b32 s1, s1, exec_lo
	s_or_b32 s20, s20, s1
	s_andn2_b32 exec_lo, exec_lo, s19
	s_cbranch_execz .LBB126_540
.LBB126_526:                            ; =>This Inner Loop Header: Depth=1
	v_add_co_u32 v4, vcc_lo, v0, s33
	v_add_co_ci_u32_e64 v5, null, 0, v1, vcc_lo
	v_mov_b32_e32 v10, 0
	s_mov_b32 s1, exec_lo
	v_cmpx_gt_u64_e64 s[36:37], v[4:5]
	s_cbranch_execz .LBB126_528
; %bb.527:                              ;   in Loop: Header=BB126_526 Depth=1
	v_mad_u64_u32 v[8:9], null, v4, s30, s[28:29]
	v_mul_lo_u32 v10, v4, s31
	v_mul_lo_u32 v11, v5, s30
	v_add3_u32 v9, v11, v9, v10
	global_load_ubyte v10, v[8:9], off
.LBB126_528:                            ;   in Loop: Header=BB126_526 Depth=1
	s_or_b32 exec_lo, exec_lo, s1
	v_cmp_gt_u64_e32 vcc_lo, s[36:37], v[0:1]
	s_waitcnt vmcnt(0)
	v_cmp_eq_u16_sdwa s1, v2, v30 src0_sel:BYTE_0 src1_sel:BYTE_0
	s_and_b32 s21, vcc_lo, s1
	v_cndmask_b32_e64 v2, 0, 1, s21
	v_cmp_ne_u32_e32 vcc_lo, 0, v2
	s_cmp_lg_u32 vcc_lo, 0
	s_cselect_b32 s1, -1, 0
	s_and_b32 s1, s0, s1
	s_and_saveexec_b32 s22, s1
	s_cbranch_execz .LBB126_532
; %bb.529:                              ;   in Loop: Header=BB126_526 Depth=1
	s_mov_b32 s25, exec_lo
	s_bcnt1_i32_b32 s23, vcc_lo
	v_mbcnt_lo_u32_b32 v8, s25, 0
	s_mov_b32 s24, exec_lo
                                        ; implicit-def: $vgpr6_vgpr7
	v_cmpx_eq_u32_e32 0, v8
; %bb.530:                              ;   in Loop: Header=BB126_526 Depth=1
	s_bcnt1_i32_b32 s1, s25
	s_mul_i32 s1, s23, s1
	v_mov_b32_e32 v2, s1
	ds_add_rtn_u64 v[6:7], v3, v[2:3] offset:5136
; %bb.531:                              ;   in Loop: Header=BB126_526 Depth=1
	s_or_b32 exec_lo, exec_lo, s24
	s_waitcnt lgkmcnt(0)
	v_readfirstlane_b32 s25, v7
	v_readfirstlane_b32 s24, v6
	v_mad_u64_u32 v[6:7], null, s23, v8, s[24:25]
.LBB126_532:                            ;   in Loop: Header=BB126_526 Depth=1
	s_or_b32 exec_lo, exec_lo, s22
	ds_bpermute_b32 v6, v3, v6
	ds_bpermute_b32 v7, v3, v7
	s_cmp_eq_u32 vcc_lo, 0
	s_mov_b32 s22, -1
	s_cselect_b32 s23, -1, 0
	s_waitcnt lgkmcnt(0)
	v_cmp_gt_u64_e64 s1, s[38:39], v[6:7]
	s_or_b32 s24, s23, s1
	s_mov_b32 s23, -1
	s_and_saveexec_b32 s1, s24
	s_cbranch_execz .LBB126_525
; %bb.533:                              ;   in Loop: Header=BB126_526 Depth=1
	v_and_b32_e32 v2, vcc_lo, v23
	v_sub_co_u32 v8, vcc_lo, s38, v6
	v_sub_co_ci_u32_e64 v9, null, s39, v7, vcc_lo
	v_bcnt_u32_b32 v2, v2, 0
	s_mov_b32 s24, -1
	v_bcnt_u32_b32 v2, 0, v2
	v_cmp_gt_u64_e32 vcc_lo, v[8:9], v[2:3]
	s_and_b32 s25, s21, vcc_lo
	s_and_saveexec_b32 s21, s25
	s_cbranch_execz .LBB126_537
; %bb.534:                              ;   in Loop: Header=BB126_526 Depth=1
	v_add_co_u32 v8, vcc_lo, v6, v2
	v_add_co_ci_u32_e64 v9, null, 0, v7, vcc_lo
	s_mov_b32 s23, 0
	s_mov_b32 s24, exec_lo
	v_cmpx_gt_u64_e64 s[38:39], v[8:9]
; %bb.535:                              ;   in Loop: Header=BB126_526 Depth=1
	v_mul_lo_u32 v2, v9, s10
	v_mul_lo_u32 v15, v8, s11
	v_mad_u64_u32 v[11:12], null, v8, s10, 0
	v_mad_u64_u32 v[13:14], null, v8, s8, s[12:13]
	v_mul_lo_u32 v16, v8, s9
	s_mov_b32 s23, exec_lo
	v_add3_u32 v12, v12, v15, v2
	v_mul_lo_u32 v2, v9, s8
	v_lshlrev_b64 v[8:9], 3, v[11:12]
	v_add3_u32 v14, v2, v14, v16
	v_add_co_u32 v8, vcc_lo, s5, v8
	v_add_co_ci_u32_e64 v9, null, s18, v9, vcc_lo
	global_store_byte v[13:14], v30, off
	global_store_dwordx2 v[8:9], v[0:1], off
; %bb.536:                              ;   in Loop: Header=BB126_526 Depth=1
	s_or_b32 exec_lo, exec_lo, s24
	s_xor_b32 s24, exec_lo, -1
	s_orn2_b32 s23, s23, exec_lo
.LBB126_537:                            ;   in Loop: Header=BB126_526 Depth=1
	s_or_b32 exec_lo, exec_lo, s21
	s_and_saveexec_b32 s21, s23
	s_cbranch_execz .LBB126_524
; %bb.538:                              ;   in Loop: Header=BB126_526 Depth=1
	v_cmp_le_u64_e32 vcc_lo, s[6:7], v[4:5]
	s_or_b32 s24, s24, exec_lo
	s_orn2_b32 s22, vcc_lo, exec_lo
	s_branch .LBB126_524
.LBB126_539:
	s_or_b32 s8, s8, exec_lo
	s_trap 2
	s_branch .LBB126_503
.LBB126_540:
	s_or_b32 exec_lo, exec_lo, s19
	s_mov_b32 s0, 0
	s_and_saveexec_b32 s1, s20
	s_xor_b32 s1, exec_lo, s1
	s_cbranch_execnz .LBB126_546
.LBB126_541:
	s_or_b32 exec_lo, exec_lo, s1
	s_and_b32 s1, s0, exec_lo
.LBB126_542:
	s_or_b32 exec_lo, exec_lo, s4
	s_and_b32 s19, s1, exec_lo
	s_andn2_b32 s3, s3, exec_lo
	s_or_b32 exec_lo, exec_lo, s2
	s_and_saveexec_b32 s0, s3
	s_xor_b32 s0, exec_lo, s0
	s_cbranch_execz .LBB126_497
.LBB126_543:
	s_or_b32 s19, s19, exec_lo
	s_trap 2
	s_branch .LBB126_497
.LBB126_544:
	s_or_b32 s8, s8, exec_lo
	s_trap 2
	s_branch .LBB126_501
.LBB126_545:
	s_or_b32 s8, s8, exec_lo
	s_trap 2
	s_branch .LBB126_499
.LBB126_546:
	s_mov_b32 s0, exec_lo
	s_trap 2
	s_branch .LBB126_541
	.section	.rodata,"a",@progbits
	.p2align	6, 0x0
	.amdhsa_kernel _ZN2at6native6sbtopk10gatherTopKIhmLi3ELb0EEEvNS_4cuda6detail10TensorInfoIKT_T0_EES8_S8_bS8_S8_NS5_IS6_S8_EES8_NS5_IlS8_EES8_PS6_
		.amdhsa_group_segment_fixed_size 5152
		.amdhsa_private_segment_fixed_size 0
		.amdhsa_kernarg_size 1568
		.amdhsa_user_sgpr_count 6
		.amdhsa_user_sgpr_private_segment_buffer 1
		.amdhsa_user_sgpr_dispatch_ptr 0
		.amdhsa_user_sgpr_queue_ptr 0
		.amdhsa_user_sgpr_kernarg_segment_ptr 1
		.amdhsa_user_sgpr_dispatch_id 0
		.amdhsa_user_sgpr_flat_scratch_init 0
		.amdhsa_user_sgpr_private_segment_size 0
		.amdhsa_wavefront_size32 1
		.amdhsa_uses_dynamic_stack 0
		.amdhsa_system_sgpr_private_segment_wavefront_offset 0
		.amdhsa_system_sgpr_workgroup_id_x 1
		.amdhsa_system_sgpr_workgroup_id_y 1
		.amdhsa_system_sgpr_workgroup_id_z 1
		.amdhsa_system_sgpr_workgroup_info 0
		.amdhsa_system_vgpr_workitem_id 0
		.amdhsa_next_free_vgpr 50
		.amdhsa_next_free_sgpr 105
		.amdhsa_reserve_vcc 1
		.amdhsa_reserve_flat_scratch 0
		.amdhsa_float_round_mode_32 0
		.amdhsa_float_round_mode_16_64 0
		.amdhsa_float_denorm_mode_32 3
		.amdhsa_float_denorm_mode_16_64 3
		.amdhsa_dx10_clamp 1
		.amdhsa_ieee_mode 1
		.amdhsa_fp16_overflow 0
		.amdhsa_workgroup_processor_mode 1
		.amdhsa_memory_ordered 1
		.amdhsa_forward_progress 1
		.amdhsa_shared_vgpr_count 0
		.amdhsa_exception_fp_ieee_invalid_op 0
		.amdhsa_exception_fp_denorm_src 0
		.amdhsa_exception_fp_ieee_div_zero 0
		.amdhsa_exception_fp_ieee_overflow 0
		.amdhsa_exception_fp_ieee_underflow 0
		.amdhsa_exception_fp_ieee_inexact 0
		.amdhsa_exception_int_div_zero 0
	.end_amdhsa_kernel
	.section	.text._ZN2at6native6sbtopk10gatherTopKIhmLi3ELb0EEEvNS_4cuda6detail10TensorInfoIKT_T0_EES8_S8_bS8_S8_NS5_IS6_S8_EES8_NS5_IlS8_EES8_PS6_,"axG",@progbits,_ZN2at6native6sbtopk10gatherTopKIhmLi3ELb0EEEvNS_4cuda6detail10TensorInfoIKT_T0_EES8_S8_bS8_S8_NS5_IS6_S8_EES8_NS5_IlS8_EES8_PS6_,comdat
.Lfunc_end126:
	.size	_ZN2at6native6sbtopk10gatherTopKIhmLi3ELb0EEEvNS_4cuda6detail10TensorInfoIKT_T0_EES8_S8_bS8_S8_NS5_IS6_S8_EES8_NS5_IlS8_EES8_PS6_, .Lfunc_end126-_ZN2at6native6sbtopk10gatherTopKIhmLi3ELb0EEEvNS_4cuda6detail10TensorInfoIKT_T0_EES8_S8_bS8_S8_NS5_IS6_S8_EES8_NS5_IlS8_EES8_PS6_
                                        ; -- End function
	.set _ZN2at6native6sbtopk10gatherTopKIhmLi3ELb0EEEvNS_4cuda6detail10TensorInfoIKT_T0_EES8_S8_bS8_S8_NS5_IS6_S8_EES8_NS5_IlS8_EES8_PS6_.num_vgpr, 50
	.set _ZN2at6native6sbtopk10gatherTopKIhmLi3ELb0EEEvNS_4cuda6detail10TensorInfoIKT_T0_EES8_S8_bS8_S8_NS5_IS6_S8_EES8_NS5_IlS8_EES8_PS6_.num_agpr, 0
	.set _ZN2at6native6sbtopk10gatherTopKIhmLi3ELb0EEEvNS_4cuda6detail10TensorInfoIKT_T0_EES8_S8_bS8_S8_NS5_IS6_S8_EES8_NS5_IlS8_EES8_PS6_.numbered_sgpr, 105
	.set _ZN2at6native6sbtopk10gatherTopKIhmLi3ELb0EEEvNS_4cuda6detail10TensorInfoIKT_T0_EES8_S8_bS8_S8_NS5_IS6_S8_EES8_NS5_IlS8_EES8_PS6_.num_named_barrier, 0
	.set _ZN2at6native6sbtopk10gatherTopKIhmLi3ELb0EEEvNS_4cuda6detail10TensorInfoIKT_T0_EES8_S8_bS8_S8_NS5_IS6_S8_EES8_NS5_IlS8_EES8_PS6_.private_seg_size, 0
	.set _ZN2at6native6sbtopk10gatherTopKIhmLi3ELb0EEEvNS_4cuda6detail10TensorInfoIKT_T0_EES8_S8_bS8_S8_NS5_IS6_S8_EES8_NS5_IlS8_EES8_PS6_.uses_vcc, 1
	.set _ZN2at6native6sbtopk10gatherTopKIhmLi3ELb0EEEvNS_4cuda6detail10TensorInfoIKT_T0_EES8_S8_bS8_S8_NS5_IS6_S8_EES8_NS5_IlS8_EES8_PS6_.uses_flat_scratch, 0
	.set _ZN2at6native6sbtopk10gatherTopKIhmLi3ELb0EEEvNS_4cuda6detail10TensorInfoIKT_T0_EES8_S8_bS8_S8_NS5_IS6_S8_EES8_NS5_IlS8_EES8_PS6_.has_dyn_sized_stack, 0
	.set _ZN2at6native6sbtopk10gatherTopKIhmLi3ELb0EEEvNS_4cuda6detail10TensorInfoIKT_T0_EES8_S8_bS8_S8_NS5_IS6_S8_EES8_NS5_IlS8_EES8_PS6_.has_recursion, 0
	.set _ZN2at6native6sbtopk10gatherTopKIhmLi3ELb0EEEvNS_4cuda6detail10TensorInfoIKT_T0_EES8_S8_bS8_S8_NS5_IS6_S8_EES8_NS5_IlS8_EES8_PS6_.has_indirect_call, 0
	.section	.AMDGPU.csdata,"",@progbits
; Kernel info:
; codeLenInByte = 25948
; TotalNumSgprs: 107
; NumVgprs: 50
; ScratchSize: 0
; MemoryBound: 0
; FloatMode: 240
; IeeeMode: 1
; LDSByteSize: 5152 bytes/workgroup (compile time only)
; SGPRBlocks: 0
; VGPRBlocks: 6
; NumSGPRsForWavesPerEU: 107
; NumVGPRsForWavesPerEU: 50
; Occupancy: 16
; WaveLimiterHint : 1
; COMPUTE_PGM_RSRC2:SCRATCH_EN: 0
; COMPUTE_PGM_RSRC2:USER_SGPR: 6
; COMPUTE_PGM_RSRC2:TRAP_HANDLER: 0
; COMPUTE_PGM_RSRC2:TGID_X_EN: 1
; COMPUTE_PGM_RSRC2:TGID_Y_EN: 1
; COMPUTE_PGM_RSRC2:TGID_Z_EN: 1
; COMPUTE_PGM_RSRC2:TIDIG_COMP_CNT: 0
	.section	.text._ZN2at6native6mbtopk23computeBlockDigitCountsIhmjLin1EEEvNS_4cuda6detail10TensorInfoIKT_T0_EEjPjjS8_iijT1_PSB_Ps,"axG",@progbits,_ZN2at6native6mbtopk23computeBlockDigitCountsIhmjLin1EEEvNS_4cuda6detail10TensorInfoIKT_T0_EEjPjjS8_iijT1_PSB_Ps,comdat
	.protected	_ZN2at6native6mbtopk23computeBlockDigitCountsIhmjLin1EEEvNS_4cuda6detail10TensorInfoIKT_T0_EEjPjjS8_iijT1_PSB_Ps ; -- Begin function _ZN2at6native6mbtopk23computeBlockDigitCountsIhmjLin1EEEvNS_4cuda6detail10TensorInfoIKT_T0_EEjPjjS8_iijT1_PSB_Ps
	.globl	_ZN2at6native6mbtopk23computeBlockDigitCountsIhmjLin1EEEvNS_4cuda6detail10TensorInfoIKT_T0_EEjPjjS8_iijT1_PSB_Ps
	.p2align	8
	.type	_ZN2at6native6mbtopk23computeBlockDigitCountsIhmjLin1EEEvNS_4cuda6detail10TensorInfoIKT_T0_EEjPjjS8_iijT1_PSB_Ps,@function
_ZN2at6native6mbtopk23computeBlockDigitCountsIhmjLin1EEEvNS_4cuda6detail10TensorInfoIKT_T0_EEjPjjS8_iijT1_PSB_Ps: ; @_ZN2at6native6mbtopk23computeBlockDigitCountsIhmjLin1EEEvNS_4cuda6detail10TensorInfoIKT_T0_EEjPjjS8_iijT1_PSB_Ps
; %bb.0:
	s_clause 0x2
	s_load_dwordx4 s[0:3], s[4:5], 0x1c0
	s_load_dword s12, s[4:5], 0x1b0
	s_load_dwordx2 s[10:11], s[4:5], 0x1e0
	s_waitcnt lgkmcnt(0)
	v_cvt_f32_u32_e32 v1, s2
	s_mul_i32 s8, s11, s8
	s_sub_i32 s11, 0, s2
	s_add_i32 s7, s8, s7
	v_rcp_iflag_f32_e32 v1, v1
	s_mul_i32 s24, s7, s10
	s_add_i32 s24, s24, s6
	v_mul_f32_e32 v1, 0x4f7ffffe, v1
	v_cvt_u32_f32_e32 v1, v1
	v_readfirstlane_b32 s9, v1
	s_mul_i32 s11, s11, s9
	s_mul_hi_u32 s7, s9, s11
	s_add_i32 s9, s9, s7
	s_mul_hi_u32 s6, s24, s9
	s_mul_i32 s7, s6, s2
	s_add_i32 s8, s6, 1
	s_sub_i32 s7, s24, s7
	s_sub_i32 s9, s7, s2
	s_cmp_ge_u32 s7, s2
	s_cselect_b32 s6, s8, s6
	s_cselect_b32 s7, s9, s7
	s_add_i32 s8, s6, 1
	s_cmp_ge_u32 s7, s2
	s_mov_b32 s7, 0
	s_cselect_b32 s6, s8, s6
	s_cmp_ge_u32 s6, s12
	s_cbranch_scc1 .LBB127_34
; %bb.1:
	s_clause 0x1
	s_load_dwordx4 s[8:11], s[4:5], 0x1d0
	s_load_dword s14, s[4:5], 0x198
	s_lshl_b64 s[12:13], s[6:7], 2
	s_mov_b64 s[20:21], s[6:7]
	s_waitcnt lgkmcnt(0)
	s_add_u32 s12, s8, s12
	s_addc_u32 s13, s9, s13
	s_cmp_lt_i32 s14, 2
	s_mov_b64 s[8:9], 0
	s_cbranch_scc1 .LBB127_7
; %bb.2:
	s_add_i32 s16, s14, -1
	s_mov_b32 s17, 0
	s_add_i32 s7, s14, 1
	s_lshl_b64 s[8:9], s[16:17], 3
	s_add_u32 s8, s4, s8
	s_addc_u32 s9, s5, s9
	s_add_u32 s18, s8, 8
	s_addc_u32 s19, s9, 0
	s_mov_b64 s[8:9], 0
.LBB127_3:                              ; =>This Inner Loop Header: Depth=1
	s_load_dwordx2 s[22:23], s[18:19], 0x0
	s_waitcnt lgkmcnt(0)
	v_cmp_lt_u64_e64 s14, s[20:21], s[22:23]
	s_and_b32 vcc_lo, exec_lo, s14
	s_mov_b64 s[14:15], 0
	s_cbranch_vccnz .LBB127_5
; %bb.4:                                ;   in Loop: Header=BB127_3 Depth=1
	v_cvt_f32_u32_e32 v1, s22
	s_sub_i32 s15, 0, s22
	v_rcp_iflag_f32_e32 v1, v1
	v_mul_f32_e32 v1, 0x4f7ffffe, v1
	v_cvt_u32_f32_e32 v1, v1
	v_readfirstlane_b32 s14, v1
	s_mul_i32 s15, s15, s14
	s_mul_hi_u32 s15, s14, s15
	s_add_i32 s14, s14, s15
	s_mul_hi_u32 s14, s20, s14
	s_mul_i32 s15, s14, s22
	s_add_i32 s16, s14, 1
	s_sub_i32 s15, s20, s15
	s_sub_i32 s25, s15, s22
	s_cmp_ge_u32 s15, s22
	s_cselect_b32 s14, s16, s14
	s_cselect_b32 s15, s25, s15
	s_add_i32 s16, s14, 1
	s_cmp_ge_u32 s15, s22
	s_cselect_b32 s16, s16, s14
	s_mov_b64 s[14:15], s[16:17]
.LBB127_5:                              ;   in Loop: Header=BB127_3 Depth=1
	s_load_dwordx2 s[26:27], s[18:19], 0xc8
	s_mul_i32 s16, s14, s23
	s_mul_hi_u32 s23, s14, s22
	s_mul_i32 s22, s14, s22
	s_add_i32 s23, s23, s16
	s_sub_u32 s16, s20, s22
	s_subb_u32 s20, s21, s23
	s_waitcnt lgkmcnt(0)
	s_mul_i32 s20, s26, s20
	s_mul_hi_u32 s21, s26, s16
	s_mul_i32 s22, s27, s16
	s_add_i32 s20, s21, s20
	s_mul_i32 s16, s26, s16
	s_add_i32 s20, s20, s22
	s_add_u32 s8, s16, s8
	s_addc_u32 s9, s20, s9
	s_add_i32 s7, s7, -1
	s_add_u32 s18, s18, -8
	s_addc_u32 s19, s19, -1
	s_cmp_gt_u32 s7, 2
	s_cbranch_scc0 .LBB127_8
; %bb.6:                                ;   in Loop: Header=BB127_3 Depth=1
	s_mov_b64 s[20:21], s[14:15]
	s_branch .LBB127_3
.LBB127_7:
	s_mov_b64 s[14:15], s[20:21]
.LBB127_8:
	s_load_dword s12, s[12:13], 0x0
	v_cmp_gt_u32_e32 vcc_lo, 0x100, v0
	v_lshlrev_b32_e32 v1, 2, v0
	s_and_saveexec_b32 s7, vcc_lo
; %bb.9:
	v_mov_b32_e32 v2, 0
	ds_write_b32 v1, v2
; %bb.10:
	s_or_b32 exec_lo, exec_lo, s7
	s_load_dword s13, s[4:5], 0x1a0
	s_mul_i32 s6, s6, s2
	s_waitcnt lgkmcnt(0)
	s_sub_i32 s6, s24, s6
	s_barrier
	s_mul_i32 s7, s1, s6
	s_add_i32 s16, s6, 1
	s_lshl_b32 s15, s7, 8
	buffer_gl0_inv
	s_sub_i32 s7, s13, s15
	s_add_u32 s6, s7, 0xff
	s_addc_u32 s7, 0, 0
	s_lshr_b64 s[6:7], s[6:7], 8
	s_cmp_lt_u32 s16, s2
	s_mov_b32 s16, 0
	s_cselect_b32 s2, s1, s6
	s_cmp_lt_i32 s2, 1
	s_cbranch_scc1 .LBB127_32
; %bb.11:
	s_clause 0x2
	s_load_dwordx2 s[18:19], s[4:5], 0xd0
	s_load_dwordx2 s[6:7], s[4:5], 0x1b8
	;; [unrolled: 1-line block ×3, first 2 shown]
	s_waitcnt lgkmcnt(0)
	s_mul_i32 s1, s19, s14
	s_mul_hi_u32 s17, s18, s14
	s_mul_i32 s14, s18, s14
	s_add_i32 s17, s17, s1
	s_add_u32 s1, s4, s14
	s_addc_u32 s5, s5, s17
	s_add_u32 s4, s1, s8
	s_addc_u32 s5, s5, s9
	s_and_b32 s1, s0, 0xff
	s_cmp_lt_u32 s2, 4
	s_cbranch_scc1 .LBB127_26
; %bb.12:
	v_add_nc_u32_e32 v2, s15, v0
	v_mov_b32_e32 v3, 1
	s_and_b32 s16, s2, 0x7ffffffc
	s_mov_b32 s8, 0
	s_branch .LBB127_14
.LBB127_13:                             ;   in Loop: Header=BB127_14 Depth=1
	s_or_b32 exec_lo, exec_lo, s9
	v_add_nc_u32_e32 v2, 0x400, v2
	s_add_i32 s8, s8, 4
	s_cmp_eq_u32 s16, s8
	s_cbranch_scc1 .LBB127_26
.LBB127_14:                             ; =>This Inner Loop Header: Depth=1
	s_mov_b32 s9, exec_lo
	v_cmpx_gt_u32_e64 s13, v2
	s_cbranch_execz .LBB127_17
; %bb.15:                               ;   in Loop: Header=BB127_14 Depth=1
	v_mad_u64_u32 v[4:5], null, s6, v2, s[4:5]
	v_mad_u64_u32 v[5:6], null, s7, v2, v[5:6]
	global_load_ubyte v4, v[4:5], off
	s_waitcnt vmcnt(0)
	v_xor_b32_e32 v5, s12, v4
	v_and_b32_e32 v5, s3, v5
	v_cmp_eq_u32_e64 s0, 0, v5
	s_and_b32 exec_lo, exec_lo, s0
; %bb.16:                               ;   in Loop: Header=BB127_14 Depth=1
	v_lshrrev_b32_e32 v4, s1, v4
	v_lshlrev_b32_e32 v4, 2, v4
	ds_add_u32 v4, v3
.LBB127_17:                             ;   in Loop: Header=BB127_14 Depth=1
	s_or_b32 exec_lo, exec_lo, s9
	v_add_nc_u32_e32 v4, 0x100, v2
	s_mov_b32 s9, exec_lo
	v_cmpx_gt_u32_e64 s13, v4
	s_cbranch_execz .LBB127_20
; %bb.18:                               ;   in Loop: Header=BB127_14 Depth=1
	v_mad_u64_u32 v[5:6], null, s6, v4, s[4:5]
	v_mad_u64_u32 v[6:7], null, s7, v4, v[6:7]
	global_load_ubyte v4, v[5:6], off
	s_waitcnt vmcnt(0)
	v_xor_b32_e32 v5, s12, v4
	v_and_b32_e32 v5, s3, v5
	v_cmp_eq_u32_e64 s0, 0, v5
	s_and_b32 exec_lo, exec_lo, s0
; %bb.19:                               ;   in Loop: Header=BB127_14 Depth=1
	v_lshrrev_b32_e32 v4, s1, v4
	v_lshlrev_b32_e32 v4, 2, v4
	ds_add_u32 v4, v3
.LBB127_20:                             ;   in Loop: Header=BB127_14 Depth=1
	s_or_b32 exec_lo, exec_lo, s9
	v_add_nc_u32_e32 v4, 0x200, v2
	;; [unrolled: 19-line block ×3, first 2 shown]
	s_mov_b32 s9, exec_lo
	v_cmpx_gt_u32_e64 s13, v4
	s_cbranch_execz .LBB127_13
; %bb.24:                               ;   in Loop: Header=BB127_14 Depth=1
	v_mad_u64_u32 v[5:6], null, s6, v4, s[4:5]
	v_mad_u64_u32 v[6:7], null, s7, v4, v[6:7]
	global_load_ubyte v4, v[5:6], off
	s_waitcnt vmcnt(0)
	v_xor_b32_e32 v5, s12, v4
	v_and_b32_e32 v5, s3, v5
	v_cmp_eq_u32_e64 s0, 0, v5
	s_and_b32 exec_lo, exec_lo, s0
	s_cbranch_execz .LBB127_13
; %bb.25:                               ;   in Loop: Header=BB127_14 Depth=1
	v_lshrrev_b32_e32 v4, s1, v4
	v_lshlrev_b32_e32 v4, 2, v4
	ds_add_u32 v4, v3
	s_branch .LBB127_13
.LBB127_26:
	s_and_b32 s2, s2, 3
	s_cmp_eq_u32 s2, 0
	s_cbranch_scc1 .LBB127_32
; %bb.27:
	s_lshl_b32 s0, s16, 8
	v_mov_b32_e32 v3, 1
	v_add3_u32 v2, s0, s15, v0
	s_inst_prefetch 0x1
	s_branch .LBB127_29
	.p2align	6
.LBB127_28:                             ;   in Loop: Header=BB127_29 Depth=1
	s_or_b32 exec_lo, exec_lo, s8
	v_add_nc_u32_e32 v2, 0x100, v2
	s_add_i32 s2, s2, -1
	s_cmp_lg_u32 s2, 0
	s_cbranch_scc0 .LBB127_32
.LBB127_29:                             ; =>This Inner Loop Header: Depth=1
	s_mov_b32 s8, exec_lo
	v_cmpx_gt_u32_e64 s13, v2
	s_cbranch_execz .LBB127_28
; %bb.30:                               ;   in Loop: Header=BB127_29 Depth=1
	v_mad_u64_u32 v[4:5], null, s6, v2, s[4:5]
	v_mad_u64_u32 v[5:6], null, s7, v2, v[5:6]
	global_load_ubyte v4, v[4:5], off
	s_waitcnt vmcnt(0)
	v_xor_b32_e32 v5, s12, v4
	v_and_b32_e32 v5, s3, v5
	v_cmp_eq_u32_e64 s0, 0, v5
	s_and_b32 exec_lo, exec_lo, s0
	s_cbranch_execz .LBB127_28
; %bb.31:                               ;   in Loop: Header=BB127_29 Depth=1
	v_lshrrev_b32_e32 v4, s1, v4
	v_lshlrev_b32_e32 v4, 2, v4
	ds_add_u32 v4, v3
	s_branch .LBB127_28
.LBB127_32:
	s_inst_prefetch 0x2
	s_waitcnt lgkmcnt(0)
	s_barrier
	buffer_gl0_inv
	s_and_saveexec_b32 s0, vcc_lo
	s_cbranch_execz .LBB127_34
; %bb.33:
	ds_read_b32 v2, v1
	v_lshl_or_b32 v0, s24, 8, v0
	v_mov_b32_e32 v1, 0
	v_lshlrev_b64 v[0:1], 1, v[0:1]
	v_add_co_u32 v0, vcc_lo, s10, v0
	v_add_co_ci_u32_e64 v1, null, s11, v1, vcc_lo
	s_waitcnt lgkmcnt(0)
	global_store_short v[0:1], v2, off
.LBB127_34:
	s_endpgm
	.section	.rodata,"a",@progbits
	.p2align	6, 0x0
	.amdhsa_kernel _ZN2at6native6mbtopk23computeBlockDigitCountsIhmjLin1EEEvNS_4cuda6detail10TensorInfoIKT_T0_EEjPjjS8_iijT1_PSB_Ps
		.amdhsa_group_segment_fixed_size 1024
		.amdhsa_private_segment_fixed_size 0
		.amdhsa_kernarg_size 736
		.amdhsa_user_sgpr_count 6
		.amdhsa_user_sgpr_private_segment_buffer 1
		.amdhsa_user_sgpr_dispatch_ptr 0
		.amdhsa_user_sgpr_queue_ptr 0
		.amdhsa_user_sgpr_kernarg_segment_ptr 1
		.amdhsa_user_sgpr_dispatch_id 0
		.amdhsa_user_sgpr_flat_scratch_init 0
		.amdhsa_user_sgpr_private_segment_size 0
		.amdhsa_wavefront_size32 1
		.amdhsa_uses_dynamic_stack 0
		.amdhsa_system_sgpr_private_segment_wavefront_offset 0
		.amdhsa_system_sgpr_workgroup_id_x 1
		.amdhsa_system_sgpr_workgroup_id_y 1
		.amdhsa_system_sgpr_workgroup_id_z 1
		.amdhsa_system_sgpr_workgroup_info 0
		.amdhsa_system_vgpr_workitem_id 0
		.amdhsa_next_free_vgpr 8
		.amdhsa_next_free_sgpr 28
		.amdhsa_reserve_vcc 1
		.amdhsa_reserve_flat_scratch 0
		.amdhsa_float_round_mode_32 0
		.amdhsa_float_round_mode_16_64 0
		.amdhsa_float_denorm_mode_32 3
		.amdhsa_float_denorm_mode_16_64 3
		.amdhsa_dx10_clamp 1
		.amdhsa_ieee_mode 1
		.amdhsa_fp16_overflow 0
		.amdhsa_workgroup_processor_mode 1
		.amdhsa_memory_ordered 1
		.amdhsa_forward_progress 1
		.amdhsa_shared_vgpr_count 0
		.amdhsa_exception_fp_ieee_invalid_op 0
		.amdhsa_exception_fp_denorm_src 0
		.amdhsa_exception_fp_ieee_div_zero 0
		.amdhsa_exception_fp_ieee_overflow 0
		.amdhsa_exception_fp_ieee_underflow 0
		.amdhsa_exception_fp_ieee_inexact 0
		.amdhsa_exception_int_div_zero 0
	.end_amdhsa_kernel
	.section	.text._ZN2at6native6mbtopk23computeBlockDigitCountsIhmjLin1EEEvNS_4cuda6detail10TensorInfoIKT_T0_EEjPjjS8_iijT1_PSB_Ps,"axG",@progbits,_ZN2at6native6mbtopk23computeBlockDigitCountsIhmjLin1EEEvNS_4cuda6detail10TensorInfoIKT_T0_EEjPjjS8_iijT1_PSB_Ps,comdat
.Lfunc_end127:
	.size	_ZN2at6native6mbtopk23computeBlockDigitCountsIhmjLin1EEEvNS_4cuda6detail10TensorInfoIKT_T0_EEjPjjS8_iijT1_PSB_Ps, .Lfunc_end127-_ZN2at6native6mbtopk23computeBlockDigitCountsIhmjLin1EEEvNS_4cuda6detail10TensorInfoIKT_T0_EEjPjjS8_iijT1_PSB_Ps
                                        ; -- End function
	.set _ZN2at6native6mbtopk23computeBlockDigitCountsIhmjLin1EEEvNS_4cuda6detail10TensorInfoIKT_T0_EEjPjjS8_iijT1_PSB_Ps.num_vgpr, 8
	.set _ZN2at6native6mbtopk23computeBlockDigitCountsIhmjLin1EEEvNS_4cuda6detail10TensorInfoIKT_T0_EEjPjjS8_iijT1_PSB_Ps.num_agpr, 0
	.set _ZN2at6native6mbtopk23computeBlockDigitCountsIhmjLin1EEEvNS_4cuda6detail10TensorInfoIKT_T0_EEjPjjS8_iijT1_PSB_Ps.numbered_sgpr, 28
	.set _ZN2at6native6mbtopk23computeBlockDigitCountsIhmjLin1EEEvNS_4cuda6detail10TensorInfoIKT_T0_EEjPjjS8_iijT1_PSB_Ps.num_named_barrier, 0
	.set _ZN2at6native6mbtopk23computeBlockDigitCountsIhmjLin1EEEvNS_4cuda6detail10TensorInfoIKT_T0_EEjPjjS8_iijT1_PSB_Ps.private_seg_size, 0
	.set _ZN2at6native6mbtopk23computeBlockDigitCountsIhmjLin1EEEvNS_4cuda6detail10TensorInfoIKT_T0_EEjPjjS8_iijT1_PSB_Ps.uses_vcc, 1
	.set _ZN2at6native6mbtopk23computeBlockDigitCountsIhmjLin1EEEvNS_4cuda6detail10TensorInfoIKT_T0_EEjPjjS8_iijT1_PSB_Ps.uses_flat_scratch, 0
	.set _ZN2at6native6mbtopk23computeBlockDigitCountsIhmjLin1EEEvNS_4cuda6detail10TensorInfoIKT_T0_EEjPjjS8_iijT1_PSB_Ps.has_dyn_sized_stack, 0
	.set _ZN2at6native6mbtopk23computeBlockDigitCountsIhmjLin1EEEvNS_4cuda6detail10TensorInfoIKT_T0_EEjPjjS8_iijT1_PSB_Ps.has_recursion, 0
	.set _ZN2at6native6mbtopk23computeBlockDigitCountsIhmjLin1EEEvNS_4cuda6detail10TensorInfoIKT_T0_EEjPjjS8_iijT1_PSB_Ps.has_indirect_call, 0
	.section	.AMDGPU.csdata,"",@progbits
; Kernel info:
; codeLenInByte = 1352
; TotalNumSgprs: 30
; NumVgprs: 8
; ScratchSize: 0
; MemoryBound: 0
; FloatMode: 240
; IeeeMode: 1
; LDSByteSize: 1024 bytes/workgroup (compile time only)
; SGPRBlocks: 0
; VGPRBlocks: 0
; NumSGPRsForWavesPerEU: 30
; NumVGPRsForWavesPerEU: 8
; Occupancy: 16
; WaveLimiterHint : 0
; COMPUTE_PGM_RSRC2:SCRATCH_EN: 0
; COMPUTE_PGM_RSRC2:USER_SGPR: 6
; COMPUTE_PGM_RSRC2:TRAP_HANDLER: 0
; COMPUTE_PGM_RSRC2:TGID_X_EN: 1
; COMPUTE_PGM_RSRC2:TGID_Y_EN: 1
; COMPUTE_PGM_RSRC2:TGID_Z_EN: 1
; COMPUTE_PGM_RSRC2:TIDIG_COMP_CNT: 0
	.section	.text._ZN2at6native6mbtopk10gatherTopKIhmLin1EEEvNS_4cuda6detail10TensorInfoIKT_T0_EES8_S8_bjS8_NS5_IS6_S8_EES8_NS5_IlS8_EES8_jjPS6_PjSD_j,"axG",@progbits,_ZN2at6native6mbtopk10gatherTopKIhmLin1EEEvNS_4cuda6detail10TensorInfoIKT_T0_EES8_S8_bjS8_NS5_IS6_S8_EES8_NS5_IlS8_EES8_jjPS6_PjSD_j,comdat
	.protected	_ZN2at6native6mbtopk10gatherTopKIhmLin1EEEvNS_4cuda6detail10TensorInfoIKT_T0_EES8_S8_bjS8_NS5_IS6_S8_EES8_NS5_IlS8_EES8_jjPS6_PjSD_j ; -- Begin function _ZN2at6native6mbtopk10gatherTopKIhmLin1EEEvNS_4cuda6detail10TensorInfoIKT_T0_EES8_S8_bjS8_NS5_IS6_S8_EES8_NS5_IlS8_EES8_jjPS6_PjSD_j
	.globl	_ZN2at6native6mbtopk10gatherTopKIhmLin1EEEvNS_4cuda6detail10TensorInfoIKT_T0_EES8_S8_bjS8_NS5_IS6_S8_EES8_NS5_IlS8_EES8_jjPS6_PjSD_j
	.p2align	8
	.type	_ZN2at6native6mbtopk10gatherTopKIhmLin1EEEvNS_4cuda6detail10TensorInfoIKT_T0_EES8_S8_bjS8_NS5_IS6_S8_EES8_NS5_IlS8_EES8_jjPS6_PjSD_j,@function
_ZN2at6native6mbtopk10gatherTopKIhmLin1EEEvNS_4cuda6detail10TensorInfoIKT_T0_EES8_S8_bjS8_NS5_IS6_S8_EES8_NS5_IlS8_EES8_jjPS6_PjSD_j: ; @_ZN2at6native6mbtopk10gatherTopKIhmLin1EEEvNS_4cuda6detail10TensorInfoIKT_T0_EES8_S8_bjS8_NS5_IS6_S8_EES8_NS5_IlS8_EES8_jjPS6_PjSD_j
; %bb.0:
	s_clause 0x1
	s_load_dwordx2 s[0:1], s[4:5], 0x538
	s_load_dword s2, s[4:5], 0x530
	s_waitcnt lgkmcnt(0)
	s_mul_i32 s1, s1, s8
	s_add_i32 s1, s1, s7
	s_mul_i32 s0, s1, s0
	s_add_i32 s0, s0, s6
	s_cmp_ge_u32 s0, s2
	s_cbranch_scc1 .LBB128_61
; %bb.1:
	s_clause 0x1
	s_load_dwordx2 s[6:7], s[4:5], 0x510
	s_load_dwordx4 s[8:11], s[4:5], 0x1a0
	s_mov_b32 s13, 0
	s_waitcnt lgkmcnt(0)
	v_cvt_f32_u32_e32 v1, s7
	s_sub_i32 s2, 0, s7
	s_lshl_b32 s33, s6, 8
	v_rcp_iflag_f32_e32 v1, v1
	v_mul_f32_e32 v1, 0x4f7ffffe, v1
	v_cvt_u32_f32_e32 v1, v1
	v_readfirstlane_b32 s1, v1
	s_mul_i32 s2, s2, s1
	s_mul_hi_u32 s2, s1, s2
	s_add_i32 s1, s1, s2
	s_mul_hi_u32 s1, s0, s1
	s_mul_i32 s2, s1, s7
	s_add_i32 s3, s1, 1
	s_sub_i32 s2, s0, s2
	s_sub_i32 s12, s2, s7
	s_cmp_ge_u32 s2, s7
	s_cselect_b32 s1, s3, s1
	s_cselect_b32 s2, s12, s2
	s_add_i32 s3, s1, 1
	s_cmp_ge_u32 s2, s7
	s_cselect_b32 s12, s3, s1
	s_mul_i32 s18, s12, s7
	s_sub_i32 s50, s0, s18
	s_add_i32 s0, s50, 1
	s_cmp_lt_u32 s0, s7
	s_cbranch_scc1 .LBB128_3
; %bb.2:
	s_mul_i32 s0, s50, s33
	s_sub_u32 s0, s8, s0
	s_subb_u32 s1, s9, 0
	s_add_u32 s0, s0, 0xff
	s_addc_u32 s1, s1, 0
	s_ashr_i32 s2, s1, 31
	s_lshr_b32 s2, s2, 24
	s_add_u32 s0, s0, s2
	s_addc_u32 s1, s1, 0
	s_lshr_b64 s[0:1], s[0:1], 8
	s_mov_b32 s6, s0
.LBB128_3:
	s_load_dword s2, s[4:5], 0x198
	s_mov_b64 s[16:17], 0
	s_mov_b64 s[20:21], s[12:13]
	s_waitcnt lgkmcnt(0)
	s_cmp_lt_i32 s2, 2
	s_cbranch_scc1 .LBB128_9
; %bb.4:
	s_add_i32 s0, s2, -1
	s_mov_b32 s1, 0
	s_add_i32 s19, s2, 1
	s_lshl_b64 s[14:15], s[0:1], 3
	s_add_u32 s0, s4, s14
	s_addc_u32 s3, s5, s15
	s_add_u32 s2, s0, 8
	s_addc_u32 s3, s3, 0
	s_mov_b64 s[14:15], s[12:13]
.LBB128_5:                              ; =>This Inner Loop Header: Depth=1
	s_load_dwordx2 s[22:23], s[2:3], 0x0
	s_mov_b64 s[20:21], 0
	s_waitcnt lgkmcnt(0)
	v_cmp_lt_u64_e64 s0, s[14:15], s[22:23]
	s_and_b32 vcc_lo, exec_lo, s0
	s_cbranch_vccnz .LBB128_7
; %bb.6:                                ;   in Loop: Header=BB128_5 Depth=1
	v_cvt_f32_u32_e32 v1, s22
	s_sub_i32 s20, 0, s22
	v_rcp_iflag_f32_e32 v1, v1
	v_mul_f32_e32 v1, 0x4f7ffffe, v1
	v_cvt_u32_f32_e32 v1, v1
	v_readfirstlane_b32 s0, v1
	s_mul_i32 s20, s20, s0
	s_mul_hi_u32 s20, s0, s20
	s_add_i32 s0, s0, s20
	s_mul_hi_u32 s0, s14, s0
	s_mul_i32 s20, s0, s22
	s_add_i32 s21, s0, 1
	s_sub_i32 s20, s14, s20
	s_sub_i32 s24, s20, s22
	s_cmp_ge_u32 s20, s22
	s_cselect_b32 s0, s21, s0
	s_cselect_b32 s20, s24, s20
	s_add_i32 s21, s0, 1
	s_cmp_ge_u32 s20, s22
	s_cselect_b32 s0, s21, s0
	s_mov_b64 s[20:21], s[0:1]
.LBB128_7:                              ;   in Loop: Header=BB128_5 Depth=1
	s_load_dwordx2 s[24:25], s[2:3], 0xc8
	s_mul_i32 s0, s20, s23
	s_mul_hi_u32 s23, s20, s22
	s_mul_i32 s22, s20, s22
	s_add_i32 s23, s23, s0
	s_sub_u32 s0, s14, s22
	s_subb_u32 s14, s15, s23
	s_waitcnt lgkmcnt(0)
	s_mul_i32 s14, s24, s14
	s_mul_hi_u32 s15, s24, s0
	s_mul_i32 s22, s25, s0
	s_add_i32 s14, s15, s14
	s_mul_i32 s0, s24, s0
	s_add_i32 s14, s14, s22
	s_add_u32 s16, s0, s16
	s_addc_u32 s17, s14, s17
	s_add_i32 s19, s19, -1
	s_add_u32 s2, s2, -8
	s_addc_u32 s3, s3, -1
	s_cmp_gt_u32 s19, 2
	s_cbranch_scc0 .LBB128_9
; %bb.8:                                ;   in Loop: Header=BB128_5 Depth=1
	s_mov_b64 s[14:15], s[20:21]
	s_branch .LBB128_5
.LBB128_9:
	s_clause 0x1
	s_load_dword s14, s[4:5], 0x358
	s_load_dwordx2 s[24:25], s[4:5], 0xd0
	s_add_u32 s0, s4, 0x1c0
	s_addc_u32 s1, s5, 0
	s_mov_b64 s[22:23], 0
	s_mov_b64 s[26:27], s[12:13]
	s_waitcnt lgkmcnt(0)
	s_cmp_lt_i32 s14, 2
	s_cbranch_scc1 .LBB128_15
; %bb.10:
	s_add_i32 s2, s14, -1
	s_mov_b32 s3, 0
	s_add_i32 s19, s14, 1
	s_lshl_b64 s[22:23], s[2:3], 3
	s_mov_b64 s[28:29], s[12:13]
	s_add_u32 s2, s0, s22
	s_addc_u32 s15, s1, s23
	s_add_u32 s14, s2, 8
	s_addc_u32 s15, s15, 0
	s_mov_b64 s[22:23], 0
.LBB128_11:                             ; =>This Inner Loop Header: Depth=1
	s_load_dwordx2 s[30:31], s[14:15], 0x0
	s_mov_b64 s[26:27], 0
	s_waitcnt lgkmcnt(0)
	v_cmp_lt_u64_e64 s2, s[28:29], s[30:31]
	s_and_b32 vcc_lo, exec_lo, s2
	s_cbranch_vccnz .LBB128_13
; %bb.12:                               ;   in Loop: Header=BB128_11 Depth=1
	v_cvt_f32_u32_e32 v1, s30
	s_sub_i32 s21, 0, s30
	v_rcp_iflag_f32_e32 v1, v1
	v_mul_f32_e32 v1, 0x4f7ffffe, v1
	v_cvt_u32_f32_e32 v1, v1
	v_readfirstlane_b32 s2, v1
	s_mul_i32 s21, s21, s2
	s_mul_hi_u32 s21, s2, s21
	s_add_i32 s2, s2, s21
	s_mul_hi_u32 s2, s28, s2
	s_mul_i32 s21, s2, s30
	s_add_i32 s26, s2, 1
	s_sub_i32 s21, s28, s21
	s_sub_i32 s27, s21, s30
	s_cmp_ge_u32 s21, s30
	s_cselect_b32 s2, s26, s2
	s_cselect_b32 s21, s27, s21
	s_add_i32 s26, s2, 1
	s_cmp_ge_u32 s21, s30
	s_cselect_b32 s2, s26, s2
	s_mov_b64 s[26:27], s[2:3]
.LBB128_13:                             ;   in Loop: Header=BB128_11 Depth=1
	s_load_dwordx2 s[34:35], s[14:15], 0xc8
	s_mul_i32 s2, s26, s31
	s_mul_hi_u32 s21, s26, s30
	s_mul_i32 s30, s26, s30
	s_add_i32 s21, s21, s2
	s_sub_u32 s2, s28, s30
	s_subb_u32 s21, s29, s21
	s_waitcnt lgkmcnt(0)
	s_mul_i32 s21, s34, s21
	s_mul_hi_u32 s28, s34, s2
	s_mul_i32 s29, s35, s2
	s_add_i32 s21, s28, s21
	s_mul_i32 s2, s34, s2
	s_add_i32 s21, s21, s29
	s_add_u32 s22, s2, s22
	s_addc_u32 s23, s21, s23
	s_add_i32 s19, s19, -1
	s_add_u32 s14, s14, -8
	s_addc_u32 s15, s15, -1
	s_cmp_gt_u32 s19, 2
	s_cbranch_scc0 .LBB128_15
; %bb.14:                               ;   in Loop: Header=BB128_11 Depth=1
	s_mov_b64 s[28:29], s[26:27]
	s_branch .LBB128_11
.LBB128_15:
	s_clause 0x1
	s_load_dword s2, s[4:5], 0x500
	s_load_dwordx2 s[30:31], s[0:1], 0xd0
	s_add_u32 s3, s4, 0x368
	s_addc_u32 s14, s5, 0
	s_mov_b64 s[28:29], 0
	s_waitcnt lgkmcnt(0)
	s_cmp_lt_i32 s2, 2
	s_cbranch_scc1 .LBB128_21
; %bb.16:
	s_add_i32 s0, s2, -1
	s_mov_b32 s1, 0
	s_add_i32 s19, s2, 1
	s_lshl_b64 s[28:29], s[0:1], 3
	s_add_u32 s0, s3, s28
	s_addc_u32 s3, s14, s29
	s_add_u32 s2, s0, 8
	s_addc_u32 s3, s3, 0
	s_mov_b64 s[28:29], 0
	s_mov_b64 s[14:15], s[12:13]
.LBB128_17:                             ; =>This Inner Loop Header: Depth=1
	s_load_dwordx2 s[36:37], s[2:3], 0x0
	s_mov_b64 s[34:35], 0
	s_waitcnt lgkmcnt(0)
	v_cmp_lt_u64_e64 s0, s[14:15], s[36:37]
	s_and_b32 vcc_lo, exec_lo, s0
	s_cbranch_vccnz .LBB128_19
; %bb.18:                               ;   in Loop: Header=BB128_17 Depth=1
	v_cvt_f32_u32_e32 v1, s36
	s_sub_i32 s13, 0, s36
	v_rcp_iflag_f32_e32 v1, v1
	v_mul_f32_e32 v1, 0x4f7ffffe, v1
	v_cvt_u32_f32_e32 v1, v1
	v_readfirstlane_b32 s0, v1
	s_mul_i32 s13, s13, s0
	s_mul_hi_u32 s13, s0, s13
	s_add_i32 s0, s0, s13
	s_mul_hi_u32 s0, s14, s0
	s_mul_i32 s13, s0, s36
	s_add_i32 s21, s0, 1
	s_sub_i32 s13, s14, s13
	s_sub_i32 s27, s13, s36
	s_cmp_ge_u32 s13, s36
	s_cselect_b32 s0, s21, s0
	s_cselect_b32 s13, s27, s13
	s_add_i32 s21, s0, 1
	s_cmp_ge_u32 s13, s36
	s_cselect_b32 s0, s21, s0
	s_mov_b64 s[34:35], s[0:1]
.LBB128_19:                             ;   in Loop: Header=BB128_17 Depth=1
	s_load_dwordx2 s[38:39], s[2:3], 0xc8
	s_mul_i32 s0, s34, s37
	s_mul_hi_u32 s13, s34, s36
	s_mul_i32 s21, s34, s36
	s_add_i32 s13, s13, s0
	s_sub_u32 s0, s14, s21
	s_subb_u32 s13, s15, s13
	s_waitcnt lgkmcnt(0)
	s_mul_i32 s13, s38, s13
	s_mul_hi_u32 s14, s38, s0
	s_mul_i32 s15, s39, s0
	s_add_i32 s13, s14, s13
	s_mul_i32 s0, s38, s0
	s_add_i32 s13, s13, s15
	s_add_u32 s28, s0, s28
	s_addc_u32 s29, s13, s29
	s_add_i32 s19, s19, -1
	s_add_u32 s2, s2, -8
	s_addc_u32 s3, s3, -1
	s_cmp_gt_u32 s19, 2
	s_cbranch_scc0 .LBB128_22
; %bb.20:                               ;   in Loop: Header=BB128_17 Depth=1
	s_mov_b64 s[14:15], s[34:35]
	s_branch .LBB128_17
.LBB128_21:
	s_mov_b64 s[34:35], s[12:13]
.LBB128_22:
	s_load_dwordx4 s[0:3], s[4:5], 0x518
	v_mov_b32_e32 v1, 0
	s_mov_b32 s19, 0
	s_waitcnt lgkmcnt(0)
	s_add_u32 s0, s0, s12
	s_addc_u32 s1, s1, 0
	global_load_ubyte v8, v1, s[0:1]
	s_clause 0x3
	s_load_dwordx2 s[42:43], s[4:5], 0x438
	s_load_dwordx2 s[40:41], s[4:5], 0x0
	;; [unrolled: 1-line block ×4, first 2 shown]
	v_cmp_ne_u32_e64 s0, 0, v0
	v_cmp_eq_u32_e64 s1, 0, v0
	s_and_saveexec_b32 s21, s1
	s_cbranch_execz .LBB128_38
; %bb.23:
	s_load_dwordx2 s[44:45], s[4:5], 0x528
	s_lshl_b64 s[46:47], s[18:19], 2
	s_mov_b32 s18, 0
	s_add_u32 s12, s2, s46
	s_addc_u32 s13, s3, s47
	s_mov_b32 s27, 0
	s_waitcnt lgkmcnt(0)
	s_add_u32 s14, s44, s46
	s_addc_u32 s15, s45, s47
	s_cmp_lt_u32 s7, 4
	s_cbranch_scc1 .LBB128_35
; %bb.24:
	s_mov_b32 s35, 0
.LBB128_25:                             ; =>This Inner Loop Header: Depth=1
	s_add_u32 s12, s2, s46
	s_addc_u32 s13, s3, s47
	s_add_u32 s48, s44, s46
	s_load_dwordx4 s[12:15], s[12:13], 0x0
	s_addc_u32 s49, s45, s47
	s_cmp_ge_u32 s35, s50
	s_cbranch_scc0 .LBB128_32
; %bb.26:                               ;   in Loop: Header=BB128_25 Depth=1
	s_add_i32 s51, s35, 1
	s_cmp_ge_u32 s51, s50
	s_cbranch_scc0 .LBB128_33
.LBB128_27:                             ;   in Loop: Header=BB128_25 Depth=1
	s_add_i32 s51, s51, 1
	s_cmp_ge_u32 s51, s50
	s_cbranch_scc0 .LBB128_34
.LBB128_28:                             ;   in Loop: Header=BB128_25 Depth=1
	s_add_i32 s51, s51, 1
	s_cmp_ge_u32 s51, s50
	s_cbranch_scc1 .LBB128_30
.LBB128_29:                             ;   in Loop: Header=BB128_25 Depth=1
	s_load_dword s48, s[48:49], 0xc
	s_waitcnt lgkmcnt(0)
	s_add_i32 s19, s19, s15
	s_add_i32 s18, s48, s18
.LBB128_30:                             ;   in Loop: Header=BB128_25 Depth=1
	s_waitcnt lgkmcnt(0)
	s_add_i32 s12, s12, s27
	s_add_i32 s12, s12, s13
	;; [unrolled: 1-line block ×4, first 2 shown]
	s_add_u32 s2, s2, 16
	s_addc_u32 s3, s3, 0
	s_add_u32 s44, s44, 16
	s_addc_u32 s45, s45, 0
	s_add_i32 s49, s51, 4
	s_add_u32 s14, s44, s46
	s_addc_u32 s15, s45, s47
	s_add_u32 s12, s2, s46
	s_addc_u32 s13, s3, s47
	s_add_i32 s48, s51, 1
	s_cmp_ge_u32 s49, s7
	s_cbranch_scc1 .LBB128_36
; %bb.31:                               ;   in Loop: Header=BB128_25 Depth=1
	s_mov_b32 s35, s48
	s_branch .LBB128_25
.LBB128_32:                             ;   in Loop: Header=BB128_25 Depth=1
	s_load_dword s51, s[48:49], 0x0
	s_waitcnt lgkmcnt(0)
	s_add_i32 s19, s12, s19
	s_add_i32 s18, s51, s18
	;; [unrolled: 1-line block ×3, first 2 shown]
	s_cmp_ge_u32 s51, s50
	s_cbranch_scc1 .LBB128_27
.LBB128_33:                             ;   in Loop: Header=BB128_25 Depth=1
	s_load_dword s52, s[48:49], 0x4
	s_waitcnt lgkmcnt(0)
	s_add_i32 s19, s19, s13
	s_add_i32 s18, s52, s18
	;; [unrolled: 1-line block ×3, first 2 shown]
	s_cmp_ge_u32 s51, s50
	s_cbranch_scc1 .LBB128_28
.LBB128_34:                             ;   in Loop: Header=BB128_25 Depth=1
	s_load_dword s52, s[48:49], 0x8
	s_waitcnt lgkmcnt(0)
	s_add_i32 s19, s19, s14
	s_add_i32 s18, s52, s18
	;; [unrolled: 1-line block ×3, first 2 shown]
	s_cmp_ge_u32 s51, s50
	s_cbranch_scc0 .LBB128_29
	s_branch .LBB128_30
.LBB128_35:
	s_mov_b32 s2, 0
	s_cmp_ge_u32 s2, s7
	s_cbranch_scc0 .LBB128_59
	s_branch .LBB128_37
.LBB128_36:
	s_add_i32 s2, s35, 4
	s_cmp_ge_u32 s2, s7
	s_cbranch_scc0 .LBB128_59
.LBB128_37:
	v_mov_b32_e32 v1, s18
	v_mov_b32_e32 v2, s27
	;; [unrolled: 1-line block ×4, first 2 shown]
	ds_write_b96 v4, v[1:3] offset:1056
.LBB128_38:
	s_or_b32 exec_lo, exec_lo, s21
	s_cmp_eq_u32 s6, 0
	s_waitcnt vmcnt(0) lgkmcnt(0)
	s_barrier
	buffer_gl0_inv
	s_cbranch_scc1 .LBB128_61
; %bb.39:
	v_mov_b32_e32 v5, 0
	s_mul_i32 s2, s31, s26
	s_mul_hi_u32 s3, s30, s26
	s_mul_i32 s13, s24, s20
	s_add_i32 s7, s3, s2
	s_mul_i32 s2, s25, s20
	s_mul_hi_u32 s3, s24, s20
	ds_read_b96 v[1:3], v5 offset:1056
	s_add_i32 s12, s3, s2
	s_mul_i32 s2, s43, s34
	s_mul_hi_u32 s3, s42, s34
	s_mul_i32 s14, s30, s26
	s_add_i32 s3, s3, s2
	s_add_u32 s13, s40, s13
	s_addc_u32 s15, s41, s12
	s_add_u32 s12, s13, s16
	s_addc_u32 s13, s15, s17
	s_add_u32 s14, s38, s14
	s_mul_i32 s2, s42, s34
	s_addc_u32 s7, s39, s7
	s_add_u32 s14, s14, s22
	s_addc_u32 s15, s7, s23
	s_lshl_b64 s[2:3], s[2:3], 3
	v_add_nc_u32_e32 v11, -1, v0
	s_add_u32 s7, s36, s2
	s_addc_u32 s16, s37, s3
	s_lshl_b64 s[2:3], s[28:29], 3
	s_waitcnt lgkmcnt(0)
	v_add_nc_u32_e32 v1, v1, v2
	s_add_u32 s7, s7, s2
	s_addc_u32 s20, s16, s3
	s_clause 0x3
	s_load_dword s3, s[4:5], 0x1b0
	s_load_dwordx2 s[16:17], s[4:5], 0x1b8
	s_load_dwordx2 s[18:19], s[4:5], 0x360
	;; [unrolled: 1-line block ×3, first 2 shown]
	v_lshrrev_b32_e32 v6, 3, v11
	v_lshrrev_b32_e32 v4, 3, v0
	v_lshlrev_b32_e32 v12, 5, v0
	v_mbcnt_lo_u32_b32 v9, -1, 0
	v_cmp_gt_u32_e64 s2, 32, v0
	v_and_b32_e32 v13, 0x1ffffffc, v6
	v_mad_u64_u32 v[6:7], null, s50, s33, v[0:1]
	v_and_b32_e32 v2, 28, v4
	v_and_b32_e32 v4, 0xfc, v0
	v_add_nc_u32_e32 v14, -1, v9
                                        ; implicit-def: $vgpr15
	v_lshl_add_u32 v10, v0, 2, v2
	v_lshl_add_u32 v0, v11, 2, v13
	v_add_nc_u32_e32 v11, v4, v12
	v_and_b32_e32 v12, 15, v9
	v_bfe_i32 v13, v9, 4, 1
	v_mov_b32_e32 v4, v6
	s_waitcnt lgkmcnt(0)
	s_bitcmp1_b32 s3, 0
	s_cselect_b32 s3, -1, 0
	s_branch .LBB128_42
.LBB128_40:                             ;   in Loop: Header=BB128_42 Depth=1
	s_or_b32 exec_lo, exec_lo, s21
	v_add_nc_u32_e32 v1, v2, v1
.LBB128_41:                             ;   in Loop: Header=BB128_42 Depth=1
	v_add_nc_u32_e32 v3, v16, v3
	v_add_nc_u32_e32 v4, 0x100, v4
	s_add_i32 s6, s6, -1
	s_cmp_lg_u32 s6, 0
	s_cbranch_scc0 .LBB128_61
.LBB128_42:                             ; =>This Inner Loop Header: Depth=1
	v_mov_b32_e32 v2, v5
	v_mov_b32_e32 v6, v5
	s_mov_b32 s21, exec_lo
	v_cmpx_gt_u64_e64 s[8:9], v[4:5]
	s_cbranch_execz .LBB128_44
; %bb.43:                               ;   in Loop: Header=BB128_42 Depth=1
	v_mad_u64_u32 v[6:7], null, s16, v4, s[12:13]
	v_mov_b32_e32 v2, v7
	v_mad_u64_u32 v[15:16], null, s17, v4, v[2:3]
	v_mov_b32_e32 v7, v15
	global_load_ubyte v15, v[6:7], off
	s_waitcnt vmcnt(0)
	v_cmp_gt_u16_sdwa s22, v15, v8 src0_sel:DWORD src1_sel:BYTE_0
	v_cndmask_b32_e64 v2, 0, 1, s22
	v_cmp_lt_u16_sdwa s22, v15, v8 src0_sel:DWORD src1_sel:BYTE_0
	v_cndmask_b32_e64 v6, 0, 1, s22
	v_cmp_eq_u16_sdwa s22, v15, v8 src0_sel:DWORD src1_sel:BYTE_0
	v_cndmask_b32_e64 v2, v6, v2, s3
	v_cndmask_b32_e64 v6, 0, 1, s22
	v_and_b32_e32 v2, 1, v2
.LBB128_44:                             ;   in Loop: Header=BB128_42 Depth=1
	s_or_b32 exec_lo, exec_lo, s21
	ds_write_b32 v10, v2
	s_waitcnt lgkmcnt(0)
	s_barrier
	buffer_gl0_inv
	s_and_saveexec_b32 s21, s2
	s_cbranch_execz .LBB128_46
; %bb.45:                               ;   in Loop: Header=BB128_42 Depth=1
	ds_read2_b32 v[16:17], v11 offset1:1
	ds_read2_b32 v[18:19], v11 offset0:2 offset1:3
	ds_read2_b32 v[20:21], v11 offset0:4 offset1:5
	;; [unrolled: 1-line block ×3, first 2 shown]
	v_cmp_ne_u32_e32 vcc_lo, 0, v12
	; wave barrier
	s_waitcnt lgkmcnt(3)
	v_add_nc_u32_e32 v7, v17, v16
	s_waitcnt lgkmcnt(2)
	v_add3_u32 v7, v7, v18, v19
	s_waitcnt lgkmcnt(1)
	v_add3_u32 v7, v7, v20, v21
	;; [unrolled: 2-line block ×3, first 2 shown]
	v_mov_b32_dpp v17, v7 row_shr:1 row_mask:0xf bank_mask:0xf
	v_cndmask_b32_e32 v17, 0, v17, vcc_lo
	v_cmp_lt_u32_e32 vcc_lo, 1, v12
	v_add_nc_u32_e32 v7, v17, v7
	v_mov_b32_dpp v17, v7 row_shr:2 row_mask:0xf bank_mask:0xf
	v_cndmask_b32_e32 v17, 0, v17, vcc_lo
	v_cmp_lt_u32_e32 vcc_lo, 3, v12
	v_add_nc_u32_e32 v7, v7, v17
	;; [unrolled: 4-line block ×3, first 2 shown]
	v_mov_b32_dpp v17, v7 row_shr:8 row_mask:0xf bank_mask:0xf
	v_cndmask_b32_e32 v17, 0, v17, vcc_lo
	v_cmp_gt_i32_e32 vcc_lo, 0, v14
	v_add_nc_u32_e32 v7, v7, v17
	v_cndmask_b32_e32 v18, v14, v9, vcc_lo
	ds_swizzle_b32 v17, v7 offset:swizzle(BROADCAST,32,15)
	v_lshlrev_b32_e32 v18, 2, v18
	s_waitcnt lgkmcnt(0)
	v_and_b32_e32 v17, v13, v17
	v_add_nc_u32_e32 v7, v7, v17
	ds_bpermute_b32 v7, v18, v7
	s_waitcnt lgkmcnt(0)
	v_add_nc_u32_e32 v7, v7, v16
	v_cndmask_b32_e64 v7, v7, v2, s1
	ds_write_b32 v11, v7
	; wave barrier
	ds_read2_b32 v[16:17], v11 offset0:1 offset1:2
	ds_read2_b32 v[18:19], v11 offset0:3 offset1:4
	;; [unrolled: 1-line block ×3, first 2 shown]
	ds_read_b32 v22, v11 offset:28
	s_waitcnt lgkmcnt(3)
	v_add_nc_u32_e32 v7, v16, v7
	v_add_nc_u32_e32 v16, v17, v7
	s_waitcnt lgkmcnt(2)
	v_add_nc_u32_e32 v17, v18, v16
	v_add_nc_u32_e32 v18, v19, v17
	s_waitcnt lgkmcnt(1)
	v_add_nc_u32_e32 v19, v20, v18
	v_add_nc_u32_e32 v20, v21, v19
	s_waitcnt lgkmcnt(0)
	v_add_nc_u32_e32 v21, v22, v20
	ds_write2_b32 v11, v7, v16 offset0:1 offset1:2
	ds_write2_b32 v11, v17, v18 offset0:3 offset1:4
	;; [unrolled: 1-line block ×3, first 2 shown]
	ds_write_b32 v11, v21 offset:28
.LBB128_46:                             ;   in Loop: Header=BB128_42 Depth=1
	s_or_b32 exec_lo, exec_lo, s21
	v_mov_b32_e32 v7, 0
	s_waitcnt lgkmcnt(0)
	s_barrier
	buffer_gl0_inv
	s_and_saveexec_b32 s21, s0
; %bb.47:                               ;   in Loop: Header=BB128_42 Depth=1
	ds_read_b32 v7, v0
; %bb.48:                               ;   in Loop: Header=BB128_42 Depth=1
	s_or_b32 exec_lo, exec_lo, s21
	ds_read_b32 v16, v5 offset:1048
	s_mov_b32 s21, exec_lo
	s_waitcnt lgkmcnt(0)
	s_barrier
	buffer_gl0_inv
	v_cmpx_ne_u32_e32 0, v2
	s_cbranch_execz .LBB128_50
; %bb.49:                               ;   in Loop: Header=BB128_42 Depth=1
	v_add_nc_u32_e32 v7, v7, v3
	v_mad_u64_u32 v[17:18], null, s4, v7, 0
	v_mad_u64_u32 v[19:20], null, s18, v7, s[14:15]
	v_mov_b32_e32 v2, v18
	v_mad_u64_u32 v[21:22], null, s5, v7, v[2:3]
	v_mov_b32_e32 v2, v20
	v_mov_b32_e32 v18, v21
	v_mad_u64_u32 v[20:21], null, s19, v7, v[2:3]
	v_lshlrev_b64 v[17:18], 3, v[17:18]
	v_add_co_u32 v17, vcc_lo, s7, v17
	v_add_co_ci_u32_e64 v18, null, s20, v18, vcc_lo
	global_store_byte v[19:20], v15, off
	global_store_dwordx2 v[17:18], v[4:5], off
.LBB128_50:                             ;   in Loop: Header=BB128_42 Depth=1
	s_or_b32 exec_lo, exec_lo, s21
	v_mov_b32_e32 v2, v5
	v_cmp_le_u64_e32 vcc_lo, s[10:11], v[1:2]
	s_cbranch_vccnz .LBB128_41
; %bb.51:                               ;   in Loop: Header=BB128_42 Depth=1
	ds_write_b32 v10, v6
	s_waitcnt lgkmcnt(0)
	s_waitcnt_vscnt null, 0x0
	s_barrier
	buffer_gl0_inv
	s_and_saveexec_b32 s21, s2
	s_cbranch_execz .LBB128_53
; %bb.52:                               ;   in Loop: Header=BB128_42 Depth=1
	ds_read2_b32 v[17:18], v11 offset1:1
	ds_read2_b32 v[19:20], v11 offset0:2 offset1:3
	ds_read2_b32 v[21:22], v11 offset0:4 offset1:5
	;; [unrolled: 1-line block ×3, first 2 shown]
	v_cmp_ne_u32_e32 vcc_lo, 0, v12
	; wave barrier
	s_waitcnt lgkmcnt(3)
	v_add_nc_u32_e32 v2, v18, v17
	s_waitcnt lgkmcnt(2)
	v_add3_u32 v2, v2, v19, v20
	s_waitcnt lgkmcnt(1)
	v_add3_u32 v2, v2, v21, v22
	;; [unrolled: 2-line block ×3, first 2 shown]
	v_mov_b32_dpp v7, v2 row_shr:1 row_mask:0xf bank_mask:0xf
	v_cndmask_b32_e32 v7, 0, v7, vcc_lo
	v_cmp_lt_u32_e32 vcc_lo, 1, v12
	v_add_nc_u32_e32 v2, v7, v2
	v_mov_b32_dpp v7, v2 row_shr:2 row_mask:0xf bank_mask:0xf
	v_cndmask_b32_e32 v7, 0, v7, vcc_lo
	v_cmp_lt_u32_e32 vcc_lo, 3, v12
	v_add_nc_u32_e32 v2, v2, v7
	;; [unrolled: 4-line block ×3, first 2 shown]
	v_mov_b32_dpp v7, v2 row_shr:8 row_mask:0xf bank_mask:0xf
	v_cndmask_b32_e32 v7, 0, v7, vcc_lo
	v_cmp_gt_i32_e32 vcc_lo, 0, v14
	v_add_nc_u32_e32 v2, v2, v7
	v_cndmask_b32_e32 v18, v14, v9, vcc_lo
	ds_swizzle_b32 v7, v2 offset:swizzle(BROADCAST,32,15)
	v_lshlrev_b32_e32 v18, 2, v18
	s_waitcnt lgkmcnt(0)
	v_and_b32_e32 v7, v13, v7
	v_add_nc_u32_e32 v2, v2, v7
	ds_bpermute_b32 v2, v18, v2
	s_waitcnt lgkmcnt(0)
	v_add_nc_u32_e32 v2, v2, v17
	v_cndmask_b32_e64 v2, v2, v6, s1
	ds_write_b32 v11, v2
	; wave barrier
	ds_read2_b32 v[17:18], v11 offset0:1 offset1:2
	ds_read2_b32 v[19:20], v11 offset0:3 offset1:4
	;; [unrolled: 1-line block ×3, first 2 shown]
	ds_read_b32 v7, v11 offset:28
	s_waitcnt lgkmcnt(3)
	v_add_nc_u32_e32 v2, v17, v2
	v_add_nc_u32_e32 v17, v18, v2
	s_waitcnt lgkmcnt(2)
	v_add_nc_u32_e32 v18, v19, v17
	v_add_nc_u32_e32 v19, v20, v18
	;; [unrolled: 3-line block ×3, first 2 shown]
	s_waitcnt lgkmcnt(0)
	v_add_nc_u32_e32 v7, v7, v21
	ds_write2_b32 v11, v2, v17 offset0:1 offset1:2
	ds_write2_b32 v11, v18, v19 offset0:3 offset1:4
	ds_write2_b32 v11, v20, v21 offset0:5 offset1:6
	ds_write_b32 v11, v7 offset:28
.LBB128_53:                             ;   in Loop: Header=BB128_42 Depth=1
	s_or_b32 exec_lo, exec_lo, s21
	v_mov_b32_e32 v7, 0
	s_waitcnt lgkmcnt(0)
	s_barrier
	buffer_gl0_inv
	s_and_saveexec_b32 s21, s0
; %bb.54:                               ;   in Loop: Header=BB128_42 Depth=1
	ds_read_b32 v7, v0
; %bb.55:                               ;   in Loop: Header=BB128_42 Depth=1
	s_or_b32 exec_lo, exec_lo, s21
	ds_read_b32 v2, v5 offset:1048
	s_mov_b32 s21, exec_lo
	s_waitcnt lgkmcnt(0)
	s_barrier
	buffer_gl0_inv
	v_cmpx_ne_u32_e32 0, v6
	s_cbranch_execz .LBB128_40
; %bb.56:                               ;   in Loop: Header=BB128_42 Depth=1
	v_add_nc_u32_e32 v6, v7, v1
	v_mov_b32_e32 v7, v5
	v_cmp_gt_u64_e32 vcc_lo, s[10:11], v[6:7]
	s_and_b32 exec_lo, exec_lo, vcc_lo
	s_cbranch_execz .LBB128_40
; %bb.57:                               ;   in Loop: Header=BB128_42 Depth=1
	v_mad_u64_u32 v[17:18], null, s4, v6, 0
	v_mad_u64_u32 v[19:20], null, s18, v6, s[14:15]
	v_mov_b32_e32 v7, v18
	v_mad_u64_u32 v[21:22], null, s5, v6, v[7:8]
	v_mov_b32_e32 v7, v20
	;; [unrolled: 2-line block ×3, first 2 shown]
	v_lshlrev_b64 v[17:18], 3, v[17:18]
	v_mov_b32_e32 v20, v6
	v_add_co_u32 v6, vcc_lo, s7, v17
	v_add_co_ci_u32_e64 v7, null, s20, v18, vcc_lo
	global_store_byte v[19:20], v15, off
	global_store_dwordx2 v[6:7], v[4:5], off
	s_branch .LBB128_40
	.p2align	6
.LBB128_58:                             ;   in Loop: Header=BB128_59 Depth=1
	s_add_u32 s12, s12, 4
	s_addc_u32 s13, s13, 0
	s_waitcnt lgkmcnt(0)
	s_add_i32 s27, s3, s27
	s_add_u32 s14, s14, 4
	s_addc_u32 s15, s15, 0
	s_add_i32 s2, s2, 1
	s_cmp_lt_u32 s2, s7
	s_cbranch_scc0 .LBB128_37
.LBB128_59:                             ; =>This Inner Loop Header: Depth=1
	s_load_dword s3, s[12:13], 0x0
	s_cmp_ge_u32 s2, s50
	s_cbranch_scc1 .LBB128_58
; %bb.60:                               ;   in Loop: Header=BB128_59 Depth=1
	s_load_dword s35, s[14:15], 0x0
	s_waitcnt lgkmcnt(0)
	s_add_i32 s19, s3, s19
	s_add_i32 s18, s35, s18
	s_branch .LBB128_58
.LBB128_61:
	s_endpgm
	.section	.rodata,"a",@progbits
	.p2align	6, 0x0
	.amdhsa_kernel _ZN2at6native6mbtopk10gatherTopKIhmLin1EEEvNS_4cuda6detail10TensorInfoIKT_T0_EES8_S8_bjS8_NS5_IS6_S8_EES8_NS5_IlS8_EES8_jjPS6_PjSD_j
		.amdhsa_group_segment_fixed_size 1068
		.amdhsa_private_segment_fixed_size 0
		.amdhsa_kernarg_size 1592
		.amdhsa_user_sgpr_count 6
		.amdhsa_user_sgpr_private_segment_buffer 1
		.amdhsa_user_sgpr_dispatch_ptr 0
		.amdhsa_user_sgpr_queue_ptr 0
		.amdhsa_user_sgpr_kernarg_segment_ptr 1
		.amdhsa_user_sgpr_dispatch_id 0
		.amdhsa_user_sgpr_flat_scratch_init 0
		.amdhsa_user_sgpr_private_segment_size 0
		.amdhsa_wavefront_size32 1
		.amdhsa_uses_dynamic_stack 0
		.amdhsa_system_sgpr_private_segment_wavefront_offset 0
		.amdhsa_system_sgpr_workgroup_id_x 1
		.amdhsa_system_sgpr_workgroup_id_y 1
		.amdhsa_system_sgpr_workgroup_id_z 1
		.amdhsa_system_sgpr_workgroup_info 0
		.amdhsa_system_vgpr_workitem_id 0
		.amdhsa_next_free_vgpr 25
		.amdhsa_next_free_sgpr 53
		.amdhsa_reserve_vcc 1
		.amdhsa_reserve_flat_scratch 0
		.amdhsa_float_round_mode_32 0
		.amdhsa_float_round_mode_16_64 0
		.amdhsa_float_denorm_mode_32 3
		.amdhsa_float_denorm_mode_16_64 3
		.amdhsa_dx10_clamp 1
		.amdhsa_ieee_mode 1
		.amdhsa_fp16_overflow 0
		.amdhsa_workgroup_processor_mode 1
		.amdhsa_memory_ordered 1
		.amdhsa_forward_progress 1
		.amdhsa_shared_vgpr_count 0
		.amdhsa_exception_fp_ieee_invalid_op 0
		.amdhsa_exception_fp_denorm_src 0
		.amdhsa_exception_fp_ieee_div_zero 0
		.amdhsa_exception_fp_ieee_overflow 0
		.amdhsa_exception_fp_ieee_underflow 0
		.amdhsa_exception_fp_ieee_inexact 0
		.amdhsa_exception_int_div_zero 0
	.end_amdhsa_kernel
	.section	.text._ZN2at6native6mbtopk10gatherTopKIhmLin1EEEvNS_4cuda6detail10TensorInfoIKT_T0_EES8_S8_bjS8_NS5_IS6_S8_EES8_NS5_IlS8_EES8_jjPS6_PjSD_j,"axG",@progbits,_ZN2at6native6mbtopk10gatherTopKIhmLin1EEEvNS_4cuda6detail10TensorInfoIKT_T0_EES8_S8_bjS8_NS5_IS6_S8_EES8_NS5_IlS8_EES8_jjPS6_PjSD_j,comdat
.Lfunc_end128:
	.size	_ZN2at6native6mbtopk10gatherTopKIhmLin1EEEvNS_4cuda6detail10TensorInfoIKT_T0_EES8_S8_bjS8_NS5_IS6_S8_EES8_NS5_IlS8_EES8_jjPS6_PjSD_j, .Lfunc_end128-_ZN2at6native6mbtopk10gatherTopKIhmLin1EEEvNS_4cuda6detail10TensorInfoIKT_T0_EES8_S8_bjS8_NS5_IS6_S8_EES8_NS5_IlS8_EES8_jjPS6_PjSD_j
                                        ; -- End function
	.set _ZN2at6native6mbtopk10gatherTopKIhmLin1EEEvNS_4cuda6detail10TensorInfoIKT_T0_EES8_S8_bjS8_NS5_IS6_S8_EES8_NS5_IlS8_EES8_jjPS6_PjSD_j.num_vgpr, 25
	.set _ZN2at6native6mbtopk10gatherTopKIhmLin1EEEvNS_4cuda6detail10TensorInfoIKT_T0_EES8_S8_bjS8_NS5_IS6_S8_EES8_NS5_IlS8_EES8_jjPS6_PjSD_j.num_agpr, 0
	.set _ZN2at6native6mbtopk10gatherTopKIhmLin1EEEvNS_4cuda6detail10TensorInfoIKT_T0_EES8_S8_bjS8_NS5_IS6_S8_EES8_NS5_IlS8_EES8_jjPS6_PjSD_j.numbered_sgpr, 53
	.set _ZN2at6native6mbtopk10gatherTopKIhmLin1EEEvNS_4cuda6detail10TensorInfoIKT_T0_EES8_S8_bjS8_NS5_IS6_S8_EES8_NS5_IlS8_EES8_jjPS6_PjSD_j.num_named_barrier, 0
	.set _ZN2at6native6mbtopk10gatherTopKIhmLin1EEEvNS_4cuda6detail10TensorInfoIKT_T0_EES8_S8_bjS8_NS5_IS6_S8_EES8_NS5_IlS8_EES8_jjPS6_PjSD_j.private_seg_size, 0
	.set _ZN2at6native6mbtopk10gatherTopKIhmLin1EEEvNS_4cuda6detail10TensorInfoIKT_T0_EES8_S8_bjS8_NS5_IS6_S8_EES8_NS5_IlS8_EES8_jjPS6_PjSD_j.uses_vcc, 1
	.set _ZN2at6native6mbtopk10gatherTopKIhmLin1EEEvNS_4cuda6detail10TensorInfoIKT_T0_EES8_S8_bjS8_NS5_IS6_S8_EES8_NS5_IlS8_EES8_jjPS6_PjSD_j.uses_flat_scratch, 0
	.set _ZN2at6native6mbtopk10gatherTopKIhmLin1EEEvNS_4cuda6detail10TensorInfoIKT_T0_EES8_S8_bjS8_NS5_IS6_S8_EES8_NS5_IlS8_EES8_jjPS6_PjSD_j.has_dyn_sized_stack, 0
	.set _ZN2at6native6mbtopk10gatherTopKIhmLin1EEEvNS_4cuda6detail10TensorInfoIKT_T0_EES8_S8_bjS8_NS5_IS6_S8_EES8_NS5_IlS8_EES8_jjPS6_PjSD_j.has_recursion, 0
	.set _ZN2at6native6mbtopk10gatherTopKIhmLin1EEEvNS_4cuda6detail10TensorInfoIKT_T0_EES8_S8_bjS8_NS5_IS6_S8_EES8_NS5_IlS8_EES8_jjPS6_PjSD_j.has_indirect_call, 0
	.section	.AMDGPU.csdata,"",@progbits
; Kernel info:
; codeLenInByte = 3280
; TotalNumSgprs: 55
; NumVgprs: 25
; ScratchSize: 0
; MemoryBound: 0
; FloatMode: 240
; IeeeMode: 1
; LDSByteSize: 1068 bytes/workgroup (compile time only)
; SGPRBlocks: 0
; VGPRBlocks: 3
; NumSGPRsForWavesPerEU: 55
; NumVGPRsForWavesPerEU: 25
; Occupancy: 16
; WaveLimiterHint : 1
; COMPUTE_PGM_RSRC2:SCRATCH_EN: 0
; COMPUTE_PGM_RSRC2:USER_SGPR: 6
; COMPUTE_PGM_RSRC2:TRAP_HANDLER: 0
; COMPUTE_PGM_RSRC2:TGID_X_EN: 1
; COMPUTE_PGM_RSRC2:TGID_Y_EN: 1
; COMPUTE_PGM_RSRC2:TGID_Z_EN: 1
; COMPUTE_PGM_RSRC2:TIDIG_COMP_CNT: 0
	.section	.text._ZN2at6native6sbtopk10gatherTopKIhmLin1ELb0EEEvNS_4cuda6detail10TensorInfoIKT_T0_EES8_S8_bS8_S8_NS5_IS6_S8_EES8_NS5_IlS8_EES8_PS6_,"axG",@progbits,_ZN2at6native6sbtopk10gatherTopKIhmLin1ELb0EEEvNS_4cuda6detail10TensorInfoIKT_T0_EES8_S8_bS8_S8_NS5_IS6_S8_EES8_NS5_IlS8_EES8_PS6_,comdat
	.protected	_ZN2at6native6sbtopk10gatherTopKIhmLin1ELb0EEEvNS_4cuda6detail10TensorInfoIKT_T0_EES8_S8_bS8_S8_NS5_IS6_S8_EES8_NS5_IlS8_EES8_PS6_ ; -- Begin function _ZN2at6native6sbtopk10gatherTopKIhmLin1ELb0EEEvNS_4cuda6detail10TensorInfoIKT_T0_EES8_S8_bS8_S8_NS5_IS6_S8_EES8_NS5_IlS8_EES8_PS6_
	.globl	_ZN2at6native6sbtopk10gatherTopKIhmLin1ELb0EEEvNS_4cuda6detail10TensorInfoIKT_T0_EES8_S8_bS8_S8_NS5_IS6_S8_EES8_NS5_IlS8_EES8_PS6_
	.p2align	8
	.type	_ZN2at6native6sbtopk10gatherTopKIhmLin1ELb0EEEvNS_4cuda6detail10TensorInfoIKT_T0_EES8_S8_bS8_S8_NS5_IS6_S8_EES8_NS5_IlS8_EES8_PS6_,@function
_ZN2at6native6sbtopk10gatherTopKIhmLin1ELb0EEEvNS_4cuda6detail10TensorInfoIKT_T0_EES8_S8_bS8_S8_NS5_IS6_S8_EES8_NS5_IlS8_EES8_PS6_: ; @_ZN2at6native6sbtopk10gatherTopKIhmLin1ELb0EEEvNS_4cuda6detail10TensorInfoIKT_T0_EES8_S8_bS8_S8_NS5_IS6_S8_EES8_NS5_IlS8_EES8_PS6_
; %bb.0:
	s_clause 0x1
	s_load_dwordx2 s[16:17], s[4:5], 0x520
	s_load_dwordx4 s[28:31], s[4:5], 0x1b8
	s_add_u32 s14, s4, 0x520
	s_addc_u32 s15, s5, 0
	s_mov_b32 s1, 0
	s_waitcnt lgkmcnt(0)
	s_mul_i32 s0, s17, s8
	s_add_i32 s0, s0, s7
	s_mul_i32 s0, s0, s16
	s_add_i32 s0, s0, s6
	v_cmp_le_u64_e64 s2, s[28:29], s[0:1]
	s_and_b32 vcc_lo, exec_lo, s2
	s_cbranch_vccnz .LBB129_497
; %bb.1:
	s_load_dword s3, s[4:5], 0x198
	s_mov_b64 s[12:13], 0
	s_mov_b64 s[8:9], s[0:1]
	s_waitcnt lgkmcnt(0)
	s_cmp_lt_i32 s3, 2
	s_cbranch_scc1 .LBB129_9
; %bb.2:
	s_mov_b32 s2, 0
	s_add_i32 s8, s3, -1
	s_mov_b32 s9, s2
	s_add_i32 s7, s3, 1
	s_lshl_b64 s[8:9], s[8:9], 3
	s_mov_b64 s[18:19], s[0:1]
	s_add_u32 s3, s4, s8
	s_addc_u32 s8, s5, s9
	s_add_u32 s10, s3, 8
	s_addc_u32 s11, s8, 0
.LBB129_3:                              ; =>This Inner Loop Header: Depth=1
	s_load_dwordx2 s[20:21], s[10:11], 0x0
	s_waitcnt lgkmcnt(0)
	s_or_b64 s[8:9], s[18:19], s[20:21]
	s_mov_b32 s3, s9
                                        ; implicit-def: $sgpr8_sgpr9
	s_cmp_lg_u64 s[2:3], 0
	s_mov_b32 s3, -1
	s_cbranch_scc0 .LBB129_5
; %bb.4:                                ;   in Loop: Header=BB129_3 Depth=1
	v_cvt_f32_u32_e32 v1, s20
	v_cvt_f32_u32_e32 v2, s21
	s_sub_u32 s9, 0, s20
	s_subb_u32 s17, 0, s21
	v_fmac_f32_e32 v1, 0x4f800000, v2
	v_rcp_f32_e32 v1, v1
	v_mul_f32_e32 v1, 0x5f7ffffc, v1
	v_mul_f32_e32 v2, 0x2f800000, v1
	v_trunc_f32_e32 v2, v2
	v_fmac_f32_e32 v1, 0xcf800000, v2
	v_cvt_u32_f32_e32 v2, v2
	v_cvt_u32_f32_e32 v1, v1
	v_readfirstlane_b32 s3, v2
	v_readfirstlane_b32 s8, v1
	s_mul_i32 s22, s9, s3
	s_mul_hi_u32 s24, s9, s8
	s_mul_i32 s23, s17, s8
	s_add_i32 s22, s24, s22
	s_mul_i32 s25, s9, s8
	s_add_i32 s22, s22, s23
	s_mul_hi_u32 s24, s8, s25
	s_mul_i32 s27, s8, s22
	s_mul_hi_u32 s26, s3, s25
	s_mul_i32 s23, s3, s25
	s_mul_hi_u32 s25, s8, s22
	s_add_u32 s24, s24, s27
	s_addc_u32 s25, 0, s25
	s_mul_hi_u32 s28, s3, s22
	s_add_u32 s23, s24, s23
	s_mul_i32 s22, s3, s22
	s_addc_u32 s23, s25, s26
	s_addc_u32 s24, s28, 0
	s_add_u32 s22, s23, s22
	s_addc_u32 s23, 0, s24
	s_add_u32 s8, s8, s22
	s_cselect_b32 s22, -1, 0
	s_mul_hi_u32 s24, s9, s8
	s_cmp_lg_u32 s22, 0
	s_mul_i32 s22, s9, s8
	s_addc_u32 s3, s3, s23
	s_mul_i32 s17, s17, s8
	s_mul_i32 s9, s9, s3
	s_mul_hi_u32 s23, s8, s22
	s_add_i32 s9, s24, s9
	s_mul_hi_u32 s24, s3, s22
	s_add_i32 s9, s9, s17
	s_mul_i32 s17, s3, s22
	s_mul_i32 s26, s8, s9
	s_mul_hi_u32 s25, s8, s9
	s_add_u32 s23, s23, s26
	s_addc_u32 s25, 0, s25
	s_mul_hi_u32 s22, s3, s9
	s_add_u32 s17, s23, s17
	s_mul_i32 s9, s3, s9
	s_addc_u32 s17, s25, s24
	s_addc_u32 s22, s22, 0
	s_add_u32 s9, s17, s9
	s_addc_u32 s17, 0, s22
	s_add_u32 s8, s8, s9
	s_cselect_b32 s9, -1, 0
	s_mul_hi_u32 s22, s18, s8
	s_cmp_lg_u32 s9, 0
	s_mul_hi_u32 s9, s19, s8
	s_addc_u32 s3, s3, s17
	s_mul_i32 s8, s19, s8
	s_mul_i32 s23, s18, s3
	s_mul_hi_u32 s17, s18, s3
	s_add_u32 s22, s22, s23
	s_addc_u32 s17, 0, s17
	s_mul_hi_u32 s24, s19, s3
	s_add_u32 s8, s22, s8
	s_mul_i32 s3, s19, s3
	s_addc_u32 s8, s17, s9
	s_addc_u32 s9, s24, 0
	s_add_u32 s3, s8, s3
	s_addc_u32 s8, 0, s9
	s_mul_hi_u32 s9, s20, s3
	s_mul_i32 s17, s20, s8
	s_mul_i32 s22, s21, s3
	s_add_i32 s9, s9, s17
	s_mul_i32 s17, s20, s3
	s_add_i32 s9, s9, s22
	s_sub_i32 s22, s19, s9
	s_sub_u32 s17, s18, s17
	s_cselect_b32 s23, -1, 0
	s_cmp_lg_u32 s23, 0
	s_subb_u32 s22, s22, s21
	s_sub_u32 s24, s17, s20
	s_cselect_b32 s25, -1, 0
	s_cmp_lg_u32 s25, 0
	s_subb_u32 s22, s22, 0
	s_cmp_ge_u32 s22, s21
	s_cselect_b32 s25, -1, 0
	s_cmp_ge_u32 s24, s20
	s_cselect_b32 s24, -1, 0
	s_cmp_eq_u32 s22, s21
	s_cselect_b32 s22, s24, s25
	s_add_u32 s24, s3, 1
	s_addc_u32 s25, s8, 0
	s_add_u32 s26, s3, 2
	s_addc_u32 s27, s8, 0
	s_cmp_lg_u32 s22, 0
	s_cselect_b32 s22, s26, s24
	s_cselect_b32 s24, s27, s25
	s_cmp_lg_u32 s23, 0
	s_subb_u32 s9, s19, s9
	s_cmp_ge_u32 s9, s21
	s_cselect_b32 s23, -1, 0
	s_cmp_ge_u32 s17, s20
	s_cselect_b32 s17, -1, 0
	s_cmp_eq_u32 s9, s21
	s_cselect_b32 s9, s17, s23
	s_cmp_lg_u32 s9, 0
	s_cselect_b32 s9, s24, s8
	s_cselect_b32 s8, s22, s3
	s_mov_b32 s3, 0
.LBB129_5:                              ;   in Loop: Header=BB129_3 Depth=1
	s_andn2_b32 vcc_lo, exec_lo, s3
	s_cbranch_vccnz .LBB129_7
; %bb.6:                                ;   in Loop: Header=BB129_3 Depth=1
	v_cvt_f32_u32_e32 v1, s20
	s_sub_i32 s8, 0, s20
	v_rcp_iflag_f32_e32 v1, v1
	v_mul_f32_e32 v1, 0x4f7ffffe, v1
	v_cvt_u32_f32_e32 v1, v1
	v_readfirstlane_b32 s3, v1
	s_mul_i32 s8, s8, s3
	s_mul_hi_u32 s8, s3, s8
	s_add_i32 s3, s3, s8
	s_mul_hi_u32 s3, s18, s3
	s_mul_i32 s8, s3, s20
	s_add_i32 s9, s3, 1
	s_sub_i32 s8, s18, s8
	s_sub_i32 s17, s8, s20
	s_cmp_ge_u32 s8, s20
	s_cselect_b32 s3, s9, s3
	s_cselect_b32 s8, s17, s8
	s_add_i32 s9, s3, 1
	s_cmp_ge_u32 s8, s20
	s_cselect_b32 s8, s9, s3
	s_mov_b32 s9, s2
.LBB129_7:                              ;   in Loop: Header=BB129_3 Depth=1
	s_load_dwordx2 s[22:23], s[10:11], 0xc8
	s_mul_i32 s3, s8, s21
	s_mul_hi_u32 s17, s8, s20
	s_mul_i32 s21, s9, s20
	s_add_i32 s3, s17, s3
	s_mul_i32 s17, s8, s20
	s_add_i32 s3, s3, s21
	s_sub_u32 s17, s18, s17
	s_subb_u32 s3, s19, s3
	s_waitcnt lgkmcnt(0)
	s_mul_i32 s3, s22, s3
	s_mul_hi_u32 s18, s22, s17
	s_mul_i32 s19, s23, s17
	s_add_i32 s3, s18, s3
	s_mul_i32 s17, s22, s17
	s_add_i32 s3, s3, s19
	s_add_u32 s12, s17, s12
	s_addc_u32 s13, s3, s13
	s_add_i32 s7, s7, -1
	s_add_u32 s10, s10, -8
	s_addc_u32 s11, s11, -1
	s_cmp_gt_u32 s7, 2
	s_cbranch_scc0 .LBB129_9
; %bb.8:                                ;   in Loop: Header=BB129_3 Depth=1
	s_mov_b64 s[18:19], s[8:9]
	s_branch .LBB129_3
.LBB129_9:
	s_clause 0x1
	s_load_dword s7, s[4:5], 0x360
	s_load_dwordx2 s[10:11], s[4:5], 0xd0
	s_add_u32 s2, s4, 0x1c8
	s_addc_u32 s3, s5, 0
	s_mov_b64 s[28:29], 0
	s_mov_b64 s[34:35], s[0:1]
	s_waitcnt lgkmcnt(0)
	s_cmp_lt_i32 s7, 2
	s_cbranch_scc1 .LBB129_17
; %bb.10:
	s_mov_b32 s18, 0
	s_add_i32 s20, s7, -1
	s_mov_b32 s21, s18
	s_add_i32 s7, s7, 1
	s_lshl_b64 s[20:21], s[20:21], 3
	s_mov_b64 s[22:23], s[0:1]
	s_add_u32 s17, s2, s20
	s_addc_u32 s19, s3, s21
	s_add_u32 s20, s17, 8
	s_addc_u32 s21, s19, 0
.LBB129_11:                             ; =>This Inner Loop Header: Depth=1
	s_load_dwordx2 s[24:25], s[20:21], 0x0
	s_mov_b32 s17, -1
                                        ; implicit-def: $sgpr34_sgpr35
	s_waitcnt lgkmcnt(0)
	s_or_b64 s[26:27], s[22:23], s[24:25]
	s_mov_b32 s19, s27
	s_cmp_lg_u64 s[18:19], 0
	s_cbranch_scc0 .LBB129_13
; %bb.12:                               ;   in Loop: Header=BB129_11 Depth=1
	v_cvt_f32_u32_e32 v1, s24
	v_cvt_f32_u32_e32 v2, s25
	s_sub_u32 s26, 0, s24
	s_subb_u32 s27, 0, s25
	v_fmac_f32_e32 v1, 0x4f800000, v2
	v_rcp_f32_e32 v1, v1
	v_mul_f32_e32 v1, 0x5f7ffffc, v1
	v_mul_f32_e32 v2, 0x2f800000, v1
	v_trunc_f32_e32 v2, v2
	v_fmac_f32_e32 v1, 0xcf800000, v2
	v_cvt_u32_f32_e32 v2, v2
	v_cvt_u32_f32_e32 v1, v1
	v_readfirstlane_b32 s17, v2
	v_readfirstlane_b32 s19, v1
	s_mul_i32 s33, s26, s17
	s_mul_hi_u32 s35, s26, s19
	s_mul_i32 s34, s27, s19
	s_add_i32 s33, s35, s33
	s_mul_i32 s36, s26, s19
	s_add_i32 s33, s33, s34
	s_mul_hi_u32 s35, s19, s36
	s_mul_i32 s38, s19, s33
	s_mul_hi_u32 s37, s17, s36
	s_mul_i32 s34, s17, s36
	s_mul_hi_u32 s36, s19, s33
	s_add_u32 s35, s35, s38
	s_addc_u32 s36, 0, s36
	s_mul_hi_u32 s39, s17, s33
	s_add_u32 s34, s35, s34
	s_mul_i32 s33, s17, s33
	s_addc_u32 s34, s36, s37
	s_addc_u32 s35, s39, 0
	s_add_u32 s33, s34, s33
	s_addc_u32 s34, 0, s35
	s_add_u32 s19, s19, s33
	s_cselect_b32 s33, -1, 0
	s_mul_hi_u32 s35, s26, s19
	s_cmp_lg_u32 s33, 0
	s_mul_i32 s33, s26, s19
	s_addc_u32 s17, s17, s34
	s_mul_i32 s27, s27, s19
	s_mul_i32 s26, s26, s17
	s_mul_hi_u32 s34, s19, s33
	s_add_i32 s26, s35, s26
	s_mul_hi_u32 s35, s17, s33
	s_add_i32 s26, s26, s27
	s_mul_i32 s27, s17, s33
	s_mul_i32 s37, s19, s26
	s_mul_hi_u32 s36, s19, s26
	s_add_u32 s34, s34, s37
	s_addc_u32 s36, 0, s36
	s_mul_hi_u32 s33, s17, s26
	s_add_u32 s27, s34, s27
	s_mul_i32 s26, s17, s26
	s_addc_u32 s27, s36, s35
	s_addc_u32 s33, s33, 0
	s_add_u32 s26, s27, s26
	s_addc_u32 s27, 0, s33
	s_add_u32 s19, s19, s26
	s_cselect_b32 s26, -1, 0
	s_mul_hi_u32 s33, s22, s19
	s_cmp_lg_u32 s26, 0
	s_mul_hi_u32 s26, s23, s19
	s_addc_u32 s17, s17, s27
	s_mul_i32 s19, s23, s19
	s_mul_i32 s34, s22, s17
	s_mul_hi_u32 s27, s22, s17
	s_add_u32 s33, s33, s34
	s_addc_u32 s27, 0, s27
	s_mul_hi_u32 s35, s23, s17
	s_add_u32 s19, s33, s19
	s_mul_i32 s17, s23, s17
	s_addc_u32 s19, s27, s26
	s_addc_u32 s26, s35, 0
	s_add_u32 s17, s19, s17
	s_addc_u32 s19, 0, s26
	s_mul_hi_u32 s26, s24, s17
	s_mul_i32 s27, s24, s19
	s_mul_i32 s33, s25, s17
	s_add_i32 s26, s26, s27
	s_mul_i32 s27, s24, s17
	s_add_i32 s26, s26, s33
	s_sub_i32 s33, s23, s26
	s_sub_u32 s27, s22, s27
	s_cselect_b32 s34, -1, 0
	s_cmp_lg_u32 s34, 0
	s_subb_u32 s33, s33, s25
	s_sub_u32 s35, s27, s24
	s_cselect_b32 s36, -1, 0
	s_cmp_lg_u32 s36, 0
	s_subb_u32 s33, s33, 0
	s_cmp_ge_u32 s33, s25
	s_cselect_b32 s36, -1, 0
	s_cmp_ge_u32 s35, s24
	s_cselect_b32 s35, -1, 0
	s_cmp_eq_u32 s33, s25
	s_cselect_b32 s33, s35, s36
	s_add_u32 s35, s17, 1
	s_addc_u32 s36, s19, 0
	s_add_u32 s37, s17, 2
	s_addc_u32 s38, s19, 0
	s_cmp_lg_u32 s33, 0
	s_cselect_b32 s33, s37, s35
	s_cselect_b32 s35, s38, s36
	s_cmp_lg_u32 s34, 0
	s_subb_u32 s26, s23, s26
	s_cmp_ge_u32 s26, s25
	s_cselect_b32 s34, -1, 0
	s_cmp_ge_u32 s27, s24
	s_cselect_b32 s27, -1, 0
	s_cmp_eq_u32 s26, s25
	s_cselect_b32 s26, s27, s34
	s_cmp_lg_u32 s26, 0
	s_cselect_b32 s35, s35, s19
	s_cselect_b32 s34, s33, s17
	s_mov_b32 s17, 0
.LBB129_13:                             ;   in Loop: Header=BB129_11 Depth=1
	s_andn2_b32 vcc_lo, exec_lo, s17
	s_cbranch_vccnz .LBB129_15
; %bb.14:                               ;   in Loop: Header=BB129_11 Depth=1
	v_cvt_f32_u32_e32 v1, s24
	s_sub_i32 s19, 0, s24
	s_mov_b32 s35, s18
	v_rcp_iflag_f32_e32 v1, v1
	v_mul_f32_e32 v1, 0x4f7ffffe, v1
	v_cvt_u32_f32_e32 v1, v1
	v_readfirstlane_b32 s17, v1
	s_mul_i32 s19, s19, s17
	s_mul_hi_u32 s19, s17, s19
	s_add_i32 s17, s17, s19
	s_mul_hi_u32 s17, s22, s17
	s_mul_i32 s19, s17, s24
	s_add_i32 s26, s17, 1
	s_sub_i32 s19, s22, s19
	s_sub_i32 s27, s19, s24
	s_cmp_ge_u32 s19, s24
	s_cselect_b32 s17, s26, s17
	s_cselect_b32 s19, s27, s19
	s_add_i32 s26, s17, 1
	s_cmp_ge_u32 s19, s24
	s_cselect_b32 s34, s26, s17
.LBB129_15:                             ;   in Loop: Header=BB129_11 Depth=1
	s_load_dwordx2 s[26:27], s[20:21], 0xc8
	s_mul_i32 s17, s34, s25
	s_mul_hi_u32 s19, s34, s24
	s_mul_i32 s25, s35, s24
	s_add_i32 s17, s19, s17
	s_mul_i32 s19, s34, s24
	s_add_i32 s17, s17, s25
	s_sub_u32 s19, s22, s19
	s_subb_u32 s17, s23, s17
	s_waitcnt lgkmcnt(0)
	s_mul_i32 s17, s26, s17
	s_mul_hi_u32 s22, s26, s19
	s_mul_i32 s23, s27, s19
	s_add_i32 s17, s22, s17
	s_mul_i32 s19, s26, s19
	s_add_i32 s17, s17, s23
	s_add_u32 s28, s19, s28
	s_addc_u32 s29, s17, s29
	s_add_i32 s7, s7, -1
	s_add_u32 s20, s20, -8
	s_addc_u32 s21, s21, -1
	s_cmp_gt_u32 s7, 2
	s_cbranch_scc0 .LBB129_17
; %bb.16:                               ;   in Loop: Header=BB129_11 Depth=1
	s_mov_b64 s[22:23], s[34:35]
	s_branch .LBB129_11
.LBB129_17:
	s_clause 0x1
	s_load_dword s7, s[4:5], 0x508
	s_load_dwordx2 s[2:3], s[2:3], 0xd0
                                        ; implicit-def: $vgpr59 : SGPR spill to VGPR lane
	s_mov_b64 s[40:41], 0
	s_waitcnt lgkmcnt(0)
	v_writelane_b32 v59, s2, 0
	v_writelane_b32 v59, s3, 1
	s_add_u32 s3, s4, 0x370
	s_addc_u32 s17, s5, 0
	s_cmp_lt_i32 s7, 2
	s_cbranch_scc1 .LBB129_25
; %bb.18:
	s_mov_b32 s2, 0
	s_add_i32 s18, s7, -1
	s_mov_b32 s19, s2
	s_add_i32 s7, s7, 1
	s_lshl_b64 s[18:19], s[18:19], 3
	s_add_u32 s3, s3, s18
	s_addc_u32 s17, s17, s19
	s_add_u32 s18, s3, 8
	s_addc_u32 s19, s17, 0
.LBB129_19:                             ; =>This Inner Loop Header: Depth=1
	s_load_dwordx2 s[20:21], s[18:19], 0x0
                                        ; implicit-def: $sgpr46_sgpr47
	s_waitcnt lgkmcnt(0)
	s_or_b64 s[22:23], s[0:1], s[20:21]
	s_mov_b32 s3, s23
	s_cmp_lg_u64 s[2:3], 0
	s_mov_b32 s3, -1
	s_cbranch_scc0 .LBB129_21
; %bb.20:                               ;   in Loop: Header=BB129_19 Depth=1
	v_cvt_f32_u32_e32 v1, s20
	v_cvt_f32_u32_e32 v2, s21
	s_sub_u32 s22, 0, s20
	s_subb_u32 s23, 0, s21
	v_fmac_f32_e32 v1, 0x4f800000, v2
	v_rcp_f32_e32 v1, v1
	v_mul_f32_e32 v1, 0x5f7ffffc, v1
	v_mul_f32_e32 v2, 0x2f800000, v1
	v_trunc_f32_e32 v2, v2
	v_fmac_f32_e32 v1, 0xcf800000, v2
	v_cvt_u32_f32_e32 v2, v2
	v_cvt_u32_f32_e32 v1, v1
	v_readfirstlane_b32 s3, v2
	v_readfirstlane_b32 s17, v1
	s_mul_i32 s24, s22, s3
	s_mul_hi_u32 s26, s22, s17
	s_mul_i32 s25, s23, s17
	s_add_i32 s24, s26, s24
	s_mul_i32 s27, s22, s17
	s_add_i32 s24, s24, s25
	s_mul_hi_u32 s26, s17, s27
	s_mul_i32 s36, s17, s24
	s_mul_hi_u32 s33, s3, s27
	s_mul_i32 s25, s3, s27
	s_mul_hi_u32 s27, s17, s24
	s_add_u32 s26, s26, s36
	s_addc_u32 s27, 0, s27
	s_mul_hi_u32 s37, s3, s24
	s_add_u32 s25, s26, s25
	s_mul_i32 s24, s3, s24
	s_addc_u32 s25, s27, s33
	s_addc_u32 s26, s37, 0
	s_add_u32 s24, s25, s24
	s_addc_u32 s25, 0, s26
	s_add_u32 s17, s17, s24
	s_cselect_b32 s24, -1, 0
	s_mul_hi_u32 s26, s22, s17
	s_cmp_lg_u32 s24, 0
	s_mul_i32 s24, s22, s17
	s_addc_u32 s3, s3, s25
	s_mul_i32 s23, s23, s17
	s_mul_i32 s22, s22, s3
	s_mul_hi_u32 s25, s17, s24
	s_add_i32 s22, s26, s22
	s_mul_hi_u32 s26, s3, s24
	s_add_i32 s22, s22, s23
	s_mul_i32 s23, s3, s24
	s_mul_i32 s33, s17, s22
	s_mul_hi_u32 s27, s17, s22
	s_add_u32 s25, s25, s33
	s_addc_u32 s27, 0, s27
	s_mul_hi_u32 s24, s3, s22
	s_add_u32 s23, s25, s23
	s_mul_i32 s22, s3, s22
	s_addc_u32 s23, s27, s26
	s_addc_u32 s24, s24, 0
	s_add_u32 s22, s23, s22
	s_addc_u32 s23, 0, s24
	s_add_u32 s17, s17, s22
	s_cselect_b32 s22, -1, 0
	s_mul_hi_u32 s24, s0, s17
	s_cmp_lg_u32 s22, 0
	s_mul_hi_u32 s22, s1, s17
	s_addc_u32 s3, s3, s23
	s_mul_i32 s17, s1, s17
	s_mul_i32 s25, s0, s3
	s_mul_hi_u32 s23, s0, s3
	s_add_u32 s24, s24, s25
	s_addc_u32 s23, 0, s23
	s_mul_hi_u32 s26, s1, s3
	s_add_u32 s17, s24, s17
	s_mul_i32 s3, s1, s3
	s_addc_u32 s17, s23, s22
	s_addc_u32 s22, s26, 0
	s_add_u32 s3, s17, s3
	s_addc_u32 s17, 0, s22
	s_mul_hi_u32 s22, s20, s3
	s_mul_i32 s23, s20, s17
	s_mul_i32 s24, s21, s3
	s_add_i32 s22, s22, s23
	s_mul_i32 s23, s20, s3
	s_add_i32 s22, s22, s24
	s_sub_i32 s24, s1, s22
	s_sub_u32 s23, s0, s23
	s_cselect_b32 s25, -1, 0
	s_cmp_lg_u32 s25, 0
	s_subb_u32 s24, s24, s21
	s_sub_u32 s26, s23, s20
	s_cselect_b32 s27, -1, 0
	s_cmp_lg_u32 s27, 0
	s_subb_u32 s24, s24, 0
	s_cmp_ge_u32 s24, s21
	s_cselect_b32 s27, -1, 0
	s_cmp_ge_u32 s26, s20
	s_cselect_b32 s26, -1, 0
	s_cmp_eq_u32 s24, s21
	s_cselect_b32 s24, s26, s27
	s_add_u32 s26, s3, 1
	s_addc_u32 s27, s17, 0
	s_add_u32 s33, s3, 2
	s_addc_u32 s36, s17, 0
	s_cmp_lg_u32 s24, 0
	s_cselect_b32 s24, s33, s26
	s_cselect_b32 s26, s36, s27
	s_cmp_lg_u32 s25, 0
	s_subb_u32 s22, s1, s22
	s_cmp_ge_u32 s22, s21
	s_cselect_b32 s25, -1, 0
	s_cmp_ge_u32 s23, s20
	s_cselect_b32 s23, -1, 0
	s_cmp_eq_u32 s22, s21
	s_cselect_b32 s22, s23, s25
	s_cmp_lg_u32 s22, 0
	s_cselect_b32 s47, s26, s17
	s_cselect_b32 s46, s24, s3
	s_mov_b32 s3, 0
.LBB129_21:                             ;   in Loop: Header=BB129_19 Depth=1
	s_andn2_b32 vcc_lo, exec_lo, s3
	s_cbranch_vccnz .LBB129_23
; %bb.22:                               ;   in Loop: Header=BB129_19 Depth=1
	v_cvt_f32_u32_e32 v1, s20
	s_sub_i32 s17, 0, s20
	s_mov_b32 s47, s2
	v_rcp_iflag_f32_e32 v1, v1
	v_mul_f32_e32 v1, 0x4f7ffffe, v1
	v_cvt_u32_f32_e32 v1, v1
	v_readfirstlane_b32 s3, v1
	s_mul_i32 s17, s17, s3
	s_mul_hi_u32 s17, s3, s17
	s_add_i32 s3, s3, s17
	s_mul_hi_u32 s3, s0, s3
	s_mul_i32 s17, s3, s20
	s_add_i32 s22, s3, 1
	s_sub_i32 s17, s0, s17
	s_sub_i32 s23, s17, s20
	s_cmp_ge_u32 s17, s20
	s_cselect_b32 s3, s22, s3
	s_cselect_b32 s17, s23, s17
	s_add_i32 s22, s3, 1
	s_cmp_ge_u32 s17, s20
	s_cselect_b32 s46, s22, s3
.LBB129_23:                             ;   in Loop: Header=BB129_19 Depth=1
	s_load_dwordx2 s[22:23], s[18:19], 0xc8
	s_mul_i32 s3, s46, s21
	s_mul_hi_u32 s17, s46, s20
	s_mul_i32 s21, s47, s20
	s_add_i32 s3, s17, s3
	s_mul_i32 s17, s46, s20
	s_add_i32 s3, s3, s21
	s_sub_u32 s0, s0, s17
	s_subb_u32 s1, s1, s3
	s_waitcnt lgkmcnt(0)
	s_mul_i32 s1, s22, s1
	s_mul_hi_u32 s3, s22, s0
	s_mul_i32 s17, s23, s0
	s_add_i32 s1, s3, s1
	s_mul_i32 s0, s22, s0
	s_add_i32 s1, s1, s17
	s_add_u32 s40, s0, s40
	s_addc_u32 s41, s1, s41
	s_add_i32 s7, s7, -1
	s_add_u32 s18, s18, -8
	s_addc_u32 s19, s19, -1
	s_cmp_gt_u32 s7, 2
	s_cbranch_scc0 .LBB129_26
; %bb.24:                               ;   in Loop: Header=BB129_19 Depth=1
	s_mov_b64 s[0:1], s[46:47]
	s_branch .LBB129_19
.LBB129_25:
	s_mov_b64 s[46:47], s[0:1]
.LBB129_26:
	s_clause 0x2
	s_load_dwordx4 s[36:39], s[4:5], 0x1a0
	s_load_dwordx2 s[18:19], s[4:5], 0x0
	s_load_dwordx2 s[0:1], s[4:5], 0x1c8
	v_cmp_eq_u32_e64 s3, 0, v0
	s_mov_b32 s55, 0
	s_waitcnt lgkmcnt(0)
	v_writelane_b32 v59, s0, 2
	v_writelane_b32 v59, s1, 3
	s_load_dwordx2 s[0:1], s[4:5], 0x370
	s_waitcnt lgkmcnt(0)
	v_writelane_b32 v59, s0, 4
	v_writelane_b32 v59, s1, 5
	s_and_saveexec_b32 s0, s3
	s_cbranch_execz .LBB129_28
; %bb.27:
	v_mov_b32_e32 v1, 0
	v_mov_b32_e32 v3, s36
	;; [unrolled: 1-line block ×4, first 2 shown]
	ds_write_b32 v1, v1 offset:5144
	ds_write_b128 v1, v[1:4] offset:5120
.LBB129_28:
	s_or_b32 exec_lo, exec_lo, s0
	s_load_dword s0, s[4:5], 0x1b0
	v_mad_u64_u32 v[4:5], null, s30, v0, 0
	s_mul_i32 s1, s10, s9
	s_mul_hi_u32 s2, s10, s8
	s_mul_i32 s7, s11, s8
	v_mbcnt_lo_u32_b32 v35, -1, 0
	s_add_i32 s1, s2, s1
	s_mul_i32 s8, s10, s8
	v_mov_b32_e32 v1, v5
	s_add_i32 s7, s1, s7
	s_add_u32 s1, s18, s8
	s_waitcnt lgkmcnt(0)
	s_barrier
	buffer_gl0_inv
	s_load_dword s2, s[14:15], 0xc
	s_addc_u32 s9, s19, s7
	v_mad_u64_u32 v[6:7], null, s31, v0, v[1:2]
	v_cmp_gt_u32_e32 vcc_lo, 32, v0
	s_add_u32 s56, s1, s12
	v_cmp_gt_i32_e64 s1, 4, v35
	s_addc_u32 s57, s9, s13
	v_mov_b32_e32 v3, 0
	v_add_nc_u32_e32 v2, 2, v0
	s_bitcmp1_b32 s0, 0
	v_lshlrev_b64 v[7:8], v35, -1
	s_cselect_b32 s0, -1, 0
	s_and_b32 s85, vcc_lo, s1
	v_add_co_u32 v12, vcc_lo, s56, v4
	v_add_co_ci_u32_e64 v13, null, s57, v6, vcc_lo
	v_cmp_gt_u64_e32 vcc_lo, s[36:37], v[2:3]
	v_not_b32_e32 v34, v7
	v_not_b32_e32 v7, v0
	v_lshlrev_b32_e32 v14, 2, v0
	s_waitcnt lgkmcnt(0)
	s_and_b32 s33, s2, 0xffff
	s_xor_b32 s84, s0, -1
	v_cndmask_b32_e64 v2, v2, s36, vcc_lo
	v_cndmask_b32_e64 v8, 0, s37, vcc_lo
	s_bfe_u32 s1, s33, 0x80008
	v_or_b32_e32 v9, 3, v14
	s_lshl_b32 s87, s1, 3
	v_add_co_u32 v7, vcc_lo, v2, v7
	v_add_co_ci_u32_e64 v8, null, -1, v8, vcc_lo
	s_bfe_u32 s1, s2, 0xb0005
	s_movk_i32 s2, 0x3e0
	v_writelane_b32 v59, s0, 6
	v_and_or_b32 v36, v0, s2, 0xc00
	v_cmp_lt_u64_e64 s2, 3, v[7:8]
	s_cmp_gt_u32 s33, 31
	v_and_b32_e32 v16, -4, v7
	v_mov_b32_e32 v17, v8
	s_cselect_b32 s88, -1, 0
	s_add_u32 s89, s33, -1
	v_mad_u64_u32 v[19:20], null, s30, v9, 0
	s_addc_u32 s90, 0, -1
	s_add_u32 s91, s89, s36
	s_addc_u32 s59, s90, s37
	v_writelane_b32 v59, s2, 7
	v_cmp_ne_u64_e64 s2, v[7:8], v[16:17]
	v_or_b32_e32 v11, 2, v14
	s_cmp_lt_u32 s6, s16
	v_add_co_u32 v18, vcc_lo, v16, v0
	s_cselect_b32 s6, 12, 18
	v_add_co_ci_u32_e64 v2, null, 0, v8, vcc_lo
	s_add_u32 s60, s14, s6
	v_mad_u64_u32 v[21:22], null, s30, v11, 0
	v_mad_u64_u32 v[23:24], null, s30, v14, s[30:31]
	v_mov_b32_e32 v2, v20
	s_addc_u32 s61, s15, 0
	v_writelane_b32 v59, s2, 8
	s_add_i32 s1, s1, -1
	s_bfe_u32 s2, s33, 0x30005
	s_and_b32 s1, s1, 0xffff
	v_mad_u64_u32 v[9:10], null, s31, v9, v[2:3]
	s_cmp_gt_u32 s1, 6
	v_writelane_b32 v59, s2, 9
	s_cselect_b32 s99, -1, 0
	s_cmp_lg_u32 s2, 0
	v_mov_b32_e32 v7, v22
	v_mov_b32_e32 v8, v24
	s_cselect_b32 s104, -1, 0
	s_add_u32 s1, s12, s8
	s_addc_u32 s2, s13, s7
	v_writelane_b32 v59, s1, 10
	v_mad_u64_u32 v[10:11], null, s31, v11, v[7:8]
	v_mad_u64_u32 v[7:8], null, s31, v14, v[8:9]
	v_mov_b32_e32 v1, v3
	v_mov_b32_e32 v5, v6
	v_writelane_b32 v59, s2, 11
	s_add_u32 s6, s18, s1
	v_cmp_lt_u64_e64 s86, 0xc00, s[36:37]
	v_add_co_u32 v26, vcc_lo, s6, v4
	v_cmp_gt_u64_e64 s98, s[36:37], v[0:1]
	s_addc_u32 s7, s19, s2
	v_lshlrev_b64 v[24:25], 2, v[4:5]
	v_mov_b32_e32 v28, s38
	v_cmp_eq_u32_e64 s0, 0, v35
	v_mov_b32_e32 v15, v3
	v_cmp_gt_u32_e64 s10, 2, v0
	v_mov_b32_e32 v22, v9
	v_mov_b32_e32 v37, v10
	;; [unrolled: 1-line block ×3, first 2 shown]
	v_lshl_or_b32 v39, v35, 3, 0xc00
	v_writelane_b32 v59, s6, 12
	v_add_co_ci_u32_e64 v27, null, s7, v6, vcc_lo
	v_mov_b32_e32 v29, s39
	v_mov_b32_e32 v40, 8
	;; [unrolled: 1-line block ×5, first 2 shown]
	s_mul_i32 s1, s31, s33
	s_mul_hi_u32 s2, s30, s33
	s_mov_b32 s92, s30
	s_mov_b32 s93, s31
	;; [unrolled: 1-line block ×6, first 2 shown]
	s_mov_b32 vcc_hi, 6
	s_lshl_b64 s[64:65], s[30:31], 2
	s_add_i32 s80, s2, s1
	s_mul_i32 s81, s30, s33
	s_mov_b32 s48, 0
	s_mov_b32 s50, 0
	v_writelane_b32 v59, s7, 13
                                        ; implicit-def: $sgpr49
                                        ; implicit-def: $sgpr43
                                        ; implicit-def: $sgpr42
                                        ; implicit-def: $sgpr52
                                        ; implicit-def: $sgpr51
                                        ; implicit-def: $sgpr83
                                        ; implicit-def: $sgpr7
                                        ; implicit-def: $sgpr53
                                        ; implicit-def: $sgpr82
                                        ; implicit-def: $sgpr8
	s_branch .LBB129_31
.LBB129_29:                             ;   in Loop: Header=BB129_31 Depth=1
	s_or_b32 exec_lo, exec_lo, s1
	v_mov_b32_e32 v29, v5
	v_mov_b32_e32 v28, v4
	s_andn2_b32 s1, s8, exec_lo
	s_and_b32 s8, s9, exec_lo
	s_andn2_b32 s82, s82, exec_lo
	s_or_b32 s8, s1, s8
	s_andn2_b32 s53, s53, exec_lo
	s_andn2_b32 s7, s7, exec_lo
	;; [unrolled: 1-line block ×3, first 2 shown]
	s_orn2_b32 s6, s6, exec_lo
.LBB129_30:                             ;   in Loop: Header=BB129_31 Depth=1
	s_or_b32 exec_lo, exec_lo, s2
	s_and_b32 s1, exec_lo, s6
	s_or_b32 s48, s1, s48
	s_andn2_b32 s1, s51, exec_lo
	s_and_b32 s2, s8, exec_lo
	s_andn2_b32 s6, s52, exec_lo
	s_or_b32 s51, s1, s2
	s_and_b32 s1, s82, exec_lo
	s_andn2_b32 s2, s42, exec_lo
	s_and_b32 s9, s53, exec_lo
	s_or_b32 s52, s6, s1
	s_or_b32 s42, s2, s9
	s_andn2_b32 s1, s43, exec_lo
	s_and_b32 s2, s7, exec_lo
	s_andn2_b32 s6, s49, exec_lo
	s_and_b32 s9, s83, exec_lo
	s_or_b32 s43, s1, s2
	s_or_b32 s49, s6, s9
	s_andn2_b32 exec_lo, exec_lo, s48
	s_cbranch_execz .LBB129_493
.LBB129_31:                             ; =>This Loop Header: Depth=1
                                        ;     Child Loop BB129_36 Depth 2
                                        ;     Child Loop BB129_50 Depth 2
	;; [unrolled: 1-line block ×25, first 2 shown]
	ds_read_b128 v[4:7], v3 offset:5120
	s_waitcnt lgkmcnt(0)
	v_readfirstlane_b32 s67, v5
	v_readfirstlane_b32 s66, v4
	s_cmp_lg_u64 s[66:67], 0
	s_cbranch_scc1 .LBB129_63
; %bb.32:                               ;   in Loop: Header=BB129_31 Depth=1
	s_and_b32 vcc_lo, exec_lo, s86
	s_cbranch_vccz .LBB129_44
; %bb.33:                               ;   in Loop: Header=BB129_31 Depth=1
	v_cmp_gt_u64_e32 vcc_lo, 0xc01, v[6:7]
	s_mov_b32 s2, 0
	s_mov_b32 s6, 0
	s_cbranch_vccz .LBB129_45
; %bb.34:                               ;   in Loop: Header=BB129_31 Depth=1
	global_load_ushort v4, v3, s[60:61]
	global_load_ubyte v8, v[12:13], off
	v_readlane_b32 s12, v59, 12
	v_readlane_b32 s13, v59, 13
	s_mov_b32 s11, 0
	s_waitcnt vmcnt(1)
	v_and_b32_e32 v2, 0xffff, v4
	v_add_co_u32 v5, s1, v0, v2
	v_add_co_ci_u32_e64 v6, null, 0, 0, s1
	v_readfirstlane_b32 s1, v4
	v_mul_lo_u32 v7, s31, v5
	v_mad_u64_u32 v[4:5], null, s30, v5, s[12:13]
	v_mul_lo_u32 v6, s30, v6
	s_and_b32 s1, 0xffff, s1
	s_mul_i32 s6, s31, s1
	s_mul_hi_u32 s9, s30, s1
	s_mul_i32 s12, s30, s1
	s_add_i32 s9, s9, s6
	v_add3_u32 v5, v7, v5, v6
	v_mov_b32_e32 v7, v1
	v_mov_b32_e32 v6, v0
	s_branch .LBB129_36
.LBB129_35:                             ;   in Loop: Header=BB129_36 Depth=2
	s_or_b32 exec_lo, exec_lo, s1
	v_add_co_u32 v4, vcc_lo, v4, s12
	v_add_co_ci_u32_e64 v5, null, s9, v5, vcc_lo
	v_mov_b32_e32 v8, v9
	s_andn2_b32 exec_lo, exec_lo, s11
	s_cbranch_execz .LBB129_117
.LBB129_36:                             ;   Parent Loop BB129_31 Depth=1
                                        ; =>  This Inner Loop Header: Depth=2
	v_add_co_u32 v6, vcc_lo, v6, v2
	v_add_co_ci_u32_e64 v7, null, 0, v7, vcc_lo
	s_waitcnt lgkmcnt(0)
	v_mov_b32_e32 v10, 0
	v_mov_b32_e32 v9, 0
	s_mov_b32 s1, exec_lo
	v_cmp_le_u64_e32 vcc_lo, s[36:37], v[6:7]
	v_cmpx_gt_u64_e64 s[36:37], v[6:7]
	s_cbranch_execz .LBB129_38
; %bb.37:                               ;   in Loop: Header=BB129_36 Depth=2
	global_load_ubyte v9, v[4:5], off
.LBB129_38:                             ;   in Loop: Header=BB129_36 Depth=2
	s_or_b32 exec_lo, exec_lo, s1
	s_waitcnt vmcnt(0)
	v_and_b32_e32 v11, v8, v41
	v_cmp_eq_u32_sdwa s13, v11, v20 src0_sel:BYTE_0 src1_sel:DWORD
	s_cmp_lg_u32 s13, 0
	s_cselect_b32 s1, -1, 0
	s_and_b32 s1, s0, s1
	s_and_saveexec_b32 s14, s1
	s_cbranch_execz .LBB129_42
; %bb.39:                               ;   in Loop: Header=BB129_36 Depth=2
	s_mov_b32 s16, exec_lo
	s_bcnt1_i32_b32 s1, s13
	v_mbcnt_lo_u32_b32 v10, s16, 0
	s_mov_b32 s15, exec_lo
                                        ; implicit-def: $vgpr11
	v_cmpx_eq_u32_e32 0, v10
; %bb.40:                               ;   in Loop: Header=BB129_36 Depth=2
	s_bcnt1_i32_b32 s6, s16
	s_mul_i32 s6, s1, s6
	v_mov_b32_e32 v11, s6
	ds_add_rtn_u32 v11, v3, v11 offset:5144
; %bb.41:                               ;   in Loop: Header=BB129_36 Depth=2
	s_or_b32 exec_lo, exec_lo, s15
	s_waitcnt lgkmcnt(0)
	v_readfirstlane_b32 s6, v11
	v_mad_u32_u24 v10, s1, v10, s6
.LBB129_42:                             ;   in Loop: Header=BB129_36 Depth=2
	s_or_b32 exec_lo, exec_lo, s14
	ds_bpermute_b32 v10, v3, v10
	s_and_b32 s1, exec_lo, vcc_lo
	s_or_b32 s11, s1, s11
	s_and_saveexec_b32 s1, s13
	s_cbranch_execz .LBB129_35
; %bb.43:                               ;   in Loop: Header=BB129_36 Depth=2
	v_and_b32_e32 v11, s13, v34
	s_waitcnt lgkmcnt(0)
	v_bcnt_u32_b32 v10, v11, v10
	ds_write_b8 v10, v8
	s_branch .LBB129_35
.LBB129_44:                             ;   in Loop: Header=BB129_31 Depth=1
	s_mov_b32 s2, -1
	s_mov_b32 s6, 0
.LBB129_45:                             ;   in Loop: Header=BB129_31 Depth=1
	s_and_b32 vcc_lo, exec_lo, s2
	s_cbranch_vccz .LBB129_61
.LBB129_46:                             ;   in Loop: Header=BB129_31 Depth=1
	s_and_saveexec_b32 s2, s98
	s_cbranch_execz .LBB129_58
; %bb.47:                               ;   in Loop: Header=BB129_31 Depth=1
	global_load_ushort v4, v3, s[60:61]
	global_load_ubyte v32, v[12:13], off
	v_mov_b32_e32 v8, v0
	s_mov_b32 s11, exec_lo
	s_waitcnt vmcnt(1)
	v_add_nc_u32_sdwa v2, v4, v0 dst_sel:DWORD dst_unused:UNUSED_PAD src0_sel:WORD_0 src1_sel:DWORD
	v_readfirstlane_b32 s1, v4
	v_cmpx_gt_u64_e64 s[36:37], v[2:3]
	s_cbranch_execz .LBB129_57
; %bb.48:                               ;   in Loop: Header=BB129_31 Depth=1
	s_and_b32 s12, s1, 0xffff
	v_readlane_b32 s6, v59, 7
	v_mov_b32_e32 v7, v1
	s_cmp_eq_u32 s12, 1
	v_mov_b32_e32 v5, v3
	v_mov_b32_e32 v6, v0
	;; [unrolled: 1-line block ×3, first 2 shown]
	s_cselect_b32 s1, -1, 0
                                        ; implicit-def: $vgpr8_vgpr9
	s_and_b32 s1, s6, s1
	s_mov_b32 s6, -1
	s_and_saveexec_b32 s13, s1
	s_cbranch_execz .LBB129_52
; %bb.49:                               ;   in Loop: Header=BB129_31 Depth=1
	v_add_co_u32 v8, s1, v2, 3
	v_add_co_ci_u32_e64 v9, null, 0, 0, s1
	v_add_co_u32 v6, s1, v2, 2
	v_add_co_ci_u32_e64 v7, null, 0, 0, s1
	;; [unrolled: 2-line block ×3, first 2 shown]
	v_mov_b32_e32 v31, v17
	v_mov_b32_e32 v11, v9
	s_waitcnt vmcnt(0)
	v_lshlrev_b32_e32 v43, 24, v32
	v_mov_b32_e32 v30, v16
	v_mov_b32_e32 v33, v0
	;; [unrolled: 1-line block ×9, first 2 shown]
	s_mov_b32 s14, 0
.LBB129_50:                             ;   Parent Loop BB129_31 Depth=1
                                        ; =>  This Inner Loop Header: Depth=2
	v_mul_lo_u32 v53, v7, s30
	v_mul_lo_u32 v54, v6, s31
	v_mad_u64_u32 v[46:47], null, v6, s30, 0
	v_mul_lo_u32 v32, v9, s94
	v_mul_lo_u32 v52, v8, s95
	v_mad_u64_u32 v[44:45], null, v8, s94, 0
	;; [unrolled: 3-line block ×3, first 2 shown]
	v_mad_u64_u32 v[50:51], null, v10, s96, s[56:57]
	v_mul_lo_u32 v57, v10, s97
	v_mul_lo_u32 v58, v11, s96
	v_add3_u32 v53, v47, v54, v53
	v_add3_u32 v32, v45, v52, v32
	;; [unrolled: 1-line block ×3, first 2 shown]
	v_add_co_u32 v52, s9, s56, v46
	v_add_co_u32 v47, s6, s56, v44
	v_add3_u32 v51, v58, v51, v57
	v_add_co_u32 v45, vcc_lo, s56, v48
	v_add_co_ci_u32_e64 v53, null, s57, v53, s9
	v_add_co_ci_u32_e64 v48, null, s57, v32, s6
	v_add_co_ci_u32_e64 v46, null, s57, v49, vcc_lo
	s_clause 0x3
	global_load_ubyte v32, v[50:51], off
	global_load_ubyte v44, v[52:53], off
	;; [unrolled: 1-line block ×4, first 2 shown]
	v_add_co_u32 v10, vcc_lo, v10, 4
	v_add_co_ci_u32_e64 v11, null, 0, v11, vcc_lo
	v_add_co_u32 v8, vcc_lo, v8, 4
	v_add_co_ci_u32_e64 v9, null, 0, v9, vcc_lo
	;; [unrolled: 2-line block ×3, first 2 shown]
	v_add_co_u32 v30, vcc_lo, v30, -4
	v_add_co_ci_u32_e64 v31, null, -1, v31, vcc_lo
	v_add_co_u32 v4, vcc_lo, v4, 4
	v_add_co_ci_u32_e64 v5, null, 0, v5, vcc_lo
	v_cmp_eq_u64_e64 s6, 0, v[30:31]
	s_or_b32 s14, s6, s14
	s_waitcnt vmcnt(0)
	v_perm_b32 v46, v45, v44, 0xc0c0004
	v_perm_b32 v44, v44, v47, 0xc0c0004
	;; [unrolled: 1-line block ×4, first 2 shown]
	v_lshl_or_b32 v43, v44, 16, v43
	v_lshl_or_b32 v44, v45, 16, v46
	ds_write_b32 v33, v43
	v_add_nc_u32_e32 v33, 4, v33
	v_mov_b32_e32 v43, v44
	s_andn2_b32 exec_lo, exec_lo, s14
	s_cbranch_execnz .LBB129_50
; %bb.51:                               ;   in Loop: Header=BB129_31 Depth=1
	s_or_b32 exec_lo, exec_lo, s14
	v_add_co_u32 v4, vcc_lo, v2, v16
	v_readlane_b32 s1, v59, 8
	v_add_co_ci_u32_e64 v5, null, 0, v17, vcc_lo
	v_add_co_u32 v8, vcc_lo, v4, -1
	v_mov_b32_e32 v6, v18
	s_orn2_b32 s6, s1, exec_lo
	v_add_co_ci_u32_e64 v2, null, -1, v5, vcc_lo
	v_mov_b32_e32 v7, v19
.LBB129_52:                             ;   in Loop: Header=BB129_31 Depth=1
	s_or_b32 exec_lo, exec_lo, s13
	s_and_saveexec_b32 s9, s6
	s_cbranch_execz .LBB129_56
; %bb.53:                               ;   in Loop: Header=BB129_31 Depth=1
	v_readlane_b32 s14, v59, 12
	v_readlane_b32 s15, v59, 13
	v_mul_lo_u32 v2, s30, v5
	v_mul_lo_u32 v7, s31, v4
	s_mul_i32 s1, s31, s12
	s_mul_hi_u32 s6, s30, s12
	v_mad_u64_u32 v[9:10], null, s30, v4, s[14:15]
	s_sub_u32 s13, 0, s12
	s_subb_u32 s14, 0, 0
	s_add_i32 s15, s6, s1
	s_mul_i32 s16, s30, s12
	s_mov_b32 s17, 0
	v_add3_u32 v10, v7, v10, v2
	.p2align	6
.LBB129_54:                             ;   Parent Loop BB129_31 Depth=1
                                        ; =>  This Inner Loop Header: Depth=2
	global_load_ubyte v2, v[9:10], off
	v_mov_b32_e32 v8, v5
	v_mov_b32_e32 v7, v4
	v_add_co_u32 v9, vcc_lo, v9, s16
	v_add_co_ci_u32_e64 v10, null, s15, v10, vcc_lo
	v_add_co_u32 v4, s6, v7, s12
	v_add_co_ci_u32_e64 v5, null, 0, v8, s6
	s_waitcnt vmcnt(1)
	ds_write_b8 v6, v32
	v_mov_b32_e32 v6, v7
	v_mov_b32_e32 v7, v8
	v_cmp_le_u64_e32 vcc_lo, s[36:37], v[4:5]
	v_add_co_u32 v8, s6, s13, v4
	v_add_co_ci_u32_e64 v7, null, s14, v5, s6
	s_or_b32 s17, vcc_lo, s17
	s_waitcnt vmcnt(0)
	v_mov_b32_e32 v32, v2
	s_andn2_b32 exec_lo, exec_lo, s17
	s_cbranch_execnz .LBB129_54
; %bb.55:                               ;   in Loop: Header=BB129_31 Depth=1
	s_or_b32 exec_lo, exec_lo, s17
	v_mov_b32_e32 v32, v2
.LBB129_56:                             ;   in Loop: Header=BB129_31 Depth=1
	s_or_b32 exec_lo, exec_lo, s9
.LBB129_57:                             ;   in Loop: Header=BB129_31 Depth=1
	s_or_b32 exec_lo, exec_lo, s11
	s_waitcnt vmcnt(0)
	ds_write_b8 v8, v32
.LBB129_58:                             ;   in Loop: Header=BB129_31 Depth=1
	s_or_b32 exec_lo, exec_lo, s2
	s_waitcnt lgkmcnt(0)
	s_barrier
	buffer_gl0_inv
	s_and_saveexec_b32 s1, s3
; %bb.59:                               ;   in Loop: Header=BB129_31 Depth=1
	v_mov_b32_e32 v4, s36
	v_mov_b32_e32 v5, s37
	ds_write_b64 v3, v[4:5] offset:5120
; %bb.60:                               ;   in Loop: Header=BB129_31 Depth=1
	s_or_b32 exec_lo, exec_lo, s1
	s_waitcnt lgkmcnt(0)
	s_mov_b32 s6, -1
	s_barrier
.LBB129_61:                             ;   in Loop: Header=BB129_31 Depth=1
	s_and_b32 vcc_lo, exec_lo, s6
	s_mov_b64 s[66:67], 0
	s_cbranch_vccz .LBB129_63
; %bb.62:                               ;   in Loop: Header=BB129_31 Depth=1
	buffer_gl0_inv
	ds_read_b64 v[4:5], v3 offset:5120
	s_waitcnt lgkmcnt(0)
	v_readfirstlane_b32 s66, v4
.LBB129_63:                             ;   in Loop: Header=BB129_31 Depth=1
	s_cmp_lt_i32 s66, 1
	s_mov_b32 s2, -1
                                        ; implicit-def: $vgpr10_vgpr11
                                        ; implicit-def: $vgpr6_vgpr7
	s_cbranch_scc1 .LBB129_73
; %bb.64:                               ;   in Loop: Header=BB129_31 Depth=1
	s_and_b32 vcc_lo, exec_lo, s2
	s_cbranch_vccnz .LBB129_87
.LBB129_65:                             ;   in Loop: Header=BB129_31 Depth=1
	s_lshl_b32 s2, s50, 7
	s_and_saveexec_b32 s1, s0
	s_cbranch_execz .LBB129_67
.LBB129_66:                             ;   in Loop: Header=BB129_31 Depth=1
	v_lshl_add_u32 v2, s2, 3, v36
	ds_write_b128 v2, v[4:7]
	ds_write_b128 v2, v[8:11] offset:16
.LBB129_67:                             ;   in Loop: Header=BB129_31 Depth=1
	s_or_b32 exec_lo, exec_lo, s1
	s_waitcnt lgkmcnt(0)
	s_barrier
	buffer_gl0_inv
	s_and_saveexec_b32 s6, s85
	s_cbranch_execz .LBB129_101
; %bb.68:                               ;   in Loop: Header=BB129_31 Depth=1
	v_mov_b32_e32 v4, 0
	v_mov_b32_e32 v5, 0
	s_andn2_b32 vcc_lo, exec_lo, s88
	s_cbranch_vccnz .LBB129_100
; %bb.69:                               ;   in Loop: Header=BB129_31 Depth=1
	v_mov_b32_e32 v4, 0
	v_mov_b32_e32 v5, 0
	s_andn2_b32 vcc_lo, exec_lo, s99
	s_cbranch_vccnz .LBB129_97
; %bb.70:                               ;   in Loop: Header=BB129_31 Depth=1
	v_lshl_add_u32 v2, s50, 10, v39
	s_mov_b32 s9, 0
	s_inst_prefetch 0x1
	.p2align	6
.LBB129_71:                             ;   Parent Loop BB129_31 Depth=1
                                        ; =>  This Inner Loop Header: Depth=2
	ds_read2_b64 v[6:9], v2 offset1:4
	ds_read2_b64 v[30:33], v2 offset0:8 offset1:12
	ds_read2_b64 v[43:46], v2 offset0:16 offset1:20
	s_add_i32 s9, s9, 8
	s_cmp_eq_u32 s87, s9
	s_waitcnt lgkmcnt(2)
	v_add_co_u32 v4, vcc_lo, v6, v4
	v_add_co_ci_u32_e64 v5, null, v7, v5, vcc_lo
	v_add_co_u32 v8, vcc_lo, v8, v4
	v_add_co_ci_u32_e64 v9, null, v9, v5, vcc_lo
	ds_read2_b64 v[4:7], v2 offset0:24 offset1:28
	s_waitcnt lgkmcnt(2)
	v_add_co_u32 v8, vcc_lo, v30, v8
	v_add_co_ci_u32_e64 v9, null, v31, v9, vcc_lo
	v_add_nc_u32_e32 v2, 0x100, v2
	v_add_co_u32 v8, vcc_lo, v32, v8
	v_add_co_ci_u32_e64 v9, null, v33, v9, vcc_lo
	s_waitcnt lgkmcnt(1)
	v_add_co_u32 v8, vcc_lo, v43, v8
	v_add_co_ci_u32_e64 v9, null, v44, v9, vcc_lo
	v_add_co_u32 v8, vcc_lo, v45, v8
	v_add_co_ci_u32_e64 v9, null, v46, v9, vcc_lo
	s_waitcnt lgkmcnt(0)
	v_add_co_u32 v4, vcc_lo, v4, v8
	v_add_co_ci_u32_e64 v5, null, v5, v9, vcc_lo
	v_add_co_u32 v4, vcc_lo, v6, v4
	v_add_co_ci_u32_e64 v5, null, v7, v5, vcc_lo
	s_cbranch_scc0 .LBB129_71
; %bb.72:                               ;   in Loop: Header=BB129_31 Depth=1
	s_inst_prefetch 0x2
	s_mov_b32 s9, s87
	s_andn2_b32 vcc_lo, exec_lo, s104
	s_cbranch_vccz .LBB129_98
	s_branch .LBB129_100
.LBB129_73:                             ;   in Loop: Header=BB129_31 Depth=1
	global_load_ushort v2, v3, s[60:61]
	s_mov_b32 s12, s55
	s_mov_b32 s13, s37
	s_waitcnt vmcnt(0)
	v_readfirstlane_b32 s1, v2
	s_and_b32 s1, 0xffff, s1
	s_lshl_b32 s2, s1, 2
	s_cmp_lg_u64 s[12:13], 0
	s_cbranch_scc0 .LBB129_96
; %bb.74:                               ;   in Loop: Header=BB129_31 Depth=1
	v_cvt_f32_u32_e32 v4, s2
	s_sub_u32 s9, 0, s2
	s_subb_u32 s11, 0, 0
	v_fmac_f32_e64 v4, 0x4f800000, 0
	v_rcp_f32_e32 v4, v4
	v_mul_f32_e32 v4, 0x5f7ffffc, v4
	v_mul_f32_e32 v5, 0x2f800000, v4
	v_trunc_f32_e32 v5, v5
	v_fmac_f32_e32 v4, 0xcf800000, v5
	v_cvt_u32_f32_e32 v5, v5
	v_cvt_u32_f32_e32 v4, v4
	v_readfirstlane_b32 s1, v5
	v_readfirstlane_b32 s6, v4
	s_mul_i32 s12, s9, s1
	s_mul_hi_u32 s14, s9, s6
	s_mul_i32 s13, s11, s6
	s_add_i32 s12, s14, s12
	s_mul_i32 s15, s9, s6
	s_add_i32 s12, s12, s13
	s_mul_hi_u32 s14, s6, s15
	s_mul_i32 s17, s6, s12
	s_mul_hi_u32 s16, s1, s15
	s_mul_i32 s13, s1, s15
	s_mul_hi_u32 s15, s6, s12
	s_add_u32 s14, s14, s17
	s_addc_u32 s15, 0, s15
	s_mul_hi_u32 s18, s1, s12
	s_add_u32 s13, s14, s13
	s_mul_i32 s12, s1, s12
	s_addc_u32 s13, s15, s16
	s_addc_u32 s14, s18, 0
	s_add_u32 s12, s13, s12
	s_addc_u32 s13, 0, s14
	s_add_u32 s6, s6, s12
	s_cselect_b32 s12, -1, 0
	s_mul_hi_u32 s14, s9, s6
	s_cmp_lg_u32 s12, 0
	s_mul_i32 s12, s9, s6
	s_addc_u32 s1, s1, s13
	s_mul_i32 s11, s11, s6
	s_mul_i32 s9, s9, s1
	s_mul_hi_u32 s13, s6, s12
	s_add_i32 s9, s14, s9
	s_mul_hi_u32 s14, s1, s12
	s_add_i32 s9, s9, s11
	s_mul_i32 s11, s1, s12
	s_mul_i32 s16, s6, s9
	s_mul_hi_u32 s15, s6, s9
	s_add_u32 s13, s13, s16
	s_addc_u32 s15, 0, s15
	s_mul_hi_u32 s12, s1, s9
	s_add_u32 s11, s13, s11
	s_mul_i32 s9, s1, s9
	s_addc_u32 s11, s15, s14
	s_addc_u32 s12, s12, 0
	s_add_u32 s9, s11, s9
	s_addc_u32 s11, 0, s12
	s_add_u32 s6, s6, s9
	s_cselect_b32 s9, -1, 0
	s_mul_hi_u32 s12, s36, s6
	s_cmp_lg_u32 s9, 0
	s_mul_hi_u32 s9, s37, s6
	s_addc_u32 s1, s1, s11
	s_mul_i32 s6, s37, s6
	s_mul_i32 s13, s36, s1
	s_mul_hi_u32 s11, s36, s1
	s_add_u32 s12, s12, s13
	s_addc_u32 s11, 0, s11
	s_mul_hi_u32 s14, s37, s1
	s_add_u32 s6, s12, s6
	s_mul_i32 s1, s37, s1
	s_addc_u32 s6, s11, s9
	s_addc_u32 s9, s14, 0
	s_add_u32 s1, s6, s1
	s_addc_u32 s6, 0, s9
	s_mul_hi_u32 s9, s2, s1
	s_mul_i32 s6, s2, s6
	s_mul_i32 s1, s2, s1
	s_add_i32 s9, s9, s6
	s_sub_u32 s1, s36, s1
	s_cselect_b32 s6, -1, 0
	s_cmp_lg_u32 s6, 0
	s_subb_u32 s6, s37, s9
	s_sub_u32 s9, s1, s2
	s_cselect_b32 s11, -1, 0
	s_cmp_lg_u32 s11, 0
	s_subb_u32 s11, s6, 0
	;; [unrolled: 4-line block ×3, first 2 shown]
	s_cmp_ge_u32 s9, s2
	s_cselect_b32 s14, -1, 0
	s_cmp_eq_u32 s11, 0
	s_cselect_b32 s14, s14, -1
	s_cmp_lg_u32 s14, 0
	s_cselect_b32 s11, s13, s11
	s_cselect_b32 s9, s12, s9
	s_cmp_ge_u32 s1, s2
	s_cselect_b32 s12, -1, 0
	s_cmp_eq_u32 s6, 0
	s_cselect_b32 s12, s12, -1
	s_cmp_lg_u32 s12, 0
	s_cselect_b32 s13, s11, s6
	s_cselect_b32 s12, s9, s1
	s_cbranch_execnz .LBB129_76
.LBB129_75:                             ;   in Loop: Header=BB129_31 Depth=1
	v_cvt_f32_u32_e32 v4, s2
	s_sub_i32 s6, 0, s2
	v_rcp_iflag_f32_e32 v4, v4
	v_mul_f32_e32 v4, 0x4f7ffffe, v4
	v_cvt_u32_f32_e32 v4, v4
	v_readfirstlane_b32 s1, v4
	s_mul_i32 s6, s6, s1
	s_mul_hi_u32 s6, s1, s6
	s_add_i32 s1, s1, s6
	s_mul_hi_u32 s1, s36, s1
	s_mul_i32 s1, s1, s2
	s_sub_i32 s1, s36, s1
	s_sub_i32 s6, s1, s2
	s_cmp_ge_u32 s1, s2
	s_cselect_b32 s1, s6, s1
	s_sub_i32 s6, s1, s2
	s_cmp_ge_u32 s1, s2
	s_cselect_b32 s54, s6, s1
	s_mov_b64 s[12:13], s[54:55]
.LBB129_76:                             ;   in Loop: Header=BB129_31 Depth=1
	v_mov_b32_e32 v4, 0
	v_mov_b32_e32 v6, 0
	;; [unrolled: 1-line block ×8, first 2 shown]
	v_and_b32_e32 v2, 0xffff, v2
	s_sub_u32 s68, s36, s12
	s_subb_u32 s69, s37, s13
	s_mov_b32 s54, exec_lo
	v_cmpx_gt_u64_e64 s[68:69], v[14:15]
	s_cbranch_execz .LBB129_80
; %bb.77:                               ;   in Loop: Header=BB129_31 Depth=1
	v_mul_lo_u32 v4, s65, v2
	v_mul_hi_u32 v5, s64, v2
	v_mul_lo_u32 v43, s64, v2
	v_mov_b32_e32 v30, s56
	v_mov_b32_e32 v33, v15
	;; [unrolled: 1-line block ×4, first 2 shown]
	s_mov_b64 s[70:71], 0
	s_mov_b32 s58, 0
	v_add_nc_u32_e32 v44, v5, v4
	s_mov_b64 s[72:73], 0
	s_mov_b64 s[74:75], 0
	;; [unrolled: 1-line block ×3, first 2 shown]
.LBB129_78:                             ;   Parent Loop BB129_31 Depth=1
                                        ; =>  This Inner Loop Header: Depth=2
	v_add_co_u32 v4, vcc_lo, v30, v24
	v_add_co_ci_u32_e64 v5, null, v31, v25, vcc_lo
	global_load_ubyte v6, v[4:5], off
	v_add_co_u32 v4, vcc_lo, v30, v23
	v_add_co_ci_u32_e64 v5, null, v31, v38, vcc_lo
	global_load_ubyte v7, v[4:5], off
	;; [unrolled: 3-line block ×4, first 2 shown]
	s_waitcnt vmcnt(3)
	v_and_b32_e32 v5, v41, v6
	v_cmp_eq_u32_e32 vcc_lo, v5, v20
	s_waitcnt vmcnt(2)
	v_and_b32_e32 v5, v41, v7
	v_cmp_eq_u32_e64 s6, v5, v20
	s_waitcnt vmcnt(1)
	v_and_b32_e32 v5, v41, v8
	v_cmp_eq_u32_e64 s9, v5, v20
	s_waitcnt vmcnt(0)
	v_and_b32_e32 v5, v41, v4
	v_bfe_u32 v4, v4, vcc_hi, 2
	v_cmp_eq_u32_e64 s11, v5, v20
	v_bfe_u32 v5, v6, vcc_hi, 2
	v_cmp_eq_u32_e64 s24, 0, v4
	v_cmp_eq_u32_e64 s25, 1, v4
	v_cmp_eq_u32_e64 s26, 2, v4
	v_cmp_eq_u32_e64 s27, 3, v4
	v_cmp_eq_u32_e64 s12, 0, v5
	v_cmp_eq_u32_e64 s13, 1, v5
	v_cmp_eq_u32_e64 s14, 2, v5
	v_cmp_eq_u32_e64 s15, 3, v5
	v_bfe_u32 v5, v7, vcc_hi, 2
	s_and_b32 s1, vcc_lo, s12
	v_cndmask_b32_e64 v4, 0, 1, s1
	v_cmp_eq_u32_e64 s16, 0, v5
	v_cmp_eq_u32_e64 s17, 1, v5
	;; [unrolled: 1-line block ×4, first 2 shown]
	v_bfe_u32 v5, v8, vcc_hi, 2
	s_and_b32 s1, s6, s16
	v_cmp_ne_u32_e64 s12, 0, v4
	v_cndmask_b32_e64 v4, 0, 1, s1
	v_cmp_eq_u32_e64 s20, 0, v5
	v_cmp_eq_u32_e64 s21, 1, v5
	;; [unrolled: 1-line block ×3, first 2 shown]
	v_cmp_ne_u32_e64 s16, 0, v4
	v_cmp_eq_u32_e64 s23, 3, v5
	s_and_b32 s1, s9, s20
	v_cndmask_b32_e64 v4, 0, 1, s1
	s_and_b32 s1, s11, s24
	v_cmp_ne_u32_e64 s20, 0, v4
	v_cndmask_b32_e64 v4, 0, 1, s1
	s_bcnt1_i32_b32 s1, s12
	s_bcnt1_i32_b32 s12, s16
	;; [unrolled: 1-line block ×3, first 2 shown]
	v_cmp_ne_u32_e64 s24, 0, v4
	s_add_i32 s1, s12, s1
	s_add_i32 s1, s1, s16
	s_bcnt1_i32_b32 s20, s24
	s_add_i32 s1, s1, s20
	s_add_u32 s76, s76, s1
	s_addc_u32 s77, s77, 0
	s_and_b32 s1, vcc_lo, s13
	v_cndmask_b32_e64 v4, 0, 1, s1
	s_and_b32 s1, s6, s17
	v_cmp_ne_u32_e64 s12, 0, v4
	v_cndmask_b32_e64 v4, 0, 1, s1
	s_and_b32 s1, s9, s21
	v_cmp_ne_u32_e64 s13, 0, v4
	;; [unrolled: 3-line block ×3, first 2 shown]
	v_cndmask_b32_e64 v4, 0, 1, s1
	s_bcnt1_i32_b32 s1, s12
	s_bcnt1_i32_b32 s12, s13
	s_bcnt1_i32_b32 s13, s16
	v_cmp_ne_u32_e64 s17, 0, v4
	s_add_i32 s1, s12, s1
	s_add_i32 s1, s1, s13
	s_bcnt1_i32_b32 s16, s17
	s_add_i32 s1, s1, s16
	s_add_u32 s74, s74, s1
	s_addc_u32 s75, s75, 0
	s_and_b32 s1, vcc_lo, s14
	v_mov_b32_e32 v6, s74
	v_cndmask_b32_e64 v4, 0, 1, s1
	s_and_b32 s1, s6, s18
	v_mov_b32_e32 v7, s75
	v_cmp_ne_u32_e64 s12, 0, v4
	v_cndmask_b32_e64 v4, 0, 1, s1
	s_and_b32 s1, s9, s22
	v_cmp_ne_u32_e64 s13, 0, v4
	v_cndmask_b32_e64 v4, 0, 1, s1
	s_and_b32 s1, s11, s26
	v_cmp_ne_u32_e64 s14, 0, v4
	v_cndmask_b32_e64 v4, 0, 1, s1
	s_bcnt1_i32_b32 s1, s12
	s_bcnt1_i32_b32 s12, s13
	s_bcnt1_i32_b32 s13, s14
	v_cmp_ne_u32_e64 s16, 0, v4
	s_add_i32 s1, s12, s1
	v_add_co_u32 v32, s12, v32, s2
	s_add_i32 s1, s1, s13
	s_bcnt1_i32_b32 s14, s16
	v_add_co_ci_u32_e64 v33, null, 0, v33, s12
	s_add_i32 s1, s1, s14
	v_add_co_u32 v30, s13, v30, v43
	s_add_u32 s72, s72, s1
	s_addc_u32 s73, s73, 0
	s_and_b32 s1, vcc_lo, s15
	v_cmp_le_u64_e64 s12, s[68:69], v[32:33]
	v_cndmask_b32_e64 v4, 0, 1, s1
	s_and_b32 s1, s6, s19
	v_mov_b32_e32 v8, s72
	v_add_co_ci_u32_e64 v31, null, v31, v44, s13
	v_cmp_ne_u32_e32 vcc_lo, 0, v4
	v_cndmask_b32_e64 v4, 0, 1, s1
	s_and_b32 s1, s9, s23
	v_mov_b32_e32 v9, s73
	v_cmp_ne_u32_e64 s6, 0, v4
	v_cndmask_b32_e64 v4, 0, 1, s1
	s_and_b32 s1, s11, s27
	s_bcnt1_i32_b32 s6, s6
	v_cmp_ne_u32_e64 s9, 0, v4
	v_cndmask_b32_e64 v4, 0, 1, s1
	s_bcnt1_i32_b32 s1, vcc_lo
	s_add_i32 s1, s6, s1
	s_bcnt1_i32_b32 s9, s9
	v_cmp_ne_u32_e64 s11, 0, v4
	s_add_i32 s1, s1, s9
	v_mov_b32_e32 v4, s76
	v_mov_b32_e32 v5, s77
	s_bcnt1_i32_b32 s11, s11
	s_add_i32 s1, s1, s11
	s_add_u32 s70, s70, s1
	s_addc_u32 s71, s71, 0
	v_mov_b32_e32 v10, s70
	v_mov_b32_e32 v11, s71
	s_or_b32 s58, s12, s58
	s_andn2_b32 exec_lo, exec_lo, s58
	s_cbranch_execnz .LBB129_78
; %bb.79:                               ;   in Loop: Header=BB129_31 Depth=1
	s_or_b32 exec_lo, exec_lo, s58
.LBB129_80:                             ;   in Loop: Header=BB129_31 Depth=1
	s_or_b32 exec_lo, exec_lo, s54
	v_add_co_u32 v30, s1, s68, v0
	v_add_co_ci_u32_e64 v31, null, s69, 0, s1
	s_mov_b32 s2, exec_lo
	v_cmpx_gt_u64_e64 s[36:37], v[30:31]
	s_cbranch_execz .LBB129_86
; %bb.81:                               ;   in Loop: Header=BB129_31 Depth=1
	v_mad_u64_u32 v[32:33], null, v30, s30, s[56:57]
	v_mul_lo_u32 v43, v30, s31
	v_mul_lo_u32 v44, v31, s30
	s_mov_b32 s12, 0
	v_add3_u32 v33, v44, v33, v43
	global_load_ubyte v33, v[32:33], off
	s_branch .LBB129_83
.LBB129_82:                             ;   in Loop: Header=BB129_83 Depth=2
	s_or_b32 exec_lo, exec_lo, s1
	s_waitcnt vmcnt(0)
	v_and_b32_e32 v33, 0xff, v33
	s_and_b32 s1, exec_lo, vcc_lo
	s_or_b32 s12, s1, s12
	v_and_b32_e32 v43, v41, v33
	v_bfe_u32 v33, v33, vcc_hi, 2
	v_cmp_eq_u32_e64 s6, v43, v20
	v_cmp_eq_u32_e64 s9, 0, v33
	v_cmp_eq_u32_e32 vcc_lo, 1, v33
	v_cmp_eq_u32_e64 s11, 2, v33
	s_and_b32 s1, s6, s9
	v_cndmask_b32_e64 v43, 0, 1, s1
	s_and_b32 s1, s6, vcc_lo
	v_cmp_eq_u32_e32 vcc_lo, 3, v33
	v_cndmask_b32_e64 v44, 0, 1, s1
	s_and_b32 s1, s6, s11
	v_cmp_ne_u32_e64 s9, 0, v43
	v_cndmask_b32_e64 v33, 0, 1, s1
	s_and_b32 s1, s6, vcc_lo
	v_cmp_ne_u32_e64 s11, 0, v44
	v_cndmask_b32_e64 v43, 0, 1, s1
	s_bcnt1_i32_b32 s1, s9
	v_cmp_ne_u32_e32 vcc_lo, 0, v33
	v_add_co_u32 v4, s6, v4, s1
	s_bcnt1_i32_b32 s9, s11
	v_add_co_ci_u32_e64 v5, null, 0, v5, s6
	s_bcnt1_i32_b32 s1, vcc_lo
	v_cmp_ne_u32_e32 vcc_lo, 0, v43
	v_add_co_u32 v6, s6, v6, s9
	v_add_co_ci_u32_e64 v7, null, 0, v7, s6
	v_add_co_u32 v8, s6, v8, s1
	s_bcnt1_i32_b32 s1, vcc_lo
	v_add_co_ci_u32_e64 v9, null, 0, v9, s6
	v_add_co_u32 v10, vcc_lo, v10, s1
	v_add_co_ci_u32_e64 v11, null, 0, v11, vcc_lo
	v_mov_b32_e32 v33, v32
	s_andn2_b32 exec_lo, exec_lo, s12
	s_cbranch_execz .LBB129_85
.LBB129_83:                             ;   Parent Loop BB129_31 Depth=1
                                        ; =>  This Inner Loop Header: Depth=2
	v_add_co_u32 v30, vcc_lo, v30, v2
	v_add_co_ci_u32_e64 v31, null, 0, v31, vcc_lo
	v_mov_b32_e32 v32, 0
	s_mov_b32 s1, exec_lo
	v_cmp_le_u64_e32 vcc_lo, s[36:37], v[30:31]
	v_cmpx_gt_u64_e64 s[36:37], v[30:31]
	s_cbranch_execz .LBB129_82
; %bb.84:                               ;   in Loop: Header=BB129_83 Depth=2
	v_mad_u64_u32 v[43:44], null, v30, s30, s[56:57]
	v_mul_lo_u32 v32, v30, s31
	v_mul_lo_u32 v45, v31, s30
	v_add3_u32 v44, v45, v44, v32
	global_load_ubyte v32, v[43:44], off
	s_branch .LBB129_82
.LBB129_85:                             ;   in Loop: Header=BB129_31 Depth=1
	s_or_b32 exec_lo, exec_lo, s12
.LBB129_86:                             ;   in Loop: Header=BB129_31 Depth=1
	s_or_b32 exec_lo, exec_lo, s2
	s_branch .LBB129_65
.LBB129_87:                             ;   in Loop: Header=BB129_31 Depth=1
	global_load_ushort v2, v3, s[60:61]
	v_mov_b32_e32 v6, 0
	v_mov_b32_e32 v8, 0
	v_mov_b32_e32 v10, 0
	v_mov_b32_e32 v7, 0
	v_mov_b32_e32 v9, 0
	v_mov_b32_e32 v11, 0
	s_mov_b32 s58, exec_lo
	s_waitcnt vmcnt(0)
	v_readfirstlane_b32 s1, v2
	s_and_b32 s2, 0xffff, s1
	s_lshl_b32 s54, s2, 2
	v_cvt_f32_u32_e32 v4, s54
	s_sub_i32 s6, 0, s54
	v_rcp_iflag_f32_e32 v4, v4
	v_mul_f32_e32 v4, 0x4f7ffffe, v4
	v_cvt_u32_f32_e32 v4, v4
	v_readfirstlane_b32 s1, v4
	v_mov_b32_e32 v4, 0
	v_mov_b32_e32 v5, 0
	s_mul_i32 s6, s6, s1
	s_mul_hi_u32 s6, s1, s6
	s_add_i32 s1, s1, s6
	s_mul_hi_u32 s1, s66, s1
	s_mul_i32 s6, s1, s54
	s_add_i32 s9, s1, 1
	s_sub_i32 s6, s66, s6
	s_sub_i32 s11, s6, s54
	s_cmp_ge_u32 s6, s54
	s_cselect_b32 s1, s9, s1
	s_cselect_b32 s6, s11, s6
	s_add_i32 s9, s1, 1
	s_cmp_ge_u32 s6, s54
	s_cselect_b32 s1, s9, s1
	s_mul_hi_u32 s69, s2, s1
	s_mul_i32 s68, s2, s1
	s_lshl_b64 s[70:71], s[68:69], 2
	v_cmpx_gt_u64_e64 s[70:71], v[14:15]
	s_cbranch_execz .LBB129_91
; %bb.88:                               ;   in Loop: Header=BB129_31 Depth=1
	v_mov_b32_e32 v31, v15
	v_mov_b32_e32 v32, v14
	;; [unrolled: 1-line block ×3, first 2 shown]
	s_mov_b64 s[72:73], 0
	s_mov_b32 s67, 0
	s_mov_b64 s[74:75], 0
	s_mov_b64 s[76:77], 0
	s_mov_b64 s[78:79], 0
.LBB129_89:                             ;   Parent Loop BB129_31 Depth=1
                                        ; =>  This Inner Loop Header: Depth=2
	ds_read_b32 v4, v32
	v_add_nc_u32_e32 v32, s54, v32
	s_waitcnt lgkmcnt(0)
	v_and_b32_e32 v5, 0xff, v4
	v_and_b32_e32 v6, v41, v5
	v_bfe_u32 v5, v5, vcc_hi, 2
	v_cmp_eq_u32_e32 vcc_lo, v6, v20
	v_bfe_u32 v6, v4, 8, 8
	v_cmp_eq_u32_e64 s12, 0, v5
	v_cmp_eq_u32_e64 s13, 1, v5
	;; [unrolled: 1-line block ×4, first 2 shown]
	v_and_b32_e32 v7, v41, v6
	v_bfe_u32 v5, v6, vcc_hi, 2
	s_and_b32 s1, vcc_lo, s12
	v_cmp_eq_u32_e64 s6, v7, v20
	v_bfe_u32 v7, v4, 16, 8
	v_lshrrev_b32_e32 v4, 24, v4
	v_cmp_eq_u32_e64 s16, 0, v5
	v_cmp_eq_u32_e64 s17, 1, v5
	;; [unrolled: 1-line block ×3, first 2 shown]
	v_and_b32_e32 v8, v41, v7
	v_cmp_eq_u32_e64 s19, 3, v5
	v_bfe_u32 v5, v7, vcc_hi, 2
	v_cmp_eq_u32_e64 s9, v8, v20
	v_and_b32_e32 v8, v41, v4
	v_bfe_u32 v4, v4, vcc_hi, 2
	v_cmp_eq_u32_e64 s20, 0, v5
	v_cmp_eq_u32_e64 s21, 1, v5
	;; [unrolled: 1-line block ×8, first 2 shown]
	v_cndmask_b32_e64 v4, 0, 1, s1
	s_and_b32 s1, s6, s16
	v_cmp_eq_u32_e64 s23, 3, v5
	v_cmp_ne_u32_e64 s12, 0, v4
	v_cndmask_b32_e64 v4, 0, 1, s1
	s_and_b32 s1, s9, s20
	v_cmp_ne_u32_e64 s16, 0, v4
	v_cndmask_b32_e64 v4, 0, 1, s1
	s_and_b32 s1, s11, s24
	v_cmp_ne_u32_e64 s20, 0, v4
	v_cndmask_b32_e64 v4, 0, 1, s1
	s_bcnt1_i32_b32 s1, s12
	s_bcnt1_i32_b32 s12, s16
	;; [unrolled: 1-line block ×3, first 2 shown]
	v_cmp_ne_u32_e64 s24, 0, v4
	s_add_i32 s1, s12, s1
	s_add_i32 s1, s1, s16
	s_bcnt1_i32_b32 s20, s24
	s_add_i32 s1, s1, s20
	s_add_u32 s78, s78, s1
	s_addc_u32 s79, s79, 0
	s_and_b32 s1, vcc_lo, s13
	v_cndmask_b32_e64 v4, 0, 1, s1
	s_and_b32 s1, s6, s17
	v_cmp_ne_u32_e64 s12, 0, v4
	v_cndmask_b32_e64 v4, 0, 1, s1
	s_and_b32 s1, s9, s21
	v_cmp_ne_u32_e64 s13, 0, v4
	;; [unrolled: 3-line block ×3, first 2 shown]
	v_cndmask_b32_e64 v4, 0, 1, s1
	s_bcnt1_i32_b32 s1, s12
	s_bcnt1_i32_b32 s12, s13
	;; [unrolled: 1-line block ×3, first 2 shown]
	v_cmp_ne_u32_e64 s17, 0, v4
	s_add_i32 s1, s12, s1
	s_add_i32 s1, s1, s13
	s_bcnt1_i32_b32 s16, s17
	s_add_i32 s1, s1, s16
	s_add_u32 s76, s76, s1
	s_addc_u32 s77, s77, 0
	s_and_b32 s1, vcc_lo, s14
	v_mov_b32_e32 v6, s76
	v_cndmask_b32_e64 v4, 0, 1, s1
	s_and_b32 s1, s6, s18
	v_mov_b32_e32 v7, s77
	v_cmp_ne_u32_e64 s12, 0, v4
	v_cndmask_b32_e64 v4, 0, 1, s1
	s_and_b32 s1, s9, s22
	v_cmp_ne_u32_e64 s13, 0, v4
	v_cndmask_b32_e64 v4, 0, 1, s1
	s_and_b32 s1, s11, s26
	v_cmp_ne_u32_e64 s14, 0, v4
	v_cndmask_b32_e64 v4, 0, 1, s1
	s_bcnt1_i32_b32 s1, s12
	s_bcnt1_i32_b32 s12, s13
	;; [unrolled: 1-line block ×3, first 2 shown]
	v_cmp_ne_u32_e64 s16, 0, v4
	s_add_i32 s1, s12, s1
	v_add_co_u32 v30, s12, v30, s54
	s_add_i32 s1, s1, s13
	s_bcnt1_i32_b32 s14, s16
	v_add_co_ci_u32_e64 v31, null, 0, v31, s12
	s_add_i32 s1, s1, s14
	s_add_u32 s74, s74, s1
	s_addc_u32 s75, s75, 0
	s_and_b32 s1, vcc_lo, s15
	v_cmp_le_u64_e64 s12, s[70:71], v[30:31]
	v_cndmask_b32_e64 v4, 0, 1, s1
	s_and_b32 s1, s6, s19
	v_mov_b32_e32 v8, s74
	v_mov_b32_e32 v9, s75
	v_cmp_ne_u32_e32 vcc_lo, 0, v4
	v_cndmask_b32_e64 v4, 0, 1, s1
	s_and_b32 s1, s9, s23
	v_cmp_ne_u32_e64 s6, 0, v4
	v_cndmask_b32_e64 v4, 0, 1, s1
	s_and_b32 s1, s11, s27
	s_bcnt1_i32_b32 s6, s6
	v_cmp_ne_u32_e64 s9, 0, v4
	v_cndmask_b32_e64 v4, 0, 1, s1
	s_bcnt1_i32_b32 s1, vcc_lo
	s_add_i32 s1, s6, s1
	s_bcnt1_i32_b32 s9, s9
	v_cmp_ne_u32_e64 s11, 0, v4
	s_add_i32 s1, s1, s9
	v_mov_b32_e32 v4, s78
	v_mov_b32_e32 v5, s79
	s_bcnt1_i32_b32 s11, s11
	s_add_i32 s1, s1, s11
	s_add_u32 s72, s72, s1
	s_addc_u32 s73, s73, 0
	v_mov_b32_e32 v10, s72
	v_mov_b32_e32 v11, s73
	s_or_b32 s67, s12, s67
	s_andn2_b32 exec_lo, exec_lo, s67
	s_cbranch_execnz .LBB129_89
; %bb.90:                               ;   in Loop: Header=BB129_31 Depth=1
	s_or_b32 exec_lo, exec_lo, s67
.LBB129_91:                             ;   in Loop: Header=BB129_31 Depth=1
	s_or_b32 exec_lo, exec_lo, s58
	v_add_co_u32 v30, s1, s70, v0
	v_and_b32_e32 v2, 0xffff, v2
	v_add_co_ci_u32_e64 v31, null, s71, 0, s1
	s_and_b32 s54, s66, 0x7fffffff
	s_mov_b32 s14, exec_lo
	v_cmpx_gt_u64_e64 s[54:55], v[30:31]
	s_cbranch_execz .LBB129_95
; %bb.92:                               ;   in Loop: Header=BB129_31 Depth=1
	v_lshl_add_u32 v32, s68, 2, v0
	s_mov_b32 s15, 0
.LBB129_93:                             ;   Parent Loop BB129_31 Depth=1
                                        ; =>  This Inner Loop Header: Depth=2
	ds_read_u8 v33, v32
	v_add_co_u32 v30, vcc_lo, v30, v2
	v_add_co_ci_u32_e64 v31, null, 0, v31, vcc_lo
	v_add_nc_u32_e32 v32, s2, v32
	v_cmp_le_u64_e32 vcc_lo, s[54:55], v[30:31]
	s_waitcnt lgkmcnt(0)
	v_and_b32_e32 v43, v41, v33
	v_bfe_u32 v33, v33, vcc_hi, 2
	v_cmp_eq_u32_e64 s6, v43, v20
	v_cmp_eq_u32_e64 s9, 0, v33
	;; [unrolled: 1-line block ×5, first 2 shown]
	s_and_b32 s1, s6, s9
	v_cndmask_b32_e64 v33, 0, 1, s1
	s_and_b32 s1, s6, s11
	v_cndmask_b32_e64 v43, 0, 1, s1
	;; [unrolled: 2-line block ×3, first 2 shown]
	s_and_b32 s1, s6, s13
	v_cmp_ne_u32_e64 s6, 0, v33
	v_cndmask_b32_e64 v45, 0, 1, s1
	v_cmp_ne_u32_e64 s9, 0, v43
	v_cmp_ne_u32_e64 s11, 0, v44
	s_bcnt1_i32_b32 s1, s6
	v_cmp_ne_u32_e64 s12, 0, v45
	s_bcnt1_i32_b32 s9, s9
	v_add_co_u32 v4, s6, v4, s1
	s_bcnt1_i32_b32 s11, s11
	v_add_co_ci_u32_e64 v5, null, 0, v5, s6
	v_add_co_u32 v6, s6, v6, s9
	s_bcnt1_i32_b32 s12, s12
	v_add_co_ci_u32_e64 v7, null, 0, v7, s6
	v_add_co_u32 v8, s6, v8, s11
	v_add_co_ci_u32_e64 v9, null, 0, v9, s6
	v_add_co_u32 v10, s6, v10, s12
	v_add_co_ci_u32_e64 v11, null, 0, v11, s6
	s_or_b32 s15, vcc_lo, s15
	s_andn2_b32 exec_lo, exec_lo, s15
	s_cbranch_execnz .LBB129_93
; %bb.94:                               ;   in Loop: Header=BB129_31 Depth=1
	s_or_b32 exec_lo, exec_lo, s15
.LBB129_95:                             ;   in Loop: Header=BB129_31 Depth=1
	s_or_b32 exec_lo, exec_lo, s14
	s_lshl_b32 s2, s50, 7
	s_and_saveexec_b32 s1, s0
	s_cbranch_execnz .LBB129_66
	s_branch .LBB129_67
.LBB129_96:                             ;   in Loop: Header=BB129_31 Depth=1
                                        ; implicit-def: $sgpr12_sgpr13
	s_branch .LBB129_75
.LBB129_97:                             ;   in Loop: Header=BB129_31 Depth=1
	s_mov_b32 s9, 0
	s_andn2_b32 vcc_lo, exec_lo, s104
	s_cbranch_vccnz .LBB129_100
.LBB129_98:                             ;   in Loop: Header=BB129_31 Depth=1
	s_lshl_b32 s1, s50, 10
	s_lshl_b32 s9, s9, 5
	v_add3_u32 v2, s1, s9, v39
	v_readlane_b32 s9, v59, 9
.LBB129_99:                             ;   Parent Loop BB129_31 Depth=1
                                        ; =>  This Inner Loop Header: Depth=2
	ds_read_b64 v[6:7], v2
	v_add_nc_u32_e32 v2, 32, v2
	s_add_i32 s9, s9, -1
	s_cmp_lg_u32 s9, 0
	s_waitcnt lgkmcnt(0)
	v_add_co_u32 v4, vcc_lo, v6, v4
	v_add_co_ci_u32_e64 v5, null, v7, v5, vcc_lo
	s_cbranch_scc1 .LBB129_99
.LBB129_100:                            ;   in Loop: Header=BB129_31 Depth=1
	v_add_lshl_u32 v2, s2, v35, 3
	ds_write_b64 v2, v[4:5] offset:3072
.LBB129_101:                            ;   in Loop: Header=BB129_31 Depth=1
	s_or_b32 exec_lo, exec_lo, s6
	s_lshl_b32 s1, s2, 3
	s_waitcnt lgkmcnt(0)
	v_mov_b32_e32 v2, s1
	s_barrier
	buffer_gl0_inv
	v_cmp_eq_u64_e64 s9, 1, v[28:29]
	s_lshl_b32 s11, 3, vcc_hi
	ds_read_b128 v[4:7], v2 offset:3072
	ds_read_b128 v[8:11], v2 offset:3088
	s_mov_b32 s70, -1
	s_not_b32 s26, s11
	s_mov_b32 s27, 0
	s_andn2_b32 vcc_lo, exec_lo, s84
	s_mov_b32 s67, 0
	s_mov_b32 s66, 0
                                        ; implicit-def: $sgpr68
                                        ; implicit-def: $sgpr69
                                        ; implicit-def: $vgpr2
	s_waitcnt lgkmcnt(1)
	v_readfirstlane_b32 s13, v5
	v_readfirstlane_b32 s12, v4
	;; [unrolled: 1-line block ×4, first 2 shown]
	s_waitcnt lgkmcnt(0)
	v_readfirstlane_b32 s17, v9
	v_readfirstlane_b32 s16, v8
	;; [unrolled: 1-line block ×4, first 2 shown]
                                        ; implicit-def: $vgpr4_vgpr5
                                        ; implicit-def: $vgpr10
                                        ; implicit-def: $vgpr11
                                        ; implicit-def: $vgpr8
	s_cbranch_vccnz .LBB129_296
; %bb.102:                              ;   in Loop: Header=BB129_31 Depth=1
	s_cmp_eq_u64 s[12:13], 1
	v_mov_b32_e32 v10, v20
	v_mov_b32_e32 v11, v41
	;; [unrolled: 1-line block ×3, first 2 shown]
	s_cselect_b32 s1, -1, 0
	s_mov_b32 s6, -1
	s_and_b32 s72, s1, s9
                                        ; implicit-def: $sgpr69
                                        ; implicit-def: $sgpr68
	s_and_saveexec_b32 s2, s72
	s_cbranch_execz .LBB129_137
; %bb.103:                              ;   in Loop: Header=BB129_31 Depth=1
	ds_read_b64 v[4:5], v3 offset:5120
	s_waitcnt lgkmcnt(0)
	s_barrier
	buffer_gl0_inv
	v_readfirstlane_b32 s20, v4
	v_readfirstlane_b32 s21, v5
	s_and_saveexec_b32 s1, s10
; %bb.104:                              ;   in Loop: Header=BB129_31 Depth=1
	ds_write_b8 v0, v3 offset:3072
; %bb.105:                              ;   in Loop: Header=BB129_31 Depth=1
	s_or_b32 exec_lo, exec_lo, s1
	v_and_b32_e32 v10, s26, v20
	v_or_b32_e32 v11, s11, v41
	s_mov_b32 s68, -1
	s_mov_b32 s69, 0
	s_cmp_eq_u64 s[20:21], 0
	s_mov_b32 s24, 0
	s_waitcnt lgkmcnt(0)
	s_barrier
	buffer_gl0_inv
                                        ; implicit-def: $vgpr8
	s_cbranch_scc1 .LBB129_122
; %bb.106:                              ;   in Loop: Header=BB129_31 Depth=1
	s_add_u32 s6, s20, s89
	s_addc_u32 s23, s21, s90
	s_mov_b32 s22, s55
	s_cmp_lg_u64 s[22:23], 0
	s_cbranch_scc0 .LBB129_163
; %bb.107:                              ;   in Loop: Header=BB129_31 Depth=1
	v_cvt_f32_u32_e32 v2, s33
	s_sub_u32 s24, 0, s33
	s_subb_u32 s25, 0, 0
	v_fmac_f32_e64 v2, 0x4f800000, 0
	v_rcp_f32_e32 v2, v2
	v_mul_f32_e32 v2, 0x5f7ffffc, v2
	v_mul_f32_e32 v4, 0x2f800000, v2
	v_trunc_f32_e32 v4, v4
	v_fmac_f32_e32 v2, 0xcf800000, v4
	v_cvt_u32_f32_e32 v4, v4
	v_cvt_u32_f32_e32 v2, v2
	v_readfirstlane_b32 s1, v4
	v_readfirstlane_b32 s22, v2
	s_mul_i32 s44, s24, s1
	s_mul_hi_u32 s54, s24, s22
	s_mul_i32 s45, s25, s22
	s_add_i32 s44, s54, s44
	s_mul_i32 s58, s24, s22
	s_add_i32 s44, s44, s45
	s_mul_hi_u32 s54, s22, s58
	s_mul_i32 s63, s22, s44
	s_mul_hi_u32 s62, s1, s58
	s_mul_i32 s45, s1, s58
	s_mul_hi_u32 s58, s22, s44
	s_add_u32 s54, s54, s63
	s_addc_u32 s58, 0, s58
	s_mul_hi_u32 s66, s1, s44
	s_add_u32 s45, s54, s45
	s_mul_i32 s44, s1, s44
	s_addc_u32 s45, s58, s62
	s_addc_u32 s54, s66, 0
	s_add_u32 s44, s45, s44
	s_addc_u32 s45, 0, s54
	s_add_u32 s22, s22, s44
	s_cselect_b32 s44, -1, 0
	s_mul_hi_u32 s54, s24, s22
	s_cmp_lg_u32 s44, 0
	s_mul_i32 s44, s24, s22
	s_addc_u32 s1, s1, s45
	s_mul_i32 s25, s25, s22
	s_mul_i32 s24, s24, s1
	s_mul_hi_u32 s45, s22, s44
	s_add_i32 s24, s54, s24
	s_mul_hi_u32 s54, s1, s44
	s_add_i32 s24, s24, s25
	s_mul_i32 s25, s1, s44
	s_mul_i32 s62, s22, s24
	s_mul_hi_u32 s58, s22, s24
	s_add_u32 s45, s45, s62
	s_addc_u32 s58, 0, s58
	s_mul_hi_u32 s44, s1, s24
	s_add_u32 s25, s45, s25
	s_mul_i32 s24, s1, s24
	s_addc_u32 s25, s58, s54
	s_addc_u32 s44, s44, 0
	s_add_u32 s24, s25, s24
	s_addc_u32 s25, 0, s44
	s_add_u32 s22, s22, s24
	s_cselect_b32 s24, -1, 0
	s_mul_hi_u32 s44, s6, s22
	s_cmp_lg_u32 s24, 0
	s_mul_hi_u32 s24, s23, s22
	s_addc_u32 s1, s1, s25
	s_mul_i32 s22, s23, s22
	s_mul_i32 s45, s6, s1
	s_mul_hi_u32 s25, s6, s1
	s_add_u32 s44, s44, s45
	s_addc_u32 s25, 0, s25
	s_mul_hi_u32 s54, s23, s1
	s_add_u32 s22, s44, s22
	s_mul_i32 s1, s23, s1
	s_addc_u32 s22, s25, s24
	s_addc_u32 s24, s54, 0
	s_add_u32 s1, s22, s1
	s_addc_u32 s22, 0, s24
	s_mul_hi_u32 s24, s33, s1
	s_mul_i32 s22, s33, s22
	s_mul_i32 s1, s33, s1
	s_add_i32 s24, s24, s22
	s_sub_u32 s1, s6, s1
	s_cselect_b32 s22, -1, 0
	s_cmp_lg_u32 s22, 0
	s_subb_u32 s22, s23, s24
	s_sub_u32 s24, s1, s33
	s_cselect_b32 s25, -1, 0
	s_cmp_lg_u32 s25, 0
	s_subb_u32 s25, s22, 0
	;; [unrolled: 4-line block ×3, first 2 shown]
	s_cmp_ge_u32 s24, s33
	s_cselect_b32 s54, -1, 0
	s_cmp_eq_u32 s25, 0
	s_cselect_b32 s54, s54, -1
	s_cmp_lg_u32 s54, 0
	s_cselect_b32 s25, s45, s25
	s_cselect_b32 s24, s44, s24
	s_cmp_ge_u32 s1, s33
	s_cselect_b32 s44, -1, 0
	s_cmp_eq_u32 s22, 0
	s_cselect_b32 s44, s44, -1
	s_cmp_lg_u32 s44, 0
	s_cselect_b32 s25, s25, s22
	s_cselect_b32 s24, s24, s1
	s_cbranch_execnz .LBB129_109
.LBB129_108:                            ;   in Loop: Header=BB129_31 Depth=1
	v_cvt_f32_u32_e32 v2, s33
	s_sub_i32 s22, 0, s33
	v_rcp_iflag_f32_e32 v2, v2
	v_mul_f32_e32 v2, 0x4f7ffffe, v2
	v_cvt_u32_f32_e32 v2, v2
	v_readfirstlane_b32 s1, v2
	s_mul_i32 s22, s22, s1
	s_mul_hi_u32 s22, s1, s22
	s_add_i32 s1, s1, s22
	s_mul_hi_u32 s1, s6, s1
	s_mul_i32 s1, s1, s33
	s_sub_i32 s1, s6, s1
	s_sub_i32 s22, s1, s33
	s_cmp_ge_u32 s1, s33
	s_cselect_b32 s1, s22, s1
	s_sub_i32 s22, s1, s33
	s_cmp_ge_u32 s1, s33
	s_cselect_b32 s54, s22, s1
	s_mov_b64 s[24:25], s[54:55]
.LBB129_109:                            ;   in Loop: Header=BB129_31 Depth=1
	s_sub_u32 s22, s6, s24
	s_subb_u32 s23, s23, s25
	s_mov_b32 s6, 0
	s_mov_b32 s24, 0
	s_mov_b32 s25, exec_lo
                                        ; implicit-def: $vgpr8
	v_cmpx_gt_u64_e64 s[22:23], v[0:1]
	s_cbranch_execz .LBB129_121
; %bb.110:                              ;   in Loop: Header=BB129_31 Depth=1
	v_mov_b32_e32 v5, v1
	v_mov_b32_e32 v2, v0
	;; [unrolled: 1-line block ×3, first 2 shown]
                                        ; implicit-def: $sgpr44
	s_inst_prefetch 0x1
	s_branch .LBB129_113
	.p2align	6
.LBB129_111:                            ;   in Loop: Header=BB129_113 Depth=2
	s_or_b32 exec_lo, exec_lo, s45
	s_waitcnt lgkmcnt(0)
	s_barrier
	buffer_gl0_inv
	ds_read_u16 v6, v3 offset:3072
	s_mov_b32 s45, -1
	s_mov_b32 s54, -1
	s_waitcnt lgkmcnt(0)
	s_barrier
	buffer_gl0_inv
	v_cmp_ne_u32_sdwa s1, v6, v3 src0_sel:BYTE_0 src1_sel:DWORD
	s_and_b32 vcc_lo, exec_lo, s1
	s_cbranch_vccz .LBB129_116
.LBB129_112:                            ;   in Loop: Header=BB129_113 Depth=2
	s_and_b32 s1, exec_lo, s45
	s_or_b32 s24, s1, s24
	s_andn2_b32 s1, s44, exec_lo
	s_and_b32 s44, s54, exec_lo
	s_or_b32 s44, s1, s44
	s_andn2_b32 exec_lo, exec_lo, s24
	s_cbranch_execz .LBB129_120
.LBB129_113:                            ;   Parent Loop BB129_31 Depth=1
                                        ; =>  This Inner Loop Header: Depth=2
	s_mov_b32 s45, exec_lo
	v_cmpx_gt_u64_e64 s[20:21], v[4:5]
	s_cbranch_execz .LBB129_111
; %bb.114:                              ;   in Loop: Header=BB129_113 Depth=2
	ds_read_u8 v6, v2
	s_waitcnt lgkmcnt(0)
	v_and_b32_e32 v7, v6, v11
	v_cmp_eq_u32_sdwa s1, v7, v10 src0_sel:BYTE_0 src1_sel:DWORD
	s_and_b32 exec_lo, exec_lo, s1
	s_cbranch_execz .LBB129_111
; %bb.115:                              ;   in Loop: Header=BB129_113 Depth=2
	v_lshlrev_b16 v6, 8, v6
	v_or_b32_e32 v6, 1, v6
	ds_write_b16 v3, v6 offset:3072
	s_branch .LBB129_111
.LBB129_116:                            ;   in Loop: Header=BB129_113 Depth=2
	v_add_co_u32 v4, vcc_lo, v4, s33
	v_add_co_ci_u32_e64 v5, null, 0, v5, vcc_lo
	v_add_nc_u32_e32 v2, s33, v2
	s_mov_b32 s54, 0
	v_cmp_le_u64_e32 vcc_lo, s[22:23], v[4:5]
	s_orn2_b32 s45, vcc_lo, exec_lo
	s_branch .LBB129_112
.LBB129_117:                            ;   in Loop: Header=BB129_31 Depth=1
	s_or_b32 exec_lo, exec_lo, s11
	s_waitcnt lgkmcnt(0)
	s_barrier
	buffer_gl0_inv
	s_and_saveexec_b32 s1, s3
	s_cbranch_execz .LBB129_119
; %bb.118:                              ;   in Loop: Header=BB129_31 Depth=1
	ds_read_b32 v4, v3 offset:5144
	s_waitcnt lgkmcnt(0)
	v_ashrrev_i32_e32 v5, 31, v4
	ds_write_b64 v3, v[4:5] offset:5120
.LBB129_119:                            ;   in Loop: Header=BB129_31 Depth=1
	s_or_b32 exec_lo, exec_lo, s1
	s_waitcnt lgkmcnt(0)
	s_mov_b32 s6, -1
	s_barrier
	s_and_b32 vcc_lo, exec_lo, s2
	s_cbranch_vccnz .LBB129_46
	s_branch .LBB129_61
.LBB129_120:                            ;   in Loop: Header=BB129_31 Depth=1
	s_inst_prefetch 0x2
	s_or_b32 exec_lo, exec_lo, s24
	v_lshrrev_b32_sdwa v8, v40, v6 dst_sel:DWORD dst_unused:UNUSED_PAD src0_sel:DWORD src1_sel:WORD_0
	s_and_b32 s24, s44, exec_lo
.LBB129_121:                            ;   in Loop: Header=BB129_31 Depth=1
	s_or_b32 exec_lo, exec_lo, s25
.LBB129_122:                            ;   in Loop: Header=BB129_31 Depth=1
	s_and_b32 vcc_lo, exec_lo, s6
	s_cbranch_vccz .LBB129_136
; %bb.123:                              ;   in Loop: Header=BB129_31 Depth=1
	s_mov_b32 s58, s55
	s_cmp_lg_u64 s[58:59], 0
	s_cbranch_scc0 .LBB129_164
; %bb.124:                              ;   in Loop: Header=BB129_31 Depth=1
	v_cvt_f32_u32_e32 v2, s33
	s_sub_u32 s20, 0, s33
	s_subb_u32 s21, 0, 0
	v_fmac_f32_e64 v2, 0x4f800000, 0
	v_rcp_f32_e32 v2, v2
	v_mul_f32_e32 v2, 0x5f7ffffc, v2
	v_mul_f32_e32 v4, 0x2f800000, v2
	v_trunc_f32_e32 v4, v4
	v_fmac_f32_e32 v2, 0xcf800000, v4
	v_cvt_u32_f32_e32 v4, v4
	v_cvt_u32_f32_e32 v2, v2
	v_readfirstlane_b32 s1, v4
	v_readfirstlane_b32 s6, v2
	s_mul_i32 s22, s20, s1
	s_mul_hi_u32 s25, s20, s6
	s_mul_i32 s23, s21, s6
	s_add_i32 s22, s25, s22
	s_mul_i32 s44, s20, s6
	s_add_i32 s22, s22, s23
	s_mul_hi_u32 s25, s6, s44
	s_mul_i32 s54, s6, s22
	s_mul_hi_u32 s45, s1, s44
	s_mul_i32 s23, s1, s44
	s_mul_hi_u32 s44, s6, s22
	s_add_u32 s25, s25, s54
	s_addc_u32 s44, 0, s44
	s_mul_hi_u32 s58, s1, s22
	s_add_u32 s23, s25, s23
	s_mul_i32 s22, s1, s22
	s_addc_u32 s23, s44, s45
	s_addc_u32 s25, s58, 0
	s_add_u32 s22, s23, s22
	s_addc_u32 s23, 0, s25
	s_add_u32 s6, s6, s22
	s_cselect_b32 s22, -1, 0
	s_mul_hi_u32 s25, s20, s6
	s_cmp_lg_u32 s22, 0
	s_mul_i32 s22, s20, s6
	s_addc_u32 s1, s1, s23
	s_mul_i32 s21, s21, s6
	s_mul_i32 s20, s20, s1
	s_mul_hi_u32 s23, s6, s22
	s_add_i32 s20, s25, s20
	s_mul_hi_u32 s25, s1, s22
	s_add_i32 s20, s20, s21
	s_mul_i32 s21, s1, s22
	s_mul_i32 s45, s6, s20
	s_mul_hi_u32 s44, s6, s20
	s_add_u32 s23, s23, s45
	s_addc_u32 s44, 0, s44
	s_mul_hi_u32 s22, s1, s20
	s_add_u32 s21, s23, s21
	s_mul_i32 s20, s1, s20
	s_addc_u32 s21, s44, s25
	s_addc_u32 s22, s22, 0
	s_add_u32 s20, s21, s20
	s_addc_u32 s21, 0, s22
	s_add_u32 s6, s6, s20
	s_cselect_b32 s20, -1, 0
	s_mul_hi_u32 s22, s91, s6
	s_cmp_lg_u32 s20, 0
	s_mul_hi_u32 s20, s59, s6
	s_addc_u32 s1, s1, s21
	s_mul_i32 s6, s59, s6
	s_mul_i32 s23, s91, s1
	s_mul_hi_u32 s21, s91, s1
	s_add_u32 s22, s22, s23
	s_addc_u32 s21, 0, s21
	s_mul_hi_u32 s25, s59, s1
	s_add_u32 s6, s22, s6
	s_mul_i32 s1, s59, s1
	s_addc_u32 s6, s21, s20
	s_addc_u32 s20, s25, 0
	s_add_u32 s1, s6, s1
	s_addc_u32 s6, 0, s20
	s_mul_hi_u32 s20, s33, s1
	s_mul_i32 s6, s33, s6
	s_mul_i32 s1, s33, s1
	s_add_i32 s20, s20, s6
	s_sub_u32 s1, s91, s1
	s_cselect_b32 s6, -1, 0
	s_cmp_lg_u32 s6, 0
	s_subb_u32 s6, s59, s20
	s_sub_u32 s20, s1, s33
	s_cselect_b32 s21, -1, 0
	s_cmp_lg_u32 s21, 0
	s_subb_u32 s21, s6, 0
	;; [unrolled: 4-line block ×3, first 2 shown]
	s_cmp_ge_u32 s20, s33
	s_cselect_b32 s25, -1, 0
	s_cmp_eq_u32 s21, 0
	s_cselect_b32 s25, s25, -1
	s_cmp_lg_u32 s25, 0
	s_cselect_b32 s21, s23, s21
	s_cselect_b32 s20, s22, s20
	s_cmp_ge_u32 s1, s33
	s_cselect_b32 s22, -1, 0
	s_cmp_eq_u32 s6, 0
	s_cselect_b32 s22, s22, -1
	s_cmp_lg_u32 s22, 0
	s_cselect_b32 s21, s21, s6
	s_cselect_b32 s20, s20, s1
	s_cbranch_execnz .LBB129_126
.LBB129_125:                            ;   in Loop: Header=BB129_31 Depth=1
	v_cvt_f32_u32_e32 v2, s33
	s_sub_i32 s6, 0, s33
	v_rcp_iflag_f32_e32 v2, v2
	v_mul_f32_e32 v2, 0x4f7ffffe, v2
	v_cvt_u32_f32_e32 v2, v2
	v_readfirstlane_b32 s1, v2
	s_mul_i32 s6, s6, s1
	s_mul_hi_u32 s6, s1, s6
	s_add_i32 s1, s1, s6
	s_mul_hi_u32 s1, s91, s1
	s_mul_i32 s1, s1, s33
	s_sub_i32 s1, s91, s1
	s_sub_i32 s6, s1, s33
	s_cmp_ge_u32 s1, s33
	s_cselect_b32 s1, s6, s1
	s_sub_i32 s6, s1, s33
	s_cmp_ge_u32 s1, s33
	s_cselect_b32 s54, s6, s1
	s_mov_b64 s[20:21], s[54:55]
.LBB129_126:                            ;   in Loop: Header=BB129_31 Depth=1
	s_sub_u32 s20, s91, s20
	s_subb_u32 s21, s59, s21
	s_mov_b32 s22, exec_lo
                                        ; implicit-def: $vgpr8
	v_cmpx_gt_u64_e64 s[20:21], v[0:1]
	s_cbranch_execz .LBB129_135
; %bb.127:                              ;   in Loop: Header=BB129_31 Depth=1
	v_mov_b32_e32 v4, v26
	v_mov_b32_e32 v7, v1
	;; [unrolled: 1-line block ×4, first 2 shown]
	s_mov_b32 s23, 0
                                        ; implicit-def: $sgpr25
	s_inst_prefetch 0x1
	s_branch .LBB129_130
	.p2align	6
.LBB129_128:                            ;   in Loop: Header=BB129_130 Depth=2
	s_or_b32 exec_lo, exec_lo, s6
	s_waitcnt lgkmcnt(0)
	s_barrier
	buffer_gl0_inv
	ds_read_u16 v2, v3 offset:3072
	s_mov_b32 s6, -1
	s_mov_b32 s44, -1
	s_waitcnt lgkmcnt(0)
	s_barrier
	buffer_gl0_inv
	v_cmp_ne_u32_sdwa s1, v2, v3 src0_sel:BYTE_0 src1_sel:DWORD
	s_and_b32 vcc_lo, exec_lo, s1
	s_cbranch_vccz .LBB129_133
.LBB129_129:                            ;   in Loop: Header=BB129_130 Depth=2
	s_and_b32 s1, exec_lo, s6
	s_or_b32 s23, s1, s23
	s_andn2_b32 s1, s25, exec_lo
	s_and_b32 s6, s44, exec_lo
	s_or_b32 s25, s1, s6
	s_andn2_b32 exec_lo, exec_lo, s23
	s_cbranch_execz .LBB129_134
.LBB129_130:                            ;   Parent Loop BB129_31 Depth=1
                                        ; =>  This Inner Loop Header: Depth=2
	s_mov_b32 s6, exec_lo
	v_cmpx_gt_u64_e64 s[36:37], v[6:7]
	s_cbranch_execz .LBB129_128
; %bb.131:                              ;   in Loop: Header=BB129_130 Depth=2
	global_load_ubyte v2, v[4:5], off
	s_waitcnt vmcnt(0)
	v_and_b32_e32 v8, v2, v11
	v_cmp_eq_u32_sdwa s1, v8, v10 src0_sel:BYTE_0 src1_sel:DWORD
	s_and_b32 exec_lo, exec_lo, s1
	s_cbranch_execz .LBB129_128
; %bb.132:                              ;   in Loop: Header=BB129_130 Depth=2
	v_lshlrev_b16 v2, 8, v2
	v_or_b32_e32 v2, 1, v2
	ds_write_b16 v3, v2 offset:3072
	s_branch .LBB129_128
.LBB129_133:                            ;   in Loop: Header=BB129_130 Depth=2
	v_add_co_u32 v6, vcc_lo, v6, s33
	v_add_co_ci_u32_e64 v7, null, 0, v7, vcc_lo
	v_add_co_u32 v4, s6, v4, s81
	v_add_co_ci_u32_e64 v5, null, s80, v5, s6
	v_cmp_le_u64_e32 vcc_lo, s[20:21], v[6:7]
	s_mov_b32 s44, 0
	s_orn2_b32 s6, vcc_lo, exec_lo
	s_branch .LBB129_129
.LBB129_134:                            ;   in Loop: Header=BB129_31 Depth=1
	s_inst_prefetch 0x2
	s_or_b32 exec_lo, exec_lo, s23
	v_lshrrev_b32_sdwa v8, v40, v2 dst_sel:DWORD dst_unused:UNUSED_PAD src0_sel:DWORD src1_sel:WORD_0
	s_andn2_b32 s1, s24, exec_lo
	s_and_b32 s6, s25, exec_lo
	s_or_b32 s24, s1, s6
.LBB129_135:                            ;   in Loop: Header=BB129_31 Depth=1
	s_or_b32 exec_lo, exec_lo, s22
	s_mov_b32 s68, 0
	s_mov_b32 s69, -1
.LBB129_136:                            ;   in Loop: Header=BB129_31 Depth=1
	s_orn2_b32 s6, s24, exec_lo
.LBB129_137:                            ;   in Loop: Header=BB129_31 Depth=1
	s_or_b32 exec_lo, exec_lo, s2
	s_mov_b32 s70, 0
	s_mov_b32 s67, 0
	;; [unrolled: 1-line block ×3, first 2 shown]
                                        ; implicit-def: $vgpr4_vgpr5
                                        ; implicit-def: $vgpr2
	s_and_saveexec_b32 s71, s6
	s_cbranch_execz .LBB129_295
; %bb.138:                              ;   in Loop: Header=BB129_31 Depth=1
	v_mov_b32_e32 v4, 1
	v_mov_b32_e32 v5, 0
	;; [unrolled: 1-line block ×3, first 2 shown]
	s_xor_b32 s1, s72, -1
	s_mov_b32 s6, 0
	s_and_saveexec_b32 s2, s1
	s_cbranch_execz .LBB129_147
; %bb.139:                              ;   in Loop: Header=BB129_31 Depth=1
	s_mov_b32 s1, exec_lo
	v_cmpx_ge_u64_e64 s[12:13], v[28:29]
	s_xor_b32 s6, exec_lo, s1
	s_cbranch_execz .LBB129_144
; %bb.140:                              ;   in Loop: Header=BB129_31 Depth=1
	ds_read_b64 v[4:5], v3 offset:5120
	v_and_b32_e32 v10, s26, v10
	v_or_b32_e32 v11, s11, v11
	s_waitcnt lgkmcnt(0)
	v_cmp_ne_u64_e32 vcc_lo, 0, v[4:5]
	s_cbranch_vccnz .LBB129_144
; %bb.141:                              ;   in Loop: Header=BB129_31 Depth=1
	s_and_saveexec_b32 s1, s3
; %bb.142:                              ;   in Loop: Header=BB129_31 Depth=1
	v_mov_b32_e32 v4, s12
	v_mov_b32_e32 v5, s13
	ds_write_b64 v3, v[4:5] offset:5128
; %bb.143:                              ;   in Loop: Header=BB129_31 Depth=1
	s_or_b32 exec_lo, exec_lo, s1
	s_waitcnt lgkmcnt(0)
	s_barrier
	buffer_gl0_inv
.LBB129_144:                            ;   in Loop: Header=BB129_31 Depth=1
	s_or_saveexec_b32 s6, s6
	v_mov_b32_e32 v4, v28
	v_mov_b32_e32 v2, 8
	;; [unrolled: 1-line block ×3, first 2 shown]
	s_mov_b32 s20, 0
	s_xor_b32 exec_lo, exec_lo, s6
; %bb.145:                              ;   in Loop: Header=BB129_31 Depth=1
	v_sub_co_u32 v4, vcc_lo, v28, s12
	v_subrev_co_ci_u32_e64 v5, null, s13, v29, vcc_lo
	v_mov_b32_e32 v2, 0
	s_mov_b32 s20, exec_lo
; %bb.146:                              ;   in Loop: Header=BB129_31 Depth=1
	s_or_b32 exec_lo, exec_lo, s6
	s_and_b32 s6, s20, exec_lo
.LBB129_147:                            ;   in Loop: Header=BB129_31 Depth=1
	s_or_b32 exec_lo, exec_lo, s2
	s_mov_b32 s2, -1
                                        ; implicit-def: $sgpr67
                                        ; implicit-def: $sgpr72
	s_and_saveexec_b32 s1, s6
	s_xor_b32 s66, exec_lo, s1
	s_cbranch_execz .LBB129_292
; %bb.148:                              ;   in Loop: Header=BB129_31 Depth=1
	v_cmp_eq_u64_e32 vcc_lo, 1, v[4:5]
	s_cmp_eq_u64 s[14:15], 1
                                        ; implicit-def: $sgpr72
                                        ; implicit-def: $sgpr67
	s_cselect_b32 s1, -1, 0
	s_and_b32 s74, s1, vcc_lo
	s_and_saveexec_b32 s73, s74
	s_cbranch_execz .LBB129_182
; %bb.149:                              ;   in Loop: Header=BB129_31 Depth=1
	ds_read_b64 v[6:7], v3 offset:5120
	s_waitcnt lgkmcnt(0)
	s_barrier
	buffer_gl0_inv
	v_readfirstlane_b32 s20, v6
	v_readfirstlane_b32 s21, v7
	s_and_saveexec_b32 s1, s10
; %bb.150:                              ;   in Loop: Header=BB129_31 Depth=1
	ds_write_b8 v0, v3 offset:3072
; %bb.151:                              ;   in Loop: Header=BB129_31 Depth=1
	s_or_b32 exec_lo, exec_lo, s1
	s_lshl_b32 s1, 1, vcc_hi
	v_or_b32_e32 v11, s11, v11
	v_and_or_b32 v10, v10, s26, s1
	s_mov_b32 s67, -1
	s_mov_b32 s72, 0
	s_cmp_eq_u64 s[20:21], 0
	s_mov_b32 s2, 0
	s_mov_b32 s6, -1
	s_waitcnt lgkmcnt(0)
	s_barrier
	buffer_gl0_inv
                                        ; implicit-def: $vgpr8
	s_cbranch_scc1 .LBB129_167
; %bb.152:                              ;   in Loop: Header=BB129_31 Depth=1
	s_add_u32 s2, s20, s89
	s_addc_u32 s23, s21, s90
	s_mov_b32 s22, s55
	s_cmp_lg_u64 s[22:23], 0
	s_cbranch_scc0 .LBB129_208
; %bb.153:                              ;   in Loop: Header=BB129_31 Depth=1
	v_cvt_f32_u32_e32 v6, s33
	s_sub_u32 s22, 0, s33
	s_subb_u32 s24, 0, 0
	v_fmac_f32_e64 v6, 0x4f800000, 0
	v_rcp_f32_e32 v6, v6
	v_mul_f32_e32 v6, 0x5f7ffffc, v6
	v_mul_f32_e32 v7, 0x2f800000, v6
	v_trunc_f32_e32 v7, v7
	v_fmac_f32_e32 v6, 0xcf800000, v7
	v_cvt_u32_f32_e32 v7, v7
	v_cvt_u32_f32_e32 v6, v6
	v_readfirstlane_b32 s1, v7
	v_readfirstlane_b32 s6, v6
	s_mul_i32 s25, s22, s1
	s_mul_hi_u32 s45, s22, s6
	s_mul_i32 s44, s24, s6
	s_add_i32 s25, s45, s25
	s_mul_i32 s54, s22, s6
	s_add_i32 s25, s25, s44
	s_mul_hi_u32 s45, s6, s54
	s_mul_i32 s75, s6, s25
	s_mul_hi_u32 s58, s1, s54
	s_mul_i32 s44, s1, s54
	s_mul_hi_u32 s54, s6, s25
	s_add_u32 s45, s45, s75
	s_addc_u32 s54, 0, s54
	s_mul_hi_u32 s76, s1, s25
	s_add_u32 s44, s45, s44
	s_mul_i32 s25, s1, s25
	s_addc_u32 s44, s54, s58
	s_addc_u32 s45, s76, 0
	s_add_u32 s25, s44, s25
	s_addc_u32 s44, 0, s45
	s_add_u32 s6, s6, s25
	s_cselect_b32 s25, -1, 0
	s_mul_hi_u32 s45, s22, s6
	s_cmp_lg_u32 s25, 0
	s_mul_i32 s25, s22, s6
	s_addc_u32 s1, s1, s44
	s_mul_i32 s24, s24, s6
	s_mul_i32 s22, s22, s1
	s_mul_hi_u32 s44, s6, s25
	s_add_i32 s22, s45, s22
	s_mul_hi_u32 s45, s1, s25
	s_add_i32 s22, s22, s24
	s_mul_i32 s24, s1, s25
	s_mul_i32 s58, s6, s22
	s_mul_hi_u32 s54, s6, s22
	s_add_u32 s44, s44, s58
	s_addc_u32 s54, 0, s54
	s_mul_hi_u32 s25, s1, s22
	s_add_u32 s24, s44, s24
	s_mul_i32 s22, s1, s22
	s_addc_u32 s24, s54, s45
	s_addc_u32 s25, s25, 0
	s_add_u32 s22, s24, s22
	s_addc_u32 s24, 0, s25
	s_add_u32 s6, s6, s22
	s_cselect_b32 s22, -1, 0
	s_mul_hi_u32 s25, s2, s6
	s_cmp_lg_u32 s22, 0
	s_mul_hi_u32 s22, s23, s6
	s_addc_u32 s1, s1, s24
	s_mul_i32 s6, s23, s6
	s_mul_i32 s44, s2, s1
	s_mul_hi_u32 s24, s2, s1
	s_add_u32 s25, s25, s44
	s_addc_u32 s24, 0, s24
	s_mul_hi_u32 s45, s23, s1
	s_add_u32 s6, s25, s6
	s_mul_i32 s1, s23, s1
	s_addc_u32 s6, s24, s22
	s_addc_u32 s22, s45, 0
	s_add_u32 s1, s6, s1
	s_addc_u32 s6, 0, s22
	s_mul_hi_u32 s22, s33, s1
	s_mul_i32 s6, s33, s6
	s_mul_i32 s1, s33, s1
	s_add_i32 s22, s22, s6
	s_sub_u32 s1, s2, s1
	s_cselect_b32 s6, -1, 0
	s_cmp_lg_u32 s6, 0
	s_subb_u32 s6, s23, s22
	s_sub_u32 s22, s1, s33
	s_cselect_b32 s24, -1, 0
	s_cmp_lg_u32 s24, 0
	s_subb_u32 s24, s6, 0
	;; [unrolled: 4-line block ×3, first 2 shown]
	s_cmp_ge_u32 s22, s33
	s_cselect_b32 s45, -1, 0
	s_cmp_eq_u32 s24, 0
	s_cselect_b32 s45, s45, -1
	s_cmp_lg_u32 s45, 0
	s_cselect_b32 s24, s44, s24
	s_cselect_b32 s22, s25, s22
	s_cmp_ge_u32 s1, s33
	s_cselect_b32 s25, -1, 0
	s_cmp_eq_u32 s6, 0
	s_cselect_b32 s25, s25, -1
	s_cmp_lg_u32 s25, 0
	s_cselect_b32 s25, s24, s6
	s_cselect_b32 s24, s22, s1
	s_cbranch_execnz .LBB129_155
.LBB129_154:                            ;   in Loop: Header=BB129_31 Depth=1
	v_cvt_f32_u32_e32 v6, s33
	s_sub_i32 s6, 0, s33
	v_rcp_iflag_f32_e32 v6, v6
	v_mul_f32_e32 v6, 0x4f7ffffe, v6
	v_cvt_u32_f32_e32 v6, v6
	v_readfirstlane_b32 s1, v6
	s_mul_i32 s6, s6, s1
	s_mul_hi_u32 s6, s1, s6
	s_add_i32 s1, s1, s6
	s_mul_hi_u32 s1, s2, s1
	s_mul_i32 s1, s1, s33
	s_sub_i32 s1, s2, s1
	s_sub_i32 s6, s1, s33
	s_cmp_ge_u32 s1, s33
	s_cselect_b32 s1, s6, s1
	s_sub_i32 s6, s1, s33
	s_cmp_ge_u32 s1, s33
	s_cselect_b32 s54, s6, s1
	s_mov_b64 s[24:25], s[54:55]
.LBB129_155:                            ;   in Loop: Header=BB129_31 Depth=1
	s_sub_u32 s22, s2, s24
	s_subb_u32 s23, s23, s25
	s_mov_b32 s6, 0
	s_mov_b32 s2, 0
	s_mov_b32 s24, exec_lo
                                        ; implicit-def: $vgpr8
	v_cmpx_gt_u64_e64 s[22:23], v[0:1]
	s_cbranch_execz .LBB129_166
; %bb.156:                              ;   in Loop: Header=BB129_31 Depth=1
	v_mov_b32_e32 v7, v1
	v_mov_b32_e32 v8, v0
	;; [unrolled: 1-line block ×3, first 2 shown]
                                        ; implicit-def: $sgpr25
	s_inst_prefetch 0x1
	s_branch .LBB129_159
	.p2align	6
.LBB129_157:                            ;   in Loop: Header=BB129_159 Depth=2
	s_or_b32 exec_lo, exec_lo, s44
	s_waitcnt lgkmcnt(0)
	s_barrier
	buffer_gl0_inv
	ds_read_u16 v9, v3 offset:3072
	s_mov_b32 s44, -1
	s_mov_b32 s45, -1
	s_waitcnt lgkmcnt(0)
	s_barrier
	buffer_gl0_inv
	v_cmp_ne_u32_sdwa s1, v9, v3 src0_sel:BYTE_0 src1_sel:DWORD
	s_and_b32 vcc_lo, exec_lo, s1
	s_cbranch_vccz .LBB129_162
.LBB129_158:                            ;   in Loop: Header=BB129_159 Depth=2
	s_and_b32 s1, exec_lo, s44
	s_or_b32 s2, s1, s2
	s_andn2_b32 s1, s25, exec_lo
	s_and_b32 s25, s45, exec_lo
	s_or_b32 s25, s1, s25
	s_andn2_b32 exec_lo, exec_lo, s2
	s_cbranch_execz .LBB129_165
.LBB129_159:                            ;   Parent Loop BB129_31 Depth=1
                                        ; =>  This Inner Loop Header: Depth=2
	s_mov_b32 s44, exec_lo
	v_cmpx_gt_u64_e64 s[20:21], v[6:7]
	s_cbranch_execz .LBB129_157
; %bb.160:                              ;   in Loop: Header=BB129_159 Depth=2
	ds_read_u8 v9, v8
	s_waitcnt lgkmcnt(0)
	v_and_b32_e32 v30, v9, v11
	v_cmp_eq_u32_sdwa s1, v30, v10 src0_sel:BYTE_0 src1_sel:DWORD
	s_and_b32 exec_lo, exec_lo, s1
	s_cbranch_execz .LBB129_157
; %bb.161:                              ;   in Loop: Header=BB129_159 Depth=2
	v_lshlrev_b16 v9, 8, v9
	v_or_b32_e32 v9, 1, v9
	ds_write_b16 v3, v9 offset:3072
	s_branch .LBB129_157
.LBB129_162:                            ;   in Loop: Header=BB129_159 Depth=2
	v_add_co_u32 v6, vcc_lo, v6, s33
	v_add_co_ci_u32_e64 v7, null, 0, v7, vcc_lo
	v_add_nc_u32_e32 v8, s33, v8
	s_mov_b32 s45, 0
	v_cmp_le_u64_e32 vcc_lo, s[22:23], v[6:7]
	s_orn2_b32 s44, vcc_lo, exec_lo
	s_branch .LBB129_158
.LBB129_163:                            ;   in Loop: Header=BB129_31 Depth=1
                                        ; implicit-def: $sgpr24_sgpr25
	s_branch .LBB129_108
.LBB129_164:                            ;   in Loop: Header=BB129_31 Depth=1
                                        ; implicit-def: $sgpr20_sgpr21
	s_branch .LBB129_125
.LBB129_165:                            ;   in Loop: Header=BB129_31 Depth=1
	s_inst_prefetch 0x2
	s_or_b32 exec_lo, exec_lo, s2
	v_lshrrev_b32_sdwa v8, v40, v9 dst_sel:DWORD dst_unused:UNUSED_PAD src0_sel:DWORD src1_sel:WORD_0
	s_and_b32 s2, s25, exec_lo
.LBB129_166:                            ;   in Loop: Header=BB129_31 Depth=1
	s_or_b32 exec_lo, exec_lo, s24
.LBB129_167:                            ;   in Loop: Header=BB129_31 Depth=1
	s_and_b32 vcc_lo, exec_lo, s6
	s_cbranch_vccz .LBB129_181
; %bb.168:                              ;   in Loop: Header=BB129_31 Depth=1
	s_mov_b32 s58, s55
	s_cmp_lg_u64 s[58:59], 0
	s_cbranch_scc0 .LBB129_209
; %bb.169:                              ;   in Loop: Header=BB129_31 Depth=1
	v_cvt_f32_u32_e32 v6, s33
	s_sub_u32 s20, 0, s33
	s_subb_u32 s21, 0, 0
	v_fmac_f32_e64 v6, 0x4f800000, 0
	v_rcp_f32_e32 v6, v6
	v_mul_f32_e32 v6, 0x5f7ffffc, v6
	v_mul_f32_e32 v7, 0x2f800000, v6
	v_trunc_f32_e32 v7, v7
	v_fmac_f32_e32 v6, 0xcf800000, v7
	v_cvt_u32_f32_e32 v7, v7
	v_cvt_u32_f32_e32 v6, v6
	v_readfirstlane_b32 s1, v7
	v_readfirstlane_b32 s6, v6
	s_mul_i32 s22, s20, s1
	s_mul_hi_u32 s24, s20, s6
	s_mul_i32 s23, s21, s6
	s_add_i32 s22, s24, s22
	s_mul_i32 s25, s20, s6
	s_add_i32 s22, s22, s23
	s_mul_hi_u32 s24, s6, s25
	s_mul_i32 s45, s6, s22
	s_mul_hi_u32 s44, s1, s25
	s_mul_i32 s23, s1, s25
	s_mul_hi_u32 s25, s6, s22
	s_add_u32 s24, s24, s45
	s_addc_u32 s25, 0, s25
	s_mul_hi_u32 s54, s1, s22
	s_add_u32 s23, s24, s23
	s_mul_i32 s22, s1, s22
	s_addc_u32 s23, s25, s44
	s_addc_u32 s24, s54, 0
	s_add_u32 s22, s23, s22
	s_addc_u32 s23, 0, s24
	s_add_u32 s6, s6, s22
	s_cselect_b32 s22, -1, 0
	s_mul_hi_u32 s24, s20, s6
	s_cmp_lg_u32 s22, 0
	s_mul_i32 s22, s20, s6
	s_addc_u32 s1, s1, s23
	s_mul_i32 s21, s21, s6
	s_mul_i32 s20, s20, s1
	s_mul_hi_u32 s23, s6, s22
	s_add_i32 s20, s24, s20
	s_mul_hi_u32 s24, s1, s22
	s_add_i32 s20, s20, s21
	s_mul_i32 s21, s1, s22
	s_mul_i32 s44, s6, s20
	s_mul_hi_u32 s25, s6, s20
	s_add_u32 s23, s23, s44
	s_addc_u32 s25, 0, s25
	s_mul_hi_u32 s22, s1, s20
	s_add_u32 s21, s23, s21
	s_mul_i32 s20, s1, s20
	s_addc_u32 s21, s25, s24
	s_addc_u32 s22, s22, 0
	s_add_u32 s20, s21, s20
	s_addc_u32 s21, 0, s22
	s_add_u32 s6, s6, s20
	s_cselect_b32 s20, -1, 0
	s_mul_hi_u32 s22, s91, s6
	s_cmp_lg_u32 s20, 0
	s_mul_hi_u32 s20, s59, s6
	s_addc_u32 s1, s1, s21
	s_mul_i32 s6, s59, s6
	s_mul_i32 s23, s91, s1
	s_mul_hi_u32 s21, s91, s1
	s_add_u32 s22, s22, s23
	s_addc_u32 s21, 0, s21
	s_mul_hi_u32 s24, s59, s1
	s_add_u32 s6, s22, s6
	s_mul_i32 s1, s59, s1
	s_addc_u32 s6, s21, s20
	s_addc_u32 s20, s24, 0
	s_add_u32 s1, s6, s1
	s_addc_u32 s6, 0, s20
	s_mul_hi_u32 s20, s33, s1
	s_mul_i32 s6, s33, s6
	s_mul_i32 s1, s33, s1
	s_add_i32 s20, s20, s6
	s_sub_u32 s1, s91, s1
	s_cselect_b32 s6, -1, 0
	s_cmp_lg_u32 s6, 0
	s_subb_u32 s6, s59, s20
	s_sub_u32 s20, s1, s33
	s_cselect_b32 s21, -1, 0
	s_cmp_lg_u32 s21, 0
	s_subb_u32 s21, s6, 0
	;; [unrolled: 4-line block ×3, first 2 shown]
	s_cmp_ge_u32 s20, s33
	s_cselect_b32 s24, -1, 0
	s_cmp_eq_u32 s21, 0
	s_cselect_b32 s24, s24, -1
	s_cmp_lg_u32 s24, 0
	s_cselect_b32 s21, s23, s21
	s_cselect_b32 s20, s22, s20
	s_cmp_ge_u32 s1, s33
	s_cselect_b32 s22, -1, 0
	s_cmp_eq_u32 s6, 0
	s_cselect_b32 s22, s22, -1
	s_cmp_lg_u32 s22, 0
	s_cselect_b32 s21, s21, s6
	s_cselect_b32 s20, s20, s1
	s_cbranch_execnz .LBB129_171
.LBB129_170:                            ;   in Loop: Header=BB129_31 Depth=1
	v_cvt_f32_u32_e32 v6, s33
	s_sub_i32 s6, 0, s33
	v_rcp_iflag_f32_e32 v6, v6
	v_mul_f32_e32 v6, 0x4f7ffffe, v6
	v_cvt_u32_f32_e32 v6, v6
	v_readfirstlane_b32 s1, v6
	s_mul_i32 s6, s6, s1
	s_mul_hi_u32 s6, s1, s6
	s_add_i32 s1, s1, s6
	s_mul_hi_u32 s1, s91, s1
	s_mul_i32 s1, s1, s33
	s_sub_i32 s1, s91, s1
	s_sub_i32 s6, s1, s33
	s_cmp_ge_u32 s1, s33
	s_cselect_b32 s1, s6, s1
	s_sub_i32 s6, s1, s33
	s_cmp_ge_u32 s1, s33
	s_cselect_b32 s54, s6, s1
	s_mov_b64 s[20:21], s[54:55]
.LBB129_171:                            ;   in Loop: Header=BB129_31 Depth=1
	s_sub_u32 s20, s91, s20
	s_subb_u32 s21, s59, s21
	s_mov_b32 s22, exec_lo
                                        ; implicit-def: $vgpr8
	v_cmpx_gt_u64_e64 s[20:21], v[0:1]
	s_cbranch_execz .LBB129_180
; %bb.172:                              ;   in Loop: Header=BB129_31 Depth=1
	v_mov_b32_e32 v6, v26
	v_mov_b32_e32 v9, v1
	;; [unrolled: 1-line block ×4, first 2 shown]
	s_mov_b32 s23, 0
                                        ; implicit-def: $sgpr24
	s_inst_prefetch 0x1
	s_branch .LBB129_175
	.p2align	6
.LBB129_173:                            ;   in Loop: Header=BB129_175 Depth=2
	s_or_b32 exec_lo, exec_lo, s6
	s_waitcnt lgkmcnt(0)
	s_barrier
	buffer_gl0_inv
	ds_read_u16 v30, v3 offset:3072
	s_mov_b32 s6, -1
	s_mov_b32 s25, -1
	s_waitcnt lgkmcnt(0)
	s_barrier
	buffer_gl0_inv
	v_cmp_eq_u32_sdwa s1, v30, v3 src0_sel:BYTE_0 src1_sel:DWORD
	s_and_b32 vcc_lo, exec_lo, s1
	s_cbranch_vccnz .LBB129_178
.LBB129_174:                            ;   in Loop: Header=BB129_175 Depth=2
	s_and_b32 s1, exec_lo, s6
	s_or_b32 s23, s1, s23
	s_andn2_b32 s1, s24, exec_lo
	s_and_b32 s6, s25, exec_lo
	s_or_b32 s24, s1, s6
	s_andn2_b32 exec_lo, exec_lo, s23
	s_cbranch_execz .LBB129_179
.LBB129_175:                            ;   Parent Loop BB129_31 Depth=1
                                        ; =>  This Inner Loop Header: Depth=2
	s_mov_b32 s6, exec_lo
	v_cmpx_gt_u64_e64 s[36:37], v[8:9]
	s_cbranch_execz .LBB129_173
; %bb.176:                              ;   in Loop: Header=BB129_175 Depth=2
	global_load_ubyte v30, v[6:7], off
	s_waitcnt vmcnt(0)
	v_and_b32_e32 v31, v30, v11
	v_cmp_eq_u32_sdwa s1, v31, v10 src0_sel:BYTE_0 src1_sel:DWORD
	s_and_b32 exec_lo, exec_lo, s1
	s_cbranch_execz .LBB129_173
; %bb.177:                              ;   in Loop: Header=BB129_175 Depth=2
	v_lshlrev_b16 v30, 8, v30
	v_or_b32_e32 v30, 1, v30
	ds_write_b16 v3, v30 offset:3072
	s_branch .LBB129_173
.LBB129_178:                            ;   in Loop: Header=BB129_175 Depth=2
	v_add_co_u32 v8, vcc_lo, v8, s33
	v_add_co_ci_u32_e64 v9, null, 0, v9, vcc_lo
	v_add_co_u32 v6, s6, v6, s81
	v_add_co_ci_u32_e64 v7, null, s80, v7, s6
	v_cmp_le_u64_e32 vcc_lo, s[20:21], v[8:9]
	s_mov_b32 s25, 0
	s_orn2_b32 s6, vcc_lo, exec_lo
	s_branch .LBB129_174
.LBB129_179:                            ;   in Loop: Header=BB129_31 Depth=1
	s_inst_prefetch 0x2
	s_or_b32 exec_lo, exec_lo, s23
	v_lshrrev_b32_sdwa v8, v40, v30 dst_sel:DWORD dst_unused:UNUSED_PAD src0_sel:DWORD src1_sel:WORD_0
	s_andn2_b32 s1, s2, exec_lo
	s_and_b32 s2, s24, exec_lo
	s_or_b32 s2, s1, s2
.LBB129_180:                            ;   in Loop: Header=BB129_31 Depth=1
	s_or_b32 exec_lo, exec_lo, s22
	s_mov_b32 s67, 0
	s_mov_b32 s72, -1
.LBB129_181:                            ;   in Loop: Header=BB129_31 Depth=1
	s_orn2_b32 s2, s2, exec_lo
.LBB129_182:                            ;   in Loop: Header=BB129_31 Depth=1
	s_or_b32 exec_lo, exec_lo, s73
	s_mov_b32 s6, 0
	s_and_saveexec_b32 s73, s2
	s_cbranch_execz .LBB129_291
; %bb.183:                              ;   in Loop: Header=BB129_31 Depth=1
	v_mov_b32_e32 v6, 1
	v_mov_b32_e32 v7, 0
	;; [unrolled: 1-line block ×3, first 2 shown]
	s_xor_b32 s1, s74, -1
	s_and_saveexec_b32 s2, s1
	s_cbranch_execz .LBB129_192
; %bb.184:                              ;   in Loop: Header=BB129_31 Depth=1
	s_mov_b32 s1, exec_lo
	v_cmpx_ge_u64_e64 s[14:15], v[4:5]
	s_xor_b32 s6, exec_lo, s1
	s_cbranch_execz .LBB129_189
; %bb.185:                              ;   in Loop: Header=BB129_31 Depth=1
	ds_read_b64 v[6:7], v3 offset:5120
	s_lshl_b32 s1, 1, vcc_hi
	v_or_b32_e32 v11, s11, v11
	v_and_or_b32 v10, v10, s26, s1
	s_waitcnt lgkmcnt(0)
	v_cmp_ne_u64_e32 vcc_lo, 0, v[6:7]
	s_cbranch_vccnz .LBB129_189
; %bb.186:                              ;   in Loop: Header=BB129_31 Depth=1
	s_and_saveexec_b32 s1, s3
; %bb.187:                              ;   in Loop: Header=BB129_31 Depth=1
	v_mov_b32_e32 v6, s14
	v_mov_b32_e32 v7, s15
	ds_write_b64 v3, v[6:7] offset:5128
; %bb.188:                              ;   in Loop: Header=BB129_31 Depth=1
	s_or_b32 exec_lo, exec_lo, s1
	s_waitcnt lgkmcnt(0)
	s_barrier
	buffer_gl0_inv
.LBB129_189:                            ;   in Loop: Header=BB129_31 Depth=1
	s_or_saveexec_b32 s6, s6
	v_mov_b32_e32 v2, 8
	s_mov_b32 s20, 0
	s_xor_b32 exec_lo, exec_lo, s6
; %bb.190:                              ;   in Loop: Header=BB129_31 Depth=1
	v_sub_co_u32 v4, vcc_lo, v4, s14
	v_subrev_co_ci_u32_e64 v5, null, s15, v5, vcc_lo
	v_mov_b32_e32 v2, 0
	s_mov_b32 s20, exec_lo
; %bb.191:                              ;   in Loop: Header=BB129_31 Depth=1
	s_or_b32 exec_lo, exec_lo, s6
	v_mov_b32_e32 v7, v5
	v_mov_b32_e32 v6, v4
	s_and_b32 s6, s20, exec_lo
.LBB129_192:                            ;   in Loop: Header=BB129_31 Depth=1
	s_or_b32 exec_lo, exec_lo, s2
	s_mov_b32 s2, -1
                                        ; implicit-def: $sgpr75
                                        ; implicit-def: $sgpr76
	s_and_saveexec_b32 s74, s6
	s_cbranch_execz .LBB129_290
; %bb.193:                              ;   in Loop: Header=BB129_31 Depth=1
	v_cmp_eq_u64_e32 vcc_lo, 1, v[6:7]
	s_cmp_eq_u64 s[16:17], 1
                                        ; implicit-def: $sgpr76
                                        ; implicit-def: $sgpr75
	s_cselect_b32 s1, -1, 0
	s_and_b32 s78, s1, vcc_lo
	s_and_saveexec_b32 s77, s78
	s_cbranch_execz .LBB129_227
; %bb.194:                              ;   in Loop: Header=BB129_31 Depth=1
	ds_read_b64 v[4:5], v3 offset:5120
	s_waitcnt lgkmcnt(0)
	s_barrier
	buffer_gl0_inv
	v_readfirstlane_b32 s20, v4
	v_readfirstlane_b32 s21, v5
	s_and_saveexec_b32 s1, s10
; %bb.195:                              ;   in Loop: Header=BB129_31 Depth=1
	ds_write_b8 v0, v3 offset:3072
; %bb.196:                              ;   in Loop: Header=BB129_31 Depth=1
	s_or_b32 exec_lo, exec_lo, s1
	s_lshl_b32 s1, 2, vcc_hi
	v_or_b32_e32 v11, s11, v11
	v_and_or_b32 v10, v10, s26, s1
	s_mov_b32 s75, -1
	s_mov_b32 s76, 0
	s_cmp_eq_u64 s[20:21], 0
	s_mov_b32 s2, 0
	s_mov_b32 s6, -1
	s_waitcnt lgkmcnt(0)
	s_barrier
	buffer_gl0_inv
                                        ; implicit-def: $vgpr8
	s_cbranch_scc1 .LBB129_212
; %bb.197:                              ;   in Loop: Header=BB129_31 Depth=1
	s_add_u32 s2, s20, s89
	s_addc_u32 s23, s21, s90
	s_mov_b32 s22, s55
	s_cmp_lg_u64 s[22:23], 0
	s_cbranch_scc0 .LBB129_244
; %bb.198:                              ;   in Loop: Header=BB129_31 Depth=1
	v_cvt_f32_u32_e32 v4, s33
	s_sub_u32 s22, 0, s33
	s_subb_u32 s24, 0, 0
	v_fmac_f32_e64 v4, 0x4f800000, 0
	v_rcp_f32_e32 v4, v4
	v_mul_f32_e32 v4, 0x5f7ffffc, v4
	v_mul_f32_e32 v5, 0x2f800000, v4
	v_trunc_f32_e32 v5, v5
	v_fmac_f32_e32 v4, 0xcf800000, v5
	v_cvt_u32_f32_e32 v5, v5
	v_cvt_u32_f32_e32 v4, v4
	v_readfirstlane_b32 s1, v5
	v_readfirstlane_b32 s6, v4
	s_mul_i32 s25, s22, s1
	s_mul_hi_u32 s45, s22, s6
	s_mul_i32 s44, s24, s6
	s_add_i32 s25, s45, s25
	s_mul_i32 s54, s22, s6
	s_add_i32 s25, s25, s44
	s_mul_hi_u32 s45, s6, s54
	s_mul_i32 s79, s6, s25
	s_mul_hi_u32 s58, s1, s54
	s_mul_i32 s44, s1, s54
	s_mul_hi_u32 s54, s6, s25
	s_add_u32 s45, s45, s79
	s_addc_u32 s54, 0, s54
	s_mul_hi_u32 vcc_lo, s1, s25
	s_add_u32 s44, s45, s44
	s_mul_i32 s25, s1, s25
	s_addc_u32 s44, s54, s58
	s_addc_u32 s45, vcc_lo, 0
	s_add_u32 s25, s44, s25
	s_addc_u32 s44, 0, s45
	s_add_u32 s6, s6, s25
	s_cselect_b32 s25, -1, 0
	s_mul_hi_u32 s45, s22, s6
	s_cmp_lg_u32 s25, 0
	s_mul_i32 s25, s22, s6
	s_addc_u32 s1, s1, s44
	s_mul_i32 s24, s24, s6
	s_mul_i32 s22, s22, s1
	s_mul_hi_u32 s44, s6, s25
	s_add_i32 s22, s45, s22
	s_mul_hi_u32 s45, s1, s25
	s_add_i32 s22, s22, s24
	s_mul_i32 s24, s1, s25
	s_mul_i32 s58, s6, s22
	s_mul_hi_u32 s54, s6, s22
	s_add_u32 s44, s44, s58
	s_addc_u32 s54, 0, s54
	s_mul_hi_u32 s25, s1, s22
	s_add_u32 s24, s44, s24
	s_mul_i32 s22, s1, s22
	s_addc_u32 s24, s54, s45
	s_addc_u32 s25, s25, 0
	s_add_u32 s22, s24, s22
	s_addc_u32 s24, 0, s25
	s_add_u32 s6, s6, s22
	s_cselect_b32 s22, -1, 0
	s_mul_hi_u32 s25, s2, s6
	s_cmp_lg_u32 s22, 0
	s_mul_hi_u32 s22, s23, s6
	s_addc_u32 s1, s1, s24
	s_mul_i32 s6, s23, s6
	s_mul_i32 s44, s2, s1
	s_mul_hi_u32 s24, s2, s1
	s_add_u32 s25, s25, s44
	s_addc_u32 s24, 0, s24
	s_mul_hi_u32 s45, s23, s1
	s_add_u32 s6, s25, s6
	s_mul_i32 s1, s23, s1
	s_addc_u32 s6, s24, s22
	s_addc_u32 s22, s45, 0
	s_add_u32 s1, s6, s1
	s_addc_u32 s6, 0, s22
	s_mul_hi_u32 s22, s33, s1
	s_mul_i32 s6, s33, s6
	s_mul_i32 s1, s33, s1
	s_add_i32 s22, s22, s6
	s_sub_u32 s1, s2, s1
	s_cselect_b32 s6, -1, 0
	s_cmp_lg_u32 s6, 0
	s_subb_u32 s6, s23, s22
	s_sub_u32 s22, s1, s33
	s_cselect_b32 s24, -1, 0
	s_cmp_lg_u32 s24, 0
	s_subb_u32 s24, s6, 0
	;; [unrolled: 4-line block ×3, first 2 shown]
	s_cmp_ge_u32 s22, s33
	s_cselect_b32 s45, -1, 0
	s_cmp_eq_u32 s24, 0
	s_cselect_b32 s45, s45, -1
	s_cmp_lg_u32 s45, 0
	s_cselect_b32 s24, s44, s24
	s_cselect_b32 s22, s25, s22
	s_cmp_ge_u32 s1, s33
	s_cselect_b32 s25, -1, 0
	s_cmp_eq_u32 s6, 0
	s_cselect_b32 s25, s25, -1
	s_cmp_lg_u32 s25, 0
	s_cselect_b32 s25, s24, s6
	s_cselect_b32 s24, s22, s1
	s_cbranch_execnz .LBB129_200
.LBB129_199:                            ;   in Loop: Header=BB129_31 Depth=1
	v_cvt_f32_u32_e32 v4, s33
	s_sub_i32 s6, 0, s33
	v_rcp_iflag_f32_e32 v4, v4
	v_mul_f32_e32 v4, 0x4f7ffffe, v4
	v_cvt_u32_f32_e32 v4, v4
	v_readfirstlane_b32 s1, v4
	s_mul_i32 s6, s6, s1
	s_mul_hi_u32 s6, s1, s6
	s_add_i32 s1, s1, s6
	s_mul_hi_u32 s1, s2, s1
	s_mul_i32 s1, s1, s33
	s_sub_i32 s1, s2, s1
	s_sub_i32 s6, s1, s33
	s_cmp_ge_u32 s1, s33
	s_cselect_b32 s1, s6, s1
	s_sub_i32 s6, s1, s33
	s_cmp_ge_u32 s1, s33
	s_cselect_b32 s54, s6, s1
	s_mov_b64 s[24:25], s[54:55]
.LBB129_200:                            ;   in Loop: Header=BB129_31 Depth=1
	s_sub_u32 s22, s2, s24
	s_subb_u32 s23, s23, s25
	s_mov_b32 s6, 0
	s_mov_b32 s2, 0
	s_mov_b32 s24, exec_lo
                                        ; implicit-def: $vgpr8
	v_cmpx_gt_u64_e64 s[22:23], v[0:1]
	s_cbranch_execz .LBB129_211
; %bb.201:                              ;   in Loop: Header=BB129_31 Depth=1
	v_mov_b32_e32 v5, v1
	v_mov_b32_e32 v8, v0
	v_mov_b32_e32 v4, v0
                                        ; implicit-def: $sgpr25
	s_inst_prefetch 0x1
	s_branch .LBB129_204
	.p2align	6
.LBB129_202:                            ;   in Loop: Header=BB129_204 Depth=2
	s_or_b32 exec_lo, exec_lo, s44
	s_waitcnt lgkmcnt(0)
	s_barrier
	buffer_gl0_inv
	ds_read_u16 v9, v3 offset:3072
	s_mov_b32 s44, -1
	s_mov_b32 s45, -1
	s_waitcnt lgkmcnt(0)
	s_barrier
	buffer_gl0_inv
	v_cmp_ne_u32_sdwa s1, v9, v3 src0_sel:BYTE_0 src1_sel:DWORD
	s_and_b32 vcc_lo, exec_lo, s1
	s_cbranch_vccz .LBB129_207
.LBB129_203:                            ;   in Loop: Header=BB129_204 Depth=2
	s_and_b32 s1, exec_lo, s44
	s_or_b32 s2, s1, s2
	s_andn2_b32 s1, s25, exec_lo
	s_and_b32 s25, s45, exec_lo
	s_or_b32 s25, s1, s25
	s_andn2_b32 exec_lo, exec_lo, s2
	s_cbranch_execz .LBB129_210
.LBB129_204:                            ;   Parent Loop BB129_31 Depth=1
                                        ; =>  This Inner Loop Header: Depth=2
	s_mov_b32 s44, exec_lo
	v_cmpx_gt_u64_e64 s[20:21], v[4:5]
	s_cbranch_execz .LBB129_202
; %bb.205:                              ;   in Loop: Header=BB129_204 Depth=2
	ds_read_u8 v9, v8
	s_waitcnt lgkmcnt(0)
	v_and_b32_e32 v30, v9, v11
	v_cmp_eq_u32_sdwa s1, v30, v10 src0_sel:BYTE_0 src1_sel:DWORD
	s_and_b32 exec_lo, exec_lo, s1
	s_cbranch_execz .LBB129_202
; %bb.206:                              ;   in Loop: Header=BB129_204 Depth=2
	v_lshlrev_b16 v9, 8, v9
	v_or_b32_e32 v9, 1, v9
	ds_write_b16 v3, v9 offset:3072
	s_branch .LBB129_202
.LBB129_207:                            ;   in Loop: Header=BB129_204 Depth=2
	v_add_co_u32 v4, vcc_lo, v4, s33
	v_add_co_ci_u32_e64 v5, null, 0, v5, vcc_lo
	v_add_nc_u32_e32 v8, s33, v8
	s_mov_b32 s45, 0
	v_cmp_le_u64_e32 vcc_lo, s[22:23], v[4:5]
	s_orn2_b32 s44, vcc_lo, exec_lo
	s_branch .LBB129_203
.LBB129_208:                            ;   in Loop: Header=BB129_31 Depth=1
                                        ; implicit-def: $sgpr24_sgpr25
	s_branch .LBB129_154
.LBB129_209:                            ;   in Loop: Header=BB129_31 Depth=1
                                        ; implicit-def: $sgpr20_sgpr21
	s_branch .LBB129_170
.LBB129_210:                            ;   in Loop: Header=BB129_31 Depth=1
	s_inst_prefetch 0x2
	s_or_b32 exec_lo, exec_lo, s2
	v_lshrrev_b32_sdwa v8, v40, v9 dst_sel:DWORD dst_unused:UNUSED_PAD src0_sel:DWORD src1_sel:WORD_0
	s_and_b32 s2, s25, exec_lo
.LBB129_211:                            ;   in Loop: Header=BB129_31 Depth=1
	s_or_b32 exec_lo, exec_lo, s24
.LBB129_212:                            ;   in Loop: Header=BB129_31 Depth=1
	s_and_b32 vcc_lo, exec_lo, s6
	s_cbranch_vccz .LBB129_226
; %bb.213:                              ;   in Loop: Header=BB129_31 Depth=1
	s_mov_b32 s58, s55
	s_cmp_lg_u64 s[58:59], 0
	s_cbranch_scc0 .LBB129_245
; %bb.214:                              ;   in Loop: Header=BB129_31 Depth=1
	v_cvt_f32_u32_e32 v4, s33
	s_sub_u32 s20, 0, s33
	s_subb_u32 s21, 0, 0
	v_fmac_f32_e64 v4, 0x4f800000, 0
	v_rcp_f32_e32 v4, v4
	v_mul_f32_e32 v4, 0x5f7ffffc, v4
	v_mul_f32_e32 v5, 0x2f800000, v4
	v_trunc_f32_e32 v5, v5
	v_fmac_f32_e32 v4, 0xcf800000, v5
	v_cvt_u32_f32_e32 v5, v5
	v_cvt_u32_f32_e32 v4, v4
	v_readfirstlane_b32 s1, v5
	v_readfirstlane_b32 s6, v4
	s_mul_i32 s22, s20, s1
	s_mul_hi_u32 s24, s20, s6
	s_mul_i32 s23, s21, s6
	s_add_i32 s22, s24, s22
	s_mul_i32 s25, s20, s6
	s_add_i32 s22, s22, s23
	s_mul_hi_u32 s24, s6, s25
	s_mul_i32 s45, s6, s22
	s_mul_hi_u32 s44, s1, s25
	s_mul_i32 s23, s1, s25
	s_mul_hi_u32 s25, s6, s22
	s_add_u32 s24, s24, s45
	s_addc_u32 s25, 0, s25
	s_mul_hi_u32 s54, s1, s22
	s_add_u32 s23, s24, s23
	s_mul_i32 s22, s1, s22
	s_addc_u32 s23, s25, s44
	s_addc_u32 s24, s54, 0
	s_add_u32 s22, s23, s22
	s_addc_u32 s23, 0, s24
	s_add_u32 s6, s6, s22
	s_cselect_b32 s22, -1, 0
	s_mul_hi_u32 s24, s20, s6
	s_cmp_lg_u32 s22, 0
	s_mul_i32 s22, s20, s6
	s_addc_u32 s1, s1, s23
	s_mul_i32 s21, s21, s6
	s_mul_i32 s20, s20, s1
	s_mul_hi_u32 s23, s6, s22
	s_add_i32 s20, s24, s20
	s_mul_hi_u32 s24, s1, s22
	s_add_i32 s20, s20, s21
	s_mul_i32 s21, s1, s22
	s_mul_i32 s44, s6, s20
	s_mul_hi_u32 s25, s6, s20
	s_add_u32 s23, s23, s44
	s_addc_u32 s25, 0, s25
	s_mul_hi_u32 s22, s1, s20
	s_add_u32 s21, s23, s21
	s_mul_i32 s20, s1, s20
	s_addc_u32 s21, s25, s24
	s_addc_u32 s22, s22, 0
	s_add_u32 s20, s21, s20
	s_addc_u32 s21, 0, s22
	s_add_u32 s6, s6, s20
	s_cselect_b32 s20, -1, 0
	s_mul_hi_u32 s22, s91, s6
	s_cmp_lg_u32 s20, 0
	s_mul_hi_u32 s20, s59, s6
	s_addc_u32 s1, s1, s21
	s_mul_i32 s6, s59, s6
	s_mul_i32 s23, s91, s1
	s_mul_hi_u32 s21, s91, s1
	s_add_u32 s22, s22, s23
	s_addc_u32 s21, 0, s21
	s_mul_hi_u32 s24, s59, s1
	s_add_u32 s6, s22, s6
	s_mul_i32 s1, s59, s1
	s_addc_u32 s6, s21, s20
	s_addc_u32 s20, s24, 0
	s_add_u32 s1, s6, s1
	s_addc_u32 s6, 0, s20
	s_mul_hi_u32 s20, s33, s1
	s_mul_i32 s6, s33, s6
	s_mul_i32 s1, s33, s1
	s_add_i32 s20, s20, s6
	s_sub_u32 s1, s91, s1
	s_cselect_b32 s6, -1, 0
	s_cmp_lg_u32 s6, 0
	s_subb_u32 s6, s59, s20
	s_sub_u32 s20, s1, s33
	s_cselect_b32 s21, -1, 0
	s_cmp_lg_u32 s21, 0
	s_subb_u32 s21, s6, 0
	;; [unrolled: 4-line block ×3, first 2 shown]
	s_cmp_ge_u32 s20, s33
	s_cselect_b32 s24, -1, 0
	s_cmp_eq_u32 s21, 0
	s_cselect_b32 s24, s24, -1
	s_cmp_lg_u32 s24, 0
	s_cselect_b32 s21, s23, s21
	s_cselect_b32 s20, s22, s20
	s_cmp_ge_u32 s1, s33
	s_cselect_b32 s22, -1, 0
	s_cmp_eq_u32 s6, 0
	s_cselect_b32 s22, s22, -1
	s_cmp_lg_u32 s22, 0
	s_cselect_b32 s21, s21, s6
	s_cselect_b32 s20, s20, s1
	s_cbranch_execnz .LBB129_216
.LBB129_215:                            ;   in Loop: Header=BB129_31 Depth=1
	v_cvt_f32_u32_e32 v4, s33
	s_sub_i32 s6, 0, s33
	v_rcp_iflag_f32_e32 v4, v4
	v_mul_f32_e32 v4, 0x4f7ffffe, v4
	v_cvt_u32_f32_e32 v4, v4
	v_readfirstlane_b32 s1, v4
	s_mul_i32 s6, s6, s1
	s_mul_hi_u32 s6, s1, s6
	s_add_i32 s1, s1, s6
	s_mul_hi_u32 s1, s91, s1
	s_mul_i32 s1, s1, s33
	s_sub_i32 s1, s91, s1
	s_sub_i32 s6, s1, s33
	s_cmp_ge_u32 s1, s33
	s_cselect_b32 s1, s6, s1
	s_sub_i32 s6, s1, s33
	s_cmp_ge_u32 s1, s33
	s_cselect_b32 s54, s6, s1
	s_mov_b64 s[20:21], s[54:55]
.LBB129_216:                            ;   in Loop: Header=BB129_31 Depth=1
	s_sub_u32 s20, s91, s20
	s_subb_u32 s21, s59, s21
	s_mov_b32 s22, exec_lo
                                        ; implicit-def: $vgpr8
	v_cmpx_gt_u64_e64 s[20:21], v[0:1]
	s_cbranch_execz .LBB129_225
; %bb.217:                              ;   in Loop: Header=BB129_31 Depth=1
	v_mov_b32_e32 v4, v26
	v_mov_b32_e32 v9, v1
	;; [unrolled: 1-line block ×4, first 2 shown]
	s_mov_b32 s23, 0
                                        ; implicit-def: $sgpr24
	s_inst_prefetch 0x1
	s_branch .LBB129_220
	.p2align	6
.LBB129_218:                            ;   in Loop: Header=BB129_220 Depth=2
	s_or_b32 exec_lo, exec_lo, s6
	s_waitcnt lgkmcnt(0)
	s_barrier
	buffer_gl0_inv
	ds_read_u16 v30, v3 offset:3072
	s_mov_b32 s6, -1
	s_mov_b32 s25, -1
	s_waitcnt lgkmcnt(0)
	s_barrier
	buffer_gl0_inv
	v_cmp_eq_u32_sdwa s1, v30, v3 src0_sel:BYTE_0 src1_sel:DWORD
	s_and_b32 vcc_lo, exec_lo, s1
	s_cbranch_vccnz .LBB129_223
.LBB129_219:                            ;   in Loop: Header=BB129_220 Depth=2
	s_and_b32 s1, exec_lo, s6
	s_or_b32 s23, s1, s23
	s_andn2_b32 s1, s24, exec_lo
	s_and_b32 s6, s25, exec_lo
	s_or_b32 s24, s1, s6
	s_andn2_b32 exec_lo, exec_lo, s23
	s_cbranch_execz .LBB129_224
.LBB129_220:                            ;   Parent Loop BB129_31 Depth=1
                                        ; =>  This Inner Loop Header: Depth=2
	s_mov_b32 s6, exec_lo
	v_cmpx_gt_u64_e64 s[36:37], v[8:9]
	s_cbranch_execz .LBB129_218
; %bb.221:                              ;   in Loop: Header=BB129_220 Depth=2
	global_load_ubyte v30, v[4:5], off
	s_waitcnt vmcnt(0)
	v_and_b32_e32 v31, v30, v11
	v_cmp_eq_u32_sdwa s1, v31, v10 src0_sel:BYTE_0 src1_sel:DWORD
	s_and_b32 exec_lo, exec_lo, s1
	s_cbranch_execz .LBB129_218
; %bb.222:                              ;   in Loop: Header=BB129_220 Depth=2
	v_lshlrev_b16 v30, 8, v30
	v_or_b32_e32 v30, 1, v30
	ds_write_b16 v3, v30 offset:3072
	s_branch .LBB129_218
.LBB129_223:                            ;   in Loop: Header=BB129_220 Depth=2
	v_add_co_u32 v8, vcc_lo, v8, s33
	v_add_co_ci_u32_e64 v9, null, 0, v9, vcc_lo
	v_add_co_u32 v4, s6, v4, s81
	v_add_co_ci_u32_e64 v5, null, s80, v5, s6
	v_cmp_le_u64_e32 vcc_lo, s[20:21], v[8:9]
	s_mov_b32 s25, 0
	s_orn2_b32 s6, vcc_lo, exec_lo
	s_branch .LBB129_219
.LBB129_224:                            ;   in Loop: Header=BB129_31 Depth=1
	s_inst_prefetch 0x2
	s_or_b32 exec_lo, exec_lo, s23
	v_lshrrev_b32_sdwa v8, v40, v30 dst_sel:DWORD dst_unused:UNUSED_PAD src0_sel:DWORD src1_sel:WORD_0
	s_andn2_b32 s1, s2, exec_lo
	s_and_b32 s2, s24, exec_lo
	s_or_b32 s2, s1, s2
.LBB129_225:                            ;   in Loop: Header=BB129_31 Depth=1
	s_or_b32 exec_lo, exec_lo, s22
	s_mov_b32 s75, 0
	s_mov_b32 s76, -1
.LBB129_226:                            ;   in Loop: Header=BB129_31 Depth=1
	s_orn2_b32 s2, s2, exec_lo
.LBB129_227:                            ;   in Loop: Header=BB129_31 Depth=1
	s_or_b32 exec_lo, exec_lo, s77
	s_mov_b32 s6, 0
	s_and_saveexec_b32 s77, s2
	s_cbranch_execz .LBB129_289
; %bb.228:                              ;   in Loop: Header=BB129_31 Depth=1
	v_mov_b32_e32 v4, 1
	v_mov_b32_e32 v5, 0
	;; [unrolled: 1-line block ×3, first 2 shown]
	s_xor_b32 s1, s78, -1
	s_mov_b32 s20, 0
	s_and_saveexec_b32 s2, s1
	s_cbranch_execz .LBB129_237
; %bb.229:                              ;   in Loop: Header=BB129_31 Depth=1
	s_mov_b32 s1, exec_lo
	v_cmpx_ge_u64_e64 s[16:17], v[6:7]
	s_xor_b32 s6, exec_lo, s1
	s_cbranch_execz .LBB129_234
; %bb.230:                              ;   in Loop: Header=BB129_31 Depth=1
	ds_read_b64 v[4:5], v3 offset:5120
	s_lshl_b32 s1, 2, vcc_hi
	v_or_b32_e32 v11, s11, v11
	v_and_or_b32 v10, v10, s26, s1
	s_waitcnt lgkmcnt(0)
	v_cmp_ne_u64_e32 vcc_lo, 0, v[4:5]
	s_cbranch_vccnz .LBB129_234
; %bb.231:                              ;   in Loop: Header=BB129_31 Depth=1
	s_and_saveexec_b32 s1, s3
; %bb.232:                              ;   in Loop: Header=BB129_31 Depth=1
	v_mov_b32_e32 v4, s16
	v_mov_b32_e32 v5, s17
	ds_write_b64 v3, v[4:5] offset:5128
; %bb.233:                              ;   in Loop: Header=BB129_31 Depth=1
	s_or_b32 exec_lo, exec_lo, s1
	s_waitcnt lgkmcnt(0)
	s_barrier
	buffer_gl0_inv
.LBB129_234:                            ;   in Loop: Header=BB129_31 Depth=1
	s_or_saveexec_b32 s6, s6
	v_mov_b32_e32 v2, 8
	s_xor_b32 exec_lo, exec_lo, s6
; %bb.235:                              ;   in Loop: Header=BB129_31 Depth=1
	v_sub_co_u32 v6, vcc_lo, v6, s16
	v_subrev_co_ci_u32_e64 v7, null, s17, v7, vcc_lo
	v_mov_b32_e32 v2, 0
	s_mov_b32 s20, exec_lo
; %bb.236:                              ;   in Loop: Header=BB129_31 Depth=1
	s_or_b32 exec_lo, exec_lo, s6
	v_mov_b32_e32 v4, v6
	v_mov_b32_e32 v5, v7
	s_and_b32 s20, s20, exec_lo
.LBB129_237:                            ;   in Loop: Header=BB129_31 Depth=1
	s_or_b32 exec_lo, exec_lo, s2
	s_mov_b32 s2, -1
                                        ; implicit-def: $sgpr58
                                        ; implicit-def: $sgpr6
	s_and_saveexec_b32 s78, s20
	s_cbranch_execz .LBB129_288
; %bb.238:                              ;   in Loop: Header=BB129_31 Depth=1
	v_cmp_eq_u64_e32 vcc_lo, 1, v[4:5]
	s_cmp_eq_u64 s[18:19], 1
	s_mov_b32 s20, -1
	s_cselect_b32 s1, -1, 0
                                        ; implicit-def: $sgpr58
                                        ; implicit-def: $sgpr6
	s_and_b32 s62, s1, vcc_lo
	s_and_saveexec_b32 s2, s62
	s_cbranch_execz .LBB129_276
; %bb.239:                              ;   in Loop: Header=BB129_31 Depth=1
	ds_read_b64 v[6:7], v3 offset:5120
	s_waitcnt lgkmcnt(0)
	s_barrier
	buffer_gl0_inv
	v_readfirstlane_b32 s20, v6
	v_readfirstlane_b32 s21, v7
	s_and_saveexec_b32 s1, s10
; %bb.240:                              ;   in Loop: Header=BB129_31 Depth=1
	ds_write_b8 v0, v3 offset:3072
; %bb.241:                              ;   in Loop: Header=BB129_31 Depth=1
	s_or_b32 exec_lo, exec_lo, s1
	v_or_b32_e32 v10, s11, v10
	v_or_b32_e32 v11, s11, v11
	s_mov_b32 s6, -1
	s_mov_b32 s58, 0
	s_cmp_eq_u64 s[20:21], 0
	s_mov_b32 s24, 0
	s_mov_b32 s25, -1
	s_waitcnt lgkmcnt(0)
	s_barrier
	buffer_gl0_inv
                                        ; implicit-def: $vgpr8
	s_cbranch_scc1 .LBB129_259
; %bb.242:                              ;   in Loop: Header=BB129_31 Depth=1
	v_writelane_b32 v59, s62, 14
	s_add_u32 s44, s20, s89
	s_addc_u32 s23, s21, s90
	s_mov_b32 s22, s55
	s_cmp_lg_u64 s[22:23], 0
	v_writelane_b32 v59, s98, 15
	s_cbranch_scc0 .LBB129_246
; %bb.243:                              ;   in Loop: Header=BB129_31 Depth=1
	v_cvt_f32_u32_e32 v6, s33
	s_sub_u32 s24, 0, s33
	s_subb_u32 s25, 0, 0
	v_fmac_f32_e64 v6, 0x4f800000, 0
	v_rcp_f32_e32 v6, v6
	v_mul_f32_e32 v6, 0x5f7ffffc, v6
	v_mul_f32_e32 v7, 0x2f800000, v6
	v_trunc_f32_e32 v7, v7
	v_fmac_f32_e32 v6, 0xcf800000, v7
	v_cvt_u32_f32_e32 v7, v7
	v_cvt_u32_f32_e32 v6, v6
	v_readfirstlane_b32 s1, v7
	v_readfirstlane_b32 s22, v6
	s_mul_i32 s45, s24, s1
	s_mul_hi_u32 vcc_lo, s24, s22
	s_mul_i32 s54, s25, s22
	s_add_i32 s45, vcc_lo, s45
	s_mul_i32 s98, s24, s22
	s_add_i32 s45, s45, s54
	s_mul_hi_u32 vcc_lo, s22, s98
	s_mul_i32 s62, s22, s45
	s_mul_hi_u32 s79, s1, s98
	s_mul_i32 s54, s1, s98
	s_mul_hi_u32 s98, s22, s45
	s_add_u32 s62, vcc_lo, s62
	s_addc_u32 s98, 0, s98
	s_mul_hi_u32 s63, s1, s45
	s_add_u32 s54, s62, s54
	s_mul_i32 s45, s1, s45
	s_addc_u32 s54, s98, s79
	s_addc_u32 s62, s63, 0
	s_add_u32 s45, s54, s45
	s_addc_u32 s54, 0, s62
	s_add_u32 s22, s22, s45
	s_cselect_b32 s45, -1, 0
	s_mul_hi_u32 s62, s24, s22
	s_cmp_lg_u32 s45, 0
	s_mul_i32 s45, s24, s22
	s_addc_u32 s1, s1, s54
	s_mul_i32 s25, s25, s22
	s_mul_i32 s24, s24, s1
	s_mul_hi_u32 s54, s22, s45
	s_add_i32 s24, s62, s24
	s_mul_hi_u32 s62, s1, s45
	s_add_i32 s24, s24, s25
	s_mul_i32 s25, s1, s45
	s_mul_i32 s79, s22, s24
	s_mul_hi_u32 s63, s22, s24
	s_add_u32 s54, s54, s79
	s_addc_u32 s63, 0, s63
	s_mul_hi_u32 s45, s1, s24
	s_add_u32 s25, s54, s25
	s_mul_i32 s24, s1, s24
	s_addc_u32 s25, s63, s62
	s_addc_u32 s45, s45, 0
	s_add_u32 s24, s25, s24
	s_addc_u32 s25, 0, s45
	s_add_u32 s22, s22, s24
	s_cselect_b32 s24, -1, 0
	s_mul_hi_u32 s45, s44, s22
	s_cmp_lg_u32 s24, 0
	s_mul_hi_u32 s24, s23, s22
	s_addc_u32 s1, s1, s25
	s_mul_i32 s22, s23, s22
	s_mul_i32 s54, s44, s1
	s_mul_hi_u32 s25, s44, s1
	s_add_u32 s45, s45, s54
	s_addc_u32 s25, 0, s25
	s_mul_hi_u32 s62, s23, s1
	s_add_u32 s22, s45, s22
	s_mul_i32 s1, s23, s1
	s_addc_u32 s22, s25, s24
	s_addc_u32 s24, s62, 0
	s_add_u32 s1, s22, s1
	s_addc_u32 s22, 0, s24
	s_mul_hi_u32 s24, s33, s1
	s_mul_i32 s22, s33, s22
	s_mul_i32 s1, s33, s1
	s_add_i32 s24, s24, s22
	s_sub_u32 s1, s44, s1
	s_cselect_b32 s22, -1, 0
	s_cmp_lg_u32 s22, 0
	s_subb_u32 s22, s23, s24
	s_sub_u32 s24, s1, s33
	s_cselect_b32 s25, -1, 0
	s_cmp_lg_u32 s25, 0
	s_subb_u32 s25, s22, 0
	;; [unrolled: 4-line block ×3, first 2 shown]
	s_cmp_ge_u32 s24, s33
	s_cselect_b32 s62, -1, 0
	s_cmp_eq_u32 s25, 0
	s_cselect_b32 s62, s62, -1
	s_cmp_lg_u32 s62, 0
	s_cselect_b32 s25, s54, s25
	s_cselect_b32 s24, s45, s24
	s_cmp_ge_u32 s1, s33
	s_cselect_b32 s45, -1, 0
	s_cmp_eq_u32 s22, 0
	s_cselect_b32 s45, s45, -1
	s_cmp_lg_u32 s45, 0
	s_cselect_b32 s25, s25, s22
	s_cselect_b32 s24, s24, s1
	s_mov_b32 s1, 0
	s_branch .LBB129_247
.LBB129_244:                            ;   in Loop: Header=BB129_31 Depth=1
                                        ; implicit-def: $sgpr24_sgpr25
	s_branch .LBB129_199
.LBB129_245:                            ;   in Loop: Header=BB129_31 Depth=1
                                        ; implicit-def: $sgpr20_sgpr21
	s_branch .LBB129_215
.LBB129_246:                            ;   in Loop: Header=BB129_31 Depth=1
	s_mov_b32 s1, -1
                                        ; implicit-def: $sgpr24_sgpr25
.LBB129_247:                            ;   in Loop: Header=BB129_31 Depth=1
	s_andn2_b32 vcc_lo, exec_lo, s1
	s_cbranch_vccnz .LBB129_249
; %bb.248:                              ;   in Loop: Header=BB129_31 Depth=1
	v_cvt_f32_u32_e32 v6, s33
	s_sub_i32 s22, 0, s33
	v_rcp_iflag_f32_e32 v6, v6
	v_mul_f32_e32 v6, 0x4f7ffffe, v6
	v_cvt_u32_f32_e32 v6, v6
	v_readfirstlane_b32 s1, v6
	s_mul_i32 s22, s22, s1
	s_mul_hi_u32 s22, s1, s22
	s_add_i32 s1, s1, s22
	s_mul_hi_u32 s1, s44, s1
	s_mul_i32 s1, s1, s33
	s_sub_i32 s1, s44, s1
	s_sub_i32 s22, s1, s33
	s_cmp_ge_u32 s1, s33
	s_cselect_b32 s1, s22, s1
	s_sub_i32 s22, s1, s33
	s_cmp_ge_u32 s1, s33
	s_cselect_b32 s54, s22, s1
	s_mov_b64 s[24:25], s[54:55]
.LBB129_249:                            ;   in Loop: Header=BB129_31 Depth=1
	s_sub_u32 s22, s44, s24
	s_subb_u32 s23, s23, s25
	s_mov_b32 s25, 0
	s_mov_b32 s24, 0
	s_mov_b32 s44, exec_lo
                                        ; implicit-def: $vgpr8
	v_cmpx_gt_u64_e64 s[22:23], v[0:1]
	v_readlane_b32 s98, v59, 15
	v_readlane_b32 s62, v59, 14
	s_cbranch_execz .LBB129_258
; %bb.250:                              ;   in Loop: Header=BB129_31 Depth=1
	v_mov_b32_e32 v7, v1
	v_mov_b32_e32 v8, v0
	;; [unrolled: 1-line block ×3, first 2 shown]
                                        ; implicit-def: $sgpr45
	s_inst_prefetch 0x1
	s_branch .LBB129_253
	.p2align	6
.LBB129_251:                            ;   in Loop: Header=BB129_253 Depth=2
	s_or_b32 exec_lo, exec_lo, s54
	s_waitcnt lgkmcnt(0)
	s_barrier
	buffer_gl0_inv
	ds_read_u16 v9, v3 offset:3072
	s_mov_b32 s54, -1
	s_waitcnt lgkmcnt(0)
	s_barrier
	buffer_gl0_inv
	v_cmp_ne_u32_sdwa s1, v9, v3 src0_sel:BYTE_0 src1_sel:DWORD
	s_and_b32 vcc_lo, exec_lo, s1
	s_mov_b32 s1, -1
	s_cbranch_vccz .LBB129_256
.LBB129_252:                            ;   in Loop: Header=BB129_253 Depth=2
	s_and_b32 s54, exec_lo, s54
	s_or_b32 s24, s54, s24
	s_andn2_b32 s45, s45, exec_lo
	s_and_b32 s1, s1, exec_lo
	s_or_b32 s45, s45, s1
	s_andn2_b32 exec_lo, exec_lo, s24
	s_cbranch_execz .LBB129_257
.LBB129_253:                            ;   Parent Loop BB129_31 Depth=1
                                        ; =>  This Inner Loop Header: Depth=2
	s_mov_b32 s54, exec_lo
	v_cmpx_gt_u64_e64 s[20:21], v[6:7]
	s_cbranch_execz .LBB129_251
; %bb.254:                              ;   in Loop: Header=BB129_253 Depth=2
	ds_read_u8 v9, v8
	s_waitcnt lgkmcnt(0)
	v_and_b32_e32 v30, v9, v11
	v_cmp_eq_u32_sdwa s1, v30, v10 src0_sel:BYTE_0 src1_sel:DWORD
	s_and_b32 exec_lo, exec_lo, s1
	s_cbranch_execz .LBB129_251
; %bb.255:                              ;   in Loop: Header=BB129_253 Depth=2
	v_lshlrev_b16 v9, 8, v9
	v_or_b32_e32 v9, 1, v9
	ds_write_b16 v3, v9 offset:3072
	s_branch .LBB129_251
.LBB129_256:                            ;   in Loop: Header=BB129_253 Depth=2
	v_add_co_u32 v6, vcc_lo, v6, s33
	v_add_co_ci_u32_e64 v7, null, 0, v7, vcc_lo
	v_add_nc_u32_e32 v8, s33, v8
	s_mov_b32 s1, 0
	v_cmp_le_u64_e32 vcc_lo, s[22:23], v[6:7]
	s_orn2_b32 s54, vcc_lo, exec_lo
	s_branch .LBB129_252
.LBB129_257:                            ;   in Loop: Header=BB129_31 Depth=1
	s_inst_prefetch 0x2
	s_or_b32 exec_lo, exec_lo, s24
	v_lshrrev_b32_sdwa v8, v40, v9 dst_sel:DWORD dst_unused:UNUSED_PAD src0_sel:DWORD src1_sel:WORD_0
	s_and_b32 s24, s45, exec_lo
.LBB129_258:                            ;   in Loop: Header=BB129_31 Depth=1
	s_or_b32 exec_lo, exec_lo, s44
.LBB129_259:                            ;   in Loop: Header=BB129_31 Depth=1
	s_and_b32 vcc_lo, exec_lo, s25
	s_cbranch_vccz .LBB129_275
; %bb.260:                              ;   in Loop: Header=BB129_31 Depth=1
	s_mov_b32 s58, s55
	s_cmp_lg_u64 s[58:59], 0
	s_cbranch_scc0 .LBB129_262
; %bb.261:                              ;   in Loop: Header=BB129_31 Depth=1
	v_cvt_f32_u32_e32 v6, s33
	s_sub_u32 s20, 0, s33
	s_subb_u32 s21, 0, 0
	v_fmac_f32_e64 v6, 0x4f800000, 0
	v_rcp_f32_e32 v6, v6
	v_mul_f32_e32 v6, 0x5f7ffffc, v6
	v_mul_f32_e32 v7, 0x2f800000, v6
	v_trunc_f32_e32 v7, v7
	v_fmac_f32_e32 v6, 0xcf800000, v7
	v_cvt_u32_f32_e32 v7, v7
	v_cvt_u32_f32_e32 v6, v6
	v_readfirstlane_b32 s1, v7
	v_readfirstlane_b32 s6, v6
	s_mul_i32 s22, s20, s1
	s_mul_hi_u32 s25, s20, s6
	s_mul_i32 s23, s21, s6
	s_add_i32 s22, s25, s22
	s_mul_i32 s44, s20, s6
	s_add_i32 s22, s22, s23
	s_mul_hi_u32 s25, s6, s44
	s_mul_i32 s54, s6, s22
	s_mul_hi_u32 s45, s1, s44
	s_mul_i32 s23, s1, s44
	s_mul_hi_u32 s44, s6, s22
	s_add_u32 s25, s25, s54
	s_addc_u32 s44, 0, s44
	s_mul_hi_u32 s58, s1, s22
	s_add_u32 s23, s25, s23
	s_mul_i32 s22, s1, s22
	s_addc_u32 s23, s44, s45
	s_addc_u32 s25, s58, 0
	s_add_u32 s22, s23, s22
	s_addc_u32 s23, 0, s25
	s_add_u32 s6, s6, s22
	s_cselect_b32 s22, -1, 0
	s_mul_hi_u32 s25, s20, s6
	s_cmp_lg_u32 s22, 0
	s_mul_i32 s22, s20, s6
	s_addc_u32 s1, s1, s23
	s_mul_i32 s21, s21, s6
	s_mul_i32 s20, s20, s1
	s_mul_hi_u32 s23, s6, s22
	s_add_i32 s20, s25, s20
	s_mul_hi_u32 s25, s1, s22
	s_add_i32 s20, s20, s21
	s_mul_i32 s21, s1, s22
	s_mul_i32 s45, s6, s20
	s_mul_hi_u32 s44, s6, s20
	s_add_u32 s23, s23, s45
	s_addc_u32 s44, 0, s44
	s_mul_hi_u32 s22, s1, s20
	s_add_u32 s21, s23, s21
	s_mul_i32 s20, s1, s20
	s_addc_u32 s21, s44, s25
	s_addc_u32 s22, s22, 0
	s_add_u32 s20, s21, s20
	s_addc_u32 s21, 0, s22
	s_add_u32 s6, s6, s20
	s_cselect_b32 s20, -1, 0
	s_mul_hi_u32 s22, s91, s6
	s_cmp_lg_u32 s20, 0
	s_mul_hi_u32 s20, s59, s6
	s_addc_u32 s1, s1, s21
	s_mul_i32 s6, s59, s6
	s_mul_i32 s23, s91, s1
	s_mul_hi_u32 s21, s91, s1
	s_add_u32 s22, s22, s23
	s_addc_u32 s21, 0, s21
	s_mul_hi_u32 s25, s59, s1
	s_add_u32 s6, s22, s6
	s_mul_i32 s1, s59, s1
	s_addc_u32 s6, s21, s20
	s_addc_u32 s20, s25, 0
	s_add_u32 s1, s6, s1
	s_addc_u32 s6, 0, s20
	s_mul_hi_u32 s20, s33, s1
	s_mul_i32 s6, s33, s6
	s_mul_i32 s1, s33, s1
	s_add_i32 s20, s20, s6
	s_sub_u32 s1, s91, s1
	s_cselect_b32 s6, -1, 0
	s_cmp_lg_u32 s6, 0
	s_subb_u32 s6, s59, s20
	s_sub_u32 s20, s1, s33
	s_cselect_b32 s21, -1, 0
	s_cmp_lg_u32 s21, 0
	s_subb_u32 s21, s6, 0
	;; [unrolled: 4-line block ×3, first 2 shown]
	s_cmp_ge_u32 s20, s33
	s_cselect_b32 s25, -1, 0
	s_cmp_eq_u32 s21, 0
	s_cselect_b32 s25, s25, -1
	s_cmp_lg_u32 s25, 0
	s_cselect_b32 s21, s23, s21
	s_cselect_b32 s20, s22, s20
	s_cmp_ge_u32 s1, s33
	s_cselect_b32 s22, -1, 0
	s_cmp_eq_u32 s6, 0
	s_cselect_b32 s22, s22, -1
	s_cmp_lg_u32 s22, 0
	s_cselect_b32 s21, s21, s6
	s_cselect_b32 s20, s20, s1
	s_mov_b32 s1, 0
	s_branch .LBB129_263
.LBB129_262:                            ;   in Loop: Header=BB129_31 Depth=1
	s_mov_b32 s1, -1
                                        ; implicit-def: $sgpr20_sgpr21
.LBB129_263:                            ;   in Loop: Header=BB129_31 Depth=1
	s_andn2_b32 vcc_lo, exec_lo, s1
	s_cbranch_vccnz .LBB129_265
; %bb.264:                              ;   in Loop: Header=BB129_31 Depth=1
	v_cvt_f32_u32_e32 v6, s33
	s_sub_i32 s6, 0, s33
	v_rcp_iflag_f32_e32 v6, v6
	v_mul_f32_e32 v6, 0x4f7ffffe, v6
	v_cvt_u32_f32_e32 v6, v6
	v_readfirstlane_b32 s1, v6
	s_mul_i32 s6, s6, s1
	s_mul_hi_u32 s6, s1, s6
	s_add_i32 s1, s1, s6
	s_mul_hi_u32 s1, s91, s1
	s_mul_i32 s1, s1, s33
	s_sub_i32 s1, s91, s1
	s_sub_i32 s6, s1, s33
	s_cmp_ge_u32 s1, s33
	s_cselect_b32 s1, s6, s1
	s_sub_i32 s6, s1, s33
	s_cmp_ge_u32 s1, s33
	s_cselect_b32 s54, s6, s1
	s_mov_b64 s[20:21], s[54:55]
.LBB129_265:                            ;   in Loop: Header=BB129_31 Depth=1
	s_sub_u32 s20, s91, s20
	s_subb_u32 s21, s59, s21
	s_mov_b32 s22, exec_lo
                                        ; implicit-def: $vgpr8
	v_cmpx_gt_u64_e64 s[20:21], v[0:1]
	s_cbranch_execz .LBB129_274
; %bb.266:                              ;   in Loop: Header=BB129_31 Depth=1
	v_mov_b32_e32 v6, v26
	v_mov_b32_e32 v9, v1
	;; [unrolled: 1-line block ×4, first 2 shown]
	s_mov_b32 s23, 0
                                        ; implicit-def: $sgpr25
	s_inst_prefetch 0x1
	s_branch .LBB129_269
	.p2align	6
.LBB129_267:                            ;   in Loop: Header=BB129_269 Depth=2
	s_or_b32 exec_lo, exec_lo, s6
	s_waitcnt lgkmcnt(0)
	s_barrier
	buffer_gl0_inv
	ds_read_u16 v30, v3 offset:3072
	s_mov_b32 s1, -1
	s_waitcnt lgkmcnt(0)
	s_barrier
	buffer_gl0_inv
	v_cmp_eq_u32_sdwa s6, v30, v3 src0_sel:BYTE_0 src1_sel:DWORD
	s_and_b32 vcc_lo, exec_lo, s6
	s_mov_b32 s6, -1
	s_cbranch_vccnz .LBB129_272
.LBB129_268:                            ;   in Loop: Header=BB129_269 Depth=2
	s_and_b32 s1, exec_lo, s1
	s_or_b32 s23, s1, s23
	s_andn2_b32 s1, s25, exec_lo
	s_and_b32 s6, s6, exec_lo
	s_or_b32 s25, s1, s6
	s_andn2_b32 exec_lo, exec_lo, s23
	s_cbranch_execz .LBB129_273
.LBB129_269:                            ;   Parent Loop BB129_31 Depth=1
                                        ; =>  This Inner Loop Header: Depth=2
	s_mov_b32 s6, exec_lo
	v_cmpx_gt_u64_e64 s[36:37], v[8:9]
	s_cbranch_execz .LBB129_267
; %bb.270:                              ;   in Loop: Header=BB129_269 Depth=2
	global_load_ubyte v30, v[6:7], off
	s_waitcnt vmcnt(0)
	v_and_b32_e32 v31, v30, v11
	v_cmp_eq_u32_sdwa s1, v31, v10 src0_sel:BYTE_0 src1_sel:DWORD
	s_and_b32 exec_lo, exec_lo, s1
	s_cbranch_execz .LBB129_267
; %bb.271:                              ;   in Loop: Header=BB129_269 Depth=2
	v_lshlrev_b16 v30, 8, v30
	v_or_b32_e32 v30, 1, v30
	ds_write_b16 v3, v30 offset:3072
	s_branch .LBB129_267
.LBB129_272:                            ;   in Loop: Header=BB129_269 Depth=2
	v_add_co_u32 v8, vcc_lo, v8, s33
	v_add_co_ci_u32_e64 v9, null, 0, v9, vcc_lo
	v_add_co_u32 v6, s6, v6, s81
	v_add_co_ci_u32_e64 v7, null, s80, v7, s6
	v_cmp_le_u64_e32 vcc_lo, s[20:21], v[8:9]
	s_mov_b32 s6, 0
	s_orn2_b32 s1, vcc_lo, exec_lo
	s_branch .LBB129_268
.LBB129_273:                            ;   in Loop: Header=BB129_31 Depth=1
	s_inst_prefetch 0x2
	s_or_b32 exec_lo, exec_lo, s23
	v_lshrrev_b32_sdwa v8, v40, v30 dst_sel:DWORD dst_unused:UNUSED_PAD src0_sel:DWORD src1_sel:WORD_0
	s_andn2_b32 s1, s24, exec_lo
	s_and_b32 s6, s25, exec_lo
	s_or_b32 s24, s1, s6
.LBB129_274:                            ;   in Loop: Header=BB129_31 Depth=1
	s_or_b32 exec_lo, exec_lo, s22
	s_mov_b32 s6, 0
	s_mov_b32 s58, -1
.LBB129_275:                            ;   in Loop: Header=BB129_31 Depth=1
	s_orn2_b32 s20, s24, exec_lo
.LBB129_276:                            ;   in Loop: Header=BB129_31 Depth=1
	s_or_b32 exec_lo, exec_lo, s2
	s_mov_b32 s21, 0
	s_and_saveexec_b32 s2, s20
	s_cbranch_execz .LBB129_287
; %bb.277:                              ;   in Loop: Header=BB129_31 Depth=1
	v_mov_b32_e32 v6, 1
	v_mov_b32_e32 v7, 0
	v_mov_b32_e32 v2, 1
	s_xor_b32 s1, s62, -1
	s_and_saveexec_b32 s20, s1
	s_cbranch_execz .LBB129_286
; %bb.278:                              ;   in Loop: Header=BB129_31 Depth=1
	s_mov_b32 s1, exec_lo
	v_cmpx_ge_u64_e64 s[18:19], v[4:5]
	s_xor_b32 s21, exec_lo, s1
	s_cbranch_execz .LBB129_283
; %bb.279:                              ;   in Loop: Header=BB129_31 Depth=1
	ds_read_b64 v[6:7], v3 offset:5120
	v_or_b32_e32 v10, s11, v10
	v_or_b32_e32 v11, s11, v11
	s_waitcnt lgkmcnt(0)
	v_cmp_ne_u64_e32 vcc_lo, 0, v[6:7]
	s_cbranch_vccnz .LBB129_283
; %bb.280:                              ;   in Loop: Header=BB129_31 Depth=1
	s_and_saveexec_b32 s1, s3
; %bb.281:                              ;   in Loop: Header=BB129_31 Depth=1
	v_mov_b32_e32 v6, s18
	v_mov_b32_e32 v7, s19
	ds_write_b64 v3, v[6:7] offset:5128
; %bb.282:                              ;   in Loop: Header=BB129_31 Depth=1
	s_or_b32 exec_lo, exec_lo, s1
	s_waitcnt lgkmcnt(0)
	s_barrier
	buffer_gl0_inv
.LBB129_283:                            ;   in Loop: Header=BB129_31 Depth=1
	s_andn2_saveexec_b32 s21, s21
; %bb.284:                              ;   in Loop: Header=BB129_31 Depth=1
	v_sub_co_u32 v4, vcc_lo, v4, s18
	v_subrev_co_ci_u32_e64 v5, null, s19, v5, vcc_lo
; %bb.285:                              ;   in Loop: Header=BB129_31 Depth=1
	s_or_b32 exec_lo, exec_lo, s21
	v_mov_b32_e32 v7, v5
	v_mov_b32_e32 v2, 8
	;; [unrolled: 1-line block ×3, first 2 shown]
.LBB129_286:                            ;   in Loop: Header=BB129_31 Depth=1
	s_or_b32 exec_lo, exec_lo, s20
	v_mov_b32_e32 v4, v6
	v_mov_b32_e32 v5, v7
	s_mov_b32 s21, exec_lo
.LBB129_287:                            ;   in Loop: Header=BB129_31 Depth=1
	s_or_b32 exec_lo, exec_lo, s2
	s_orn2_b32 s2, s21, exec_lo
.LBB129_288:                            ;   in Loop: Header=BB129_31 Depth=1
	s_or_b32 exec_lo, exec_lo, s78
	v_mov_b32_e32 v7, v5
	v_mov_b32_e32 v6, v4
	s_andn2_b32 s1, s76, exec_lo
	s_and_b32 s20, s58, exec_lo
	s_andn2_b32 s21, s75, exec_lo
	s_and_b32 s6, s6, exec_lo
	s_or_b32 s76, s1, s20
	s_or_b32 s75, s21, s6
	s_and_b32 s6, s2, exec_lo
.LBB129_289:                            ;   in Loop: Header=BB129_31 Depth=1
	s_or_b32 exec_lo, exec_lo, s77
	s_orn2_b32 s2, s6, exec_lo
.LBB129_290:                            ;   in Loop: Header=BB129_31 Depth=1
	s_or_b32 exec_lo, exec_lo, s74
	v_mov_b32_e32 v4, v6
	v_mov_b32_e32 v5, v7
	s_andn2_b32 s1, s72, exec_lo
	s_and_b32 s6, s76, exec_lo
	s_andn2_b32 s20, s67, exec_lo
	s_and_b32 s21, s75, exec_lo
	s_or_b32 s72, s1, s6
	s_or_b32 s67, s20, s21
	s_and_b32 s6, s2, exec_lo
.LBB129_291:                            ;   in Loop: Header=BB129_31 Depth=1
	s_or_b32 exec_lo, exec_lo, s73
	s_orn2_b32 s2, s6, exec_lo
.LBB129_292:                            ;   in Loop: Header=BB129_31 Depth=1
	s_or_b32 exec_lo, exec_lo, s66
	s_mov_b32 s6, 0
	s_mov_b32 s20, 0
	s_and_saveexec_b32 s1, s2
	s_xor_b32 s1, exec_lo, s1
; %bb.293:                              ;   in Loop: Header=BB129_31 Depth=1
	v_cmp_ne_u32_e32 vcc_lo, 8, v2
	v_cmp_eq_u32_e64 s6, 8, v2
	s_and_b32 s20, vcc_lo, exec_lo
	s_and_b32 s6, s6, exec_lo
; %bb.294:                              ;   in Loop: Header=BB129_31 Depth=1
	s_or_b32 exec_lo, exec_lo, s1
	s_andn2_b32 s1, s69, exec_lo
	s_and_b32 s2, s72, exec_lo
	s_andn2_b32 s21, s68, exec_lo
	s_and_b32 s22, s67, exec_lo
	s_or_b32 s69, s1, s2
	s_or_b32 s68, s21, s22
	s_and_b32 s66, s20, exec_lo
	s_and_b32 s67, s6, exec_lo
.LBB129_295:                            ;   in Loop: Header=BB129_31 Depth=1
	s_or_b32 exec_lo, exec_lo, s71
.LBB129_296:                            ;   in Loop: Header=BB129_31 Depth=1
	s_and_b32 vcc_lo, exec_lo, s70
	s_cbranch_vccz .LBB129_312
; %bb.297:                              ;   in Loop: Header=BB129_31 Depth=1
	s_cmp_eq_u64 s[18:19], 1
	s_mov_b32 s6, -1
	s_cselect_b32 s1, -1, 0
                                        ; implicit-def: $sgpr27
	s_and_b32 s68, s1, s9
                                        ; implicit-def: $sgpr9
	s_and_saveexec_b32 s2, s68
	s_cbranch_execz .LBB129_330
; %bb.298:                              ;   in Loop: Header=BB129_31 Depth=1
	ds_read_b64 v[4:5], v3 offset:5120
	s_waitcnt lgkmcnt(0)
	s_barrier
	buffer_gl0_inv
	v_readfirstlane_b32 s20, v4
	v_readfirstlane_b32 s21, v5
	s_and_saveexec_b32 s1, s10
; %bb.299:                              ;   in Loop: Header=BB129_31 Depth=1
	ds_write_b8 v0, v3 offset:3072
; %bb.300:                              ;   in Loop: Header=BB129_31 Depth=1
	s_or_b32 exec_lo, exec_lo, s1
	v_or_b32_e32 v20, s11, v20
	v_or_b32_e32 v41, s11, v41
	s_mov_b32 s27, -1
	s_mov_b32 s9, 0
	s_cmp_eq_u64 s[20:21], 0
	s_mov_b32 s24, 0
	s_waitcnt lgkmcnt(0)
	s_barrier
	buffer_gl0_inv
                                        ; implicit-def: $vgpr42
	s_cbranch_scc1 .LBB129_315
; %bb.301:                              ;   in Loop: Header=BB129_31 Depth=1
	s_add_u32 s6, s20, s89
	s_addc_u32 s23, s21, s90
	s_mov_b32 s22, s55
	s_cmp_lg_u64 s[22:23], 0
	s_cbranch_scc0 .LBB129_356
; %bb.302:                              ;   in Loop: Header=BB129_31 Depth=1
	v_cvt_f32_u32_e32 v2, s33
	s_sub_u32 s24, 0, s33
	s_subb_u32 s25, 0, 0
	v_fmac_f32_e64 v2, 0x4f800000, 0
	v_rcp_f32_e32 v2, v2
	v_mul_f32_e32 v2, 0x5f7ffffc, v2
	v_mul_f32_e32 v4, 0x2f800000, v2
	v_trunc_f32_e32 v4, v4
	v_fmac_f32_e32 v2, 0xcf800000, v4
	v_cvt_u32_f32_e32 v4, v4
	v_cvt_u32_f32_e32 v2, v2
	v_readfirstlane_b32 s1, v4
	v_readfirstlane_b32 s22, v2
	s_mul_i32 s44, s24, s1
	s_mul_hi_u32 s54, s24, s22
	s_mul_i32 s45, s25, s22
	s_add_i32 s44, s54, s44
	s_mul_i32 s58, s24, s22
	s_add_i32 s44, s44, s45
	s_mul_hi_u32 s54, s22, s58
	s_mul_i32 s70, s22, s44
	s_mul_hi_u32 s69, s1, s58
	s_mul_i32 s45, s1, s58
	s_mul_hi_u32 s58, s22, s44
	s_add_u32 s54, s54, s70
	s_addc_u32 s58, 0, s58
	s_mul_hi_u32 s71, s1, s44
	s_add_u32 s45, s54, s45
	s_mul_i32 s44, s1, s44
	s_addc_u32 s45, s58, s69
	s_addc_u32 s54, s71, 0
	s_add_u32 s44, s45, s44
	s_addc_u32 s45, 0, s54
	s_add_u32 s22, s22, s44
	s_cselect_b32 s44, -1, 0
	s_mul_hi_u32 s54, s24, s22
	s_cmp_lg_u32 s44, 0
	s_mul_i32 s44, s24, s22
	s_addc_u32 s1, s1, s45
	s_mul_i32 s25, s25, s22
	s_mul_i32 s24, s24, s1
	s_mul_hi_u32 s45, s22, s44
	s_add_i32 s24, s54, s24
	s_mul_hi_u32 s54, s1, s44
	s_add_i32 s24, s24, s25
	s_mul_i32 s25, s1, s44
	s_mul_i32 s69, s22, s24
	s_mul_hi_u32 s58, s22, s24
	s_add_u32 s45, s45, s69
	s_addc_u32 s58, 0, s58
	s_mul_hi_u32 s44, s1, s24
	s_add_u32 s25, s45, s25
	s_mul_i32 s24, s1, s24
	s_addc_u32 s25, s58, s54
	s_addc_u32 s44, s44, 0
	s_add_u32 s24, s25, s24
	s_addc_u32 s25, 0, s44
	s_add_u32 s22, s22, s24
	s_cselect_b32 s24, -1, 0
	s_mul_hi_u32 s44, s6, s22
	s_cmp_lg_u32 s24, 0
	s_mul_hi_u32 s24, s23, s22
	s_addc_u32 s1, s1, s25
	s_mul_i32 s22, s23, s22
	s_mul_i32 s45, s6, s1
	s_mul_hi_u32 s25, s6, s1
	s_add_u32 s44, s44, s45
	s_addc_u32 s25, 0, s25
	s_mul_hi_u32 s54, s23, s1
	s_add_u32 s22, s44, s22
	s_mul_i32 s1, s23, s1
	s_addc_u32 s22, s25, s24
	s_addc_u32 s24, s54, 0
	s_add_u32 s1, s22, s1
	s_addc_u32 s22, 0, s24
	s_mul_hi_u32 s24, s33, s1
	s_mul_i32 s22, s33, s22
	s_mul_i32 s1, s33, s1
	s_add_i32 s24, s24, s22
	s_sub_u32 s1, s6, s1
	s_cselect_b32 s22, -1, 0
	s_cmp_lg_u32 s22, 0
	s_subb_u32 s22, s23, s24
	s_sub_u32 s24, s1, s33
	s_cselect_b32 s25, -1, 0
	s_cmp_lg_u32 s25, 0
	s_subb_u32 s25, s22, 0
	;; [unrolled: 4-line block ×3, first 2 shown]
	s_cmp_ge_u32 s24, s33
	s_cselect_b32 s54, -1, 0
	s_cmp_eq_u32 s25, 0
	s_cselect_b32 s54, s54, -1
	s_cmp_lg_u32 s54, 0
	s_cselect_b32 s25, s45, s25
	s_cselect_b32 s24, s44, s24
	s_cmp_ge_u32 s1, s33
	s_cselect_b32 s44, -1, 0
	s_cmp_eq_u32 s22, 0
	s_cselect_b32 s44, s44, -1
	s_cmp_lg_u32 s44, 0
	s_cselect_b32 s25, s25, s22
	s_cselect_b32 s24, s24, s1
	s_cbranch_execnz .LBB129_304
.LBB129_303:                            ;   in Loop: Header=BB129_31 Depth=1
	v_cvt_f32_u32_e32 v2, s33
	s_sub_i32 s22, 0, s33
	v_rcp_iflag_f32_e32 v2, v2
	v_mul_f32_e32 v2, 0x4f7ffffe, v2
	v_cvt_u32_f32_e32 v2, v2
	v_readfirstlane_b32 s1, v2
	s_mul_i32 s22, s22, s1
	s_mul_hi_u32 s22, s1, s22
	s_add_i32 s1, s1, s22
	s_mul_hi_u32 s1, s6, s1
	s_mul_i32 s1, s1, s33
	s_sub_i32 s1, s6, s1
	s_sub_i32 s22, s1, s33
	s_cmp_ge_u32 s1, s33
	s_cselect_b32 s1, s22, s1
	s_sub_i32 s22, s1, s33
	s_cmp_ge_u32 s1, s33
	s_cselect_b32 s54, s22, s1
	s_mov_b64 s[24:25], s[54:55]
.LBB129_304:                            ;   in Loop: Header=BB129_31 Depth=1
	s_sub_u32 s22, s6, s24
	s_subb_u32 s23, s23, s25
	s_mov_b32 s6, 0
	s_mov_b32 s24, 0
	s_mov_b32 s25, exec_lo
                                        ; implicit-def: $vgpr42
	v_cmpx_gt_u64_e64 s[22:23], v[0:1]
	s_cbranch_execz .LBB129_314
; %bb.305:                              ;   in Loop: Header=BB129_31 Depth=1
	v_mov_b32_e32 v5, v1
	v_mov_b32_e32 v2, v0
	;; [unrolled: 1-line block ×3, first 2 shown]
                                        ; implicit-def: $sgpr44
	s_inst_prefetch 0x1
	s_branch .LBB129_308
	.p2align	6
.LBB129_306:                            ;   in Loop: Header=BB129_308 Depth=2
	s_or_b32 exec_lo, exec_lo, s45
	s_waitcnt lgkmcnt(0)
	s_barrier
	buffer_gl0_inv
	ds_read_u16 v6, v3 offset:3072
	s_mov_b32 s1, -1
	s_waitcnt lgkmcnt(0)
	s_barrier
	buffer_gl0_inv
	v_cmp_ne_u32_sdwa s45, v6, v3 src0_sel:BYTE_0 src1_sel:DWORD
	s_and_b32 vcc_lo, exec_lo, s45
	s_mov_b32 s45, -1
	s_cbranch_vccz .LBB129_311
.LBB129_307:                            ;   in Loop: Header=BB129_308 Depth=2
	s_and_b32 s1, exec_lo, s1
	s_or_b32 s24, s1, s24
	s_andn2_b32 s1, s44, exec_lo
	s_and_b32 s44, s45, exec_lo
	s_or_b32 s44, s1, s44
	s_andn2_b32 exec_lo, exec_lo, s24
	s_cbranch_execz .LBB129_313
.LBB129_308:                            ;   Parent Loop BB129_31 Depth=1
                                        ; =>  This Inner Loop Header: Depth=2
	s_mov_b32 s45, exec_lo
	v_cmpx_gt_u64_e64 s[20:21], v[4:5]
	s_cbranch_execz .LBB129_306
; %bb.309:                              ;   in Loop: Header=BB129_308 Depth=2
	ds_read_u8 v6, v2
	s_waitcnt lgkmcnt(0)
	v_and_b32_e32 v7, v6, v41
	v_cmp_eq_u32_sdwa s1, v7, v20 src0_sel:BYTE_0 src1_sel:DWORD
	s_and_b32 exec_lo, exec_lo, s1
	s_cbranch_execz .LBB129_306
; %bb.310:                              ;   in Loop: Header=BB129_308 Depth=2
	v_lshlrev_b16 v6, 8, v6
	v_or_b32_e32 v6, 1, v6
	ds_write_b16 v3, v6 offset:3072
	s_branch .LBB129_306
.LBB129_311:                            ;   in Loop: Header=BB129_308 Depth=2
	v_add_co_u32 v4, vcc_lo, v4, s33
	v_add_co_ci_u32_e64 v5, null, 0, v5, vcc_lo
	v_add_nc_u32_e32 v2, s33, v2
	s_mov_b32 s45, 0
	v_cmp_le_u64_e32 vcc_lo, s[22:23], v[4:5]
	s_orn2_b32 s1, vcc_lo, exec_lo
	s_branch .LBB129_307
.LBB129_312:                            ;   in Loop: Header=BB129_31 Depth=1
	v_mov_b32_e32 v20, v10
	v_mov_b32_e32 v41, v11
	;; [unrolled: 1-line block ×3, first 2 shown]
	s_mov_b32 s9, 0
	s_and_saveexec_b32 s1, s67
	s_cbranch_execnz .LBB129_489
	s_branch .LBB129_490
.LBB129_313:                            ;   in Loop: Header=BB129_31 Depth=1
	s_inst_prefetch 0x2
	s_or_b32 exec_lo, exec_lo, s24
	v_lshrrev_b32_sdwa v42, v40, v6 dst_sel:DWORD dst_unused:UNUSED_PAD src0_sel:DWORD src1_sel:WORD_0
	s_and_b32 s24, s44, exec_lo
.LBB129_314:                            ;   in Loop: Header=BB129_31 Depth=1
	s_or_b32 exec_lo, exec_lo, s25
.LBB129_315:                            ;   in Loop: Header=BB129_31 Depth=1
	s_and_b32 vcc_lo, exec_lo, s6
	s_cbranch_vccz .LBB129_329
; %bb.316:                              ;   in Loop: Header=BB129_31 Depth=1
	s_mov_b32 s58, s55
	s_cmp_lg_u64 s[58:59], 0
	s_cbranch_scc0 .LBB129_357
; %bb.317:                              ;   in Loop: Header=BB129_31 Depth=1
	v_cvt_f32_u32_e32 v2, s33
	s_sub_u32 s9, 0, s33
	s_subb_u32 s20, 0, 0
	v_fmac_f32_e64 v2, 0x4f800000, 0
	v_rcp_f32_e32 v2, v2
	v_mul_f32_e32 v2, 0x5f7ffffc, v2
	v_mul_f32_e32 v4, 0x2f800000, v2
	v_trunc_f32_e32 v4, v4
	v_fmac_f32_e32 v2, 0xcf800000, v4
	v_cvt_u32_f32_e32 v4, v4
	v_cvt_u32_f32_e32 v2, v2
	v_readfirstlane_b32 s1, v4
	v_readfirstlane_b32 s6, v2
	s_mul_i32 s21, s9, s1
	s_mul_hi_u32 s23, s9, s6
	s_mul_i32 s22, s20, s6
	s_add_i32 s21, s23, s21
	s_mul_i32 s25, s9, s6
	s_add_i32 s21, s21, s22
	s_mul_hi_u32 s23, s6, s25
	s_mul_i32 s44, s6, s21
	s_mul_hi_u32 s27, s1, s25
	s_mul_i32 s22, s1, s25
	s_mul_hi_u32 s25, s6, s21
	s_add_u32 s23, s23, s44
	s_addc_u32 s25, 0, s25
	s_mul_hi_u32 s45, s1, s21
	s_add_u32 s22, s23, s22
	s_mul_i32 s21, s1, s21
	s_addc_u32 s22, s25, s27
	s_addc_u32 s23, s45, 0
	s_add_u32 s21, s22, s21
	s_addc_u32 s22, 0, s23
	s_add_u32 s6, s6, s21
	s_cselect_b32 s21, -1, 0
	s_mul_hi_u32 s23, s9, s6
	s_cmp_lg_u32 s21, 0
	s_mul_i32 s21, s9, s6
	s_addc_u32 s1, s1, s22
	s_mul_i32 s20, s20, s6
	s_mul_i32 s9, s9, s1
	s_mul_hi_u32 s22, s6, s21
	s_add_i32 s9, s23, s9
	s_mul_hi_u32 s23, s1, s21
	s_add_i32 s9, s9, s20
	s_mul_i32 s20, s1, s21
	s_mul_i32 s27, s6, s9
	s_mul_hi_u32 s25, s6, s9
	s_add_u32 s22, s22, s27
	s_addc_u32 s25, 0, s25
	s_mul_hi_u32 s21, s1, s9
	s_add_u32 s20, s22, s20
	s_mul_i32 s9, s1, s9
	s_addc_u32 s20, s25, s23
	s_addc_u32 s21, s21, 0
	s_add_u32 s9, s20, s9
	s_addc_u32 s20, 0, s21
	s_add_u32 s6, s6, s9
	s_cselect_b32 s9, -1, 0
	s_mul_hi_u32 s21, s91, s6
	s_cmp_lg_u32 s9, 0
	s_mul_hi_u32 s9, s59, s6
	s_addc_u32 s1, s1, s20
	s_mul_i32 s6, s59, s6
	s_mul_i32 s22, s91, s1
	s_mul_hi_u32 s20, s91, s1
	s_add_u32 s21, s21, s22
	s_addc_u32 s20, 0, s20
	s_mul_hi_u32 s23, s59, s1
	s_add_u32 s6, s21, s6
	s_mul_i32 s1, s59, s1
	s_addc_u32 s6, s20, s9
	s_addc_u32 s9, s23, 0
	s_add_u32 s1, s6, s1
	s_addc_u32 s6, 0, s9
	s_mul_hi_u32 s9, s33, s1
	s_mul_i32 s6, s33, s6
	s_mul_i32 s1, s33, s1
	s_add_i32 s9, s9, s6
	s_sub_u32 s1, s91, s1
	s_cselect_b32 s6, -1, 0
	s_cmp_lg_u32 s6, 0
	s_subb_u32 s6, s59, s9
	s_sub_u32 s9, s1, s33
	s_cselect_b32 s20, -1, 0
	s_cmp_lg_u32 s20, 0
	s_subb_u32 s20, s6, 0
	;; [unrolled: 4-line block ×3, first 2 shown]
	s_cmp_ge_u32 s9, s33
	s_cselect_b32 s23, -1, 0
	s_cmp_eq_u32 s20, 0
	s_cselect_b32 s23, s23, -1
	s_cmp_lg_u32 s23, 0
	s_cselect_b32 s20, s22, s20
	s_cselect_b32 s9, s21, s9
	s_cmp_ge_u32 s1, s33
	s_cselect_b32 s21, -1, 0
	s_cmp_eq_u32 s6, 0
	s_cselect_b32 s21, s21, -1
	s_cmp_lg_u32 s21, 0
	s_cselect_b32 s21, s20, s6
	s_cselect_b32 s20, s9, s1
	s_cbranch_execnz .LBB129_319
.LBB129_318:                            ;   in Loop: Header=BB129_31 Depth=1
	v_cvt_f32_u32_e32 v2, s33
	s_sub_i32 s6, 0, s33
	v_rcp_iflag_f32_e32 v2, v2
	v_mul_f32_e32 v2, 0x4f7ffffe, v2
	v_cvt_u32_f32_e32 v2, v2
	v_readfirstlane_b32 s1, v2
	s_mul_i32 s6, s6, s1
	s_mul_hi_u32 s6, s1, s6
	s_add_i32 s1, s1, s6
	s_mul_hi_u32 s1, s91, s1
	s_mul_i32 s1, s1, s33
	s_sub_i32 s1, s91, s1
	s_sub_i32 s6, s1, s33
	s_cmp_ge_u32 s1, s33
	s_cselect_b32 s1, s6, s1
	s_sub_i32 s6, s1, s33
	s_cmp_ge_u32 s1, s33
	s_cselect_b32 s54, s6, s1
	s_mov_b64 s[20:21], s[54:55]
.LBB129_319:                            ;   in Loop: Header=BB129_31 Depth=1
	s_sub_u32 s20, s91, s20
	s_subb_u32 s21, s59, s21
	s_mov_b32 s9, exec_lo
                                        ; implicit-def: $vgpr42
	v_cmpx_gt_u64_e64 s[20:21], v[0:1]
	s_cbranch_execz .LBB129_328
; %bb.320:                              ;   in Loop: Header=BB129_31 Depth=1
	v_mov_b32_e32 v4, v26
	v_mov_b32_e32 v7, v1
	;; [unrolled: 1-line block ×4, first 2 shown]
	s_mov_b32 s22, 0
                                        ; implicit-def: $sgpr23
	s_inst_prefetch 0x1
	s_branch .LBB129_323
	.p2align	6
.LBB129_321:                            ;   in Loop: Header=BB129_323 Depth=2
	s_or_b32 exec_lo, exec_lo, s6
	s_waitcnt lgkmcnt(0)
	s_barrier
	buffer_gl0_inv
	ds_read_u16 v2, v3 offset:3072
	s_mov_b32 s1, -1
	s_waitcnt lgkmcnt(0)
	s_barrier
	buffer_gl0_inv
	v_cmp_ne_u32_sdwa s6, v2, v3 src0_sel:BYTE_0 src1_sel:DWORD
	s_and_b32 vcc_lo, exec_lo, s6
	s_mov_b32 s6, -1
	s_cbranch_vccz .LBB129_326
.LBB129_322:                            ;   in Loop: Header=BB129_323 Depth=2
	s_and_b32 s1, exec_lo, s1
	s_or_b32 s22, s1, s22
	s_andn2_b32 s1, s23, exec_lo
	s_and_b32 s6, s6, exec_lo
	s_or_b32 s23, s1, s6
	s_andn2_b32 exec_lo, exec_lo, s22
	s_cbranch_execz .LBB129_327
.LBB129_323:                            ;   Parent Loop BB129_31 Depth=1
                                        ; =>  This Inner Loop Header: Depth=2
	s_mov_b32 s6, exec_lo
	v_cmpx_gt_u64_e64 s[36:37], v[6:7]
	s_cbranch_execz .LBB129_321
; %bb.324:                              ;   in Loop: Header=BB129_323 Depth=2
	global_load_ubyte v2, v[4:5], off
	s_waitcnt vmcnt(0)
	v_and_b32_e32 v8, v2, v41
	v_cmp_eq_u32_sdwa s1, v8, v20 src0_sel:BYTE_0 src1_sel:DWORD
	s_and_b32 exec_lo, exec_lo, s1
	s_cbranch_execz .LBB129_321
; %bb.325:                              ;   in Loop: Header=BB129_323 Depth=2
	v_lshlrev_b16 v2, 8, v2
	v_or_b32_e32 v2, 1, v2
	ds_write_b16 v3, v2 offset:3072
	s_branch .LBB129_321
.LBB129_326:                            ;   in Loop: Header=BB129_323 Depth=2
	v_add_co_u32 v6, vcc_lo, v6, s33
	v_add_co_ci_u32_e64 v7, null, 0, v7, vcc_lo
	v_add_co_u32 v4, s6, v4, s81
	v_add_co_ci_u32_e64 v5, null, s80, v5, s6
	v_cmp_le_u64_e32 vcc_lo, s[20:21], v[6:7]
	s_mov_b32 s6, 0
	s_orn2_b32 s1, vcc_lo, exec_lo
	s_branch .LBB129_322
.LBB129_327:                            ;   in Loop: Header=BB129_31 Depth=1
	s_inst_prefetch 0x2
	s_or_b32 exec_lo, exec_lo, s22
	v_lshrrev_b32_sdwa v42, v40, v2 dst_sel:DWORD dst_unused:UNUSED_PAD src0_sel:DWORD src1_sel:WORD_0
	s_andn2_b32 s1, s24, exec_lo
	s_and_b32 s6, s23, exec_lo
	s_or_b32 s24, s1, s6
.LBB129_328:                            ;   in Loop: Header=BB129_31 Depth=1
	s_or_b32 exec_lo, exec_lo, s9
	s_mov_b32 s27, 0
	s_mov_b32 s9, -1
.LBB129_329:                            ;   in Loop: Header=BB129_31 Depth=1
	s_orn2_b32 s6, s24, exec_lo
.LBB129_330:                            ;   in Loop: Header=BB129_31 Depth=1
	s_or_b32 exec_lo, exec_lo, s2
                                        ; implicit-def: $vgpr4_vgpr5
                                        ; implicit-def: $vgpr2
	s_and_saveexec_b32 s24, s6
	s_cbranch_execz .LBB129_488
; %bb.331:                              ;   in Loop: Header=BB129_31 Depth=1
	v_mov_b32_e32 v4, 1
	v_mov_b32_e32 v5, 0
	v_mov_b32_e32 v2, 1
	s_xor_b32 s1, s68, -1
	s_mov_b32 s6, 0
	s_and_saveexec_b32 s2, s1
	s_cbranch_execz .LBB129_340
; %bb.332:                              ;   in Loop: Header=BB129_31 Depth=1
	s_mov_b32 s1, exec_lo
	v_cmpx_ge_u64_e64 s[18:19], v[28:29]
	s_xor_b32 s6, exec_lo, s1
	s_cbranch_execz .LBB129_337
; %bb.333:                              ;   in Loop: Header=BB129_31 Depth=1
	ds_read_b64 v[4:5], v3 offset:5120
	v_or_b32_e32 v20, s11, v20
	v_or_b32_e32 v41, s11, v41
	s_waitcnt lgkmcnt(0)
	v_cmp_ne_u64_e32 vcc_lo, 0, v[4:5]
	s_cbranch_vccnz .LBB129_337
; %bb.334:                              ;   in Loop: Header=BB129_31 Depth=1
	s_and_saveexec_b32 s1, s3
; %bb.335:                              ;   in Loop: Header=BB129_31 Depth=1
	v_mov_b32_e32 v4, s18
	v_mov_b32_e32 v5, s19
	ds_write_b64 v3, v[4:5] offset:5128
; %bb.336:                              ;   in Loop: Header=BB129_31 Depth=1
	s_or_b32 exec_lo, exec_lo, s1
	s_waitcnt lgkmcnt(0)
	s_barrier
	buffer_gl0_inv
.LBB129_337:                            ;   in Loop: Header=BB129_31 Depth=1
	s_or_saveexec_b32 s6, s6
	v_mov_b32_e32 v2, 5
	s_mov_b32 s20, 0
	s_xor_b32 exec_lo, exec_lo, s6
; %bb.338:                              ;   in Loop: Header=BB129_31 Depth=1
	v_sub_co_u32 v28, vcc_lo, v28, s18
	v_subrev_co_ci_u32_e64 v29, null, s19, v29, vcc_lo
	v_mov_b32_e32 v2, 0
	s_mov_b32 s20, exec_lo
; %bb.339:                              ;   in Loop: Header=BB129_31 Depth=1
	s_or_b32 exec_lo, exec_lo, s6
	v_mov_b32_e32 v4, v28
	v_mov_b32_e32 v5, v29
	s_and_b32 s6, s20, exec_lo
.LBB129_340:                            ;   in Loop: Header=BB129_31 Depth=1
	s_or_b32 exec_lo, exec_lo, s2
	s_mov_b32 s2, -1
                                        ; implicit-def: $sgpr68
                                        ; implicit-def: $sgpr69
	s_and_saveexec_b32 s1, s6
	s_xor_b32 s25, exec_lo, s1
	s_cbranch_execz .LBB129_485
; %bb.341:                              ;   in Loop: Header=BB129_31 Depth=1
	v_cmp_eq_u64_e32 vcc_lo, 1, v[4:5]
	s_cmp_eq_u64 s[16:17], 1
                                        ; implicit-def: $sgpr69
                                        ; implicit-def: $sgpr68
	s_cselect_b32 s1, -1, 0
	s_and_b32 s70, s1, vcc_lo
	s_and_saveexec_b32 s71, s70
	s_cbranch_execz .LBB129_375
; %bb.342:                              ;   in Loop: Header=BB129_31 Depth=1
	ds_read_b64 v[6:7], v3 offset:5120
	s_waitcnt lgkmcnt(0)
	s_barrier
	buffer_gl0_inv
	v_readfirstlane_b32 s18, v6
	v_readfirstlane_b32 s19, v7
	s_and_saveexec_b32 s1, s10
; %bb.343:                              ;   in Loop: Header=BB129_31 Depth=1
	ds_write_b8 v0, v3 offset:3072
; %bb.344:                              ;   in Loop: Header=BB129_31 Depth=1
	s_or_b32 exec_lo, exec_lo, s1
	s_lshl_b32 s1, 2, vcc_hi
	v_or_b32_e32 v41, s11, v41
	v_and_or_b32 v20, v20, s26, s1
	s_mov_b32 s68, -1
	s_mov_b32 s69, 0
	s_cmp_eq_u64 s[18:19], 0
	s_mov_b32 s2, 0
	s_mov_b32 s6, -1
	s_waitcnt lgkmcnt(0)
	s_barrier
	buffer_gl0_inv
                                        ; implicit-def: $vgpr42
	s_cbranch_scc1 .LBB129_360
; %bb.345:                              ;   in Loop: Header=BB129_31 Depth=1
	s_add_u32 s2, s18, s89
	s_addc_u32 s21, s19, s90
	s_mov_b32 s20, s55
	s_cmp_lg_u64 s[20:21], 0
	s_cbranch_scc0 .LBB129_401
; %bb.346:                              ;   in Loop: Header=BB129_31 Depth=1
	v_cvt_f32_u32_e32 v6, s33
	s_sub_u32 s20, 0, s33
	s_subb_u32 s22, 0, 0
	v_fmac_f32_e64 v6, 0x4f800000, 0
	v_rcp_f32_e32 v6, v6
	v_mul_f32_e32 v6, 0x5f7ffffc, v6
	v_mul_f32_e32 v7, 0x2f800000, v6
	v_trunc_f32_e32 v7, v7
	v_fmac_f32_e32 v6, 0xcf800000, v7
	v_cvt_u32_f32_e32 v7, v7
	v_cvt_u32_f32_e32 v6, v6
	v_readfirstlane_b32 s1, v7
	v_readfirstlane_b32 s6, v6
	s_mul_i32 s23, s20, s1
	s_mul_hi_u32 s45, s20, s6
	s_mul_i32 s44, s22, s6
	s_add_i32 s23, s45, s23
	s_mul_i32 s54, s20, s6
	s_add_i32 s23, s23, s44
	s_mul_hi_u32 s45, s6, s54
	s_mul_i32 s72, s6, s23
	s_mul_hi_u32 s58, s1, s54
	s_mul_i32 s44, s1, s54
	s_mul_hi_u32 s54, s6, s23
	s_add_u32 s45, s45, s72
	s_addc_u32 s54, 0, s54
	s_mul_hi_u32 s73, s1, s23
	s_add_u32 s44, s45, s44
	s_mul_i32 s23, s1, s23
	s_addc_u32 s44, s54, s58
	s_addc_u32 s45, s73, 0
	s_add_u32 s23, s44, s23
	s_addc_u32 s44, 0, s45
	s_add_u32 s6, s6, s23
	s_cselect_b32 s23, -1, 0
	s_mul_hi_u32 s45, s20, s6
	s_cmp_lg_u32 s23, 0
	s_mul_i32 s23, s20, s6
	s_addc_u32 s1, s1, s44
	s_mul_i32 s22, s22, s6
	s_mul_i32 s20, s20, s1
	s_mul_hi_u32 s44, s6, s23
	s_add_i32 s20, s45, s20
	s_mul_hi_u32 s45, s1, s23
	s_add_i32 s20, s20, s22
	s_mul_i32 s22, s1, s23
	s_mul_i32 s58, s6, s20
	s_mul_hi_u32 s54, s6, s20
	s_add_u32 s44, s44, s58
	s_addc_u32 s54, 0, s54
	s_mul_hi_u32 s23, s1, s20
	s_add_u32 s22, s44, s22
	s_mul_i32 s20, s1, s20
	s_addc_u32 s22, s54, s45
	s_addc_u32 s23, s23, 0
	s_add_u32 s20, s22, s20
	s_addc_u32 s22, 0, s23
	s_add_u32 s6, s6, s20
	s_cselect_b32 s20, -1, 0
	s_mul_hi_u32 s23, s2, s6
	s_cmp_lg_u32 s20, 0
	s_mul_hi_u32 s20, s21, s6
	s_addc_u32 s1, s1, s22
	s_mul_i32 s6, s21, s6
	s_mul_i32 s44, s2, s1
	s_mul_hi_u32 s22, s2, s1
	s_add_u32 s23, s23, s44
	s_addc_u32 s22, 0, s22
	s_mul_hi_u32 s45, s21, s1
	s_add_u32 s6, s23, s6
	s_mul_i32 s1, s21, s1
	s_addc_u32 s6, s22, s20
	s_addc_u32 s20, s45, 0
	s_add_u32 s1, s6, s1
	s_addc_u32 s6, 0, s20
	s_mul_hi_u32 s20, s33, s1
	s_mul_i32 s6, s33, s6
	s_mul_i32 s1, s33, s1
	s_add_i32 s20, s20, s6
	s_sub_u32 s1, s2, s1
	s_cselect_b32 s6, -1, 0
	s_cmp_lg_u32 s6, 0
	s_subb_u32 s6, s21, s20
	s_sub_u32 s20, s1, s33
	s_cselect_b32 s22, -1, 0
	s_cmp_lg_u32 s22, 0
	s_subb_u32 s22, s6, 0
	;; [unrolled: 4-line block ×3, first 2 shown]
	s_cmp_ge_u32 s20, s33
	s_cselect_b32 s45, -1, 0
	s_cmp_eq_u32 s22, 0
	s_cselect_b32 s45, s45, -1
	s_cmp_lg_u32 s45, 0
	s_cselect_b32 s22, s44, s22
	s_cselect_b32 s20, s23, s20
	s_cmp_ge_u32 s1, s33
	s_cselect_b32 s23, -1, 0
	s_cmp_eq_u32 s6, 0
	s_cselect_b32 s23, s23, -1
	s_cmp_lg_u32 s23, 0
	s_cselect_b32 s23, s22, s6
	s_cselect_b32 s22, s20, s1
	s_cbranch_execnz .LBB129_348
.LBB129_347:                            ;   in Loop: Header=BB129_31 Depth=1
	v_cvt_f32_u32_e32 v6, s33
	s_sub_i32 s6, 0, s33
	v_rcp_iflag_f32_e32 v6, v6
	v_mul_f32_e32 v6, 0x4f7ffffe, v6
	v_cvt_u32_f32_e32 v6, v6
	v_readfirstlane_b32 s1, v6
	s_mul_i32 s6, s6, s1
	s_mul_hi_u32 s6, s1, s6
	s_add_i32 s1, s1, s6
	s_mul_hi_u32 s1, s2, s1
	s_mul_i32 s1, s1, s33
	s_sub_i32 s1, s2, s1
	s_sub_i32 s6, s1, s33
	s_cmp_ge_u32 s1, s33
	s_cselect_b32 s1, s6, s1
	s_sub_i32 s6, s1, s33
	s_cmp_ge_u32 s1, s33
	s_cselect_b32 s54, s6, s1
	s_mov_b64 s[22:23], s[54:55]
.LBB129_348:                            ;   in Loop: Header=BB129_31 Depth=1
	s_sub_u32 s20, s2, s22
	s_subb_u32 s21, s21, s23
	s_mov_b32 s6, 0
	s_mov_b32 s2, 0
	s_mov_b32 s22, exec_lo
                                        ; implicit-def: $vgpr42
	v_cmpx_gt_u64_e64 s[20:21], v[0:1]
	s_cbranch_execz .LBB129_359
; %bb.349:                              ;   in Loop: Header=BB129_31 Depth=1
	v_mov_b32_e32 v7, v1
	v_mov_b32_e32 v8, v0
	;; [unrolled: 1-line block ×3, first 2 shown]
                                        ; implicit-def: $sgpr23
	s_inst_prefetch 0x1
	s_branch .LBB129_352
	.p2align	6
.LBB129_350:                            ;   in Loop: Header=BB129_352 Depth=2
	s_or_b32 exec_lo, exec_lo, s44
	s_waitcnt lgkmcnt(0)
	s_barrier
	buffer_gl0_inv
	ds_read_u16 v9, v3 offset:3072
	s_mov_b32 s1, -1
	s_waitcnt lgkmcnt(0)
	s_barrier
	buffer_gl0_inv
	v_cmp_ne_u32_sdwa s44, v9, v3 src0_sel:BYTE_0 src1_sel:DWORD
	s_and_b32 vcc_lo, exec_lo, s44
	s_mov_b32 s44, -1
	s_cbranch_vccz .LBB129_355
.LBB129_351:                            ;   in Loop: Header=BB129_352 Depth=2
	s_and_b32 s1, exec_lo, s1
	s_or_b32 s2, s1, s2
	s_andn2_b32 s1, s23, exec_lo
	s_and_b32 s23, s44, exec_lo
	s_or_b32 s23, s1, s23
	s_andn2_b32 exec_lo, exec_lo, s2
	s_cbranch_execz .LBB129_358
.LBB129_352:                            ;   Parent Loop BB129_31 Depth=1
                                        ; =>  This Inner Loop Header: Depth=2
	s_mov_b32 s44, exec_lo
	v_cmpx_gt_u64_e64 s[18:19], v[6:7]
	s_cbranch_execz .LBB129_350
; %bb.353:                              ;   in Loop: Header=BB129_352 Depth=2
	ds_read_u8 v9, v8
	s_waitcnt lgkmcnt(0)
	v_and_b32_e32 v10, v9, v41
	v_cmp_eq_u32_sdwa s1, v10, v20 src0_sel:BYTE_0 src1_sel:DWORD
	s_and_b32 exec_lo, exec_lo, s1
	s_cbranch_execz .LBB129_350
; %bb.354:                              ;   in Loop: Header=BB129_352 Depth=2
	v_lshlrev_b16 v9, 8, v9
	v_or_b32_e32 v9, 1, v9
	ds_write_b16 v3, v9 offset:3072
	s_branch .LBB129_350
.LBB129_355:                            ;   in Loop: Header=BB129_352 Depth=2
	v_add_co_u32 v6, vcc_lo, v6, s33
	v_add_co_ci_u32_e64 v7, null, 0, v7, vcc_lo
	v_add_nc_u32_e32 v8, s33, v8
	s_mov_b32 s44, 0
	v_cmp_le_u64_e32 vcc_lo, s[20:21], v[6:7]
	s_orn2_b32 s1, vcc_lo, exec_lo
	s_branch .LBB129_351
.LBB129_356:                            ;   in Loop: Header=BB129_31 Depth=1
                                        ; implicit-def: $sgpr24_sgpr25
	s_branch .LBB129_303
.LBB129_357:                            ;   in Loop: Header=BB129_31 Depth=1
                                        ; implicit-def: $sgpr20_sgpr21
	s_branch .LBB129_318
.LBB129_358:                            ;   in Loop: Header=BB129_31 Depth=1
	s_inst_prefetch 0x2
	s_or_b32 exec_lo, exec_lo, s2
	v_lshrrev_b32_sdwa v42, v40, v9 dst_sel:DWORD dst_unused:UNUSED_PAD src0_sel:DWORD src1_sel:WORD_0
	s_and_b32 s2, s23, exec_lo
.LBB129_359:                            ;   in Loop: Header=BB129_31 Depth=1
	s_or_b32 exec_lo, exec_lo, s22
.LBB129_360:                            ;   in Loop: Header=BB129_31 Depth=1
	s_and_b32 vcc_lo, exec_lo, s6
	s_cbranch_vccz .LBB129_374
; %bb.361:                              ;   in Loop: Header=BB129_31 Depth=1
	s_mov_b32 s58, s55
	s_cmp_lg_u64 s[58:59], 0
	s_cbranch_scc0 .LBB129_402
; %bb.362:                              ;   in Loop: Header=BB129_31 Depth=1
	v_cvt_f32_u32_e32 v6, s33
	s_sub_u32 s18, 0, s33
	s_subb_u32 s19, 0, 0
	v_fmac_f32_e64 v6, 0x4f800000, 0
	v_rcp_f32_e32 v6, v6
	v_mul_f32_e32 v6, 0x5f7ffffc, v6
	v_mul_f32_e32 v7, 0x2f800000, v6
	v_trunc_f32_e32 v7, v7
	v_fmac_f32_e32 v6, 0xcf800000, v7
	v_cvt_u32_f32_e32 v7, v7
	v_cvt_u32_f32_e32 v6, v6
	v_readfirstlane_b32 s1, v7
	v_readfirstlane_b32 s6, v6
	s_mul_i32 s20, s18, s1
	s_mul_hi_u32 s22, s18, s6
	s_mul_i32 s21, s19, s6
	s_add_i32 s20, s22, s20
	s_mul_i32 s23, s18, s6
	s_add_i32 s20, s20, s21
	s_mul_hi_u32 s22, s6, s23
	s_mul_i32 s45, s6, s20
	s_mul_hi_u32 s44, s1, s23
	s_mul_i32 s21, s1, s23
	s_mul_hi_u32 s23, s6, s20
	s_add_u32 s22, s22, s45
	s_addc_u32 s23, 0, s23
	s_mul_hi_u32 s54, s1, s20
	s_add_u32 s21, s22, s21
	s_mul_i32 s20, s1, s20
	s_addc_u32 s21, s23, s44
	s_addc_u32 s22, s54, 0
	s_add_u32 s20, s21, s20
	s_addc_u32 s21, 0, s22
	s_add_u32 s6, s6, s20
	s_cselect_b32 s20, -1, 0
	s_mul_hi_u32 s22, s18, s6
	s_cmp_lg_u32 s20, 0
	s_mul_i32 s20, s18, s6
	s_addc_u32 s1, s1, s21
	s_mul_i32 s19, s19, s6
	s_mul_i32 s18, s18, s1
	s_mul_hi_u32 s21, s6, s20
	s_add_i32 s18, s22, s18
	s_mul_hi_u32 s22, s1, s20
	s_add_i32 s18, s18, s19
	s_mul_i32 s19, s1, s20
	s_mul_i32 s44, s6, s18
	s_mul_hi_u32 s23, s6, s18
	s_add_u32 s21, s21, s44
	s_addc_u32 s23, 0, s23
	s_mul_hi_u32 s20, s1, s18
	s_add_u32 s19, s21, s19
	s_mul_i32 s18, s1, s18
	s_addc_u32 s19, s23, s22
	s_addc_u32 s20, s20, 0
	s_add_u32 s18, s19, s18
	s_addc_u32 s19, 0, s20
	s_add_u32 s6, s6, s18
	s_cselect_b32 s18, -1, 0
	s_mul_hi_u32 s20, s91, s6
	s_cmp_lg_u32 s18, 0
	s_mul_hi_u32 s18, s59, s6
	s_addc_u32 s1, s1, s19
	s_mul_i32 s6, s59, s6
	s_mul_i32 s21, s91, s1
	s_mul_hi_u32 s19, s91, s1
	s_add_u32 s20, s20, s21
	s_addc_u32 s19, 0, s19
	s_mul_hi_u32 s22, s59, s1
	s_add_u32 s6, s20, s6
	s_mul_i32 s1, s59, s1
	s_addc_u32 s6, s19, s18
	s_addc_u32 s18, s22, 0
	s_add_u32 s1, s6, s1
	s_addc_u32 s6, 0, s18
	s_mul_hi_u32 s18, s33, s1
	s_mul_i32 s6, s33, s6
	s_mul_i32 s1, s33, s1
	s_add_i32 s18, s18, s6
	s_sub_u32 s1, s91, s1
	s_cselect_b32 s6, -1, 0
	s_cmp_lg_u32 s6, 0
	s_subb_u32 s6, s59, s18
	s_sub_u32 s18, s1, s33
	s_cselect_b32 s19, -1, 0
	s_cmp_lg_u32 s19, 0
	s_subb_u32 s19, s6, 0
	s_sub_u32 s20, s18, s33
	s_cselect_b32 s21, -1, 0
	s_cmp_lg_u32 s21, 0
	s_subb_u32 s21, s19, 0
	s_cmp_ge_u32 s18, s33
	s_cselect_b32 s22, -1, 0
	s_cmp_eq_u32 s19, 0
	s_cselect_b32 s22, s22, -1
	s_cmp_lg_u32 s22, 0
	s_cselect_b32 s19, s21, s19
	s_cselect_b32 s18, s20, s18
	s_cmp_ge_u32 s1, s33
	s_cselect_b32 s20, -1, 0
	s_cmp_eq_u32 s6, 0
	s_cselect_b32 s20, s20, -1
	s_cmp_lg_u32 s20, 0
	s_cselect_b32 s19, s19, s6
	s_cselect_b32 s18, s18, s1
	s_cbranch_execnz .LBB129_364
.LBB129_363:                            ;   in Loop: Header=BB129_31 Depth=1
	v_cvt_f32_u32_e32 v6, s33
	s_sub_i32 s6, 0, s33
	v_rcp_iflag_f32_e32 v6, v6
	v_mul_f32_e32 v6, 0x4f7ffffe, v6
	v_cvt_u32_f32_e32 v6, v6
	v_readfirstlane_b32 s1, v6
	s_mul_i32 s6, s6, s1
	s_mul_hi_u32 s6, s1, s6
	s_add_i32 s1, s1, s6
	s_mul_hi_u32 s1, s91, s1
	s_mul_i32 s1, s1, s33
	s_sub_i32 s1, s91, s1
	s_sub_i32 s6, s1, s33
	s_cmp_ge_u32 s1, s33
	s_cselect_b32 s1, s6, s1
	s_sub_i32 s6, s1, s33
	s_cmp_ge_u32 s1, s33
	s_cselect_b32 s54, s6, s1
	s_mov_b64 s[18:19], s[54:55]
.LBB129_364:                            ;   in Loop: Header=BB129_31 Depth=1
	s_sub_u32 s18, s91, s18
	s_subb_u32 s19, s59, s19
	s_mov_b32 s20, exec_lo
                                        ; implicit-def: $vgpr42
	v_cmpx_gt_u64_e64 s[18:19], v[0:1]
	s_cbranch_execz .LBB129_373
; %bb.365:                              ;   in Loop: Header=BB129_31 Depth=1
	v_mov_b32_e32 v6, v26
	v_mov_b32_e32 v9, v1
	;; [unrolled: 1-line block ×4, first 2 shown]
	s_mov_b32 s21, 0
                                        ; implicit-def: $sgpr22
	s_inst_prefetch 0x1
	s_branch .LBB129_368
	.p2align	6
.LBB129_366:                            ;   in Loop: Header=BB129_368 Depth=2
	s_or_b32 exec_lo, exec_lo, s6
	s_waitcnt lgkmcnt(0)
	s_barrier
	buffer_gl0_inv
	ds_read_u16 v10, v3 offset:3072
	s_mov_b32 s1, -1
	s_waitcnt lgkmcnt(0)
	s_barrier
	buffer_gl0_inv
	v_cmp_eq_u32_sdwa s6, v10, v3 src0_sel:BYTE_0 src1_sel:DWORD
	s_and_b32 vcc_lo, exec_lo, s6
	s_mov_b32 s6, -1
	s_cbranch_vccnz .LBB129_371
.LBB129_367:                            ;   in Loop: Header=BB129_368 Depth=2
	s_and_b32 s1, exec_lo, s1
	s_or_b32 s21, s1, s21
	s_andn2_b32 s1, s22, exec_lo
	s_and_b32 s6, s6, exec_lo
	s_or_b32 s22, s1, s6
	s_andn2_b32 exec_lo, exec_lo, s21
	s_cbranch_execz .LBB129_372
.LBB129_368:                            ;   Parent Loop BB129_31 Depth=1
                                        ; =>  This Inner Loop Header: Depth=2
	s_mov_b32 s6, exec_lo
	v_cmpx_gt_u64_e64 s[36:37], v[8:9]
	s_cbranch_execz .LBB129_366
; %bb.369:                              ;   in Loop: Header=BB129_368 Depth=2
	global_load_ubyte v10, v[6:7], off
	s_waitcnt vmcnt(0)
	v_and_b32_e32 v11, v10, v41
	v_cmp_eq_u32_sdwa s1, v11, v20 src0_sel:BYTE_0 src1_sel:DWORD
	s_and_b32 exec_lo, exec_lo, s1
	s_cbranch_execz .LBB129_366
; %bb.370:                              ;   in Loop: Header=BB129_368 Depth=2
	v_lshlrev_b16 v10, 8, v10
	v_or_b32_e32 v10, 1, v10
	ds_write_b16 v3, v10 offset:3072
	s_branch .LBB129_366
.LBB129_371:                            ;   in Loop: Header=BB129_368 Depth=2
	v_add_co_u32 v8, vcc_lo, v8, s33
	v_add_co_ci_u32_e64 v9, null, 0, v9, vcc_lo
	v_add_co_u32 v6, s6, v6, s81
	v_add_co_ci_u32_e64 v7, null, s80, v7, s6
	v_cmp_le_u64_e32 vcc_lo, s[18:19], v[8:9]
	s_mov_b32 s6, 0
	s_orn2_b32 s1, vcc_lo, exec_lo
	s_branch .LBB129_367
.LBB129_372:                            ;   in Loop: Header=BB129_31 Depth=1
	s_inst_prefetch 0x2
	s_or_b32 exec_lo, exec_lo, s21
	v_lshrrev_b32_sdwa v42, v40, v10 dst_sel:DWORD dst_unused:UNUSED_PAD src0_sel:DWORD src1_sel:WORD_0
	s_andn2_b32 s1, s2, exec_lo
	s_and_b32 s2, s22, exec_lo
	s_or_b32 s2, s1, s2
.LBB129_373:                            ;   in Loop: Header=BB129_31 Depth=1
	s_or_b32 exec_lo, exec_lo, s20
	s_mov_b32 s68, 0
	s_mov_b32 s69, -1
.LBB129_374:                            ;   in Loop: Header=BB129_31 Depth=1
	s_orn2_b32 s2, s2, exec_lo
.LBB129_375:                            ;   in Loop: Header=BB129_31 Depth=1
	s_or_b32 exec_lo, exec_lo, s71
	s_mov_b32 s6, 0
	s_and_saveexec_b32 s22, s2
	s_cbranch_execz .LBB129_484
; %bb.376:                              ;   in Loop: Header=BB129_31 Depth=1
	v_mov_b32_e32 v6, 1
	v_mov_b32_e32 v7, 0
	;; [unrolled: 1-line block ×3, first 2 shown]
	s_xor_b32 s1, s70, -1
	s_and_saveexec_b32 s2, s1
	s_cbranch_execz .LBB129_385
; %bb.377:                              ;   in Loop: Header=BB129_31 Depth=1
	s_mov_b32 s1, exec_lo
	v_cmpx_ge_u64_e64 s[16:17], v[4:5]
	s_xor_b32 s6, exec_lo, s1
	s_cbranch_execz .LBB129_382
; %bb.378:                              ;   in Loop: Header=BB129_31 Depth=1
	ds_read_b64 v[6:7], v3 offset:5120
	s_lshl_b32 s1, 2, vcc_hi
	v_or_b32_e32 v41, s11, v41
	v_and_or_b32 v20, v20, s26, s1
	s_waitcnt lgkmcnt(0)
	v_cmp_ne_u64_e32 vcc_lo, 0, v[6:7]
	s_cbranch_vccnz .LBB129_382
; %bb.379:                              ;   in Loop: Header=BB129_31 Depth=1
	s_and_saveexec_b32 s1, s3
; %bb.380:                              ;   in Loop: Header=BB129_31 Depth=1
	v_mov_b32_e32 v6, s16
	v_mov_b32_e32 v7, s17
	ds_write_b64 v3, v[6:7] offset:5128
; %bb.381:                              ;   in Loop: Header=BB129_31 Depth=1
	s_or_b32 exec_lo, exec_lo, s1
	s_waitcnt lgkmcnt(0)
	s_barrier
	buffer_gl0_inv
.LBB129_382:                            ;   in Loop: Header=BB129_31 Depth=1
	s_or_saveexec_b32 s6, s6
	v_mov_b32_e32 v2, 5
	s_mov_b32 s18, 0
	s_xor_b32 exec_lo, exec_lo, s6
; %bb.383:                              ;   in Loop: Header=BB129_31 Depth=1
	v_sub_co_u32 v4, vcc_lo, v4, s16
	v_subrev_co_ci_u32_e64 v5, null, s17, v5, vcc_lo
	v_mov_b32_e32 v2, 0
	s_mov_b32 s18, exec_lo
; %bb.384:                              ;   in Loop: Header=BB129_31 Depth=1
	s_or_b32 exec_lo, exec_lo, s6
	v_mov_b32_e32 v7, v5
	v_mov_b32_e32 v6, v4
	s_and_b32 s6, s18, exec_lo
.LBB129_385:                            ;   in Loop: Header=BB129_31 Depth=1
	s_or_b32 exec_lo, exec_lo, s2
	s_mov_b32 s2, -1
                                        ; implicit-def: $sgpr70
                                        ; implicit-def: $sgpr71
	s_and_saveexec_b32 s23, s6
	s_cbranch_execz .LBB129_483
; %bb.386:                              ;   in Loop: Header=BB129_31 Depth=1
	v_cmp_eq_u64_e32 vcc_lo, 1, v[6:7]
	s_cmp_eq_u64 s[14:15], 1
                                        ; implicit-def: $sgpr71
                                        ; implicit-def: $sgpr70
	s_cselect_b32 s1, -1, 0
	s_and_b32 s72, s1, vcc_lo
	s_and_saveexec_b32 s73, s72
	s_cbranch_execz .LBB129_420
; %bb.387:                              ;   in Loop: Header=BB129_31 Depth=1
	ds_read_b64 v[4:5], v3 offset:5120
	s_waitcnt lgkmcnt(0)
	s_barrier
	buffer_gl0_inv
	v_readfirstlane_b32 s16, v4
	v_readfirstlane_b32 s17, v5
	s_and_saveexec_b32 s1, s10
; %bb.388:                              ;   in Loop: Header=BB129_31 Depth=1
	ds_write_b8 v0, v3 offset:3072
; %bb.389:                              ;   in Loop: Header=BB129_31 Depth=1
	s_or_b32 exec_lo, exec_lo, s1
	s_lshl_b32 s1, 1, vcc_hi
	v_or_b32_e32 v41, s11, v41
	v_and_or_b32 v20, v20, s26, s1
	s_mov_b32 s70, -1
	s_mov_b32 s71, 0
	s_cmp_eq_u64 s[16:17], 0
	s_mov_b32 s2, 0
	s_mov_b32 s6, -1
	s_waitcnt lgkmcnt(0)
	s_barrier
	buffer_gl0_inv
                                        ; implicit-def: $vgpr42
	s_cbranch_scc1 .LBB129_405
; %bb.390:                              ;   in Loop: Header=BB129_31 Depth=1
	s_add_u32 s2, s16, s89
	s_addc_u32 s19, s17, s90
	s_mov_b32 s18, s55
	s_cmp_lg_u64 s[18:19], 0
	s_cbranch_scc0 .LBB129_437
; %bb.391:                              ;   in Loop: Header=BB129_31 Depth=1
	v_cvt_f32_u32_e32 v4, s33
	s_sub_u32 s18, 0, s33
	s_subb_u32 s20, 0, 0
	v_fmac_f32_e64 v4, 0x4f800000, 0
	v_rcp_f32_e32 v4, v4
	v_mul_f32_e32 v4, 0x5f7ffffc, v4
	v_mul_f32_e32 v5, 0x2f800000, v4
	v_trunc_f32_e32 v5, v5
	v_fmac_f32_e32 v4, 0xcf800000, v5
	v_cvt_u32_f32_e32 v5, v5
	v_cvt_u32_f32_e32 v4, v4
	v_readfirstlane_b32 s1, v5
	v_readfirstlane_b32 s6, v4
	s_mul_i32 s21, s18, s1
	s_mul_hi_u32 s45, s18, s6
	s_mul_i32 s44, s20, s6
	s_add_i32 s21, s45, s21
	s_mul_i32 s54, s18, s6
	s_add_i32 s21, s21, s44
	s_mul_hi_u32 s45, s6, s54
	s_mul_i32 s74, s6, s21
	s_mul_hi_u32 s58, s1, s54
	s_mul_i32 s44, s1, s54
	s_mul_hi_u32 s54, s6, s21
	s_add_u32 s45, s45, s74
	s_addc_u32 s54, 0, s54
	s_mul_hi_u32 s75, s1, s21
	s_add_u32 s44, s45, s44
	s_mul_i32 s21, s1, s21
	s_addc_u32 s44, s54, s58
	s_addc_u32 s45, s75, 0
	s_add_u32 s21, s44, s21
	s_addc_u32 s44, 0, s45
	s_add_u32 s6, s6, s21
	s_cselect_b32 s21, -1, 0
	s_mul_hi_u32 s45, s18, s6
	s_cmp_lg_u32 s21, 0
	s_mul_i32 s21, s18, s6
	s_addc_u32 s1, s1, s44
	s_mul_i32 s20, s20, s6
	s_mul_i32 s18, s18, s1
	s_mul_hi_u32 s44, s6, s21
	s_add_i32 s18, s45, s18
	s_mul_hi_u32 s45, s1, s21
	s_add_i32 s18, s18, s20
	s_mul_i32 s20, s1, s21
	s_mul_i32 s58, s6, s18
	s_mul_hi_u32 s54, s6, s18
	s_add_u32 s44, s44, s58
	s_addc_u32 s54, 0, s54
	s_mul_hi_u32 s21, s1, s18
	s_add_u32 s20, s44, s20
	s_mul_i32 s18, s1, s18
	s_addc_u32 s20, s54, s45
	s_addc_u32 s21, s21, 0
	s_add_u32 s18, s20, s18
	s_addc_u32 s20, 0, s21
	s_add_u32 s6, s6, s18
	s_cselect_b32 s18, -1, 0
	s_mul_hi_u32 s21, s2, s6
	s_cmp_lg_u32 s18, 0
	s_mul_hi_u32 s18, s19, s6
	s_addc_u32 s1, s1, s20
	s_mul_i32 s6, s19, s6
	s_mul_i32 s44, s2, s1
	s_mul_hi_u32 s20, s2, s1
	s_add_u32 s21, s21, s44
	s_addc_u32 s20, 0, s20
	s_mul_hi_u32 s45, s19, s1
	s_add_u32 s6, s21, s6
	s_mul_i32 s1, s19, s1
	s_addc_u32 s6, s20, s18
	s_addc_u32 s18, s45, 0
	s_add_u32 s1, s6, s1
	s_addc_u32 s6, 0, s18
	s_mul_hi_u32 s18, s33, s1
	s_mul_i32 s6, s33, s6
	s_mul_i32 s1, s33, s1
	s_add_i32 s18, s18, s6
	s_sub_u32 s1, s2, s1
	s_cselect_b32 s6, -1, 0
	s_cmp_lg_u32 s6, 0
	s_subb_u32 s6, s19, s18
	s_sub_u32 s18, s1, s33
	s_cselect_b32 s20, -1, 0
	s_cmp_lg_u32 s20, 0
	s_subb_u32 s20, s6, 0
	;; [unrolled: 4-line block ×3, first 2 shown]
	s_cmp_ge_u32 s18, s33
	s_cselect_b32 s45, -1, 0
	s_cmp_eq_u32 s20, 0
	s_cselect_b32 s45, s45, -1
	s_cmp_lg_u32 s45, 0
	s_cselect_b32 s20, s44, s20
	s_cselect_b32 s18, s21, s18
	s_cmp_ge_u32 s1, s33
	s_cselect_b32 s21, -1, 0
	s_cmp_eq_u32 s6, 0
	s_cselect_b32 s21, s21, -1
	s_cmp_lg_u32 s21, 0
	s_cselect_b32 s21, s20, s6
	s_cselect_b32 s20, s18, s1
	s_cbranch_execnz .LBB129_393
.LBB129_392:                            ;   in Loop: Header=BB129_31 Depth=1
	v_cvt_f32_u32_e32 v4, s33
	s_sub_i32 s6, 0, s33
	v_rcp_iflag_f32_e32 v4, v4
	v_mul_f32_e32 v4, 0x4f7ffffe, v4
	v_cvt_u32_f32_e32 v4, v4
	v_readfirstlane_b32 s1, v4
	s_mul_i32 s6, s6, s1
	s_mul_hi_u32 s6, s1, s6
	s_add_i32 s1, s1, s6
	s_mul_hi_u32 s1, s2, s1
	s_mul_i32 s1, s1, s33
	s_sub_i32 s1, s2, s1
	s_sub_i32 s6, s1, s33
	s_cmp_ge_u32 s1, s33
	s_cselect_b32 s1, s6, s1
	s_sub_i32 s6, s1, s33
	s_cmp_ge_u32 s1, s33
	s_cselect_b32 s54, s6, s1
	s_mov_b64 s[20:21], s[54:55]
.LBB129_393:                            ;   in Loop: Header=BB129_31 Depth=1
	s_sub_u32 s18, s2, s20
	s_subb_u32 s19, s19, s21
	s_mov_b32 s6, 0
	s_mov_b32 s2, 0
	s_mov_b32 s20, exec_lo
                                        ; implicit-def: $vgpr42
	v_cmpx_gt_u64_e64 s[18:19], v[0:1]
	s_cbranch_execz .LBB129_404
; %bb.394:                              ;   in Loop: Header=BB129_31 Depth=1
	v_mov_b32_e32 v5, v1
	v_mov_b32_e32 v8, v0
	;; [unrolled: 1-line block ×3, first 2 shown]
                                        ; implicit-def: $sgpr21
	s_inst_prefetch 0x1
	s_branch .LBB129_397
	.p2align	6
.LBB129_395:                            ;   in Loop: Header=BB129_397 Depth=2
	s_or_b32 exec_lo, exec_lo, s44
	s_waitcnt lgkmcnt(0)
	s_barrier
	buffer_gl0_inv
	ds_read_u16 v9, v3 offset:3072
	s_mov_b32 s1, -1
	s_waitcnt lgkmcnt(0)
	s_barrier
	buffer_gl0_inv
	v_cmp_ne_u32_sdwa s44, v9, v3 src0_sel:BYTE_0 src1_sel:DWORD
	s_and_b32 vcc_lo, exec_lo, s44
	s_mov_b32 s44, -1
	s_cbranch_vccz .LBB129_400
.LBB129_396:                            ;   in Loop: Header=BB129_397 Depth=2
	s_and_b32 s1, exec_lo, s1
	s_or_b32 s2, s1, s2
	s_andn2_b32 s1, s21, exec_lo
	s_and_b32 s21, s44, exec_lo
	s_or_b32 s21, s1, s21
	s_andn2_b32 exec_lo, exec_lo, s2
	s_cbranch_execz .LBB129_403
.LBB129_397:                            ;   Parent Loop BB129_31 Depth=1
                                        ; =>  This Inner Loop Header: Depth=2
	s_mov_b32 s44, exec_lo
	v_cmpx_gt_u64_e64 s[16:17], v[4:5]
	s_cbranch_execz .LBB129_395
; %bb.398:                              ;   in Loop: Header=BB129_397 Depth=2
	ds_read_u8 v9, v8
	s_waitcnt lgkmcnt(0)
	v_and_b32_e32 v10, v9, v41
	v_cmp_eq_u32_sdwa s1, v10, v20 src0_sel:BYTE_0 src1_sel:DWORD
	s_and_b32 exec_lo, exec_lo, s1
	s_cbranch_execz .LBB129_395
; %bb.399:                              ;   in Loop: Header=BB129_397 Depth=2
	v_lshlrev_b16 v9, 8, v9
	v_or_b32_e32 v9, 1, v9
	ds_write_b16 v3, v9 offset:3072
	s_branch .LBB129_395
.LBB129_400:                            ;   in Loop: Header=BB129_397 Depth=2
	v_add_co_u32 v4, vcc_lo, v4, s33
	v_add_co_ci_u32_e64 v5, null, 0, v5, vcc_lo
	v_add_nc_u32_e32 v8, s33, v8
	s_mov_b32 s44, 0
	v_cmp_le_u64_e32 vcc_lo, s[18:19], v[4:5]
	s_orn2_b32 s1, vcc_lo, exec_lo
	s_branch .LBB129_396
.LBB129_401:                            ;   in Loop: Header=BB129_31 Depth=1
                                        ; implicit-def: $sgpr22_sgpr23
	s_branch .LBB129_347
.LBB129_402:                            ;   in Loop: Header=BB129_31 Depth=1
                                        ; implicit-def: $sgpr18_sgpr19
	s_branch .LBB129_363
.LBB129_403:                            ;   in Loop: Header=BB129_31 Depth=1
	s_inst_prefetch 0x2
	s_or_b32 exec_lo, exec_lo, s2
	v_lshrrev_b32_sdwa v42, v40, v9 dst_sel:DWORD dst_unused:UNUSED_PAD src0_sel:DWORD src1_sel:WORD_0
	s_and_b32 s2, s21, exec_lo
.LBB129_404:                            ;   in Loop: Header=BB129_31 Depth=1
	s_or_b32 exec_lo, exec_lo, s20
.LBB129_405:                            ;   in Loop: Header=BB129_31 Depth=1
	s_and_b32 vcc_lo, exec_lo, s6
	s_cbranch_vccz .LBB129_419
; %bb.406:                              ;   in Loop: Header=BB129_31 Depth=1
	s_mov_b32 s58, s55
	s_cmp_lg_u64 s[58:59], 0
	s_cbranch_scc0 .LBB129_438
; %bb.407:                              ;   in Loop: Header=BB129_31 Depth=1
	v_cvt_f32_u32_e32 v4, s33
	s_sub_u32 s16, 0, s33
	s_subb_u32 s17, 0, 0
	v_fmac_f32_e64 v4, 0x4f800000, 0
	v_rcp_f32_e32 v4, v4
	v_mul_f32_e32 v4, 0x5f7ffffc, v4
	v_mul_f32_e32 v5, 0x2f800000, v4
	v_trunc_f32_e32 v5, v5
	v_fmac_f32_e32 v4, 0xcf800000, v5
	v_cvt_u32_f32_e32 v5, v5
	v_cvt_u32_f32_e32 v4, v4
	v_readfirstlane_b32 s1, v5
	v_readfirstlane_b32 s6, v4
	s_mul_i32 s18, s16, s1
	s_mul_hi_u32 s20, s16, s6
	s_mul_i32 s19, s17, s6
	s_add_i32 s18, s20, s18
	s_mul_i32 s21, s16, s6
	s_add_i32 s18, s18, s19
	s_mul_hi_u32 s20, s6, s21
	s_mul_i32 s45, s6, s18
	s_mul_hi_u32 s44, s1, s21
	s_mul_i32 s19, s1, s21
	s_mul_hi_u32 s21, s6, s18
	s_add_u32 s20, s20, s45
	s_addc_u32 s21, 0, s21
	s_mul_hi_u32 s54, s1, s18
	s_add_u32 s19, s20, s19
	s_mul_i32 s18, s1, s18
	s_addc_u32 s19, s21, s44
	s_addc_u32 s20, s54, 0
	s_add_u32 s18, s19, s18
	s_addc_u32 s19, 0, s20
	s_add_u32 s6, s6, s18
	s_cselect_b32 s18, -1, 0
	s_mul_hi_u32 s20, s16, s6
	s_cmp_lg_u32 s18, 0
	s_mul_i32 s18, s16, s6
	s_addc_u32 s1, s1, s19
	s_mul_i32 s17, s17, s6
	s_mul_i32 s16, s16, s1
	s_mul_hi_u32 s19, s6, s18
	s_add_i32 s16, s20, s16
	s_mul_hi_u32 s20, s1, s18
	s_add_i32 s16, s16, s17
	s_mul_i32 s17, s1, s18
	s_mul_i32 s44, s6, s16
	s_mul_hi_u32 s21, s6, s16
	s_add_u32 s19, s19, s44
	s_addc_u32 s21, 0, s21
	s_mul_hi_u32 s18, s1, s16
	s_add_u32 s17, s19, s17
	s_mul_i32 s16, s1, s16
	s_addc_u32 s17, s21, s20
	s_addc_u32 s18, s18, 0
	s_add_u32 s16, s17, s16
	s_addc_u32 s17, 0, s18
	s_add_u32 s6, s6, s16
	s_cselect_b32 s16, -1, 0
	s_mul_hi_u32 s18, s91, s6
	s_cmp_lg_u32 s16, 0
	s_mul_hi_u32 s16, s59, s6
	s_addc_u32 s1, s1, s17
	s_mul_i32 s6, s59, s6
	s_mul_i32 s19, s91, s1
	s_mul_hi_u32 s17, s91, s1
	s_add_u32 s18, s18, s19
	s_addc_u32 s17, 0, s17
	s_mul_hi_u32 s20, s59, s1
	s_add_u32 s6, s18, s6
	s_mul_i32 s1, s59, s1
	s_addc_u32 s6, s17, s16
	s_addc_u32 s16, s20, 0
	s_add_u32 s1, s6, s1
	s_addc_u32 s6, 0, s16
	s_mul_hi_u32 s16, s33, s1
	s_mul_i32 s6, s33, s6
	s_mul_i32 s1, s33, s1
	s_add_i32 s16, s16, s6
	s_sub_u32 s1, s91, s1
	s_cselect_b32 s6, -1, 0
	s_cmp_lg_u32 s6, 0
	s_subb_u32 s6, s59, s16
	s_sub_u32 s16, s1, s33
	s_cselect_b32 s17, -1, 0
	s_cmp_lg_u32 s17, 0
	s_subb_u32 s17, s6, 0
	;; [unrolled: 4-line block ×3, first 2 shown]
	s_cmp_ge_u32 s16, s33
	s_cselect_b32 s20, -1, 0
	s_cmp_eq_u32 s17, 0
	s_cselect_b32 s20, s20, -1
	s_cmp_lg_u32 s20, 0
	s_cselect_b32 s17, s19, s17
	s_cselect_b32 s16, s18, s16
	s_cmp_ge_u32 s1, s33
	s_cselect_b32 s18, -1, 0
	s_cmp_eq_u32 s6, 0
	s_cselect_b32 s18, s18, -1
	s_cmp_lg_u32 s18, 0
	s_cselect_b32 s17, s17, s6
	s_cselect_b32 s16, s16, s1
	s_cbranch_execnz .LBB129_409
.LBB129_408:                            ;   in Loop: Header=BB129_31 Depth=1
	v_cvt_f32_u32_e32 v4, s33
	s_sub_i32 s6, 0, s33
	v_rcp_iflag_f32_e32 v4, v4
	v_mul_f32_e32 v4, 0x4f7ffffe, v4
	v_cvt_u32_f32_e32 v4, v4
	v_readfirstlane_b32 s1, v4
	s_mul_i32 s6, s6, s1
	s_mul_hi_u32 s6, s1, s6
	s_add_i32 s1, s1, s6
	s_mul_hi_u32 s1, s91, s1
	s_mul_i32 s1, s1, s33
	s_sub_i32 s1, s91, s1
	s_sub_i32 s6, s1, s33
	s_cmp_ge_u32 s1, s33
	s_cselect_b32 s1, s6, s1
	s_sub_i32 s6, s1, s33
	s_cmp_ge_u32 s1, s33
	s_cselect_b32 s54, s6, s1
	s_mov_b64 s[16:17], s[54:55]
.LBB129_409:                            ;   in Loop: Header=BB129_31 Depth=1
	s_sub_u32 s16, s91, s16
	s_subb_u32 s17, s59, s17
	s_mov_b32 s18, exec_lo
                                        ; implicit-def: $vgpr42
	v_cmpx_gt_u64_e64 s[16:17], v[0:1]
	s_cbranch_execz .LBB129_418
; %bb.410:                              ;   in Loop: Header=BB129_31 Depth=1
	v_mov_b32_e32 v4, v26
	v_mov_b32_e32 v9, v1
	;; [unrolled: 1-line block ×4, first 2 shown]
	s_mov_b32 s19, 0
                                        ; implicit-def: $sgpr20
	s_inst_prefetch 0x1
	s_branch .LBB129_413
	.p2align	6
.LBB129_411:                            ;   in Loop: Header=BB129_413 Depth=2
	s_or_b32 exec_lo, exec_lo, s6
	s_waitcnt lgkmcnt(0)
	s_barrier
	buffer_gl0_inv
	ds_read_u16 v10, v3 offset:3072
	s_mov_b32 s1, -1
	s_waitcnt lgkmcnt(0)
	s_barrier
	buffer_gl0_inv
	v_cmp_eq_u32_sdwa s6, v10, v3 src0_sel:BYTE_0 src1_sel:DWORD
	s_and_b32 vcc_lo, exec_lo, s6
	s_mov_b32 s6, -1
	s_cbranch_vccnz .LBB129_416
.LBB129_412:                            ;   in Loop: Header=BB129_413 Depth=2
	s_and_b32 s1, exec_lo, s1
	s_or_b32 s19, s1, s19
	s_andn2_b32 s1, s20, exec_lo
	s_and_b32 s6, s6, exec_lo
	s_or_b32 s20, s1, s6
	s_andn2_b32 exec_lo, exec_lo, s19
	s_cbranch_execz .LBB129_417
.LBB129_413:                            ;   Parent Loop BB129_31 Depth=1
                                        ; =>  This Inner Loop Header: Depth=2
	s_mov_b32 s6, exec_lo
	v_cmpx_gt_u64_e64 s[36:37], v[8:9]
	s_cbranch_execz .LBB129_411
; %bb.414:                              ;   in Loop: Header=BB129_413 Depth=2
	global_load_ubyte v10, v[4:5], off
	s_waitcnt vmcnt(0)
	v_and_b32_e32 v11, v10, v41
	v_cmp_eq_u32_sdwa s1, v11, v20 src0_sel:BYTE_0 src1_sel:DWORD
	s_and_b32 exec_lo, exec_lo, s1
	s_cbranch_execz .LBB129_411
; %bb.415:                              ;   in Loop: Header=BB129_413 Depth=2
	v_lshlrev_b16 v10, 8, v10
	v_or_b32_e32 v10, 1, v10
	ds_write_b16 v3, v10 offset:3072
	s_branch .LBB129_411
.LBB129_416:                            ;   in Loop: Header=BB129_413 Depth=2
	v_add_co_u32 v8, vcc_lo, v8, s33
	v_add_co_ci_u32_e64 v9, null, 0, v9, vcc_lo
	v_add_co_u32 v4, s6, v4, s81
	v_add_co_ci_u32_e64 v5, null, s80, v5, s6
	v_cmp_le_u64_e32 vcc_lo, s[16:17], v[8:9]
	s_mov_b32 s6, 0
	s_orn2_b32 s1, vcc_lo, exec_lo
	s_branch .LBB129_412
.LBB129_417:                            ;   in Loop: Header=BB129_31 Depth=1
	s_inst_prefetch 0x2
	s_or_b32 exec_lo, exec_lo, s19
	v_lshrrev_b32_sdwa v42, v40, v10 dst_sel:DWORD dst_unused:UNUSED_PAD src0_sel:DWORD src1_sel:WORD_0
	s_andn2_b32 s1, s2, exec_lo
	s_and_b32 s2, s20, exec_lo
	s_or_b32 s2, s1, s2
.LBB129_418:                            ;   in Loop: Header=BB129_31 Depth=1
	s_or_b32 exec_lo, exec_lo, s18
	s_mov_b32 s70, 0
	s_mov_b32 s71, -1
.LBB129_419:                            ;   in Loop: Header=BB129_31 Depth=1
	s_orn2_b32 s2, s2, exec_lo
.LBB129_420:                            ;   in Loop: Header=BB129_31 Depth=1
	s_or_b32 exec_lo, exec_lo, s73
	s_mov_b32 s6, 0
	s_and_saveexec_b32 s20, s2
	s_cbranch_execz .LBB129_482
; %bb.421:                              ;   in Loop: Header=BB129_31 Depth=1
	v_mov_b32_e32 v4, 1
	v_mov_b32_e32 v5, 0
	;; [unrolled: 1-line block ×3, first 2 shown]
	s_xor_b32 s1, s72, -1
	s_mov_b32 s16, 0
	s_and_saveexec_b32 s2, s1
	s_cbranch_execz .LBB129_430
; %bb.422:                              ;   in Loop: Header=BB129_31 Depth=1
	s_mov_b32 s1, exec_lo
	v_cmpx_ge_u64_e64 s[14:15], v[6:7]
	s_xor_b32 s6, exec_lo, s1
	s_cbranch_execz .LBB129_427
; %bb.423:                              ;   in Loop: Header=BB129_31 Depth=1
	ds_read_b64 v[4:5], v3 offset:5120
	s_lshl_b32 s1, 1, vcc_hi
	v_or_b32_e32 v41, s11, v41
	v_and_or_b32 v20, v20, s26, s1
	s_waitcnt lgkmcnt(0)
	v_cmp_ne_u64_e32 vcc_lo, 0, v[4:5]
	s_cbranch_vccnz .LBB129_427
; %bb.424:                              ;   in Loop: Header=BB129_31 Depth=1
	s_and_saveexec_b32 s1, s3
; %bb.425:                              ;   in Loop: Header=BB129_31 Depth=1
	v_mov_b32_e32 v4, s14
	v_mov_b32_e32 v5, s15
	ds_write_b64 v3, v[4:5] offset:5128
; %bb.426:                              ;   in Loop: Header=BB129_31 Depth=1
	s_or_b32 exec_lo, exec_lo, s1
	s_waitcnt lgkmcnt(0)
	s_barrier
	buffer_gl0_inv
.LBB129_427:                            ;   in Loop: Header=BB129_31 Depth=1
	s_or_saveexec_b32 s6, s6
	v_mov_b32_e32 v2, 5
	s_xor_b32 exec_lo, exec_lo, s6
; %bb.428:                              ;   in Loop: Header=BB129_31 Depth=1
	v_sub_co_u32 v6, vcc_lo, v6, s14
	v_subrev_co_ci_u32_e64 v7, null, s15, v7, vcc_lo
	v_mov_b32_e32 v2, 0
	s_mov_b32 s16, exec_lo
; %bb.429:                              ;   in Loop: Header=BB129_31 Depth=1
	s_or_b32 exec_lo, exec_lo, s6
	v_mov_b32_e32 v4, v6
	v_mov_b32_e32 v5, v7
	s_and_b32 s16, s16, exec_lo
.LBB129_430:                            ;   in Loop: Header=BB129_31 Depth=1
	s_or_b32 exec_lo, exec_lo, s2
	s_mov_b32 s2, -1
                                        ; implicit-def: $sgpr58
                                        ; implicit-def: $sgpr6
	s_and_saveexec_b32 s21, s16
	s_cbranch_execz .LBB129_481
; %bb.431:                              ;   in Loop: Header=BB129_31 Depth=1
	v_cmp_eq_u64_e32 vcc_lo, 1, v[4:5]
	s_cmp_eq_u64 s[12:13], 1
	s_mov_b32 s14, -1
	s_cselect_b32 s1, -1, 0
                                        ; implicit-def: $sgpr58
                                        ; implicit-def: $sgpr6
	s_and_b32 s72, s1, vcc_lo
	s_and_saveexec_b32 s2, s72
	s_cbranch_execz .LBB129_469
; %bb.432:                              ;   in Loop: Header=BB129_31 Depth=1
	ds_read_b64 v[6:7], v3 offset:5120
	s_waitcnt lgkmcnt(0)
	s_barrier
	buffer_gl0_inv
	v_readfirstlane_b32 s14, v6
	v_readfirstlane_b32 s15, v7
	s_and_saveexec_b32 s1, s10
; %bb.433:                              ;   in Loop: Header=BB129_31 Depth=1
	ds_write_b8 v0, v3 offset:3072
; %bb.434:                              ;   in Loop: Header=BB129_31 Depth=1
	s_or_b32 exec_lo, exec_lo, s1
	v_and_b32_e32 v20, s26, v20
	v_or_b32_e32 v41, s11, v41
	s_mov_b32 s6, -1
	s_mov_b32 s58, 0
	s_cmp_eq_u64 s[14:15], 0
	s_mov_b32 s18, 0
	s_mov_b32 s19, -1
	s_waitcnt lgkmcnt(0)
	s_barrier
	buffer_gl0_inv
                                        ; implicit-def: $vgpr42
	s_cbranch_scc1 .LBB129_452
; %bb.435:                              ;   in Loop: Header=BB129_31 Depth=1
	s_add_u32 s73, s14, s89
	s_addc_u32 s17, s15, s90
	s_mov_b32 s16, s55
	s_cmp_lg_u64 s[16:17], 0
	s_cbranch_scc0 .LBB129_439
; %bb.436:                              ;   in Loop: Header=BB129_31 Depth=1
	v_cvt_f32_u32_e32 v6, s33
	s_sub_u32 s18, 0, s33
	s_subb_u32 s19, 0, 0
	v_fmac_f32_e64 v6, 0x4f800000, 0
	v_rcp_f32_e32 v6, v6
	v_mul_f32_e32 v6, 0x5f7ffffc, v6
	v_mul_f32_e32 v7, 0x2f800000, v6
	v_trunc_f32_e32 v7, v7
	v_fmac_f32_e32 v6, 0xcf800000, v7
	v_cvt_u32_f32_e32 v7, v7
	v_cvt_u32_f32_e32 v6, v6
	v_readfirstlane_b32 s1, v7
	v_readfirstlane_b32 s16, v6
	s_mul_i32 s44, s18, s1
	s_mul_hi_u32 s54, s18, s16
	s_mul_i32 s45, s19, s16
	s_add_i32 s44, s54, s44
	s_mul_i32 s74, s18, s16
	s_add_i32 s44, s44, s45
	s_mul_hi_u32 s54, s16, s74
	s_mul_i32 s76, s16, s44
	s_mul_hi_u32 s75, s1, s74
	s_mul_i32 s45, s1, s74
	s_mul_hi_u32 s74, s16, s44
	s_add_u32 s54, s54, s76
	s_addc_u32 s74, 0, s74
	s_mul_hi_u32 s77, s1, s44
	s_add_u32 s45, s54, s45
	s_mul_i32 s44, s1, s44
	s_addc_u32 s45, s74, s75
	s_addc_u32 s54, s77, 0
	s_add_u32 s44, s45, s44
	s_addc_u32 s45, 0, s54
	s_add_u32 s16, s16, s44
	s_cselect_b32 s44, -1, 0
	s_mul_hi_u32 s54, s18, s16
	s_cmp_lg_u32 s44, 0
	s_mul_i32 s44, s18, s16
	s_addc_u32 s1, s1, s45
	s_mul_i32 s19, s19, s16
	s_mul_i32 s18, s18, s1
	s_mul_hi_u32 s45, s16, s44
	s_add_i32 s18, s54, s18
	s_mul_hi_u32 s54, s1, s44
	s_add_i32 s18, s18, s19
	s_mul_i32 s19, s1, s44
	s_mul_i32 s75, s16, s18
	s_mul_hi_u32 s74, s16, s18
	s_add_u32 s45, s45, s75
	s_addc_u32 s74, 0, s74
	s_mul_hi_u32 s44, s1, s18
	s_add_u32 s19, s45, s19
	s_mul_i32 s18, s1, s18
	s_addc_u32 s19, s74, s54
	s_addc_u32 s44, s44, 0
	s_add_u32 s18, s19, s18
	s_addc_u32 s19, 0, s44
	s_add_u32 s16, s16, s18
	s_cselect_b32 s18, -1, 0
	s_mul_hi_u32 s44, s73, s16
	s_cmp_lg_u32 s18, 0
	s_mul_hi_u32 s18, s17, s16
	s_addc_u32 s1, s1, s19
	s_mul_i32 s16, s17, s16
	s_mul_i32 s45, s73, s1
	s_mul_hi_u32 s19, s73, s1
	s_add_u32 s44, s44, s45
	s_addc_u32 s19, 0, s19
	s_mul_hi_u32 s54, s17, s1
	s_add_u32 s16, s44, s16
	s_mul_i32 s1, s17, s1
	s_addc_u32 s16, s19, s18
	s_addc_u32 s18, s54, 0
	s_add_u32 s1, s16, s1
	s_addc_u32 s16, 0, s18
	s_mul_hi_u32 s18, s33, s1
	s_mul_i32 s16, s33, s16
	s_mul_i32 s1, s33, s1
	s_add_i32 s18, s18, s16
	s_sub_u32 s1, s73, s1
	s_cselect_b32 s16, -1, 0
	s_cmp_lg_u32 s16, 0
	s_subb_u32 s16, s17, s18
	s_sub_u32 s18, s1, s33
	s_cselect_b32 s19, -1, 0
	s_cmp_lg_u32 s19, 0
	s_subb_u32 s19, s16, 0
	;; [unrolled: 4-line block ×3, first 2 shown]
	s_cmp_ge_u32 s18, s33
	s_cselect_b32 s54, -1, 0
	s_cmp_eq_u32 s19, 0
	s_cselect_b32 s54, s54, -1
	s_cmp_lg_u32 s54, 0
	s_cselect_b32 s19, s45, s19
	s_cselect_b32 s18, s44, s18
	s_cmp_ge_u32 s1, s33
	s_cselect_b32 s44, -1, 0
	s_cmp_eq_u32 s16, 0
	s_cselect_b32 s44, s44, -1
	s_cmp_lg_u32 s44, 0
	s_cselect_b32 s19, s19, s16
	s_cselect_b32 s18, s18, s1
	s_mov_b32 s1, 0
	s_branch .LBB129_440
.LBB129_437:                            ;   in Loop: Header=BB129_31 Depth=1
                                        ; implicit-def: $sgpr20_sgpr21
	s_branch .LBB129_392
.LBB129_438:                            ;   in Loop: Header=BB129_31 Depth=1
                                        ; implicit-def: $sgpr16_sgpr17
	s_branch .LBB129_408
.LBB129_439:                            ;   in Loop: Header=BB129_31 Depth=1
	s_mov_b32 s1, -1
                                        ; implicit-def: $sgpr18_sgpr19
.LBB129_440:                            ;   in Loop: Header=BB129_31 Depth=1
	s_andn2_b32 vcc_lo, exec_lo, s1
	s_cbranch_vccnz .LBB129_442
; %bb.441:                              ;   in Loop: Header=BB129_31 Depth=1
	v_cvt_f32_u32_e32 v6, s33
	s_sub_i32 s16, 0, s33
	v_rcp_iflag_f32_e32 v6, v6
	v_mul_f32_e32 v6, 0x4f7ffffe, v6
	v_cvt_u32_f32_e32 v6, v6
	v_readfirstlane_b32 s1, v6
	s_mul_i32 s16, s16, s1
	s_mul_hi_u32 s16, s1, s16
	s_add_i32 s1, s1, s16
	s_mul_hi_u32 s1, s73, s1
	s_mul_i32 s1, s1, s33
	s_sub_i32 s1, s73, s1
	s_sub_i32 s16, s1, s33
	s_cmp_ge_u32 s1, s33
	s_cselect_b32 s1, s16, s1
	s_sub_i32 s16, s1, s33
	s_cmp_ge_u32 s1, s33
	s_cselect_b32 s54, s16, s1
	s_mov_b64 s[18:19], s[54:55]
.LBB129_442:                            ;   in Loop: Header=BB129_31 Depth=1
	s_sub_u32 s16, s73, s18
	s_subb_u32 s17, s17, s19
	s_mov_b32 s19, 0
	s_mov_b32 s18, 0
	s_mov_b32 s44, exec_lo
                                        ; implicit-def: $vgpr42
	v_cmpx_gt_u64_e64 s[16:17], v[0:1]
	s_cbranch_execz .LBB129_451
; %bb.443:                              ;   in Loop: Header=BB129_31 Depth=1
	v_mov_b32_e32 v7, v1
	v_mov_b32_e32 v8, v0
	v_mov_b32_e32 v6, v0
                                        ; implicit-def: $sgpr45
	s_inst_prefetch 0x1
	s_branch .LBB129_446
	.p2align	6
.LBB129_444:                            ;   in Loop: Header=BB129_446 Depth=2
	s_or_b32 exec_lo, exec_lo, s54
	s_waitcnt lgkmcnt(0)
	s_barrier
	buffer_gl0_inv
	ds_read_u16 v9, v3 offset:3072
	s_mov_b32 s1, -1
	s_waitcnt lgkmcnt(0)
	s_barrier
	buffer_gl0_inv
	v_cmp_ne_u32_sdwa s54, v9, v3 src0_sel:BYTE_0 src1_sel:DWORD
	s_and_b32 vcc_lo, exec_lo, s54
	s_mov_b32 s54, -1
	s_cbranch_vccz .LBB129_449
.LBB129_445:                            ;   in Loop: Header=BB129_446 Depth=2
	s_and_b32 s1, exec_lo, s1
	s_or_b32 s18, s1, s18
	s_andn2_b32 s1, s45, exec_lo
	s_and_b32 s45, s54, exec_lo
	s_or_b32 s45, s1, s45
	s_andn2_b32 exec_lo, exec_lo, s18
	s_cbranch_execz .LBB129_450
.LBB129_446:                            ;   Parent Loop BB129_31 Depth=1
                                        ; =>  This Inner Loop Header: Depth=2
	s_mov_b32 s54, exec_lo
	v_cmpx_gt_u64_e64 s[14:15], v[6:7]
	s_cbranch_execz .LBB129_444
; %bb.447:                              ;   in Loop: Header=BB129_446 Depth=2
	ds_read_u8 v9, v8
	s_waitcnt lgkmcnt(0)
	v_and_b32_e32 v10, v9, v41
	v_cmp_eq_u32_sdwa s1, v10, v20 src0_sel:BYTE_0 src1_sel:DWORD
	s_and_b32 exec_lo, exec_lo, s1
	s_cbranch_execz .LBB129_444
; %bb.448:                              ;   in Loop: Header=BB129_446 Depth=2
	v_lshlrev_b16 v9, 8, v9
	v_or_b32_e32 v9, 1, v9
	ds_write_b16 v3, v9 offset:3072
	s_branch .LBB129_444
.LBB129_449:                            ;   in Loop: Header=BB129_446 Depth=2
	v_add_co_u32 v6, vcc_lo, v6, s33
	v_add_co_ci_u32_e64 v7, null, 0, v7, vcc_lo
	v_add_nc_u32_e32 v8, s33, v8
	s_mov_b32 s54, 0
	v_cmp_le_u64_e32 vcc_lo, s[16:17], v[6:7]
	s_orn2_b32 s1, vcc_lo, exec_lo
	s_branch .LBB129_445
.LBB129_450:                            ;   in Loop: Header=BB129_31 Depth=1
	s_inst_prefetch 0x2
	s_or_b32 exec_lo, exec_lo, s18
	v_lshrrev_b32_sdwa v42, v40, v9 dst_sel:DWORD dst_unused:UNUSED_PAD src0_sel:DWORD src1_sel:WORD_0
	s_and_b32 s18, s45, exec_lo
.LBB129_451:                            ;   in Loop: Header=BB129_31 Depth=1
	s_or_b32 exec_lo, exec_lo, s44
.LBB129_452:                            ;   in Loop: Header=BB129_31 Depth=1
	s_and_b32 vcc_lo, exec_lo, s19
	s_cbranch_vccz .LBB129_468
; %bb.453:                              ;   in Loop: Header=BB129_31 Depth=1
	s_mov_b32 s58, s55
	s_cmp_lg_u64 s[58:59], 0
	s_cbranch_scc0 .LBB129_455
; %bb.454:                              ;   in Loop: Header=BB129_31 Depth=1
	v_cvt_f32_u32_e32 v6, s33
	s_sub_u32 s14, 0, s33
	s_subb_u32 s15, 0, 0
	v_fmac_f32_e64 v6, 0x4f800000, 0
	v_rcp_f32_e32 v6, v6
	v_mul_f32_e32 v6, 0x5f7ffffc, v6
	v_mul_f32_e32 v7, 0x2f800000, v6
	v_trunc_f32_e32 v7, v7
	v_fmac_f32_e32 v6, 0xcf800000, v7
	v_cvt_u32_f32_e32 v7, v7
	v_cvt_u32_f32_e32 v6, v6
	v_readfirstlane_b32 s1, v7
	v_readfirstlane_b32 s6, v6
	s_mul_i32 s16, s14, s1
	s_mul_hi_u32 s19, s14, s6
	s_mul_i32 s17, s15, s6
	s_add_i32 s16, s19, s16
	s_mul_i32 s44, s14, s6
	s_add_i32 s16, s16, s17
	s_mul_hi_u32 s19, s6, s44
	s_mul_i32 s54, s6, s16
	s_mul_hi_u32 s45, s1, s44
	s_mul_i32 s17, s1, s44
	s_mul_hi_u32 s44, s6, s16
	s_add_u32 s19, s19, s54
	s_addc_u32 s44, 0, s44
	s_mul_hi_u32 s58, s1, s16
	s_add_u32 s17, s19, s17
	s_mul_i32 s16, s1, s16
	s_addc_u32 s17, s44, s45
	s_addc_u32 s19, s58, 0
	s_add_u32 s16, s17, s16
	s_addc_u32 s17, 0, s19
	s_add_u32 s6, s6, s16
	s_cselect_b32 s16, -1, 0
	s_mul_hi_u32 s19, s14, s6
	s_cmp_lg_u32 s16, 0
	s_mul_i32 s16, s14, s6
	s_addc_u32 s1, s1, s17
	s_mul_i32 s15, s15, s6
	s_mul_i32 s14, s14, s1
	s_mul_hi_u32 s17, s6, s16
	s_add_i32 s14, s19, s14
	s_mul_hi_u32 s19, s1, s16
	s_add_i32 s14, s14, s15
	s_mul_i32 s15, s1, s16
	s_mul_i32 s45, s6, s14
	s_mul_hi_u32 s44, s6, s14
	s_add_u32 s17, s17, s45
	s_addc_u32 s44, 0, s44
	s_mul_hi_u32 s16, s1, s14
	s_add_u32 s15, s17, s15
	s_mul_i32 s14, s1, s14
	s_addc_u32 s15, s44, s19
	s_addc_u32 s16, s16, 0
	s_add_u32 s14, s15, s14
	s_addc_u32 s15, 0, s16
	s_add_u32 s6, s6, s14
	s_cselect_b32 s14, -1, 0
	s_mul_hi_u32 s16, s91, s6
	s_cmp_lg_u32 s14, 0
	s_mul_hi_u32 s14, s59, s6
	s_addc_u32 s1, s1, s15
	s_mul_i32 s6, s59, s6
	s_mul_i32 s17, s91, s1
	s_mul_hi_u32 s15, s91, s1
	s_add_u32 s16, s16, s17
	s_addc_u32 s15, 0, s15
	s_mul_hi_u32 s19, s59, s1
	s_add_u32 s6, s16, s6
	s_mul_i32 s1, s59, s1
	s_addc_u32 s6, s15, s14
	s_addc_u32 s14, s19, 0
	s_add_u32 s1, s6, s1
	s_addc_u32 s6, 0, s14
	s_mul_hi_u32 s14, s33, s1
	s_mul_i32 s6, s33, s6
	s_mul_i32 s1, s33, s1
	s_add_i32 s14, s14, s6
	s_sub_u32 s1, s91, s1
	s_cselect_b32 s6, -1, 0
	s_cmp_lg_u32 s6, 0
	s_subb_u32 s6, s59, s14
	s_sub_u32 s14, s1, s33
	s_cselect_b32 s15, -1, 0
	s_cmp_lg_u32 s15, 0
	s_subb_u32 s15, s6, 0
	;; [unrolled: 4-line block ×3, first 2 shown]
	s_cmp_ge_u32 s14, s33
	s_cselect_b32 s19, -1, 0
	s_cmp_eq_u32 s15, 0
	s_cselect_b32 s19, s19, -1
	s_cmp_lg_u32 s19, 0
	s_cselect_b32 s15, s17, s15
	s_cselect_b32 s14, s16, s14
	s_cmp_ge_u32 s1, s33
	s_cselect_b32 s16, -1, 0
	s_cmp_eq_u32 s6, 0
	s_cselect_b32 s16, s16, -1
	s_cmp_lg_u32 s16, 0
	s_cselect_b32 s15, s15, s6
	s_cselect_b32 s14, s14, s1
	s_mov_b32 s1, 0
	s_branch .LBB129_456
.LBB129_455:                            ;   in Loop: Header=BB129_31 Depth=1
	s_mov_b32 s1, -1
                                        ; implicit-def: $sgpr14_sgpr15
.LBB129_456:                            ;   in Loop: Header=BB129_31 Depth=1
	s_andn2_b32 vcc_lo, exec_lo, s1
	s_cbranch_vccnz .LBB129_458
; %bb.457:                              ;   in Loop: Header=BB129_31 Depth=1
	v_cvt_f32_u32_e32 v6, s33
	s_sub_i32 s6, 0, s33
	v_rcp_iflag_f32_e32 v6, v6
	v_mul_f32_e32 v6, 0x4f7ffffe, v6
	v_cvt_u32_f32_e32 v6, v6
	v_readfirstlane_b32 s1, v6
	s_mul_i32 s6, s6, s1
	s_mul_hi_u32 s6, s1, s6
	s_add_i32 s1, s1, s6
	s_mul_hi_u32 s1, s91, s1
	s_mul_i32 s1, s1, s33
	s_sub_i32 s1, s91, s1
	s_sub_i32 s6, s1, s33
	s_cmp_ge_u32 s1, s33
	s_cselect_b32 s1, s6, s1
	s_sub_i32 s6, s1, s33
	s_cmp_ge_u32 s1, s33
	s_cselect_b32 s54, s6, s1
	s_mov_b64 s[14:15], s[54:55]
.LBB129_458:                            ;   in Loop: Header=BB129_31 Depth=1
	s_sub_u32 s14, s91, s14
	s_subb_u32 s15, s59, s15
	s_mov_b32 s16, exec_lo
                                        ; implicit-def: $vgpr42
	v_cmpx_gt_u64_e64 s[14:15], v[0:1]
	s_cbranch_execz .LBB129_467
; %bb.459:                              ;   in Loop: Header=BB129_31 Depth=1
	v_mov_b32_e32 v6, v26
	v_mov_b32_e32 v9, v1
	;; [unrolled: 1-line block ×4, first 2 shown]
	s_mov_b32 s17, 0
                                        ; implicit-def: $sgpr19
	s_inst_prefetch 0x1
	s_branch .LBB129_462
	.p2align	6
.LBB129_460:                            ;   in Loop: Header=BB129_462 Depth=2
	s_or_b32 exec_lo, exec_lo, s6
	s_waitcnt lgkmcnt(0)
	s_barrier
	buffer_gl0_inv
	ds_read_u16 v10, v3 offset:3072
	s_mov_b32 s1, -1
	s_waitcnt lgkmcnt(0)
	s_barrier
	buffer_gl0_inv
	v_cmp_eq_u32_sdwa s6, v10, v3 src0_sel:BYTE_0 src1_sel:DWORD
	s_and_b32 vcc_lo, exec_lo, s6
	s_mov_b32 s6, -1
	s_cbranch_vccnz .LBB129_465
.LBB129_461:                            ;   in Loop: Header=BB129_462 Depth=2
	s_and_b32 s1, exec_lo, s1
	s_or_b32 s17, s1, s17
	s_andn2_b32 s1, s19, exec_lo
	s_and_b32 s6, s6, exec_lo
	s_or_b32 s19, s1, s6
	s_andn2_b32 exec_lo, exec_lo, s17
	s_cbranch_execz .LBB129_466
.LBB129_462:                            ;   Parent Loop BB129_31 Depth=1
                                        ; =>  This Inner Loop Header: Depth=2
	s_mov_b32 s6, exec_lo
	v_cmpx_gt_u64_e64 s[36:37], v[8:9]
	s_cbranch_execz .LBB129_460
; %bb.463:                              ;   in Loop: Header=BB129_462 Depth=2
	global_load_ubyte v10, v[6:7], off
	s_waitcnt vmcnt(0)
	v_and_b32_e32 v11, v10, v41
	v_cmp_eq_u32_sdwa s1, v11, v20 src0_sel:BYTE_0 src1_sel:DWORD
	s_and_b32 exec_lo, exec_lo, s1
	s_cbranch_execz .LBB129_460
; %bb.464:                              ;   in Loop: Header=BB129_462 Depth=2
	v_lshlrev_b16 v10, 8, v10
	v_or_b32_e32 v10, 1, v10
	ds_write_b16 v3, v10 offset:3072
	s_branch .LBB129_460
.LBB129_465:                            ;   in Loop: Header=BB129_462 Depth=2
	v_add_co_u32 v8, vcc_lo, v8, s33
	v_add_co_ci_u32_e64 v9, null, 0, v9, vcc_lo
	v_add_co_u32 v6, s6, v6, s81
	v_add_co_ci_u32_e64 v7, null, s80, v7, s6
	v_cmp_le_u64_e32 vcc_lo, s[14:15], v[8:9]
	s_mov_b32 s6, 0
	s_orn2_b32 s1, vcc_lo, exec_lo
	s_branch .LBB129_461
.LBB129_466:                            ;   in Loop: Header=BB129_31 Depth=1
	s_inst_prefetch 0x2
	s_or_b32 exec_lo, exec_lo, s17
	v_lshrrev_b32_sdwa v42, v40, v10 dst_sel:DWORD dst_unused:UNUSED_PAD src0_sel:DWORD src1_sel:WORD_0
	s_andn2_b32 s1, s18, exec_lo
	s_and_b32 s6, s19, exec_lo
	s_or_b32 s18, s1, s6
.LBB129_467:                            ;   in Loop: Header=BB129_31 Depth=1
	s_or_b32 exec_lo, exec_lo, s16
	s_mov_b32 s6, 0
	s_mov_b32 s58, -1
.LBB129_468:                            ;   in Loop: Header=BB129_31 Depth=1
	s_orn2_b32 s14, s18, exec_lo
.LBB129_469:                            ;   in Loop: Header=BB129_31 Depth=1
	s_or_b32 exec_lo, exec_lo, s2
	s_mov_b32 s15, 0
	s_and_saveexec_b32 s2, s14
	s_cbranch_execz .LBB129_480
; %bb.470:                              ;   in Loop: Header=BB129_31 Depth=1
	v_mov_b32_e32 v6, 1
	v_mov_b32_e32 v7, 0
	;; [unrolled: 1-line block ×3, first 2 shown]
	s_xor_b32 s1, s72, -1
	s_and_saveexec_b32 s14, s1
	s_cbranch_execz .LBB129_479
; %bb.471:                              ;   in Loop: Header=BB129_31 Depth=1
	s_mov_b32 s1, exec_lo
	v_cmpx_ge_u64_e64 s[12:13], v[4:5]
	s_xor_b32 s15, exec_lo, s1
	s_cbranch_execz .LBB129_476
; %bb.472:                              ;   in Loop: Header=BB129_31 Depth=1
	ds_read_b64 v[6:7], v3 offset:5120
	v_and_b32_e32 v20, s26, v20
	v_or_b32_e32 v41, s11, v41
	s_waitcnt lgkmcnt(0)
	v_cmp_ne_u64_e32 vcc_lo, 0, v[6:7]
	s_cbranch_vccnz .LBB129_476
; %bb.473:                              ;   in Loop: Header=BB129_31 Depth=1
	s_and_saveexec_b32 s1, s3
; %bb.474:                              ;   in Loop: Header=BB129_31 Depth=1
	v_mov_b32_e32 v6, s12
	v_mov_b32_e32 v7, s13
	ds_write_b64 v3, v[6:7] offset:5128
; %bb.475:                              ;   in Loop: Header=BB129_31 Depth=1
	s_or_b32 exec_lo, exec_lo, s1
	s_waitcnt lgkmcnt(0)
	s_barrier
	buffer_gl0_inv
.LBB129_476:                            ;   in Loop: Header=BB129_31 Depth=1
	s_andn2_saveexec_b32 s11, s15
; %bb.477:                              ;   in Loop: Header=BB129_31 Depth=1
	v_sub_co_u32 v4, vcc_lo, v4, s12
	v_subrev_co_ci_u32_e64 v5, null, s13, v5, vcc_lo
; %bb.478:                              ;   in Loop: Header=BB129_31 Depth=1
	s_or_b32 exec_lo, exec_lo, s11
	v_mov_b32_e32 v7, v5
	v_mov_b32_e32 v2, 5
	;; [unrolled: 1-line block ×3, first 2 shown]
.LBB129_479:                            ;   in Loop: Header=BB129_31 Depth=1
	s_or_b32 exec_lo, exec_lo, s14
	v_mov_b32_e32 v4, v6
	v_mov_b32_e32 v5, v7
	s_mov_b32 s15, exec_lo
.LBB129_480:                            ;   in Loop: Header=BB129_31 Depth=1
	s_or_b32 exec_lo, exec_lo, s2
	s_orn2_b32 s2, s15, exec_lo
.LBB129_481:                            ;   in Loop: Header=BB129_31 Depth=1
	s_or_b32 exec_lo, exec_lo, s21
	v_mov_b32_e32 v7, v5
	v_mov_b32_e32 v6, v4
	s_andn2_b32 s1, s71, exec_lo
	s_and_b32 s11, s58, exec_lo
	s_andn2_b32 s12, s70, exec_lo
	s_and_b32 s6, s6, exec_lo
	s_or_b32 s71, s1, s11
	s_or_b32 s70, s12, s6
	s_and_b32 s6, s2, exec_lo
.LBB129_482:                            ;   in Loop: Header=BB129_31 Depth=1
	s_or_b32 exec_lo, exec_lo, s20
	s_orn2_b32 s2, s6, exec_lo
.LBB129_483:                            ;   in Loop: Header=BB129_31 Depth=1
	s_or_b32 exec_lo, exec_lo, s23
	v_mov_b32_e32 v4, v6
	v_mov_b32_e32 v5, v7
	s_andn2_b32 s1, s69, exec_lo
	s_and_b32 s6, s71, exec_lo
	s_andn2_b32 s11, s68, exec_lo
	s_and_b32 s12, s70, exec_lo
	s_or_b32 s69, s1, s6
	s_or_b32 s68, s11, s12
	s_and_b32 s6, s2, exec_lo
.LBB129_484:                            ;   in Loop: Header=BB129_31 Depth=1
	s_or_b32 exec_lo, exec_lo, s22
	s_orn2_b32 s2, s6, exec_lo
.LBB129_485:                            ;   in Loop: Header=BB129_31 Depth=1
	s_or_b32 exec_lo, exec_lo, s25
	s_mov_b32 s6, s67
	s_mov_b32 s11, s66
	s_and_saveexec_b32 s12, s2
; %bb.486:                              ;   in Loop: Header=BB129_31 Depth=1
	v_cmp_ne_u32_e32 vcc_lo, 5, v2
	v_cmp_eq_u32_e64 s6, 5, v2
	s_andn2_b32 s1, s66, exec_lo
	s_andn2_b32 s2, s67, exec_lo
	s_and_b32 s11, vcc_lo, exec_lo
	s_and_b32 s6, s6, exec_lo
	s_or_b32 s11, s1, s11
	s_or_b32 s6, s2, s6
; %bb.487:                              ;   in Loop: Header=BB129_31 Depth=1
	s_or_b32 exec_lo, exec_lo, s12
	s_andn2_b32 s1, s9, exec_lo
	s_and_b32 s2, s69, exec_lo
	s_andn2_b32 s12, s27, exec_lo
	s_and_b32 s13, s68, exec_lo
	s_or_b32 s9, s1, s2
	s_andn2_b32 s1, s66, exec_lo
	s_and_b32 s2, s11, exec_lo
	s_andn2_b32 s11, s67, exec_lo
	s_and_b32 s6, s6, exec_lo
	s_or_b32 s27, s12, s13
	s_or_b32 s66, s1, s2
	;; [unrolled: 1-line block ×3, first 2 shown]
.LBB129_488:                            ;   in Loop: Header=BB129_31 Depth=1
	s_or_b32 exec_lo, exec_lo, s24
	s_mov_b32 s68, 0
	s_mov_b32 s69, 0
	s_and_saveexec_b32 s1, s67
.LBB129_489:                            ;   in Loop: Header=BB129_31 Depth=1
	v_mov_b32_e32 v2, 0
	s_or_b32 s66, s66, exec_lo
.LBB129_490:                            ;   in Loop: Header=BB129_31 Depth=1
	s_or_b32 exec_lo, exec_lo, s1
	s_andn2_b32 s1, s82, exec_lo
	s_and_b32 s2, s9, exec_lo
	s_andn2_b32 s9, s53, exec_lo
	s_and_b32 s11, s27, exec_lo
	v_mov_b32_e32 v29, v5
	v_mov_b32_e32 v28, v4
	s_or_b32 s82, s1, s2
	s_or_b32 s53, s9, s11
	s_andn2_b32 s1, s7, exec_lo
	s_and_b32 s2, s69, exec_lo
	s_andn2_b32 s9, s83, exec_lo
	s_and_b32 s11, s68, exec_lo
	s_mov_b32 s6, -1
	s_andn2_b32 s8, s8, exec_lo
	s_or_b32 s7, s1, s2
	s_or_b32 s83, s9, s11
	s_and_saveexec_b32 s1, s66
	s_xor_b32 s2, exec_lo, s1
	s_cbranch_execz .LBB129_30
; %bb.491:                              ;   in Loop: Header=BB129_31 Depth=1
	s_mov_b32 s9, -1
	s_mov_b32 s1, exec_lo
	v_cmpx_eq_u32_e32 0, v2
	s_cbranch_execz .LBB129_29
; %bb.492:                              ;   in Loop: Header=BB129_31 Depth=1
	s_xor_b32 s50, s50, 1
	s_add_i32 s11, vcc_hi, -2
	s_cmp_eq_u32 vcc_hi, 0
	s_mov_b32 vcc_hi, s11
	s_cselect_b32 s6, -1, 0
	s_xor_b32 s9, exec_lo, -1
	s_orn2_b32 s6, s6, exec_lo
	s_branch .LBB129_29
.LBB129_493:
	s_or_b32 exec_lo, exec_lo, s48
	s_xor_b32 s7, s52, -1
	s_xor_b32 s9, s42, -1
	;; [unrolled: 1-line block ×5, first 2 shown]
	s_mov_b32 s2, 0
	s_and_saveexec_b32 s10, s8
	s_xor_b32 s14, exec_lo, s10
	s_cbranch_execnz .LBB129_498
; %bb.494:
	s_andn2_saveexec_b32 s0, s14
	s_cbranch_execnz .LBB129_517
.LBB129_495:
	s_or_b32 exec_lo, exec_lo, s0
	s_and_saveexec_b32 s0, s2
.LBB129_496:
	; divergent unreachable
.LBB129_497:
	s_endpgm
.LBB129_498:
	s_and_saveexec_b32 s8, s1
	s_xor_b32 s15, exec_lo, s8
	s_cbranch_execz .LBB129_515
; %bb.499:
	s_mov_b32 s8, 0
	s_and_saveexec_b32 s1, s9
	s_xor_b32 s2, exec_lo, s1
	s_cbranch_execz .LBB129_513
; %bb.500:
	s_and_saveexec_b32 s1, s7
	s_xor_b32 s16, exec_lo, s1
	s_cbranch_execz .LBB129_511
; %bb.501:
	s_and_saveexec_b32 s1, s6
	s_xor_b32 s1, exec_lo, s1
; %bb.502:
	v_mov_b32_e32 v42, v20
; %bb.503:
	s_or_b32 exec_lo, exec_lo, s1
	s_and_saveexec_b32 s1, s3
	s_load_dwordx2 s[42:43], s[4:5], 0x0
	v_readlane_b32 s44, v59, 6
; %bb.504:
	v_mov_b32_e32 v2, 0
	v_mov_b32_e32 v3, v2
	ds_write_b64 v2, v[2:3] offset:5136
; %bb.505:
	s_or_b32 exec_lo, exec_lo, s1
	v_mov_b32_e32 v16, 0
	s_waitcnt lgkmcnt(0)
	s_barrier
	buffer_gl0_inv
	s_and_saveexec_b32 s1, s98
	s_cbranch_execz .LBB129_507
; %bb.506:
	global_load_ubyte v16, v[12:13], off
.LBB129_507:
	s_or_b32 exec_lo, exec_lo, s1
	s_load_dwordx2 s[18:19], s[4:5], 0x440
	v_readlane_b32 s10, v59, 0
	v_readlane_b32 s11, v59, 1
	s_add_u32 s1, s36, 31
	s_addc_u32 s7, s37, 0
	s_mov_b32 s20, -1
	s_mul_i32 s3, s10, s35
	s_mul_hi_u32 s6, s10, s34
	s_mul_i32 s8, s11, s34
	s_add_i32 s3, s6, s3
	s_and_b32 s6, s1, 0xffffffe0
	s_add_i32 s3, s3, s8
	s_mul_i32 s12, s10, s34
	v_cmp_gt_u64_e32 vcc_lo, s[6:7], v[0:1]
	s_waitcnt lgkmcnt(0)
	s_mul_i32 s1, s18, s47
	s_mul_hi_u32 s8, s18, s46
	s_mul_i32 s13, s19, s46
	s_add_i32 s1, s8, s1
	s_clause 0x1
	s_load_dwordx2 s[8:9], s[4:5], 0x368
	s_load_dwordx2 s[10:11], s[4:5], 0x510
	s_mul_i32 s4, s18, s46
	v_readlane_b32 s18, v59, 2
	v_readlane_b32 s19, v59, 3
	s_add_i32 s5, s1, s13
	s_add_u32 s1, s18, s12
	s_addc_u32 s3, s19, s3
	v_readlane_b32 s18, v59, 4
	v_readlane_b32 s19, v59, 5
	s_add_u32 s12, s1, s28
	s_addc_u32 s13, s3, s29
	s_lshl_b64 s[4:5], s[4:5], 3
	s_add_u32 s1, s18, s4
	s_addc_u32 s3, s19, s5
	s_lshl_b64 s[18:19], s[40:41], 3
	s_add_u32 s5, s1, s18
	s_addc_u32 s17, s3, s19
	s_mov_b32 s18, 0
	s_mov_b32 s3, 0
	s_and_saveexec_b32 s19, vcc_lo
	s_cbranch_execnz .LBB129_518
; %bb.508:
	s_or_b32 exec_lo, exec_lo, s19
	s_and_saveexec_b32 s4, s20
	s_cbranch_execnz .LBB129_533
.LBB129_509:
	s_or_b32 exec_lo, exec_lo, s4
	s_and_saveexec_b32 s0, s3
	s_xor_b32 s0, exec_lo, s0
	s_cbranch_execnz .LBB129_556
.LBB129_510:
	s_or_b32 exec_lo, exec_lo, s0
	s_waitcnt lgkmcnt(0)
	s_and_b32 s8, s18, exec_lo
.LBB129_511:
	s_andn2_saveexec_b32 s0, s16
	s_cbranch_execnz .LBB129_558
.LBB129_512:
	s_or_b32 exec_lo, exec_lo, s0
	s_and_b32 s8, s8, exec_lo
.LBB129_513:
	s_andn2_saveexec_b32 s0, s2
	s_cbranch_execnz .LBB129_557
.LBB129_514:
	s_or_b32 exec_lo, exec_lo, s0
	s_and_b32 s2, s8, exec_lo
.LBB129_515:
	s_andn2_saveexec_b32 s0, s15
	s_cbranch_execnz .LBB129_552
.LBB129_516:
	s_or_b32 exec_lo, exec_lo, s0
	s_and_b32 s2, s2, exec_lo
	s_andn2_saveexec_b32 s0, s14
	s_cbranch_execz .LBB129_495
.LBB129_517:
	s_or_b32 s2, s2, exec_lo
	s_trap 2
	s_or_b32 exec_lo, exec_lo, s0
	s_and_saveexec_b32 s0, s2
	s_cbranch_execnz .LBB129_496
	s_branch .LBB129_497
.LBB129_518:
	v_add_co_u32 v4, s1, v0, s33
	v_add_co_ci_u32_e64 v5, null, 0, 0, s1
	v_readlane_b32 s1, v59, 10
	v_mov_b32_e32 v11, v1
	v_mov_b32_e32 v10, v0
	v_mul_lo_u32 v6, s30, v5
	v_mov_b32_e32 v5, 0
	s_add_u32 s20, s42, s1
	v_readlane_b32 s1, v59, 11
                                        ; implicit-def: $vgpr8_vgpr9
	s_addc_u32 s21, s43, s1
	v_mad_u64_u32 v[2:3], null, s30, v4, s[20:21]
	v_mul_lo_u32 v4, s31, v4
	s_mov_b32 s20, 0
                                        ; implicit-def: $sgpr21
	v_add3_u32 v3, v4, v3, v6
	s_branch .LBB129_520
.LBB129_519:                            ;   in Loop: Header=BB129_520 Depth=1
	s_or_b32 exec_lo, exec_lo, s22
	s_xor_b32 s1, s1, -1
	s_and_b32 s3, exec_lo, s4
	v_mov_b32_e32 v11, v7
	v_mov_b32_e32 v16, v17
	s_or_b32 s20, s3, s20
	v_mov_b32_e32 v10, v6
	s_andn2_b32 s3, s21, exec_lo
	s_and_b32 s1, s1, exec_lo
	s_or_b32 s21, s3, s1
	s_andn2_b32 exec_lo, exec_lo, s20
	s_cbranch_execz .LBB129_532
.LBB129_520:                            ; =>This Inner Loop Header: Depth=1
	v_add_co_u32 v6, s3, v10, s33
	v_add_co_ci_u32_e64 v7, null, 0, v11, s3
	v_mov_b32_e32 v17, 0
	s_mov_b32 s1, exec_lo
	v_cmpx_gt_u64_e64 s[36:37], v[6:7]
	s_cbranch_execz .LBB129_522
; %bb.521:                              ;   in Loop: Header=BB129_520 Depth=1
	global_load_ubyte v17, v[2:3], off
.LBB129_522:                            ;   in Loop: Header=BB129_520 Depth=1
	s_or_b32 exec_lo, exec_lo, s1
	s_waitcnt vmcnt(0)
	v_cmp_gt_u16_sdwa s1, v16, v42 src0_sel:BYTE_0 src1_sel:BYTE_0
	v_cmp_gt_u64_e64 s3, s[36:37], v[10:11]
	v_cndmask_b32_e64 v4, 0, 1, s1
	v_cmp_lt_u16_sdwa s1, v16, v42 src0_sel:BYTE_0 src1_sel:BYTE_0
	v_cndmask_b32_e64 v14, 0, 1, s1
	v_cndmask_b32_e64 v4, v14, v4, s44
	v_and_b32_e32 v4, 1, v4
	v_cmp_eq_u32_e64 s4, 1, v4
	s_and_b32 s22, s3, s4
	v_cndmask_b32_e64 v4, 0, 1, s22
	v_cmp_ne_u32_e64 s3, 0, v4
	s_cmp_lg_u32 s3, 0
	s_cselect_b32 s1, -1, 0
	s_and_b32 s1, s0, s1
	s_and_saveexec_b32 s23, s1
	s_cbranch_execz .LBB129_526
; %bb.523:                              ;   in Loop: Header=BB129_520 Depth=1
	s_mov_b32 s25, exec_lo
	s_bcnt1_i32_b32 s24, s3
	v_mbcnt_lo_u32_b32 v14, s25, 0
	s_mov_b32 s1, exec_lo
                                        ; implicit-def: $vgpr8_vgpr9
	v_cmpx_eq_u32_e32 0, v14
	s_cbranch_execz .LBB129_525
; %bb.524:                              ;   in Loop: Header=BB129_520 Depth=1
	s_bcnt1_i32_b32 s4, s25
	s_mul_i32 s4, s24, s4
	v_mov_b32_e32 v4, s4
	s_waitcnt lgkmcnt(0)
	ds_add_rtn_u64 v[8:9], v5, v[4:5] offset:5136
.LBB129_525:                            ;   in Loop: Header=BB129_520 Depth=1
	s_or_b32 exec_lo, exec_lo, s1
	s_waitcnt lgkmcnt(0)
	v_readfirstlane_b32 s27, v9
	v_readfirstlane_b32 s26, v8
	v_mad_u64_u32 v[8:9], null, s24, v14, s[26:27]
.LBB129_526:                            ;   in Loop: Header=BB129_520 Depth=1
	s_or_b32 exec_lo, exec_lo, s23
	s_waitcnt lgkmcnt(0)
	ds_bpermute_b32 v8, v5, v8
	ds_bpermute_b32 v9, v5, v9
	s_mov_b32 s4, -1
	s_mov_b32 s24, -1
	s_and_saveexec_b32 s23, s22
	s_cbranch_execz .LBB129_530
; %bb.527:                              ;   in Loop: Header=BB129_520 Depth=1
	v_and_b32_e32 v4, s3, v34
	s_mov_b32 s22, 0
	s_mov_b32 s24, exec_lo
	v_bcnt_u32_b32 v4, v4, 0
	s_waitcnt lgkmcnt(0)
	v_add_co_u32 v14, s3, v8, v4
	v_add_co_ci_u32_e64 v15, null, 0, v9, s3
	v_cmpx_gt_u64_e64 s[38:39], v[14:15]
; %bb.528:                              ;   in Loop: Header=BB129_520 Depth=1
	v_mul_lo_u32 v4, v15, s10
	v_mul_lo_u32 v22, v14, s11
	v_mad_u64_u32 v[18:19], null, v14, s10, 0
	v_mad_u64_u32 v[20:21], null, v14, s8, s[12:13]
	v_mul_lo_u32 v23, v14, s9
	s_mov_b32 s22, exec_lo
	v_add3_u32 v19, v19, v22, v4
	v_mul_lo_u32 v4, v15, s8
	v_lshlrev_b64 v[14:15], 3, v[18:19]
	v_add3_u32 v21, v4, v21, v23
	v_add_co_u32 v14, s3, s5, v14
	v_add_co_ci_u32_e64 v15, null, s17, v15, s3
	global_store_byte v[20:21], v16, off
	global_store_dwordx2 v[14:15], v[10:11], off
; %bb.529:                              ;   in Loop: Header=BB129_520 Depth=1
	s_or_b32 exec_lo, exec_lo, s24
	s_orn2_b32 s24, s22, exec_lo
.LBB129_530:                            ;   in Loop: Header=BB129_520 Depth=1
	s_or_b32 exec_lo, exec_lo, s23
	s_mov_b32 s1, -1
	s_and_saveexec_b32 s22, s24
	s_cbranch_execz .LBB129_519
; %bb.531:                              ;   in Loop: Header=BB129_520 Depth=1
	v_cmp_le_u64_e64 s3, s[6:7], v[6:7]
	v_add_co_u32 v2, s4, v2, s81
	v_add_co_ci_u32_e64 v3, null, s80, v3, s4
	s_xor_b32 s1, exec_lo, -1
	s_orn2_b32 s4, s3, exec_lo
	s_branch .LBB129_519
.LBB129_532:
	s_or_b32 exec_lo, exec_lo, s20
	s_mov_b32 s3, exec_lo
	s_orn2_b32 s20, s21, exec_lo
	s_or_b32 exec_lo, exec_lo, s19
	s_and_saveexec_b32 s4, s20
	s_cbranch_execz .LBB129_509
.LBB129_533:
	v_mov_b32_e32 v4, 0
	s_waitcnt vmcnt(0) lgkmcnt(0)
	s_waitcnt_vscnt null, 0x0
	s_barrier
	buffer_gl0_inv
	s_and_saveexec_b32 s1, s98
	s_cbranch_execz .LBB129_535
; %bb.534:
	global_load_ubyte v4, v[12:13], off
.LBB129_535:
	s_or_b32 exec_lo, exec_lo, s1
	s_mov_b32 s1, 0
	s_and_saveexec_b32 s18, vcc_lo
	s_cbranch_execz .LBB129_555
; %bb.536:
	v_add_co_u32 v5, s1, v0, s33
	v_add_co_ci_u32_e64 v6, null, 0, 0, s1
	v_readlane_b32 s1, v59, 10
	s_mov_b32 s19, 0
                                        ; implicit-def: $vgpr8_vgpr9
	v_mul_lo_u32 v6, s30, v6
	s_add_u32 s20, s42, s1
	v_readlane_b32 s1, v59, 11
	s_addc_u32 s21, s43, s1
	v_mad_u64_u32 v[2:3], null, s30, v5, s[20:21]
	v_mul_lo_u32 v5, s31, v5
                                        ; implicit-def: $sgpr20
	v_add3_u32 v3, v5, v3, v6
	v_mov_b32_e32 v5, 0
	s_branch .LBB129_539
.LBB129_537:                            ;   in Loop: Header=BB129_539 Depth=1
	s_or_b32 exec_lo, exec_lo, s22
	s_orn2_b32 s24, s23, exec_lo
	s_orn2_b32 s23, s1, exec_lo
.LBB129_538:                            ;   in Loop: Header=BB129_539 Depth=1
	s_or_b32 exec_lo, exec_lo, s21
	s_xor_b32 s1, s24, -1
	s_and_b32 s21, exec_lo, s23
	v_mov_b32_e32 v0, v6
	v_mov_b32_e32 v1, v7
	s_or_b32 s19, s21, s19
	v_mov_b32_e32 v4, v12
	s_andn2_b32 s20, s20, exec_lo
	s_and_b32 s1, s1, exec_lo
	s_or_b32 s20, s20, s1
	s_andn2_b32 exec_lo, exec_lo, s19
	s_cbranch_execz .LBB129_553
.LBB129_539:                            ; =>This Inner Loop Header: Depth=1
	v_add_co_u32 v6, vcc_lo, v0, s33
	v_add_co_ci_u32_e64 v7, null, 0, v1, vcc_lo
	v_mov_b32_e32 v12, 0
	s_mov_b32 s1, exec_lo
	v_cmpx_gt_u64_e64 s[36:37], v[6:7]
	s_cbranch_execz .LBB129_541
; %bb.540:                              ;   in Loop: Header=BB129_539 Depth=1
	global_load_ubyte v12, v[2:3], off
.LBB129_541:                            ;   in Loop: Header=BB129_539 Depth=1
	s_or_b32 exec_lo, exec_lo, s1
	v_cmp_gt_u64_e32 vcc_lo, s[36:37], v[0:1]
	s_waitcnt vmcnt(0)
	v_cmp_eq_u16_sdwa s1, v4, v42 src0_sel:BYTE_0 src1_sel:BYTE_0
	s_and_b32 s22, vcc_lo, s1
	v_cndmask_b32_e64 v4, 0, 1, s22
	v_cmp_ne_u32_e32 vcc_lo, 0, v4
	s_cmp_lg_u32 vcc_lo, 0
	s_cselect_b32 s1, -1, 0
	s_and_b32 s1, s0, s1
	s_and_saveexec_b32 s21, s1
	s_cbranch_execz .LBB129_545
; %bb.542:                              ;   in Loop: Header=BB129_539 Depth=1
	s_mov_b32 s25, exec_lo
	s_bcnt1_i32_b32 s23, vcc_lo
	v_mbcnt_lo_u32_b32 v10, s25, 0
	s_mov_b32 s24, exec_lo
                                        ; implicit-def: $vgpr8_vgpr9
	v_cmpx_eq_u32_e32 0, v10
; %bb.543:                              ;   in Loop: Header=BB129_539 Depth=1
	s_bcnt1_i32_b32 s1, s25
	s_mul_i32 s1, s23, s1
	v_mov_b32_e32 v4, s1
	ds_add_rtn_u64 v[8:9], v5, v[4:5] offset:5136
; %bb.544:                              ;   in Loop: Header=BB129_539 Depth=1
	s_or_b32 exec_lo, exec_lo, s24
	s_waitcnt lgkmcnt(0)
	v_readfirstlane_b32 s25, v9
	v_readfirstlane_b32 s24, v8
	v_mad_u64_u32 v[8:9], null, s23, v10, s[24:25]
.LBB129_545:                            ;   in Loop: Header=BB129_539 Depth=1
	s_or_b32 exec_lo, exec_lo, s21
	ds_bpermute_b32 v8, v5, v8
	ds_bpermute_b32 v9, v5, v9
	s_cmp_eq_u32 vcc_lo, 0
	s_mov_b32 s23, -1
	s_cselect_b32 s21, -1, 0
	s_mov_b32 s24, -1
	s_waitcnt lgkmcnt(0)
	v_cmp_gt_u64_e64 s1, s[38:39], v[8:9]
	s_or_b32 s1, s21, s1
	s_and_saveexec_b32 s21, s1
	s_cbranch_execz .LBB129_538
; %bb.546:                              ;   in Loop: Header=BB129_539 Depth=1
	v_and_b32_e32 v4, vcc_lo, v34
	v_sub_co_u32 v10, vcc_lo, s38, v8
	v_sub_co_ci_u32_e64 v11, null, s39, v9, vcc_lo
	v_bcnt_u32_b32 v4, v4, 0
	s_mov_b32 s1, -1
	v_bcnt_u32_b32 v4, 0, v4
	v_cmp_gt_u64_e32 vcc_lo, v[10:11], v[4:5]
	s_and_b32 s25, s22, vcc_lo
	s_and_saveexec_b32 s22, s25
	s_cbranch_execz .LBB129_550
; %bb.547:                              ;   in Loop: Header=BB129_539 Depth=1
	v_add_co_u32 v10, vcc_lo, v8, v4
	v_add_co_ci_u32_e64 v11, null, 0, v9, vcc_lo
	s_mov_b32 s24, 0
	s_mov_b32 s23, exec_lo
	v_cmpx_gt_u64_e64 s[38:39], v[10:11]
; %bb.548:                              ;   in Loop: Header=BB129_539 Depth=1
	v_mul_lo_u32 v4, v11, s10
	v_mul_lo_u32 v17, v10, s11
	v_mad_u64_u32 v[13:14], null, v10, s10, 0
	v_mad_u64_u32 v[15:16], null, v10, s8, s[12:13]
	v_mul_lo_u32 v18, v10, s9
	s_mov_b32 s24, exec_lo
	v_add3_u32 v14, v14, v17, v4
	v_mul_lo_u32 v4, v11, s8
	v_lshlrev_b64 v[10:11], 3, v[13:14]
	v_add3_u32 v16, v4, v16, v18
	v_add_co_u32 v10, vcc_lo, s5, v10
	v_add_co_ci_u32_e64 v11, null, s17, v11, vcc_lo
	global_store_byte v[15:16], v42, off
	global_store_dwordx2 v[10:11], v[0:1], off
; %bb.549:                              ;   in Loop: Header=BB129_539 Depth=1
	s_or_b32 exec_lo, exec_lo, s23
	s_xor_b32 s23, exec_lo, -1
	s_orn2_b32 s24, s24, exec_lo
.LBB129_550:                            ;   in Loop: Header=BB129_539 Depth=1
	s_or_b32 exec_lo, exec_lo, s22
	s_and_saveexec_b32 s22, s24
	s_cbranch_execz .LBB129_537
; %bb.551:                              ;   in Loop: Header=BB129_539 Depth=1
	v_cmp_le_u64_e32 vcc_lo, s[6:7], v[6:7]
	v_add_co_u32 v2, s1, v2, s81
	v_add_co_ci_u32_e64 v3, null, s80, v3, s1
	s_or_b32 s23, s23, exec_lo
	s_orn2_b32 s1, vcc_lo, exec_lo
	s_branch .LBB129_537
.LBB129_552:
	s_or_b32 s2, s2, exec_lo
	s_trap 2
	s_branch .LBB129_516
.LBB129_553:
	s_or_b32 exec_lo, exec_lo, s19
	s_mov_b32 s0, 0
	s_and_saveexec_b32 s1, s20
	s_xor_b32 s1, exec_lo, s1
	s_cbranch_execnz .LBB129_559
.LBB129_554:
	s_or_b32 exec_lo, exec_lo, s1
	s_and_b32 s1, s0, exec_lo
.LBB129_555:
	s_or_b32 exec_lo, exec_lo, s18
	s_and_b32 s18, s1, exec_lo
	s_andn2_b32 s3, s3, exec_lo
	s_or_b32 exec_lo, exec_lo, s4
	s_and_saveexec_b32 s0, s3
	s_xor_b32 s0, exec_lo, s0
	s_cbranch_execz .LBB129_510
.LBB129_556:
	s_or_b32 s18, s18, exec_lo
	s_trap 2
	s_branch .LBB129_510
.LBB129_557:
	s_or_b32 s8, s8, exec_lo
	s_trap 2
	s_branch .LBB129_514
.LBB129_558:
	s_or_b32 s8, s8, exec_lo
	s_trap 2
	s_branch .LBB129_512
.LBB129_559:
	s_mov_b32 s0, exec_lo
	s_trap 2
	s_branch .LBB129_554
	.section	.rodata,"a",@progbits
	.p2align	6, 0x0
	.amdhsa_kernel _ZN2at6native6sbtopk10gatherTopKIhmLin1ELb0EEEvNS_4cuda6detail10TensorInfoIKT_T0_EES8_S8_bS8_S8_NS5_IS6_S8_EES8_NS5_IlS8_EES8_PS6_
		.amdhsa_group_segment_fixed_size 5152
		.amdhsa_private_segment_fixed_size 0
		.amdhsa_kernarg_size 1568
		.amdhsa_user_sgpr_count 6
		.amdhsa_user_sgpr_private_segment_buffer 1
		.amdhsa_user_sgpr_dispatch_ptr 0
		.amdhsa_user_sgpr_queue_ptr 0
		.amdhsa_user_sgpr_kernarg_segment_ptr 1
		.amdhsa_user_sgpr_dispatch_id 0
		.amdhsa_user_sgpr_flat_scratch_init 0
		.amdhsa_user_sgpr_private_segment_size 0
		.amdhsa_wavefront_size32 1
		.amdhsa_uses_dynamic_stack 0
		.amdhsa_system_sgpr_private_segment_wavefront_offset 0
		.amdhsa_system_sgpr_workgroup_id_x 1
		.amdhsa_system_sgpr_workgroup_id_y 1
		.amdhsa_system_sgpr_workgroup_id_z 1
		.amdhsa_system_sgpr_workgroup_info 0
		.amdhsa_system_vgpr_workitem_id 0
		.amdhsa_next_free_vgpr 60
		.amdhsa_next_free_sgpr 105
		.amdhsa_reserve_vcc 1
		.amdhsa_reserve_flat_scratch 0
		.amdhsa_float_round_mode_32 0
		.amdhsa_float_round_mode_16_64 0
		.amdhsa_float_denorm_mode_32 3
		.amdhsa_float_denorm_mode_16_64 3
		.amdhsa_dx10_clamp 1
		.amdhsa_ieee_mode 1
		.amdhsa_fp16_overflow 0
		.amdhsa_workgroup_processor_mode 1
		.amdhsa_memory_ordered 1
		.amdhsa_forward_progress 1
		.amdhsa_shared_vgpr_count 0
		.amdhsa_exception_fp_ieee_invalid_op 0
		.amdhsa_exception_fp_denorm_src 0
		.amdhsa_exception_fp_ieee_div_zero 0
		.amdhsa_exception_fp_ieee_overflow 0
		.amdhsa_exception_fp_ieee_underflow 0
		.amdhsa_exception_fp_ieee_inexact 0
		.amdhsa_exception_int_div_zero 0
	.end_amdhsa_kernel
	.section	.text._ZN2at6native6sbtopk10gatherTopKIhmLin1ELb0EEEvNS_4cuda6detail10TensorInfoIKT_T0_EES8_S8_bS8_S8_NS5_IS6_S8_EES8_NS5_IlS8_EES8_PS6_,"axG",@progbits,_ZN2at6native6sbtopk10gatherTopKIhmLin1ELb0EEEvNS_4cuda6detail10TensorInfoIKT_T0_EES8_S8_bS8_S8_NS5_IS6_S8_EES8_NS5_IlS8_EES8_PS6_,comdat
.Lfunc_end129:
	.size	_ZN2at6native6sbtopk10gatherTopKIhmLin1ELb0EEEvNS_4cuda6detail10TensorInfoIKT_T0_EES8_S8_bS8_S8_NS5_IS6_S8_EES8_NS5_IlS8_EES8_PS6_, .Lfunc_end129-_ZN2at6native6sbtopk10gatherTopKIhmLin1ELb0EEEvNS_4cuda6detail10TensorInfoIKT_T0_EES8_S8_bS8_S8_NS5_IS6_S8_EES8_NS5_IlS8_EES8_PS6_
                                        ; -- End function
	.set _ZN2at6native6sbtopk10gatherTopKIhmLin1ELb0EEEvNS_4cuda6detail10TensorInfoIKT_T0_EES8_S8_bS8_S8_NS5_IS6_S8_EES8_NS5_IlS8_EES8_PS6_.num_vgpr, 60
	.set _ZN2at6native6sbtopk10gatherTopKIhmLin1ELb0EEEvNS_4cuda6detail10TensorInfoIKT_T0_EES8_S8_bS8_S8_NS5_IS6_S8_EES8_NS5_IlS8_EES8_PS6_.num_agpr, 0
	.set _ZN2at6native6sbtopk10gatherTopKIhmLin1ELb0EEEvNS_4cuda6detail10TensorInfoIKT_T0_EES8_S8_bS8_S8_NS5_IS6_S8_EES8_NS5_IlS8_EES8_PS6_.numbered_sgpr, 105
	.set _ZN2at6native6sbtopk10gatherTopKIhmLin1ELb0EEEvNS_4cuda6detail10TensorInfoIKT_T0_EES8_S8_bS8_S8_NS5_IS6_S8_EES8_NS5_IlS8_EES8_PS6_.num_named_barrier, 0
	.set _ZN2at6native6sbtopk10gatherTopKIhmLin1ELb0EEEvNS_4cuda6detail10TensorInfoIKT_T0_EES8_S8_bS8_S8_NS5_IS6_S8_EES8_NS5_IlS8_EES8_PS6_.private_seg_size, 0
	.set _ZN2at6native6sbtopk10gatherTopKIhmLin1ELb0EEEvNS_4cuda6detail10TensorInfoIKT_T0_EES8_S8_bS8_S8_NS5_IS6_S8_EES8_NS5_IlS8_EES8_PS6_.uses_vcc, 1
	.set _ZN2at6native6sbtopk10gatherTopKIhmLin1ELb0EEEvNS_4cuda6detail10TensorInfoIKT_T0_EES8_S8_bS8_S8_NS5_IS6_S8_EES8_NS5_IlS8_EES8_PS6_.uses_flat_scratch, 0
	.set _ZN2at6native6sbtopk10gatherTopKIhmLin1ELb0EEEvNS_4cuda6detail10TensorInfoIKT_T0_EES8_S8_bS8_S8_NS5_IS6_S8_EES8_NS5_IlS8_EES8_PS6_.has_dyn_sized_stack, 0
	.set _ZN2at6native6sbtopk10gatherTopKIhmLin1ELb0EEEvNS_4cuda6detail10TensorInfoIKT_T0_EES8_S8_bS8_S8_NS5_IS6_S8_EES8_NS5_IlS8_EES8_PS6_.has_recursion, 0
	.set _ZN2at6native6sbtopk10gatherTopKIhmLin1ELb0EEEvNS_4cuda6detail10TensorInfoIKT_T0_EES8_S8_bS8_S8_NS5_IS6_S8_EES8_NS5_IlS8_EES8_PS6_.has_indirect_call, 0
	.section	.AMDGPU.csdata,"",@progbits
; Kernel info:
; codeLenInByte = 27984
; TotalNumSgprs: 107
; NumVgprs: 60
; ScratchSize: 0
; MemoryBound: 0
; FloatMode: 240
; IeeeMode: 1
; LDSByteSize: 5152 bytes/workgroup (compile time only)
; SGPRBlocks: 0
; VGPRBlocks: 7
; NumSGPRsForWavesPerEU: 107
; NumVGPRsForWavesPerEU: 60
; Occupancy: 16
; WaveLimiterHint : 1
; COMPUTE_PGM_RSRC2:SCRATCH_EN: 0
; COMPUTE_PGM_RSRC2:USER_SGPR: 6
; COMPUTE_PGM_RSRC2:TRAP_HANDLER: 0
; COMPUTE_PGM_RSRC2:TGID_X_EN: 1
; COMPUTE_PGM_RSRC2:TGID_Y_EN: 1
; COMPUTE_PGM_RSRC2:TGID_Z_EN: 1
; COMPUTE_PGM_RSRC2:TIDIG_COMP_CNT: 0
	.section	.text._ZN2at6native6mbtopk23computeBlockDigitCountsIamjLi1EEEvNS_4cuda6detail10TensorInfoIKT_T0_EEjPjjS8_iijT1_PSB_Ps,"axG",@progbits,_ZN2at6native6mbtopk23computeBlockDigitCountsIamjLi1EEEvNS_4cuda6detail10TensorInfoIKT_T0_EEjPjjS8_iijT1_PSB_Ps,comdat
	.protected	_ZN2at6native6mbtopk23computeBlockDigitCountsIamjLi1EEEvNS_4cuda6detail10TensorInfoIKT_T0_EEjPjjS8_iijT1_PSB_Ps ; -- Begin function _ZN2at6native6mbtopk23computeBlockDigitCountsIamjLi1EEEvNS_4cuda6detail10TensorInfoIKT_T0_EEjPjjS8_iijT1_PSB_Ps
	.globl	_ZN2at6native6mbtopk23computeBlockDigitCountsIamjLi1EEEvNS_4cuda6detail10TensorInfoIKT_T0_EEjPjjS8_iijT1_PSB_Ps
	.p2align	8
	.type	_ZN2at6native6mbtopk23computeBlockDigitCountsIamjLi1EEEvNS_4cuda6detail10TensorInfoIKT_T0_EEjPjjS8_iijT1_PSB_Ps,@function
_ZN2at6native6mbtopk23computeBlockDigitCountsIamjLi1EEEvNS_4cuda6detail10TensorInfoIKT_T0_EEjPjjS8_iijT1_PSB_Ps: ; @_ZN2at6native6mbtopk23computeBlockDigitCountsIamjLi1EEEvNS_4cuda6detail10TensorInfoIKT_T0_EEjPjjS8_iijT1_PSB_Ps
; %bb.0:
	s_clause 0x2
	s_load_dwordx4 s[12:15], s[4:5], 0x1c0
	s_load_dword s3, s[4:5], 0x1b0
	s_load_dwordx2 s[0:1], s[4:5], 0x1e0
	s_mov_b32 s9, 0
	s_waitcnt lgkmcnt(0)
	v_cvt_f32_u32_e32 v1, s14
	s_mul_i32 s1, s1, s8
	s_sub_i32 s8, 0, s14
	s_add_i32 s1, s1, s7
	v_rcp_iflag_f32_e32 v1, v1
	s_mul_i32 s10, s1, s0
	s_add_i32 s10, s10, s6
	v_mul_f32_e32 v1, 0x4f7ffffe, v1
	v_cvt_u32_f32_e32 v1, v1
	v_readfirstlane_b32 s2, v1
	s_mul_i32 s8, s8, s2
	s_mul_hi_u32 s0, s2, s8
	s_add_i32 s2, s2, s0
	s_mul_hi_u32 s0, s10, s2
	s_mul_i32 s1, s0, s14
	s_add_i32 s2, s0, 1
	s_sub_i32 s1, s10, s1
	s_sub_i32 s6, s1, s14
	s_cmp_ge_u32 s1, s14
	s_cselect_b32 s0, s2, s0
	s_cselect_b32 s1, s6, s1
	s_add_i32 s2, s0, 1
	s_cmp_ge_u32 s1, s14
	s_cselect_b32 s8, s2, s0
	s_cmp_ge_u32 s8, s3
	s_cbranch_scc1 .LBB130_21
; %bb.1:
	s_load_dwordx4 s[0:3], s[4:5], 0x1d0
	s_lshl_b64 s[6:7], s[8:9], 2
	v_cmp_gt_u32_e32 vcc_lo, 0x100, v0
	v_lshlrev_b32_e32 v1, 2, v0
	s_waitcnt lgkmcnt(0)
	s_add_u32 s0, s0, s6
	s_addc_u32 s1, s1, s7
	s_and_saveexec_b32 s6, vcc_lo
; %bb.2:
	v_mov_b32_e32 v2, 0
	ds_write_b32 v1, v2
; %bb.3:
	s_or_b32 exec_lo, exec_lo, s6
	s_load_dword s9, s[4:5], 0x1a0
	s_mul_i32 s6, s8, s14
	s_waitcnt lgkmcnt(0)
	s_sub_i32 s6, s10, s6
	s_barrier
	s_mul_i32 s7, s13, s6
	s_add_i32 s11, s6, 1
	s_lshl_b32 s16, s7, 8
	buffer_gl0_inv
	s_sub_i32 s7, s9, s16
	s_add_u32 s6, s7, 0xff
	s_addc_u32 s7, 0, 0
	s_lshr_b64 s[6:7], s[6:7], 8
	s_cmp_lt_u32 s11, s14
	s_mov_b32 s14, 0
	s_cselect_b32 s11, s13, s6
	s_cmp_lt_i32 s11, 1
	s_cbranch_scc1 .LBB130_19
; %bb.4:
	s_clause 0x2
	s_load_dwordx2 s[18:19], s[4:5], 0xd0
	s_load_dwordx2 s[6:7], s[4:5], 0x1b8
	;; [unrolled: 1-line block ×3, first 2 shown]
	s_load_dword s13, s[0:1], 0x0
	v_add_nc_u32_e32 v2, s16, v0
	s_waitcnt lgkmcnt(0)
	s_mul_i32 s0, s19, s8
	s_mul_hi_u32 s1, s18, s8
	s_mul_i32 s8, s18, s8
	s_add_i32 s1, s1, s0
	s_add_u32 s4, s4, s8
	s_addc_u32 s5, s5, s1
	s_and_b32 s1, s12, 0xff
	s_cmp_eq_u32 s11, 1
	s_cbranch_scc1 .LBB130_14
; %bb.5:
	v_mov_b32_e32 v3, 1
	v_mov_b32_e32 v4, v2
	s_and_b32 s8, s11, 0x7ffffffe
	s_mov_b32 s12, 0
	s_branch .LBB130_7
.LBB130_6:                              ;   in Loop: Header=BB130_7 Depth=1
	s_or_b32 exec_lo, exec_lo, s14
	v_add_nc_u32_e32 v4, 0x200, v4
	s_add_i32 s12, s12, 2
	s_cmp_eq_u32 s8, s12
	s_cbranch_scc1 .LBB130_13
.LBB130_7:                              ; =>This Inner Loop Header: Depth=1
	s_mov_b32 s14, exec_lo
	v_cmpx_gt_u32_e64 s9, v4
	s_cbranch_execz .LBB130_10
; %bb.8:                                ;   in Loop: Header=BB130_7 Depth=1
	v_mad_u64_u32 v[5:6], null, s6, v4, s[4:5]
	v_mad_u64_u32 v[6:7], null, s7, v4, v[6:7]
	global_load_sbyte v5, v[5:6], off
	s_waitcnt vmcnt(0)
	v_add_nc_u32_e32 v5, 0x80, v5
	v_xor_b32_e32 v6, s13, v5
	v_and_b32_e32 v6, s15, v6
	v_cmp_eq_u32_e64 s0, 0, v6
	s_and_b32 exec_lo, exec_lo, s0
; %bb.9:                                ;   in Loop: Header=BB130_7 Depth=1
	v_lshrrev_b32_e32 v5, s1, v5
	v_lshlrev_b32_e32 v5, 2, v5
	ds_add_u32 v5, v3
.LBB130_10:                             ;   in Loop: Header=BB130_7 Depth=1
	s_or_b32 exec_lo, exec_lo, s14
	v_add_nc_u32_e32 v5, 0x100, v4
	s_mov_b32 s14, exec_lo
	v_cmpx_gt_u32_e64 s9, v5
	s_cbranch_execz .LBB130_6
; %bb.11:                               ;   in Loop: Header=BB130_7 Depth=1
	v_mad_u64_u32 v[6:7], null, s6, v5, s[4:5]
	v_mad_u64_u32 v[7:8], null, s7, v5, v[7:8]
	global_load_sbyte v5, v[6:7], off
	s_waitcnt vmcnt(0)
	v_add_nc_u32_e32 v5, 0x80, v5
	v_xor_b32_e32 v6, s13, v5
	v_and_b32_e32 v6, s15, v6
	v_cmp_eq_u32_e64 s0, 0, v6
	s_and_b32 exec_lo, exec_lo, s0
	s_cbranch_execz .LBB130_6
; %bb.12:                               ;   in Loop: Header=BB130_7 Depth=1
	v_lshrrev_b32_e32 v5, s1, v5
	v_lshlrev_b32_e32 v5, 2, v5
	ds_add_u32 v5, v3
	s_branch .LBB130_6
.LBB130_13:
	s_lshl_b32 s14, s8, 8
.LBB130_14:
	s_bitcmp0_b32 s11, 0
	s_cbranch_scc1 .LBB130_19
; %bb.15:
	v_add_nc_u32_e32 v2, s14, v2
	s_mov_b32 s8, exec_lo
	v_cmpx_gt_u32_e64 s9, v2
	s_cbranch_execz .LBB130_18
; %bb.16:
	v_mad_u64_u32 v[3:4], null, s6, v2, s[4:5]
	v_mad_u64_u32 v[4:5], null, s7, v2, v[4:5]
	global_load_sbyte v2, v[3:4], off
	s_waitcnt vmcnt(0)
	v_add_nc_u32_e32 v2, 0x80, v2
	v_xor_b32_e32 v3, s13, v2
	v_and_b32_e32 v3, s15, v3
	v_cmp_eq_u32_e64 s0, 0, v3
	s_and_b32 exec_lo, exec_lo, s0
	s_cbranch_execz .LBB130_18
; %bb.17:
	v_lshrrev_b32_e32 v2, s1, v2
	v_mov_b32_e32 v3, 1
	v_lshlrev_b32_e32 v2, 2, v2
	ds_add_u32 v2, v3
.LBB130_18:
	s_or_b32 exec_lo, exec_lo, s8
.LBB130_19:
	s_waitcnt lgkmcnt(0)
	s_barrier
	buffer_gl0_inv
	s_and_saveexec_b32 s0, vcc_lo
	s_cbranch_execz .LBB130_21
; %bb.20:
	ds_read_b32 v2, v1
	v_lshl_or_b32 v0, s10, 8, v0
	v_mov_b32_e32 v1, 0
	v_lshlrev_b64 v[0:1], 1, v[0:1]
	v_add_co_u32 v0, vcc_lo, s2, v0
	v_add_co_ci_u32_e64 v1, null, s3, v1, vcc_lo
	s_waitcnt lgkmcnt(0)
	global_store_short v[0:1], v2, off
.LBB130_21:
	s_endpgm
	.section	.rodata,"a",@progbits
	.p2align	6, 0x0
	.amdhsa_kernel _ZN2at6native6mbtopk23computeBlockDigitCountsIamjLi1EEEvNS_4cuda6detail10TensorInfoIKT_T0_EEjPjjS8_iijT1_PSB_Ps
		.amdhsa_group_segment_fixed_size 1024
		.amdhsa_private_segment_fixed_size 0
		.amdhsa_kernarg_size 736
		.amdhsa_user_sgpr_count 6
		.amdhsa_user_sgpr_private_segment_buffer 1
		.amdhsa_user_sgpr_dispatch_ptr 0
		.amdhsa_user_sgpr_queue_ptr 0
		.amdhsa_user_sgpr_kernarg_segment_ptr 1
		.amdhsa_user_sgpr_dispatch_id 0
		.amdhsa_user_sgpr_flat_scratch_init 0
		.amdhsa_user_sgpr_private_segment_size 0
		.amdhsa_wavefront_size32 1
		.amdhsa_uses_dynamic_stack 0
		.amdhsa_system_sgpr_private_segment_wavefront_offset 0
		.amdhsa_system_sgpr_workgroup_id_x 1
		.amdhsa_system_sgpr_workgroup_id_y 1
		.amdhsa_system_sgpr_workgroup_id_z 1
		.amdhsa_system_sgpr_workgroup_info 0
		.amdhsa_system_vgpr_workitem_id 0
		.amdhsa_next_free_vgpr 9
		.amdhsa_next_free_sgpr 20
		.amdhsa_reserve_vcc 1
		.amdhsa_reserve_flat_scratch 0
		.amdhsa_float_round_mode_32 0
		.amdhsa_float_round_mode_16_64 0
		.amdhsa_float_denorm_mode_32 3
		.amdhsa_float_denorm_mode_16_64 3
		.amdhsa_dx10_clamp 1
		.amdhsa_ieee_mode 1
		.amdhsa_fp16_overflow 0
		.amdhsa_workgroup_processor_mode 1
		.amdhsa_memory_ordered 1
		.amdhsa_forward_progress 1
		.amdhsa_shared_vgpr_count 0
		.amdhsa_exception_fp_ieee_invalid_op 0
		.amdhsa_exception_fp_denorm_src 0
		.amdhsa_exception_fp_ieee_div_zero 0
		.amdhsa_exception_fp_ieee_overflow 0
		.amdhsa_exception_fp_ieee_underflow 0
		.amdhsa_exception_fp_ieee_inexact 0
		.amdhsa_exception_int_div_zero 0
	.end_amdhsa_kernel
	.section	.text._ZN2at6native6mbtopk23computeBlockDigitCountsIamjLi1EEEvNS_4cuda6detail10TensorInfoIKT_T0_EEjPjjS8_iijT1_PSB_Ps,"axG",@progbits,_ZN2at6native6mbtopk23computeBlockDigitCountsIamjLi1EEEvNS_4cuda6detail10TensorInfoIKT_T0_EEjPjjS8_iijT1_PSB_Ps,comdat
.Lfunc_end130:
	.size	_ZN2at6native6mbtopk23computeBlockDigitCountsIamjLi1EEEvNS_4cuda6detail10TensorInfoIKT_T0_EEjPjjS8_iijT1_PSB_Ps, .Lfunc_end130-_ZN2at6native6mbtopk23computeBlockDigitCountsIamjLi1EEEvNS_4cuda6detail10TensorInfoIKT_T0_EEjPjjS8_iijT1_PSB_Ps
                                        ; -- End function
	.set _ZN2at6native6mbtopk23computeBlockDigitCountsIamjLi1EEEvNS_4cuda6detail10TensorInfoIKT_T0_EEjPjjS8_iijT1_PSB_Ps.num_vgpr, 9
	.set _ZN2at6native6mbtopk23computeBlockDigitCountsIamjLi1EEEvNS_4cuda6detail10TensorInfoIKT_T0_EEjPjjS8_iijT1_PSB_Ps.num_agpr, 0
	.set _ZN2at6native6mbtopk23computeBlockDigitCountsIamjLi1EEEvNS_4cuda6detail10TensorInfoIKT_T0_EEjPjjS8_iijT1_PSB_Ps.numbered_sgpr, 20
	.set _ZN2at6native6mbtopk23computeBlockDigitCountsIamjLi1EEEvNS_4cuda6detail10TensorInfoIKT_T0_EEjPjjS8_iijT1_PSB_Ps.num_named_barrier, 0
	.set _ZN2at6native6mbtopk23computeBlockDigitCountsIamjLi1EEEvNS_4cuda6detail10TensorInfoIKT_T0_EEjPjjS8_iijT1_PSB_Ps.private_seg_size, 0
	.set _ZN2at6native6mbtopk23computeBlockDigitCountsIamjLi1EEEvNS_4cuda6detail10TensorInfoIKT_T0_EEjPjjS8_iijT1_PSB_Ps.uses_vcc, 1
	.set _ZN2at6native6mbtopk23computeBlockDigitCountsIamjLi1EEEvNS_4cuda6detail10TensorInfoIKT_T0_EEjPjjS8_iijT1_PSB_Ps.uses_flat_scratch, 0
	.set _ZN2at6native6mbtopk23computeBlockDigitCountsIamjLi1EEEvNS_4cuda6detail10TensorInfoIKT_T0_EEjPjjS8_iijT1_PSB_Ps.has_dyn_sized_stack, 0
	.set _ZN2at6native6mbtopk23computeBlockDigitCountsIamjLi1EEEvNS_4cuda6detail10TensorInfoIKT_T0_EEjPjjS8_iijT1_PSB_Ps.has_recursion, 0
	.set _ZN2at6native6mbtopk23computeBlockDigitCountsIamjLi1EEEvNS_4cuda6detail10TensorInfoIKT_T0_EEjPjjS8_iijT1_PSB_Ps.has_indirect_call, 0
	.section	.AMDGPU.csdata,"",@progbits
; Kernel info:
; codeLenInByte = 812
; TotalNumSgprs: 22
; NumVgprs: 9
; ScratchSize: 0
; MemoryBound: 0
; FloatMode: 240
; IeeeMode: 1
; LDSByteSize: 1024 bytes/workgroup (compile time only)
; SGPRBlocks: 0
; VGPRBlocks: 1
; NumSGPRsForWavesPerEU: 22
; NumVGPRsForWavesPerEU: 9
; Occupancy: 16
; WaveLimiterHint : 1
; COMPUTE_PGM_RSRC2:SCRATCH_EN: 0
; COMPUTE_PGM_RSRC2:USER_SGPR: 6
; COMPUTE_PGM_RSRC2:TRAP_HANDLER: 0
; COMPUTE_PGM_RSRC2:TGID_X_EN: 1
; COMPUTE_PGM_RSRC2:TGID_Y_EN: 1
; COMPUTE_PGM_RSRC2:TGID_Z_EN: 1
; COMPUTE_PGM_RSRC2:TIDIG_COMP_CNT: 0
	.section	.text._ZN2at6native6mbtopk10gatherTopKIamLi1EEEvNS_4cuda6detail10TensorInfoIKT_T0_EES8_S8_bjS8_NS5_IS6_S8_EES8_NS5_IlS8_EES8_jjPS6_PjSD_j,"axG",@progbits,_ZN2at6native6mbtopk10gatherTopKIamLi1EEEvNS_4cuda6detail10TensorInfoIKT_T0_EES8_S8_bjS8_NS5_IS6_S8_EES8_NS5_IlS8_EES8_jjPS6_PjSD_j,comdat
	.protected	_ZN2at6native6mbtopk10gatherTopKIamLi1EEEvNS_4cuda6detail10TensorInfoIKT_T0_EES8_S8_bjS8_NS5_IS6_S8_EES8_NS5_IlS8_EES8_jjPS6_PjSD_j ; -- Begin function _ZN2at6native6mbtopk10gatherTopKIamLi1EEEvNS_4cuda6detail10TensorInfoIKT_T0_EES8_S8_bjS8_NS5_IS6_S8_EES8_NS5_IlS8_EES8_jjPS6_PjSD_j
	.globl	_ZN2at6native6mbtopk10gatherTopKIamLi1EEEvNS_4cuda6detail10TensorInfoIKT_T0_EES8_S8_bjS8_NS5_IS6_S8_EES8_NS5_IlS8_EES8_jjPS6_PjSD_j
	.p2align	8
	.type	_ZN2at6native6mbtopk10gatherTopKIamLi1EEEvNS_4cuda6detail10TensorInfoIKT_T0_EES8_S8_bjS8_NS5_IS6_S8_EES8_NS5_IlS8_EES8_jjPS6_PjSD_j,@function
_ZN2at6native6mbtopk10gatherTopKIamLi1EEEvNS_4cuda6detail10TensorInfoIKT_T0_EES8_S8_bjS8_NS5_IS6_S8_EES8_NS5_IlS8_EES8_jjPS6_PjSD_j: ; @_ZN2at6native6mbtopk10gatherTopKIamLi1EEEvNS_4cuda6detail10TensorInfoIKT_T0_EES8_S8_bjS8_NS5_IS6_S8_EES8_NS5_IlS8_EES8_jjPS6_PjSD_j
; %bb.0:
	s_clause 0x1
	s_load_dwordx2 s[0:1], s[4:5], 0x538
	s_load_dword s2, s[4:5], 0x530
	s_waitcnt lgkmcnt(0)
	s_mul_i32 s1, s1, s8
	s_add_i32 s1, s1, s7
	s_mul_i32 s0, s1, s0
	s_add_i32 s0, s0, s6
	s_cmp_ge_u32 s0, s2
	s_cbranch_scc1 .LBB131_42
; %bb.1:
	s_clause 0x1
	s_load_dwordx2 s[6:7], s[4:5], 0x510
	s_load_dwordx4 s[8:11], s[4:5], 0x1a0
	s_waitcnt lgkmcnt(0)
	v_cvt_f32_u32_e32 v1, s7
	s_sub_i32 s2, 0, s7
	s_lshl_b32 s33, s6, 8
	v_rcp_iflag_f32_e32 v1, v1
	v_mul_f32_e32 v1, 0x4f7ffffe, v1
	v_cvt_u32_f32_e32 v1, v1
	v_readfirstlane_b32 s1, v1
	s_mul_i32 s2, s2, s1
	s_mul_hi_u32 s2, s1, s2
	s_add_i32 s1, s1, s2
	s_mul_hi_u32 s1, s0, s1
	s_mul_i32 s2, s1, s7
	s_add_i32 s3, s1, 1
	s_sub_i32 s2, s0, s2
	s_sub_i32 s12, s2, s7
	s_cmp_ge_u32 s2, s7
	s_cselect_b32 s1, s3, s1
	s_cselect_b32 s2, s12, s2
	s_add_i32 s3, s1, 1
	s_cmp_ge_u32 s2, s7
	s_cselect_b32 s35, s3, s1
	s_mul_i32 s16, s35, s7
	s_sub_i32 s34, s0, s16
	s_add_i32 s0, s34, 1
	s_cmp_lt_u32 s0, s7
	s_cbranch_scc1 .LBB131_3
; %bb.2:
	s_mul_i32 s0, s34, s33
	s_sub_u32 s0, s8, s0
	s_subb_u32 s1, s9, 0
	s_add_u32 s0, s0, 0xff
	s_addc_u32 s1, s1, 0
	s_ashr_i32 s2, s1, 31
	s_lshr_b32 s2, s2, 24
	s_add_u32 s0, s0, s2
	s_addc_u32 s1, s1, 0
	s_lshr_b64 s[0:1], s[0:1], 8
	s_mov_b32 s6, s0
.LBB131_3:
	s_load_dwordx4 s[0:3], s[4:5], 0x518
	v_mov_b32_e32 v1, s35
	s_waitcnt lgkmcnt(0)
	global_load_ubyte v8, v1, s[0:1]
	s_clause 0x3
	s_load_dwordx2 s[20:21], s[4:5], 0x0
	s_load_dwordx2 s[26:27], s[4:5], 0xd0
	;; [unrolled: 1-line block ×4, first 2 shown]
	v_cmp_ne_u32_e64 s0, 0, v0
	v_cmp_eq_u32_e64 s1, 0, v0
	s_and_saveexec_b32 s36, s1
	s_cbranch_execz .LBB131_19
; %bb.4:
	s_load_dwordx2 s[18:19], s[4:5], 0x528
	s_mov_b32 s17, 0
	s_mov_b32 s37, 0
	s_lshl_b64 s[28:29], s[16:17], 2
	s_mov_b32 s16, 0
	s_add_u32 s12, s2, s28
	s_addc_u32 s13, s3, s29
	s_waitcnt lgkmcnt(0)
	s_add_u32 s14, s18, s28
	s_addc_u32 s15, s19, s29
	s_cmp_lt_u32 s7, 4
	s_cbranch_scc1 .LBB131_16
; %bb.5:
	s_mov_b32 s38, 0
.LBB131_6:                              ; =>This Inner Loop Header: Depth=1
	s_add_u32 s12, s2, s28
	s_addc_u32 s13, s3, s29
	s_add_u32 s30, s18, s28
	s_load_dwordx4 s[12:15], s[12:13], 0x0
	s_addc_u32 s31, s19, s29
	s_cmp_ge_u32 s38, s34
	s_cbranch_scc0 .LBB131_13
; %bb.7:                                ;   in Loop: Header=BB131_6 Depth=1
	s_add_i32 s39, s38, 1
	s_cmp_ge_u32 s39, s34
	s_cbranch_scc0 .LBB131_14
.LBB131_8:                              ;   in Loop: Header=BB131_6 Depth=1
	s_add_i32 s39, s39, 1
	s_cmp_ge_u32 s39, s34
	s_cbranch_scc0 .LBB131_15
.LBB131_9:                              ;   in Loop: Header=BB131_6 Depth=1
	s_add_i32 s39, s39, 1
	s_cmp_ge_u32 s39, s34
	s_cbranch_scc1 .LBB131_11
.LBB131_10:                             ;   in Loop: Header=BB131_6 Depth=1
	s_load_dword s30, s[30:31], 0xc
	s_waitcnt lgkmcnt(0)
	s_add_i32 s17, s17, s15
	s_add_i32 s16, s30, s16
.LBB131_11:                             ;   in Loop: Header=BB131_6 Depth=1
	s_waitcnt lgkmcnt(0)
	s_add_i32 s12, s12, s37
	s_add_i32 s12, s12, s13
	;; [unrolled: 1-line block ×4, first 2 shown]
	s_add_u32 s2, s2, 16
	s_addc_u32 s3, s3, 0
	s_add_u32 s18, s18, 16
	s_addc_u32 s19, s19, 0
	s_add_i32 s31, s39, 4
	s_add_u32 s14, s18, s28
	s_addc_u32 s15, s19, s29
	s_add_u32 s12, s2, s28
	s_addc_u32 s13, s3, s29
	s_add_i32 s30, s39, 1
	s_cmp_ge_u32 s31, s7
	s_cbranch_scc1 .LBB131_17
; %bb.12:                               ;   in Loop: Header=BB131_6 Depth=1
	s_mov_b32 s38, s30
	s_branch .LBB131_6
.LBB131_13:                             ;   in Loop: Header=BB131_6 Depth=1
	s_load_dword s39, s[30:31], 0x0
	s_waitcnt lgkmcnt(0)
	s_add_i32 s17, s12, s17
	s_add_i32 s16, s39, s16
	;; [unrolled: 1-line block ×3, first 2 shown]
	s_cmp_ge_u32 s39, s34
	s_cbranch_scc1 .LBB131_8
.LBB131_14:                             ;   in Loop: Header=BB131_6 Depth=1
	s_load_dword s40, s[30:31], 0x4
	s_waitcnt lgkmcnt(0)
	s_add_i32 s17, s17, s13
	s_add_i32 s16, s40, s16
	;; [unrolled: 1-line block ×3, first 2 shown]
	s_cmp_ge_u32 s39, s34
	s_cbranch_scc1 .LBB131_9
.LBB131_15:                             ;   in Loop: Header=BB131_6 Depth=1
	s_load_dword s40, s[30:31], 0x8
	s_waitcnt lgkmcnt(0)
	s_add_i32 s17, s17, s14
	s_add_i32 s16, s40, s16
	;; [unrolled: 1-line block ×3, first 2 shown]
	s_cmp_ge_u32 s39, s34
	s_cbranch_scc0 .LBB131_10
	s_branch .LBB131_11
.LBB131_16:
	s_mov_b32 s2, 0
	s_cmp_ge_u32 s2, s7
	s_cbranch_scc0 .LBB131_40
	s_branch .LBB131_18
.LBB131_17:
	s_add_i32 s2, s38, 4
	s_cmp_ge_u32 s2, s7
	s_cbranch_scc0 .LBB131_40
.LBB131_18:
	v_mov_b32_e32 v1, s16
	v_mov_b32_e32 v2, s37
	;; [unrolled: 1-line block ×4, first 2 shown]
	ds_write_b96 v4, v[1:3] offset:1056
.LBB131_19:
	s_or_b32 exec_lo, exec_lo, s36
	s_clause 0x1
	s_load_dwordx4 s[12:15], s[4:5], 0x1b8
	s_load_dwordx4 s[16:19], s[4:5], 0x360
	s_cmp_eq_u32 s6, 0
	s_waitcnt vmcnt(0) lgkmcnt(0)
	s_barrier
	buffer_gl0_inv
	s_cbranch_scc1 .LBB131_42
; %bb.20:
	v_mov_b32_e32 v5, 0
	s_mul_i32 s2, s27, s35
	s_mul_hi_u32 s3, s26, s35
	v_add_nc_u32_e32 v4, -1, v0
	s_add_i32 s7, s3, s2
	ds_read_b96 v[1:3], v5 offset:1056
	s_mul_i32 s2, s25, s35
	s_mul_hi_u32 s3, s24, s35
	s_mul_i32 s25, s26, s35
	s_add_i32 s26, s3, s2
	s_mul_i32 s2, s23, s35
	s_mul_hi_u32 s3, s22, s35
	s_mul_i32 s23, s24, s35
	s_add_i32 s3, s3, s2
	s_add_u32 s20, s20, s25
	s_mul_i32 s2, s22, s35
	s_addc_u32 s21, s21, s7
	s_add_u32 s14, s14, s23
	s_addc_u32 s15, s15, s26
	s_lshl_b64 s[2:3], s[2:3], 3
	v_lshrrev_b32_e32 v6, 3, v0
	s_add_u32 s7, s18, s2
	s_addc_u32 s18, s19, s3
	s_clause 0x1
	s_load_dword s3, s[4:5], 0x1b0
	s_load_dwordx2 s[4:5], s[4:5], 0x508
	v_lshrrev_b32_e32 v7, 3, v4
	s_waitcnt lgkmcnt(0)
	v_add_nc_u32_e32 v1, v1, v2
	v_and_b32_e32 v2, 28, v6
	v_mov_b32_e32 v9, 0x80
	v_and_b32_e32 v13, 0xfc, v0
	v_and_b32_e32 v15, 0x1ffffffc, v7
	v_mad_u64_u32 v[6:7], null, s34, s33, v[0:1]
	v_lshlrev_b32_e32 v14, 5, v0
	v_mbcnt_lo_u32_b32 v11, -1, 0
	v_add_nc_u32_sdwa v10, sext(v8), v9 dst_sel:DWORD dst_unused:UNUSED_PAD src0_sel:BYTE_0 src1_sel:DWORD
	v_lshl_add_u32 v12, v0, 2, v2
	v_cmp_gt_u32_e64 s2, 32, v0
	v_lshl_add_u32 v0, v4, 2, v15
	v_add_nc_u32_e32 v13, v13, v14
	v_and_b32_e32 v14, 15, v11
	v_bfe_i32 v15, v11, 4, 1
	v_add_nc_u32_e32 v16, -1, v11
	v_mov_b32_e32 v4, v6
	s_bitcmp1_b32 s3, 0
                                        ; implicit-def: $vgpr17
	s_cselect_b32 s3, -1, 0
	s_branch .LBB131_23
.LBB131_21:                             ;   in Loop: Header=BB131_23 Depth=1
	s_or_b32 exec_lo, exec_lo, s19
	v_add_nc_u32_e32 v1, v2, v1
.LBB131_22:                             ;   in Loop: Header=BB131_23 Depth=1
	v_add_nc_u32_e32 v3, v18, v3
	v_add_nc_u32_e32 v4, 0x100, v4
	s_add_i32 s6, s6, -1
	s_cmp_lg_u32 s6, 0
	s_cbranch_scc0 .LBB131_42
.LBB131_23:                             ; =>This Inner Loop Header: Depth=1
	v_mov_b32_e32 v2, v5
	v_mov_b32_e32 v6, v5
	s_mov_b32 s19, exec_lo
	v_cmpx_gt_u64_e64 s[8:9], v[4:5]
	s_cbranch_execz .LBB131_25
; %bb.24:                               ;   in Loop: Header=BB131_23 Depth=1
	v_mad_u64_u32 v[6:7], null, s12, v4, s[20:21]
	v_mov_b32_e32 v2, v7
	v_mad_u64_u32 v[17:18], null, s13, v4, v[2:3]
	v_mov_b32_e32 v7, v17
	global_load_ubyte v17, v[6:7], off
	s_waitcnt vmcnt(0)
	v_add_nc_u32_sdwa v2, sext(v17), v9 dst_sel:DWORD dst_unused:UNUSED_PAD src0_sel:BYTE_0 src1_sel:DWORD
	v_cmp_eq_u16_sdwa s22, v17, v8 src0_sel:DWORD src1_sel:BYTE_0
	v_cmp_gt_u32_e32 vcc_lo, v2, v10
	v_cndmask_b32_e64 v6, 0, 1, vcc_lo
	v_cmp_lt_u32_e32 vcc_lo, v2, v10
	v_cndmask_b32_e64 v2, 0, 1, vcc_lo
	v_cndmask_b32_e64 v2, v2, v6, s3
	v_cndmask_b32_e64 v6, 0, 1, s22
	v_and_b32_e32 v2, 1, v2
.LBB131_25:                             ;   in Loop: Header=BB131_23 Depth=1
	s_or_b32 exec_lo, exec_lo, s19
	ds_write_b32 v12, v2
	s_waitcnt lgkmcnt(0)
	s_barrier
	buffer_gl0_inv
	s_and_saveexec_b32 s19, s2
	s_cbranch_execz .LBB131_27
; %bb.26:                               ;   in Loop: Header=BB131_23 Depth=1
	ds_read2_b32 v[18:19], v13 offset1:1
	ds_read2_b32 v[20:21], v13 offset0:2 offset1:3
	ds_read2_b32 v[22:23], v13 offset0:4 offset1:5
	;; [unrolled: 1-line block ×3, first 2 shown]
	v_cmp_ne_u32_e32 vcc_lo, 0, v14
	; wave barrier
	s_waitcnt lgkmcnt(3)
	v_add_nc_u32_e32 v7, v19, v18
	s_waitcnt lgkmcnt(2)
	v_add3_u32 v7, v7, v20, v21
	s_waitcnt lgkmcnt(1)
	v_add3_u32 v7, v7, v22, v23
	s_waitcnt lgkmcnt(0)
	v_add3_u32 v7, v7, v24, v25
	v_mov_b32_dpp v19, v7 row_shr:1 row_mask:0xf bank_mask:0xf
	v_cndmask_b32_e32 v19, 0, v19, vcc_lo
	v_cmp_lt_u32_e32 vcc_lo, 1, v14
	v_add_nc_u32_e32 v7, v19, v7
	v_mov_b32_dpp v19, v7 row_shr:2 row_mask:0xf bank_mask:0xf
	v_cndmask_b32_e32 v19, 0, v19, vcc_lo
	v_cmp_lt_u32_e32 vcc_lo, 3, v14
	v_add_nc_u32_e32 v7, v7, v19
	;; [unrolled: 4-line block ×3, first 2 shown]
	v_mov_b32_dpp v19, v7 row_shr:8 row_mask:0xf bank_mask:0xf
	v_cndmask_b32_e32 v19, 0, v19, vcc_lo
	v_cmp_gt_i32_e32 vcc_lo, 0, v16
	v_add_nc_u32_e32 v7, v7, v19
	v_cndmask_b32_e32 v20, v16, v11, vcc_lo
	ds_swizzle_b32 v19, v7 offset:swizzle(BROADCAST,32,15)
	v_lshlrev_b32_e32 v20, 2, v20
	s_waitcnt lgkmcnt(0)
	v_and_b32_e32 v19, v15, v19
	v_add_nc_u32_e32 v7, v7, v19
	ds_bpermute_b32 v7, v20, v7
	s_waitcnt lgkmcnt(0)
	v_add_nc_u32_e32 v7, v7, v18
	v_cndmask_b32_e64 v7, v7, v2, s1
	ds_write_b32 v13, v7
	; wave barrier
	ds_read2_b32 v[18:19], v13 offset0:1 offset1:2
	ds_read2_b32 v[20:21], v13 offset0:3 offset1:4
	;; [unrolled: 1-line block ×3, first 2 shown]
	ds_read_b32 v24, v13 offset:28
	s_waitcnt lgkmcnt(3)
	v_add_nc_u32_e32 v7, v18, v7
	v_add_nc_u32_e32 v18, v19, v7
	s_waitcnt lgkmcnt(2)
	v_add_nc_u32_e32 v19, v20, v18
	v_add_nc_u32_e32 v20, v21, v19
	;; [unrolled: 3-line block ×3, first 2 shown]
	s_waitcnt lgkmcnt(0)
	v_add_nc_u32_e32 v23, v24, v22
	ds_write2_b32 v13, v7, v18 offset0:1 offset1:2
	ds_write2_b32 v13, v19, v20 offset0:3 offset1:4
	ds_write2_b32 v13, v21, v22 offset0:5 offset1:6
	ds_write_b32 v13, v23 offset:28
.LBB131_27:                             ;   in Loop: Header=BB131_23 Depth=1
	s_or_b32 exec_lo, exec_lo, s19
	v_mov_b32_e32 v7, 0
	s_waitcnt lgkmcnt(0)
	s_barrier
	buffer_gl0_inv
	s_and_saveexec_b32 s19, s0
; %bb.28:                               ;   in Loop: Header=BB131_23 Depth=1
	ds_read_b32 v7, v0
; %bb.29:                               ;   in Loop: Header=BB131_23 Depth=1
	s_or_b32 exec_lo, exec_lo, s19
	ds_read_b32 v18, v5 offset:1048
	s_mov_b32 s19, exec_lo
	s_waitcnt lgkmcnt(0)
	s_barrier
	buffer_gl0_inv
	v_cmpx_ne_u32_e32 0, v2
	s_cbranch_execz .LBB131_31
; %bb.30:                               ;   in Loop: Header=BB131_23 Depth=1
	v_add_nc_u32_e32 v7, v7, v3
	v_mad_u64_u32 v[19:20], null, s4, v7, 0
	v_mad_u64_u32 v[21:22], null, s16, v7, s[14:15]
	v_mov_b32_e32 v2, v20
	v_mad_u64_u32 v[23:24], null, s5, v7, v[2:3]
	v_mov_b32_e32 v2, v22
	v_mov_b32_e32 v20, v23
	v_mad_u64_u32 v[22:23], null, s17, v7, v[2:3]
	v_lshlrev_b64 v[19:20], 3, v[19:20]
	v_add_co_u32 v19, vcc_lo, s7, v19
	v_add_co_ci_u32_e64 v20, null, s18, v20, vcc_lo
	global_store_byte v[21:22], v17, off
	global_store_dwordx2 v[19:20], v[4:5], off
.LBB131_31:                             ;   in Loop: Header=BB131_23 Depth=1
	s_or_b32 exec_lo, exec_lo, s19
	v_mov_b32_e32 v2, v5
	v_cmp_le_u64_e32 vcc_lo, s[10:11], v[1:2]
	s_cbranch_vccnz .LBB131_22
; %bb.32:                               ;   in Loop: Header=BB131_23 Depth=1
	ds_write_b32 v12, v6
	s_waitcnt lgkmcnt(0)
	s_waitcnt_vscnt null, 0x0
	s_barrier
	buffer_gl0_inv
	s_and_saveexec_b32 s19, s2
	s_cbranch_execz .LBB131_34
; %bb.33:                               ;   in Loop: Header=BB131_23 Depth=1
	ds_read2_b32 v[19:20], v13 offset1:1
	ds_read2_b32 v[21:22], v13 offset0:2 offset1:3
	ds_read2_b32 v[23:24], v13 offset0:4 offset1:5
	;; [unrolled: 1-line block ×3, first 2 shown]
	v_cmp_ne_u32_e32 vcc_lo, 0, v14
	; wave barrier
	s_waitcnt lgkmcnt(3)
	v_add_nc_u32_e32 v2, v20, v19
	s_waitcnt lgkmcnt(2)
	v_add3_u32 v2, v2, v21, v22
	s_waitcnt lgkmcnt(1)
	v_add3_u32 v2, v2, v23, v24
	;; [unrolled: 2-line block ×3, first 2 shown]
	v_mov_b32_dpp v7, v2 row_shr:1 row_mask:0xf bank_mask:0xf
	v_cndmask_b32_e32 v7, 0, v7, vcc_lo
	v_cmp_lt_u32_e32 vcc_lo, 1, v14
	v_add_nc_u32_e32 v2, v7, v2
	v_mov_b32_dpp v7, v2 row_shr:2 row_mask:0xf bank_mask:0xf
	v_cndmask_b32_e32 v7, 0, v7, vcc_lo
	v_cmp_lt_u32_e32 vcc_lo, 3, v14
	v_add_nc_u32_e32 v2, v2, v7
	;; [unrolled: 4-line block ×3, first 2 shown]
	v_mov_b32_dpp v7, v2 row_shr:8 row_mask:0xf bank_mask:0xf
	v_cndmask_b32_e32 v7, 0, v7, vcc_lo
	v_cmp_gt_i32_e32 vcc_lo, 0, v16
	v_add_nc_u32_e32 v2, v2, v7
	v_cndmask_b32_e32 v20, v16, v11, vcc_lo
	ds_swizzle_b32 v7, v2 offset:swizzle(BROADCAST,32,15)
	v_lshlrev_b32_e32 v20, 2, v20
	s_waitcnt lgkmcnt(0)
	v_and_b32_e32 v7, v15, v7
	v_add_nc_u32_e32 v2, v2, v7
	ds_bpermute_b32 v2, v20, v2
	s_waitcnt lgkmcnt(0)
	v_add_nc_u32_e32 v2, v2, v19
	v_cndmask_b32_e64 v2, v2, v6, s1
	ds_write_b32 v13, v2
	; wave barrier
	ds_read2_b32 v[19:20], v13 offset0:1 offset1:2
	ds_read2_b32 v[21:22], v13 offset0:3 offset1:4
	;; [unrolled: 1-line block ×3, first 2 shown]
	ds_read_b32 v7, v13 offset:28
	s_waitcnt lgkmcnt(3)
	v_add_nc_u32_e32 v2, v19, v2
	v_add_nc_u32_e32 v19, v20, v2
	s_waitcnt lgkmcnt(2)
	v_add_nc_u32_e32 v20, v21, v19
	v_add_nc_u32_e32 v21, v22, v20
	s_waitcnt lgkmcnt(1)
	v_add_nc_u32_e32 v22, v23, v21
	v_add_nc_u32_e32 v23, v24, v22
	s_waitcnt lgkmcnt(0)
	v_add_nc_u32_e32 v7, v7, v23
	ds_write2_b32 v13, v2, v19 offset0:1 offset1:2
	ds_write2_b32 v13, v20, v21 offset0:3 offset1:4
	;; [unrolled: 1-line block ×3, first 2 shown]
	ds_write_b32 v13, v7 offset:28
.LBB131_34:                             ;   in Loop: Header=BB131_23 Depth=1
	s_or_b32 exec_lo, exec_lo, s19
	v_mov_b32_e32 v7, 0
	s_waitcnt lgkmcnt(0)
	s_barrier
	buffer_gl0_inv
	s_and_saveexec_b32 s19, s0
; %bb.35:                               ;   in Loop: Header=BB131_23 Depth=1
	ds_read_b32 v7, v0
; %bb.36:                               ;   in Loop: Header=BB131_23 Depth=1
	s_or_b32 exec_lo, exec_lo, s19
	ds_read_b32 v2, v5 offset:1048
	s_mov_b32 s19, exec_lo
	s_waitcnt lgkmcnt(0)
	s_barrier
	buffer_gl0_inv
	v_cmpx_ne_u32_e32 0, v6
	s_cbranch_execz .LBB131_21
; %bb.37:                               ;   in Loop: Header=BB131_23 Depth=1
	v_add_nc_u32_e32 v6, v7, v1
	v_mov_b32_e32 v7, v5
	v_cmp_gt_u64_e32 vcc_lo, s[10:11], v[6:7]
	s_and_b32 exec_lo, exec_lo, vcc_lo
	s_cbranch_execz .LBB131_21
; %bb.38:                               ;   in Loop: Header=BB131_23 Depth=1
	v_mad_u64_u32 v[19:20], null, s4, v6, 0
	v_mad_u64_u32 v[21:22], null, s16, v6, s[14:15]
	v_mov_b32_e32 v7, v20
	v_mad_u64_u32 v[23:24], null, s5, v6, v[7:8]
	v_mov_b32_e32 v7, v22
	;; [unrolled: 2-line block ×3, first 2 shown]
	v_lshlrev_b64 v[19:20], 3, v[19:20]
	v_mov_b32_e32 v22, v6
	v_add_co_u32 v6, vcc_lo, s7, v19
	v_add_co_ci_u32_e64 v7, null, s18, v20, vcc_lo
	global_store_byte v[21:22], v17, off
	global_store_dwordx2 v[6:7], v[4:5], off
	s_branch .LBB131_21
	.p2align	6
.LBB131_39:                             ;   in Loop: Header=BB131_40 Depth=1
	s_add_u32 s12, s12, 4
	s_addc_u32 s13, s13, 0
	s_waitcnt lgkmcnt(0)
	s_add_i32 s37, s3, s37
	s_add_u32 s14, s14, 4
	s_addc_u32 s15, s15, 0
	s_add_i32 s2, s2, 1
	s_cmp_lt_u32 s2, s7
	s_cbranch_scc0 .LBB131_18
.LBB131_40:                             ; =>This Inner Loop Header: Depth=1
	s_load_dword s3, s[12:13], 0x0
	s_cmp_ge_u32 s2, s34
	s_cbranch_scc1 .LBB131_39
; %bb.41:                               ;   in Loop: Header=BB131_40 Depth=1
	s_load_dword s18, s[14:15], 0x0
	s_waitcnt lgkmcnt(0)
	s_add_i32 s17, s3, s17
	s_add_i32 s16, s18, s16
	s_branch .LBB131_39
.LBB131_42:
	s_endpgm
	.section	.rodata,"a",@progbits
	.p2align	6, 0x0
	.amdhsa_kernel _ZN2at6native6mbtopk10gatherTopKIamLi1EEEvNS_4cuda6detail10TensorInfoIKT_T0_EES8_S8_bjS8_NS5_IS6_S8_EES8_NS5_IlS8_EES8_jjPS6_PjSD_j
		.amdhsa_group_segment_fixed_size 1068
		.amdhsa_private_segment_fixed_size 0
		.amdhsa_kernarg_size 1592
		.amdhsa_user_sgpr_count 6
		.amdhsa_user_sgpr_private_segment_buffer 1
		.amdhsa_user_sgpr_dispatch_ptr 0
		.amdhsa_user_sgpr_queue_ptr 0
		.amdhsa_user_sgpr_kernarg_segment_ptr 1
		.amdhsa_user_sgpr_dispatch_id 0
		.amdhsa_user_sgpr_flat_scratch_init 0
		.amdhsa_user_sgpr_private_segment_size 0
		.amdhsa_wavefront_size32 1
		.amdhsa_uses_dynamic_stack 0
		.amdhsa_system_sgpr_private_segment_wavefront_offset 0
		.amdhsa_system_sgpr_workgroup_id_x 1
		.amdhsa_system_sgpr_workgroup_id_y 1
		.amdhsa_system_sgpr_workgroup_id_z 1
		.amdhsa_system_sgpr_workgroup_info 0
		.amdhsa_system_vgpr_workitem_id 0
		.amdhsa_next_free_vgpr 27
		.amdhsa_next_free_sgpr 41
		.amdhsa_reserve_vcc 1
		.amdhsa_reserve_flat_scratch 0
		.amdhsa_float_round_mode_32 0
		.amdhsa_float_round_mode_16_64 0
		.amdhsa_float_denorm_mode_32 3
		.amdhsa_float_denorm_mode_16_64 3
		.amdhsa_dx10_clamp 1
		.amdhsa_ieee_mode 1
		.amdhsa_fp16_overflow 0
		.amdhsa_workgroup_processor_mode 1
		.amdhsa_memory_ordered 1
		.amdhsa_forward_progress 1
		.amdhsa_shared_vgpr_count 0
		.amdhsa_exception_fp_ieee_invalid_op 0
		.amdhsa_exception_fp_denorm_src 0
		.amdhsa_exception_fp_ieee_div_zero 0
		.amdhsa_exception_fp_ieee_overflow 0
		.amdhsa_exception_fp_ieee_underflow 0
		.amdhsa_exception_fp_ieee_inexact 0
		.amdhsa_exception_int_div_zero 0
	.end_amdhsa_kernel
	.section	.text._ZN2at6native6mbtopk10gatherTopKIamLi1EEEvNS_4cuda6detail10TensorInfoIKT_T0_EES8_S8_bjS8_NS5_IS6_S8_EES8_NS5_IlS8_EES8_jjPS6_PjSD_j,"axG",@progbits,_ZN2at6native6mbtopk10gatherTopKIamLi1EEEvNS_4cuda6detail10TensorInfoIKT_T0_EES8_S8_bjS8_NS5_IS6_S8_EES8_NS5_IlS8_EES8_jjPS6_PjSD_j,comdat
.Lfunc_end131:
	.size	_ZN2at6native6mbtopk10gatherTopKIamLi1EEEvNS_4cuda6detail10TensorInfoIKT_T0_EES8_S8_bjS8_NS5_IS6_S8_EES8_NS5_IlS8_EES8_jjPS6_PjSD_j, .Lfunc_end131-_ZN2at6native6mbtopk10gatherTopKIamLi1EEEvNS_4cuda6detail10TensorInfoIKT_T0_EES8_S8_bjS8_NS5_IS6_S8_EES8_NS5_IlS8_EES8_jjPS6_PjSD_j
                                        ; -- End function
	.set _ZN2at6native6mbtopk10gatherTopKIamLi1EEEvNS_4cuda6detail10TensorInfoIKT_T0_EES8_S8_bjS8_NS5_IS6_S8_EES8_NS5_IlS8_EES8_jjPS6_PjSD_j.num_vgpr, 27
	.set _ZN2at6native6mbtopk10gatherTopKIamLi1EEEvNS_4cuda6detail10TensorInfoIKT_T0_EES8_S8_bjS8_NS5_IS6_S8_EES8_NS5_IlS8_EES8_jjPS6_PjSD_j.num_agpr, 0
	.set _ZN2at6native6mbtopk10gatherTopKIamLi1EEEvNS_4cuda6detail10TensorInfoIKT_T0_EES8_S8_bjS8_NS5_IS6_S8_EES8_NS5_IlS8_EES8_jjPS6_PjSD_j.numbered_sgpr, 41
	.set _ZN2at6native6mbtopk10gatherTopKIamLi1EEEvNS_4cuda6detail10TensorInfoIKT_T0_EES8_S8_bjS8_NS5_IS6_S8_EES8_NS5_IlS8_EES8_jjPS6_PjSD_j.num_named_barrier, 0
	.set _ZN2at6native6mbtopk10gatherTopKIamLi1EEEvNS_4cuda6detail10TensorInfoIKT_T0_EES8_S8_bjS8_NS5_IS6_S8_EES8_NS5_IlS8_EES8_jjPS6_PjSD_j.private_seg_size, 0
	.set _ZN2at6native6mbtopk10gatherTopKIamLi1EEEvNS_4cuda6detail10TensorInfoIKT_T0_EES8_S8_bjS8_NS5_IS6_S8_EES8_NS5_IlS8_EES8_jjPS6_PjSD_j.uses_vcc, 1
	.set _ZN2at6native6mbtopk10gatherTopKIamLi1EEEvNS_4cuda6detail10TensorInfoIKT_T0_EES8_S8_bjS8_NS5_IS6_S8_EES8_NS5_IlS8_EES8_jjPS6_PjSD_j.uses_flat_scratch, 0
	.set _ZN2at6native6mbtopk10gatherTopKIamLi1EEEvNS_4cuda6detail10TensorInfoIKT_T0_EES8_S8_bjS8_NS5_IS6_S8_EES8_NS5_IlS8_EES8_jjPS6_PjSD_j.has_dyn_sized_stack, 0
	.set _ZN2at6native6mbtopk10gatherTopKIamLi1EEEvNS_4cuda6detail10TensorInfoIKT_T0_EES8_S8_bjS8_NS5_IS6_S8_EES8_NS5_IlS8_EES8_jjPS6_PjSD_j.has_recursion, 0
	.set _ZN2at6native6mbtopk10gatherTopKIamLi1EEEvNS_4cuda6detail10TensorInfoIKT_T0_EES8_S8_bjS8_NS5_IS6_S8_EES8_NS5_IlS8_EES8_jjPS6_PjSD_j.has_indirect_call, 0
	.section	.AMDGPU.csdata,"",@progbits
; Kernel info:
; codeLenInByte = 2320
; TotalNumSgprs: 43
; NumVgprs: 27
; ScratchSize: 0
; MemoryBound: 0
; FloatMode: 240
; IeeeMode: 1
; LDSByteSize: 1068 bytes/workgroup (compile time only)
; SGPRBlocks: 0
; VGPRBlocks: 3
; NumSGPRsForWavesPerEU: 43
; NumVGPRsForWavesPerEU: 27
; Occupancy: 16
; WaveLimiterHint : 1
; COMPUTE_PGM_RSRC2:SCRATCH_EN: 0
; COMPUTE_PGM_RSRC2:USER_SGPR: 6
; COMPUTE_PGM_RSRC2:TRAP_HANDLER: 0
; COMPUTE_PGM_RSRC2:TGID_X_EN: 1
; COMPUTE_PGM_RSRC2:TGID_Y_EN: 1
; COMPUTE_PGM_RSRC2:TGID_Z_EN: 1
; COMPUTE_PGM_RSRC2:TIDIG_COMP_CNT: 0
	.section	.text._ZN2at6native6sbtopk10gatherTopKIamLi1ELb0EEEvNS_4cuda6detail10TensorInfoIKT_T0_EES8_S8_bS8_S8_NS5_IS6_S8_EES8_NS5_IlS8_EES8_PS6_,"axG",@progbits,_ZN2at6native6sbtopk10gatherTopKIamLi1ELb0EEEvNS_4cuda6detail10TensorInfoIKT_T0_EES8_S8_bS8_S8_NS5_IS6_S8_EES8_NS5_IlS8_EES8_PS6_,comdat
	.protected	_ZN2at6native6sbtopk10gatherTopKIamLi1ELb0EEEvNS_4cuda6detail10TensorInfoIKT_T0_EES8_S8_bS8_S8_NS5_IS6_S8_EES8_NS5_IlS8_EES8_PS6_ ; -- Begin function _ZN2at6native6sbtopk10gatherTopKIamLi1ELb0EEEvNS_4cuda6detail10TensorInfoIKT_T0_EES8_S8_bS8_S8_NS5_IS6_S8_EES8_NS5_IlS8_EES8_PS6_
	.globl	_ZN2at6native6sbtopk10gatherTopKIamLi1ELb0EEEvNS_4cuda6detail10TensorInfoIKT_T0_EES8_S8_bS8_S8_NS5_IS6_S8_EES8_NS5_IlS8_EES8_PS6_
	.p2align	8
	.type	_ZN2at6native6sbtopk10gatherTopKIamLi1ELb0EEEvNS_4cuda6detail10TensorInfoIKT_T0_EES8_S8_bS8_S8_NS5_IS6_S8_EES8_NS5_IlS8_EES8_PS6_,@function
_ZN2at6native6sbtopk10gatherTopKIamLi1ELb0EEEvNS_4cuda6detail10TensorInfoIKT_T0_EES8_S8_bS8_S8_NS5_IS6_S8_EES8_NS5_IlS8_EES8_PS6_: ; @_ZN2at6native6sbtopk10gatherTopKIamLi1ELb0EEEvNS_4cuda6detail10TensorInfoIKT_T0_EES8_S8_bS8_S8_NS5_IS6_S8_EES8_NS5_IlS8_EES8_PS6_
; %bb.0:
	s_clause 0x1
	s_load_dwordx2 s[14:15], s[4:5], 0x520
	s_load_dwordx4 s[36:39], s[4:5], 0x1b8
	s_add_u32 s12, s4, 0x520
	s_addc_u32 s13, s5, 0
	s_mov_b32 s41, 0
	s_waitcnt lgkmcnt(0)
	s_mul_i32 s0, s15, s8
	s_add_i32 s0, s0, s7
	s_mul_i32 s0, s0, s14
	s_add_i32 s40, s0, s6
	v_cmp_le_u64_e64 s0, s[36:37], s[40:41]
	s_and_b32 vcc_lo, exec_lo, s0
	s_cbranch_vccnz .LBB132_472
; %bb.1:
	s_load_dwordx2 s[0:1], s[4:5], 0x440
                                        ; implicit-def: $vgpr58 : SGPR spill to VGPR lane
	v_cmp_eq_u32_e64 s3, 0, v0
	s_waitcnt lgkmcnt(0)
	v_writelane_b32 v58, s0, 0
	v_writelane_b32 v58, s1, 1
	s_load_dwordx2 s[0:1], s[4:5], 0x370
	s_waitcnt lgkmcnt(0)
	v_writelane_b32 v58, s0, 2
	v_writelane_b32 v58, s1, 3
	s_clause 0x1
	s_load_dwordx4 s[28:31], s[4:5], 0x1a0
	s_load_dwordx2 s[0:1], s[4:5], 0x1c8
	s_waitcnt lgkmcnt(0)
	v_writelane_b32 v58, s0, 4
	v_writelane_b32 v58, s1, 5
	s_clause 0x1
	s_load_dwordx2 s[0:1], s[4:5], 0xd0
	s_load_dwordx2 s[34:35], s[4:5], 0x0
	s_and_saveexec_b32 s2, s3
	s_cbranch_execz .LBB132_3
; %bb.2:
	v_mov_b32_e32 v1, 0
	v_mov_b32_e32 v3, s28
	;; [unrolled: 1-line block ×4, first 2 shown]
	ds_write_b32 v1, v1 offset:5144
	ds_write_b128 v1, v[1:4] offset:5120
.LBB132_3:
	s_or_b32 exec_lo, exec_lo, s2
	s_load_dword s2, s[4:5], 0x1b0
	v_mad_u64_u32 v[4:5], null, s38, v0, 0
	v_mbcnt_lo_u32_b32 v31, -1, 0
	s_waitcnt lgkmcnt(0)
	s_mul_i32 s1, s1, s40
	s_mul_hi_u32 s7, s0, s40
	s_mul_i32 s73, s0, s40
	v_cmp_gt_u32_e32 vcc_lo, 32, v0
	s_add_i32 s74, s7, s1
	v_mov_b32_e32 v1, v5
	v_cmp_gt_i32_e64 s1, 4, v31
	s_add_u32 s50, s34, s73
	s_addc_u32 s51, s35, s74
	v_mad_u64_u32 v[2:3], null, s39, v0, v[1:2]
	v_mov_b32_e32 v3, 0
	s_barrier
	buffer_gl0_inv
	s_load_dword s8, s[12:13], 0xc
	s_bitcmp1_b32 s2, 0
	v_lshlrev_b64 v[6:7], v31, -1
	s_cselect_b32 s2, -1, 0
	s_and_b32 s76, vcc_lo, s1
	v_add_co_u32 v12, vcc_lo, s50, v4
	v_mov_b32_e32 v5, v2
	v_add_co_ci_u32_e64 v13, null, s51, v2, vcc_lo
	v_add_nc_u32_e32 v2, 2, v0
	v_lshlrev_b32_e32 v14, 2, v0
	v_not_b32_e32 v30, v6
	v_not_b32_e32 v6, v0
	s_xor_b32 s75, s2, -1
	v_cmp_gt_u64_e32 vcc_lo, s[28:29], v[2:3]
	v_or_b32_e32 v8, 3, v14
	v_or_b32_e32 v10, 2, v14
	v_mad_u64_u32 v[23:24], null, s38, v14, s[38:39]
	s_waitcnt lgkmcnt(0)
	s_and_b32 s33, s8, 0xffff
	v_cndmask_b32_e64 v2, v2, s28, vcc_lo
	v_cndmask_b32_e64 v7, 0, s29, vcc_lo
	v_mad_u64_u32 v[19:20], null, s38, v8, 0
	s_bfe_u32 s7, s33, 0x80008
	v_add_co_u32 v6, vcc_lo, v2, v6
	v_add_co_ci_u32_e64 v7, null, -1, v7, vcc_lo
	s_lshl_b32 s78, s7, 3
	v_and_b32_e32 v16, -4, v6
	s_bfe_u32 s9, s8, 0xb0005
	s_cmp_gt_u32 s33, 31
	v_mad_u64_u32 v[21:22], null, s38, v10, 0
	v_add_co_u32 v18, vcc_lo, v16, v0
	v_add_co_ci_u32_e64 v2, null, 0, v7, vcc_lo
	s_cselect_b32 s79, -1, 0
	s_add_u32 s80, s33, -1
	v_mov_b32_e32 v2, v20
	s_addc_u32 s81, 0, -1
	s_add_u32 s82, s80, s28
	s_addc_u32 s53, s81, s29
	v_mov_b32_e32 v17, v7
	s_cmp_lt_u32 s6, s14
	v_mad_u64_u32 v[8:9], null, s39, v8, v[2:3]
	s_movk_i32 s6, 0x3e0
	s_cselect_b32 s7, 12, 18
	v_and_or_b32 v32, v0, s6, 0xc00
	s_add_u32 s54, s12, s7
	v_cmp_lt_u64_e64 s7, 3, v[6:7]
	v_cmp_ne_u64_e64 s6, v[6:7], v[16:17]
	v_mov_b32_e32 v6, v22
	v_mov_b32_e32 v7, v24
	;; [unrolled: 1-line block ×3, first 2 shown]
	s_addc_u32 s55, s13, 0
	s_add_i32 s9, s9, -1
	v_writelane_b32 v58, s6, 6
	v_mad_u64_u32 v[9:10], null, s39, v10, v[6:7]
	v_mad_u64_u32 v[6:7], null, s39, v14, v[7:8]
	s_and_b32 s6, s9, 0xffff
	s_bfe_u32 s89, s33, 0x30005
	v_cmp_lt_u64_e64 s77, 0xc00, s[28:29]
	v_cmp_gt_u64_e64 s1, s[28:29], v[0:1]
	s_cmp_gt_u32 s6, 6
	v_lshlrev_b64 v[24:25], 2, v[4:5]
	v_mov_b32_e32 v26, s30
	v_cmp_eq_u32_e64 s0, 0, v31
	v_mov_b32_e32 v15, v3
	v_cmp_gt_u32_e64 s10, 2, v0
	v_mov_b32_e32 v22, v8
	v_mov_b32_e32 v33, v9
	;; [unrolled: 1-line block ×3, first 2 shown]
	v_lshl_or_b32 v35, v31, 3, 0xc00
	v_mov_b32_e32 v27, s31
	v_mov_b32_e32 v36, 0x80
	;; [unrolled: 1-line block ×6, first 2 shown]
	s_cselect_b32 s90, -1, 0
	s_cmp_lg_u32 s89, 0
	s_mul_i32 s6, s39, s33
	s_mul_hi_u32 s9, s38, s33
	s_mov_b32 s49, 0
	s_mov_b32 s83, s38
	s_mov_b32 s84, s39
	s_mov_b32 s85, s38
	s_mov_b32 s86, s39
	s_mov_b32 s87, s38
	s_mov_b32 s88, s39
	s_mov_b32 s92, 6
	s_cselect_b32 s91, -1, 0
	s_lshl_b64 s[56:57], s[38:39], 2
	s_add_i32 s41, s9, s6
	s_mul_i32 s72, s38, s33
	s_mov_b32 s93, 0
	s_mov_b32 s95, 0
                                        ; implicit-def: $sgpr94
                                        ; implicit-def: $sgpr98
                                        ; implicit-def: $sgpr97
                                        ; implicit-def: $sgpr99
                                        ; implicit-def: $sgpr96
                                        ; implicit-def: $sgpr37
                                        ; implicit-def: $sgpr44
                                        ; implicit-def: $sgpr104
                                        ; implicit-def: $sgpr36
                                        ; implicit-def: $vcc_hi
	s_branch .LBB132_6
.LBB132_4:                              ;   in Loop: Header=BB132_6 Depth=1
	s_or_b32 exec_lo, exec_lo, s12
	v_mov_b32_e32 v27, v5
	v_mov_b32_e32 v26, v4
	s_andn2_b32 s8, vcc_hi, exec_lo
	s_and_b32 s11, s11, exec_lo
	s_andn2_b32 s36, s36, exec_lo
	s_or_b32 vcc_hi, s8, s11
	s_andn2_b32 s104, s104, exec_lo
	s_andn2_b32 s44, s44, exec_lo
	;; [unrolled: 1-line block ×3, first 2 shown]
	s_orn2_b32 s11, s9, exec_lo
.LBB132_5:                              ;   in Loop: Header=BB132_6 Depth=1
	s_or_b32 exec_lo, exec_lo, s6
	s_and_b32 s6, exec_lo, s11
	s_or_b32 s93, s6, s93
	s_andn2_b32 s6, s96, exec_lo
	s_and_b32 s9, vcc_hi, exec_lo
	s_andn2_b32 s11, s99, exec_lo
	s_or_b32 s96, s6, s9
	s_and_b32 s6, s36, exec_lo
	s_andn2_b32 s9, s97, exec_lo
	s_and_b32 s12, s104, exec_lo
	s_or_b32 s99, s11, s6
	s_or_b32 s97, s9, s12
	s_andn2_b32 s6, s98, exec_lo
	s_and_b32 s9, s44, exec_lo
	s_andn2_b32 s11, s94, exec_lo
	s_and_b32 s12, s37, exec_lo
	s_or_b32 s98, s6, s9
	s_or_b32 s94, s11, s12
	s_andn2_b32 exec_lo, exec_lo, s93
	s_cbranch_execz .LBB132_468
.LBB132_6:                              ; =>This Loop Header: Depth=1
                                        ;     Child Loop BB132_11 Depth 2
                                        ;     Child Loop BB132_25 Depth 2
	;; [unrolled: 1-line block ×25, first 2 shown]
	ds_read_b128 v[4:7], v3 offset:5120
	s_waitcnt lgkmcnt(0)
	v_readfirstlane_b32 s59, v5
	v_readfirstlane_b32 s58, v4
	s_cmp_lg_u64 s[58:59], 0
	s_cbranch_scc1 .LBB132_38
; %bb.7:                                ;   in Loop: Header=BB132_6 Depth=1
	s_and_b32 vcc_lo, exec_lo, s77
	s_cbranch_vccz .LBB132_19
; %bb.8:                                ;   in Loop: Header=BB132_6 Depth=1
	v_cmp_gt_u64_e32 vcc_lo, 0xc01, v[6:7]
	s_mov_b32 s11, 0
	s_mov_b32 s6, 0
	s_cbranch_vccz .LBB132_20
; %bb.9:                                ;   in Loop: Header=BB132_6 Depth=1
	global_load_ushort v4, v3, s[54:55]
	global_load_ubyte v8, v[12:13], off
	s_mov_b32 s13, 0
	s_waitcnt vmcnt(1)
	v_and_b32_e32 v2, 0xffff, v4
	v_add_co_u32 v5, s6, v0, v2
	v_add_co_ci_u32_e64 v6, null, 0, 0, s6
	v_readfirstlane_b32 s6, v4
	v_mul_lo_u32 v7, s39, v5
	v_mad_u64_u32 v[4:5], null, s38, v5, s[50:51]
	v_mul_lo_u32 v6, s38, v6
	s_and_b32 s6, 0xffff, s6
	s_mul_i32 s9, s39, s6
	s_mul_hi_u32 s12, s38, s6
	s_mul_i32 s14, s38, s6
	s_add_i32 s12, s12, s9
	v_add3_u32 v5, v7, v5, v6
	v_mov_b32_e32 v7, v1
	v_mov_b32_e32 v6, v0
	s_branch .LBB132_11
.LBB132_10:                             ;   in Loop: Header=BB132_11 Depth=2
	s_or_b32 exec_lo, exec_lo, s9
	v_add_co_u32 v4, vcc_lo, v4, s14
	v_add_co_ci_u32_e64 v5, null, s12, v5, vcc_lo
	v_mov_b32_e32 v8, v9
	s_andn2_b32 exec_lo, exec_lo, s13
	s_cbranch_execz .LBB132_92
.LBB132_11:                             ;   Parent Loop BB132_6 Depth=1
                                        ; =>  This Inner Loop Header: Depth=2
	v_add_co_u32 v6, vcc_lo, v6, v2
	v_add_co_ci_u32_e64 v7, null, 0, v7, vcc_lo
	s_waitcnt lgkmcnt(0)
	v_mov_b32_e32 v10, 0
	v_mov_b32_e32 v9, 0
	s_mov_b32 s9, exec_lo
	v_cmp_le_u64_e32 vcc_lo, s[28:29], v[6:7]
	v_cmpx_gt_u64_e64 s[28:29], v[6:7]
	s_cbranch_execz .LBB132_13
; %bb.12:                               ;   in Loop: Header=BB132_11 Depth=2
	global_load_ubyte v9, v[4:5], off
.LBB132_13:                             ;   in Loop: Header=BB132_11 Depth=2
	s_or_b32 exec_lo, exec_lo, s9
	s_waitcnt vmcnt(0)
	v_add_nc_u32_sdwa v11, sext(v8), v36 dst_sel:DWORD dst_unused:UNUSED_PAD src0_sel:BYTE_0 src1_sel:DWORD
	v_and_b32_e32 v11, v11, v38
	v_cmp_eq_u32_e64 s6, v11, v20
	s_cmp_lg_u32 s6, 0
	s_cselect_b32 s9, -1, 0
	s_and_b32 s9, s0, s9
	s_and_saveexec_b32 s15, s9
	s_cbranch_execz .LBB132_17
; %bb.14:                               ;   in Loop: Header=BB132_11 Depth=2
	s_mov_b32 s18, exec_lo
	s_bcnt1_i32_b32 s16, s6
	v_mbcnt_lo_u32_b32 v10, s18, 0
	s_mov_b32 s17, exec_lo
                                        ; implicit-def: $vgpr11
	v_cmpx_eq_u32_e32 0, v10
; %bb.15:                               ;   in Loop: Header=BB132_11 Depth=2
	s_bcnt1_i32_b32 s9, s18
	s_mul_i32 s9, s16, s9
	v_mov_b32_e32 v11, s9
	ds_add_rtn_u32 v11, v3, v11 offset:5144
; %bb.16:                               ;   in Loop: Header=BB132_11 Depth=2
	s_or_b32 exec_lo, exec_lo, s17
	s_waitcnt lgkmcnt(0)
	v_readfirstlane_b32 s9, v11
	v_mad_u32_u24 v10, s16, v10, s9
.LBB132_17:                             ;   in Loop: Header=BB132_11 Depth=2
	s_or_b32 exec_lo, exec_lo, s15
	ds_bpermute_b32 v10, v3, v10
	s_and_b32 s9, exec_lo, vcc_lo
	s_or_b32 s13, s9, s13
	s_and_saveexec_b32 s9, s6
	s_cbranch_execz .LBB132_10
; %bb.18:                               ;   in Loop: Header=BB132_11 Depth=2
	v_and_b32_e32 v11, s6, v30
	s_waitcnt lgkmcnt(0)
	v_bcnt_u32_b32 v10, v11, v10
	ds_write_b8 v10, v8
	s_branch .LBB132_10
.LBB132_19:                             ;   in Loop: Header=BB132_6 Depth=1
	s_mov_b32 s11, -1
	s_mov_b32 s6, 0
.LBB132_20:                             ;   in Loop: Header=BB132_6 Depth=1
	s_and_b32 vcc_lo, exec_lo, s11
	s_cbranch_vccz .LBB132_36
.LBB132_21:                             ;   in Loop: Header=BB132_6 Depth=1
	s_and_saveexec_b32 s11, s1
	s_cbranch_execz .LBB132_33
; %bb.22:                               ;   in Loop: Header=BB132_6 Depth=1
	global_load_ushort v4, v3, s[54:55]
	global_load_ubyte v40, v[12:13], off
	v_mov_b32_e32 v8, v0
	s_mov_b32 s12, exec_lo
	s_waitcnt vmcnt(1)
	v_add_nc_u32_sdwa v2, v4, v0 dst_sel:DWORD dst_unused:UNUSED_PAD src0_sel:WORD_0 src1_sel:DWORD
	v_readfirstlane_b32 s6, v4
	v_cmpx_gt_u64_e64 s[28:29], v[2:3]
	s_cbranch_execz .LBB132_32
; %bb.23:                               ;   in Loop: Header=BB132_6 Depth=1
	s_and_b32 s13, s6, 0xffff
	v_mov_b32_e32 v7, v1
	s_cmp_eq_u32 s13, 1
	v_mov_b32_e32 v5, v3
	v_mov_b32_e32 v6, v0
	;; [unrolled: 1-line block ×3, first 2 shown]
	s_cselect_b32 s6, -1, 0
                                        ; implicit-def: $vgpr8_vgpr9
	s_and_b32 s9, s7, s6
	s_mov_b32 s6, -1
	s_and_saveexec_b32 s14, s9
	s_cbranch_execz .LBB132_27
; %bb.24:                               ;   in Loop: Header=BB132_6 Depth=1
	v_add_co_u32 v8, s6, v2, 3
	v_add_co_ci_u32_e64 v9, null, 0, 0, s6
	v_add_co_u32 v6, s6, v2, 2
	v_add_co_ci_u32_e64 v7, null, 0, 0, s6
	;; [unrolled: 2-line block ×3, first 2 shown]
	v_mov_b32_e32 v29, v17
	v_mov_b32_e32 v11, v9
	s_waitcnt vmcnt(0)
	v_lshlrev_b32_e32 v42, 24, v40
	v_mov_b32_e32 v28, v16
	v_mov_b32_e32 v41, v0
	;; [unrolled: 1-line block ×9, first 2 shown]
	s_mov_b32 s15, 0
.LBB132_25:                             ;   Parent Loop BB132_6 Depth=1
                                        ; =>  This Inner Loop Header: Depth=2
	v_mul_lo_u32 v52, v7, s38
	v_mul_lo_u32 v53, v6, s39
	v_mad_u64_u32 v[45:46], null, v6, s38, 0
	v_mul_lo_u32 v40, v9, s85
	v_mul_lo_u32 v51, v8, s86
	v_mad_u64_u32 v[43:44], null, v8, s85, 0
	;; [unrolled: 3-line block ×3, first 2 shown]
	v_mad_u64_u32 v[49:50], null, v10, s87, s[50:51]
	v_mul_lo_u32 v56, v10, s88
	v_mul_lo_u32 v57, v11, s87
	v_add3_u32 v52, v46, v53, v52
	v_add3_u32 v40, v44, v51, v40
	;; [unrolled: 1-line block ×3, first 2 shown]
	v_add_co_u32 v51, s9, s50, v45
	v_add_co_u32 v46, s6, s50, v43
	v_add3_u32 v50, v57, v50, v56
	v_add_co_u32 v44, vcc_lo, s50, v47
	v_add_co_ci_u32_e64 v52, null, s51, v52, s9
	v_add_co_ci_u32_e64 v47, null, s51, v40, s6
	v_add_co_ci_u32_e64 v45, null, s51, v48, vcc_lo
	s_clause 0x3
	global_load_ubyte v40, v[49:50], off
	global_load_ubyte v43, v[51:52], off
	global_load_ubyte v46, v[46:47], off
	global_load_ubyte v44, v[44:45], off
	v_add_co_u32 v10, vcc_lo, v10, 4
	v_add_co_ci_u32_e64 v11, null, 0, v11, vcc_lo
	v_add_co_u32 v8, vcc_lo, v8, 4
	v_add_co_ci_u32_e64 v9, null, 0, v9, vcc_lo
	;; [unrolled: 2-line block ×3, first 2 shown]
	v_add_co_u32 v28, vcc_lo, v28, -4
	v_add_co_ci_u32_e64 v29, null, -1, v29, vcc_lo
	v_add_co_u32 v4, vcc_lo, v4, 4
	v_add_co_ci_u32_e64 v5, null, 0, v5, vcc_lo
	v_cmp_eq_u64_e64 s6, 0, v[28:29]
	s_or_b32 s15, s6, s15
	s_waitcnt vmcnt(0)
	v_perm_b32 v45, v44, v43, 0xc0c0004
	v_perm_b32 v43, v43, v46, 0xc0c0004
	;; [unrolled: 1-line block ×4, first 2 shown]
	v_lshl_or_b32 v42, v43, 16, v42
	v_lshl_or_b32 v43, v44, 16, v45
	ds_write_b32 v41, v42
	v_add_nc_u32_e32 v41, 4, v41
	v_mov_b32_e32 v42, v43
	s_andn2_b32 exec_lo, exec_lo, s15
	s_cbranch_execnz .LBB132_25
; %bb.26:                               ;   in Loop: Header=BB132_6 Depth=1
	s_or_b32 exec_lo, exec_lo, s15
	v_add_co_u32 v4, vcc_lo, v2, v16
	v_readlane_b32 s6, v58, 6
	v_add_co_ci_u32_e64 v5, null, 0, v17, vcc_lo
	v_add_co_u32 v8, vcc_lo, v4, -1
	v_mov_b32_e32 v6, v18
	s_orn2_b32 s6, s6, exec_lo
	v_add_co_ci_u32_e64 v2, null, -1, v5, vcc_lo
	v_mov_b32_e32 v7, v19
.LBB132_27:                             ;   in Loop: Header=BB132_6 Depth=1
	s_or_b32 exec_lo, exec_lo, s14
	s_and_saveexec_b32 s9, s6
	s_cbranch_execz .LBB132_31
; %bb.28:                               ;   in Loop: Header=BB132_6 Depth=1
	v_mad_u64_u32 v[9:10], null, s38, v4, s[50:51]
	v_mul_lo_u32 v2, s38, v5
	v_mul_lo_u32 v7, s39, v4
	s_mul_i32 s6, s39, s13
	s_mul_hi_u32 s16, s38, s13
	s_sub_u32 s14, 0, s13
	s_subb_u32 s15, 0, 0
	s_add_i32 s16, s16, s6
	s_mul_i32 s17, s38, s13
	s_mov_b32 s18, 0
	v_add3_u32 v10, v7, v10, v2
	.p2align	6
.LBB132_29:                             ;   Parent Loop BB132_6 Depth=1
                                        ; =>  This Inner Loop Header: Depth=2
	global_load_ubyte v2, v[9:10], off
	v_mov_b32_e32 v8, v5
	v_mov_b32_e32 v7, v4
	v_add_co_u32 v9, vcc_lo, v9, s17
	v_add_co_ci_u32_e64 v10, null, s16, v10, vcc_lo
	v_add_co_u32 v4, s6, v7, s13
	v_add_co_ci_u32_e64 v5, null, 0, v8, s6
	s_waitcnt vmcnt(1)
	ds_write_b8 v6, v40
	v_mov_b32_e32 v6, v7
	v_mov_b32_e32 v7, v8
	v_cmp_le_u64_e32 vcc_lo, s[28:29], v[4:5]
	v_add_co_u32 v8, s6, s14, v4
	v_add_co_ci_u32_e64 v7, null, s15, v5, s6
	s_or_b32 s18, vcc_lo, s18
	s_waitcnt vmcnt(0)
	v_mov_b32_e32 v40, v2
	s_andn2_b32 exec_lo, exec_lo, s18
	s_cbranch_execnz .LBB132_29
; %bb.30:                               ;   in Loop: Header=BB132_6 Depth=1
	s_or_b32 exec_lo, exec_lo, s18
	v_mov_b32_e32 v40, v2
.LBB132_31:                             ;   in Loop: Header=BB132_6 Depth=1
	s_or_b32 exec_lo, exec_lo, s9
.LBB132_32:                             ;   in Loop: Header=BB132_6 Depth=1
	s_or_b32 exec_lo, exec_lo, s12
	s_waitcnt vmcnt(0)
	ds_write_b8 v8, v40
.LBB132_33:                             ;   in Loop: Header=BB132_6 Depth=1
	s_or_b32 exec_lo, exec_lo, s11
	s_waitcnt lgkmcnt(0)
	s_barrier
	buffer_gl0_inv
	s_and_saveexec_b32 s6, s3
; %bb.34:                               ;   in Loop: Header=BB132_6 Depth=1
	v_mov_b32_e32 v4, s28
	v_mov_b32_e32 v5, s29
	ds_write_b64 v3, v[4:5] offset:5120
; %bb.35:                               ;   in Loop: Header=BB132_6 Depth=1
	s_or_b32 exec_lo, exec_lo, s6
	s_mov_b32 s6, -1
	s_waitcnt lgkmcnt(0)
	s_barrier
.LBB132_36:                             ;   in Loop: Header=BB132_6 Depth=1
	s_and_b32 vcc_lo, exec_lo, s6
	s_mov_b64 s[58:59], 0
	s_cbranch_vccz .LBB132_38
; %bb.37:                               ;   in Loop: Header=BB132_6 Depth=1
	buffer_gl0_inv
	ds_read_b64 v[4:5], v3 offset:5120
	s_waitcnt lgkmcnt(0)
	v_readfirstlane_b32 s58, v4
.LBB132_38:                             ;   in Loop: Header=BB132_6 Depth=1
	s_cmp_lt_i32 s58, 1
	s_mov_b32 s6, -1
                                        ; implicit-def: $vgpr10_vgpr11
                                        ; implicit-def: $vgpr6_vgpr7
	s_cbranch_scc1 .LBB132_48
; %bb.39:                               ;   in Loop: Header=BB132_6 Depth=1
	s_and_b32 vcc_lo, exec_lo, s6
	s_cbranch_vccnz .LBB132_62
.LBB132_40:                             ;   in Loop: Header=BB132_6 Depth=1
	s_lshl_b32 s6, s95, 7
	s_and_saveexec_b32 s9, s0
	s_cbranch_execz .LBB132_42
.LBB132_41:                             ;   in Loop: Header=BB132_6 Depth=1
	v_lshl_add_u32 v2, s6, 3, v32
	ds_write_b128 v2, v[4:7]
	ds_write_b128 v2, v[8:11] offset:16
.LBB132_42:                             ;   in Loop: Header=BB132_6 Depth=1
	s_or_b32 exec_lo, exec_lo, s9
	s_waitcnt lgkmcnt(0)
	s_barrier
	buffer_gl0_inv
	s_and_saveexec_b32 s9, s76
	s_cbranch_execz .LBB132_76
; %bb.43:                               ;   in Loop: Header=BB132_6 Depth=1
	v_mov_b32_e32 v4, 0
	v_mov_b32_e32 v5, 0
	s_andn2_b32 vcc_lo, exec_lo, s79
	s_cbranch_vccnz .LBB132_75
; %bb.44:                               ;   in Loop: Header=BB132_6 Depth=1
	v_mov_b32_e32 v4, 0
	v_mov_b32_e32 v5, 0
	s_andn2_b32 vcc_lo, exec_lo, s90
	s_cbranch_vccnz .LBB132_72
; %bb.45:                               ;   in Loop: Header=BB132_6 Depth=1
	v_lshl_add_u32 v2, s95, 10, v35
	s_mov_b32 s11, 0
	s_inst_prefetch 0x1
	.p2align	6
.LBB132_46:                             ;   Parent Loop BB132_6 Depth=1
                                        ; =>  This Inner Loop Header: Depth=2
	ds_read2_b64 v[6:9], v2 offset1:4
	ds_read2_b64 v[40:43], v2 offset0:8 offset1:12
	ds_read2_b64 v[44:47], v2 offset0:16 offset1:20
	s_add_i32 s11, s11, 8
	s_cmp_eq_u32 s78, s11
	s_waitcnt lgkmcnt(2)
	v_add_co_u32 v4, vcc_lo, v6, v4
	v_add_co_ci_u32_e64 v5, null, v7, v5, vcc_lo
	v_add_co_u32 v8, vcc_lo, v8, v4
	v_add_co_ci_u32_e64 v9, null, v9, v5, vcc_lo
	ds_read2_b64 v[4:7], v2 offset0:24 offset1:28
	s_waitcnt lgkmcnt(2)
	v_add_co_u32 v8, vcc_lo, v40, v8
	v_add_co_ci_u32_e64 v9, null, v41, v9, vcc_lo
	v_add_nc_u32_e32 v2, 0x100, v2
	v_add_co_u32 v8, vcc_lo, v42, v8
	v_add_co_ci_u32_e64 v9, null, v43, v9, vcc_lo
	s_waitcnt lgkmcnt(1)
	v_add_co_u32 v8, vcc_lo, v44, v8
	v_add_co_ci_u32_e64 v9, null, v45, v9, vcc_lo
	v_add_co_u32 v8, vcc_lo, v46, v8
	v_add_co_ci_u32_e64 v9, null, v47, v9, vcc_lo
	s_waitcnt lgkmcnt(0)
	v_add_co_u32 v4, vcc_lo, v4, v8
	v_add_co_ci_u32_e64 v5, null, v5, v9, vcc_lo
	v_add_co_u32 v4, vcc_lo, v6, v4
	v_add_co_ci_u32_e64 v5, null, v7, v5, vcc_lo
	s_cbranch_scc0 .LBB132_46
; %bb.47:                               ;   in Loop: Header=BB132_6 Depth=1
	s_inst_prefetch 0x2
	s_mov_b32 s11, s78
	s_andn2_b32 vcc_lo, exec_lo, s91
	s_cbranch_vccz .LBB132_73
	s_branch .LBB132_75
.LBB132_48:                             ;   in Loop: Header=BB132_6 Depth=1
	global_load_ushort v2, v3, s[54:55]
	s_mov_b32 s12, s49
	s_mov_b32 s13, s29
	s_waitcnt vmcnt(0)
	v_readfirstlane_b32 s6, v2
	s_and_b32 s45, s6, 0xffff
	s_lshl_b32 s52, s45, 2
	s_cmp_lg_u64 s[12:13], 0
	s_cbranch_scc0 .LBB132_71
; %bb.49:                               ;   in Loop: Header=BB132_6 Depth=1
	v_cvt_f32_u32_e32 v2, s52
	s_sub_u32 s11, 0, s52
	s_subb_u32 s12, 0, 0
	v_fmac_f32_e64 v2, 0x4f800000, 0
	v_rcp_f32_e32 v2, v2
	v_mul_f32_e32 v2, 0x5f7ffffc, v2
	v_mul_f32_e32 v4, 0x2f800000, v2
	v_trunc_f32_e32 v4, v4
	v_fmac_f32_e32 v2, 0xcf800000, v4
	v_cvt_u32_f32_e32 v4, v4
	v_cvt_u32_f32_e32 v2, v2
	v_readfirstlane_b32 s6, v4
	v_readfirstlane_b32 s9, v2
	s_mul_i32 s13, s11, s6
	s_mul_hi_u32 s15, s11, s9
	s_mul_i32 s14, s12, s9
	s_add_i32 s13, s15, s13
	s_mul_i32 s16, s11, s9
	s_add_i32 s13, s13, s14
	s_mul_hi_u32 s15, s9, s16
	s_mul_i32 s18, s9, s13
	s_mul_hi_u32 s17, s6, s16
	s_mul_i32 s14, s6, s16
	s_mul_hi_u32 s16, s9, s13
	s_add_u32 s15, s15, s18
	s_addc_u32 s16, 0, s16
	s_mul_hi_u32 s19, s6, s13
	s_add_u32 s14, s15, s14
	s_mul_i32 s13, s6, s13
	s_addc_u32 s14, s16, s17
	s_addc_u32 s15, s19, 0
	s_add_u32 s13, s14, s13
	s_addc_u32 s14, 0, s15
	s_add_u32 s9, s9, s13
	s_cselect_b32 s13, -1, 0
	s_mul_hi_u32 s15, s11, s9
	s_cmp_lg_u32 s13, 0
	s_mul_i32 s13, s11, s9
	s_addc_u32 s6, s6, s14
	s_mul_i32 s12, s12, s9
	s_mul_i32 s11, s11, s6
	s_mul_hi_u32 s14, s9, s13
	s_add_i32 s11, s15, s11
	s_mul_hi_u32 s15, s6, s13
	s_add_i32 s11, s11, s12
	s_mul_i32 s12, s6, s13
	s_mul_i32 s17, s9, s11
	s_mul_hi_u32 s16, s9, s11
	s_add_u32 s14, s14, s17
	s_addc_u32 s16, 0, s16
	s_mul_hi_u32 s13, s6, s11
	s_add_u32 s12, s14, s12
	s_mul_i32 s11, s6, s11
	s_addc_u32 s12, s16, s15
	s_addc_u32 s13, s13, 0
	s_add_u32 s11, s12, s11
	s_addc_u32 s12, 0, s13
	s_add_u32 s9, s9, s11
	s_cselect_b32 s11, -1, 0
	s_mul_hi_u32 s13, s28, s9
	s_cmp_lg_u32 s11, 0
	s_mul_hi_u32 s11, s29, s9
	s_addc_u32 s6, s6, s12
	s_mul_i32 s9, s29, s9
	s_mul_i32 s14, s28, s6
	s_mul_hi_u32 s12, s28, s6
	s_add_u32 s13, s13, s14
	s_addc_u32 s12, 0, s12
	s_mul_hi_u32 s15, s29, s6
	s_add_u32 s9, s13, s9
	s_mul_i32 s6, s29, s6
	s_addc_u32 s9, s12, s11
	s_addc_u32 s11, s15, 0
	s_add_u32 s6, s9, s6
	s_addc_u32 s9, 0, s11
	s_mul_hi_u32 s11, s52, s6
	s_mul_i32 s9, s52, s9
	s_mul_i32 s6, s52, s6
	s_add_i32 s11, s11, s9
	s_sub_u32 s6, s28, s6
	s_cselect_b32 s9, -1, 0
	s_cmp_lg_u32 s9, 0
	s_subb_u32 s9, s29, s11
	s_sub_u32 s11, s6, s52
	s_cselect_b32 s12, -1, 0
	s_cmp_lg_u32 s12, 0
	s_subb_u32 s12, s9, 0
	;; [unrolled: 4-line block ×3, first 2 shown]
	s_cmp_ge_u32 s11, s52
	s_cselect_b32 s15, -1, 0
	s_cmp_eq_u32 s12, 0
	s_cselect_b32 s15, s15, -1
	s_cmp_lg_u32 s15, 0
	s_cselect_b32 s12, s14, s12
	s_cselect_b32 s11, s13, s11
	s_cmp_ge_u32 s6, s52
	s_cselect_b32 s13, -1, 0
	s_cmp_eq_u32 s9, 0
	s_cselect_b32 s13, s13, -1
	s_cmp_lg_u32 s13, 0
	s_cselect_b32 s13, s12, s9
	s_cselect_b32 s12, s11, s6
	s_cbranch_execnz .LBB132_51
.LBB132_50:                             ;   in Loop: Header=BB132_6 Depth=1
	v_cvt_f32_u32_e32 v2, s52
	s_sub_i32 s9, 0, s52
	v_rcp_iflag_f32_e32 v2, v2
	v_mul_f32_e32 v2, 0x4f7ffffe, v2
	v_cvt_u32_f32_e32 v2, v2
	v_readfirstlane_b32 s6, v2
	s_mul_i32 s9, s9, s6
	s_mul_hi_u32 s9, s6, s9
	s_add_i32 s6, s6, s9
	s_mul_hi_u32 s6, s28, s6
	s_mul_i32 s6, s6, s52
	s_sub_i32 s6, s28, s6
	s_sub_i32 s9, s6, s52
	s_cmp_ge_u32 s6, s52
	s_cselect_b32 s6, s9, s6
	s_sub_i32 s9, s6, s52
	s_cmp_ge_u32 s6, s52
	s_cselect_b32 s48, s9, s6
	s_mov_b64 s[12:13], s[48:49]
.LBB132_51:                             ;   in Loop: Header=BB132_6 Depth=1
	v_mov_b32_e32 v4, 0
	v_mov_b32_e32 v6, 0
	;; [unrolled: 1-line block ×8, first 2 shown]
	s_sub_u32 s60, s28, s12
	s_subb_u32 s61, s29, s13
	s_mov_b32 s48, exec_lo
	v_cmpx_gt_u64_e64 s[60:61], v[14:15]
	s_cbranch_execz .LBB132_55
; %bb.52:                               ;   in Loop: Header=BB132_6 Depth=1
	v_mov_b32_e32 v29, v15
	v_mov_b32_e32 v28, v14
	s_mul_i32 s6, s57, s45
	s_mul_hi_u32 s9, s56, s45
	s_mov_b64 s[62:63], 0
	s_add_i32 s59, s9, s6
	s_mov_b32 s42, 0
	s_mov_b64 s[64:65], s[50:51]
	s_mov_b64 s[66:67], 0
	s_mov_b64 s[68:69], 0
	s_mov_b64 s[70:71], 0
.LBB132_53:                             ;   Parent Loop BB132_6 Depth=1
                                        ; =>  This Inner Loop Header: Depth=2
	v_add_co_u32 v4, vcc_lo, s64, v24
	v_add_co_ci_u32_e64 v5, null, s65, v25, vcc_lo
	global_load_sbyte v2, v[4:5], off
	v_add_co_u32 v4, vcc_lo, s64, v23
	v_add_co_ci_u32_e64 v5, null, s65, v34, vcc_lo
	global_load_sbyte v6, v[4:5], off
	;; [unrolled: 3-line block ×4, first 2 shown]
	s_waitcnt vmcnt(3)
	v_add_nc_u32_e32 v2, 0x80, v2
	v_and_b32_e32 v5, v2, v38
	v_bfe_u32 v2, v2, s92, 2
	v_cmp_eq_u32_e32 vcc_lo, v5, v20
	s_waitcnt vmcnt(2)
	v_add_nc_u32_e32 v5, 0x80, v6
	v_cmp_eq_u32_e64 s12, 0, v2
	v_cmp_eq_u32_e64 s13, 1, v2
	;; [unrolled: 1-line block ×4, first 2 shown]
	v_and_b32_e32 v6, v5, v38
	v_bfe_u32 v2, v5, s92, 2
	s_and_b32 s12, vcc_lo, s12
	v_cmp_eq_u32_e64 s6, v6, v20
	s_waitcnt vmcnt(1)
	v_add_nc_u32_e32 v6, 0x80, v7
	v_cmp_eq_u32_e64 s16, 0, v2
	s_waitcnt vmcnt(0)
	v_add_nc_u32_e32 v4, 0x80, v4
	v_cmp_eq_u32_e64 s17, 1, v2
	v_cmp_eq_u32_e64 s18, 2, v2
	;; [unrolled: 1-line block ×3, first 2 shown]
	v_bfe_u32 v2, v6, s92, 2
	v_and_b32_e32 v7, v6, v38
	s_and_b32 s16, s6, s16
	v_cmp_eq_u32_e64 s20, 0, v2
	v_cmp_eq_u32_e64 s21, 1, v2
	;; [unrolled: 1-line block ×4, first 2 shown]
	v_bfe_u32 v2, v4, s92, 2
	v_cmp_eq_u32_e64 s9, v7, v20
	v_and_b32_e32 v7, v4, v38
	v_cmp_eq_u32_e64 s24, 0, v2
	v_cmp_eq_u32_e64 s25, 1, v2
	;; [unrolled: 1-line block ×4, first 2 shown]
	v_cndmask_b32_e64 v2, 0, 1, s12
	v_cmp_eq_u32_e64 s11, v7, v20
	s_and_b32 s20, s9, s20
	v_cmp_ne_u32_e64 s12, 0, v2
	v_cndmask_b32_e64 v2, 0, 1, s16
	s_and_b32 s24, s11, s24
	s_bcnt1_i32_b32 s12, s12
	v_cmp_ne_u32_e64 s16, 0, v2
	v_cndmask_b32_e64 v2, 0, 1, s20
	s_bcnt1_i32_b32 s16, s16
	v_cmp_ne_u32_e64 s20, 0, v2
	v_cndmask_b32_e64 v2, 0, 1, s24
	s_add_i32 s12, s16, s12
	s_bcnt1_i32_b32 s20, s20
	v_cmp_ne_u32_e64 s24, 0, v2
	s_add_i32 s12, s12, s20
	s_bcnt1_i32_b32 s24, s24
	s_add_i32 s12, s12, s24
	s_add_u32 s70, s70, s12
	s_addc_u32 s71, s71, 0
	s_and_b32 s12, vcc_lo, s13
	s_and_b32 s13, s6, s17
	v_cndmask_b32_e64 v2, 0, 1, s12
	s_and_b32 s16, s9, s21
	s_and_b32 s17, s11, s25
	v_mov_b32_e32 v4, s70
	v_mov_b32_e32 v5, s71
	v_cmp_ne_u32_e64 s12, 0, v2
	v_cndmask_b32_e64 v2, 0, 1, s13
	s_bcnt1_i32_b32 s12, s12
	v_cmp_ne_u32_e64 s13, 0, v2
	v_cndmask_b32_e64 v2, 0, 1, s16
	s_bcnt1_i32_b32 s13, s13
	v_cmp_ne_u32_e64 s16, 0, v2
	v_cndmask_b32_e64 v2, 0, 1, s17
	s_add_i32 s12, s13, s12
	s_bcnt1_i32_b32 s16, s16
	v_cmp_ne_u32_e64 s17, 0, v2
	s_add_i32 s12, s12, s16
	s_bcnt1_i32_b32 s17, s17
	s_add_i32 s12, s12, s17
	s_add_u32 s68, s68, s12
	s_addc_u32 s69, s69, 0
	s_and_b32 s12, vcc_lo, s14
	s_and_b32 s13, s6, s18
	v_cndmask_b32_e64 v2, 0, 1, s12
	s_and_b32 s14, s9, s22
	s_and_b32 s16, s11, s26
	v_mov_b32_e32 v6, s68
	v_mov_b32_e32 v7, s69
	v_cmp_ne_u32_e64 s12, 0, v2
	v_cndmask_b32_e64 v2, 0, 1, s13
	s_bcnt1_i32_b32 s12, s12
	v_cmp_ne_u32_e64 s13, 0, v2
	v_cndmask_b32_e64 v2, 0, 1, s14
	s_bcnt1_i32_b32 s13, s13
	v_cmp_ne_u32_e64 s14, 0, v2
	v_cndmask_b32_e64 v2, 0, 1, s16
	s_add_i32 s12, s13, s12
	s_mul_i32 s13, s56, s45
	s_bcnt1_i32_b32 s14, s14
	v_cmp_ne_u32_e64 s16, 0, v2
	s_add_i32 s12, s12, s14
	s_bcnt1_i32_b32 s16, s16
	s_add_i32 s12, s12, s16
	s_add_u32 s66, s66, s12
	s_addc_u32 s67, s67, 0
	s_and_b32 s12, vcc_lo, s15
	s_and_b32 s6, s6, s19
	v_cndmask_b32_e64 v2, 0, 1, s12
	s_and_b32 s9, s9, s23
	s_and_b32 s11, s11, s27
	v_add_co_u32 v28, s12, v28, s52
	v_cmp_ne_u32_e32 vcc_lo, 0, v2
	v_cndmask_b32_e64 v2, 0, 1, s6
	v_add_co_ci_u32_e64 v29, null, 0, v29, s12
	v_mov_b32_e32 v8, s66
	s_bcnt1_i32_b32 s14, vcc_lo
	v_cmp_ne_u32_e64 s6, 0, v2
	v_cndmask_b32_e64 v2, 0, 1, s9
	v_cmp_le_u64_e64 s12, s[60:61], v[28:29]
	v_mov_b32_e32 v9, s67
	s_bcnt1_i32_b32 s6, s6
	v_cmp_ne_u32_e64 s9, 0, v2
	v_cndmask_b32_e64 v2, 0, 1, s11
	s_add_i32 s6, s6, s14
	s_bcnt1_i32_b32 s9, s9
	v_cmp_ne_u32_e64 s11, 0, v2
	s_add_i32 s6, s6, s9
	s_bcnt1_i32_b32 s11, s11
	s_add_i32 s6, s6, s11
	s_add_u32 s62, s62, s6
	s_addc_u32 s63, s63, 0
	v_mov_b32_e32 v10, s62
	v_mov_b32_e32 v11, s63
	s_add_u32 s64, s64, s13
	s_addc_u32 s65, s65, s59
	s_or_b32 s42, s12, s42
	s_andn2_b32 exec_lo, exec_lo, s42
	s_cbranch_execnz .LBB132_53
; %bb.54:                               ;   in Loop: Header=BB132_6 Depth=1
	s_or_b32 exec_lo, exec_lo, s42
.LBB132_55:                             ;   in Loop: Header=BB132_6 Depth=1
	s_or_b32 exec_lo, exec_lo, s48
	v_add_co_u32 v28, s6, s60, v0
	v_add_co_ci_u32_e64 v29, null, s61, 0, s6
	s_mov_b32 s12, exec_lo
	v_cmpx_gt_u64_e64 s[28:29], v[28:29]
	s_cbranch_execz .LBB132_61
; %bb.56:                               ;   in Loop: Header=BB132_6 Depth=1
	v_mad_u64_u32 v[40:41], null, v28, s38, s[50:51]
	v_mul_lo_u32 v2, v28, s39
	v_mul_lo_u32 v42, v29, s38
	s_mov_b32 s13, 0
	v_add3_u32 v41, v42, v41, v2
	global_load_ubyte v40, v[40:41], off
	s_branch .LBB132_58
.LBB132_57:                             ;   in Loop: Header=BB132_58 Depth=2
	s_or_b32 exec_lo, exec_lo, s9
	s_waitcnt vmcnt(0)
	v_add_nc_u32_sdwa v40, sext(v40), v36 dst_sel:DWORD dst_unused:UNUSED_PAD src0_sel:BYTE_0 src1_sel:DWORD
	s_and_b32 s11, exec_lo, vcc_lo
	s_or_b32 s13, s11, s13
	v_and_b32_e32 v41, v40, v38
	v_bfe_u32 v40, v40, s92, 2
	v_cmp_eq_u32_e64 s6, v41, v20
	v_cmp_eq_u32_e64 s9, 0, v40
	v_cmp_eq_u32_e32 vcc_lo, 1, v40
	v_cmp_eq_u32_e64 s11, 2, v40
	s_and_b32 s9, s6, s9
	v_cndmask_b32_e64 v41, 0, 1, s9
	s_and_b32 s9, s6, vcc_lo
	v_cmp_eq_u32_e32 vcc_lo, 3, v40
	v_cndmask_b32_e64 v42, 0, 1, s9
	s_and_b32 s9, s6, s11
	v_cndmask_b32_e64 v40, 0, 1, s9
	v_cmp_ne_u32_e64 s9, 0, v41
	v_cmp_ne_u32_e64 s11, 0, v42
	s_and_b32 s6, s6, vcc_lo
	v_cndmask_b32_e64 v41, 0, 1, s6
	s_bcnt1_i32_b32 s6, s9
	v_cmp_ne_u32_e32 vcc_lo, 0, v40
	s_bcnt1_i32_b32 s9, s11
	v_add_co_u32 v4, s6, v4, s6
	v_add_co_ci_u32_e64 v5, null, 0, v5, s6
	v_add_co_u32 v6, s6, v6, s9
	v_add_co_ci_u32_e64 v7, null, 0, v7, s6
	s_bcnt1_i32_b32 s6, vcc_lo
	v_cmp_ne_u32_e32 vcc_lo, 0, v41
	v_add_co_u32 v8, s6, v8, s6
	v_add_co_ci_u32_e64 v9, null, 0, v9, s6
	s_bcnt1_i32_b32 s6, vcc_lo
	v_mov_b32_e32 v40, v2
	v_add_co_u32 v10, vcc_lo, v10, s6
	v_add_co_ci_u32_e64 v11, null, 0, v11, vcc_lo
	s_andn2_b32 exec_lo, exec_lo, s13
	s_cbranch_execz .LBB132_60
.LBB132_58:                             ;   Parent Loop BB132_6 Depth=1
                                        ; =>  This Inner Loop Header: Depth=2
	v_add_co_u32 v28, vcc_lo, v28, s45
	v_add_co_ci_u32_e64 v29, null, 0, v29, vcc_lo
	v_mov_b32_e32 v2, 0
	s_mov_b32 s9, exec_lo
	v_cmp_le_u64_e32 vcc_lo, s[28:29], v[28:29]
	v_cmpx_gt_u64_e64 s[28:29], v[28:29]
	s_cbranch_execz .LBB132_57
; %bb.59:                               ;   in Loop: Header=BB132_58 Depth=2
	v_mad_u64_u32 v[41:42], null, v28, s38, s[50:51]
	v_mul_lo_u32 v2, v28, s39
	v_mul_lo_u32 v43, v29, s38
	v_add3_u32 v42, v43, v42, v2
	global_load_ubyte v2, v[41:42], off
	s_branch .LBB132_57
.LBB132_60:                             ;   in Loop: Header=BB132_6 Depth=1
	s_or_b32 exec_lo, exec_lo, s13
.LBB132_61:                             ;   in Loop: Header=BB132_6 Depth=1
	s_or_b32 exec_lo, exec_lo, s12
	s_branch .LBB132_40
.LBB132_62:                             ;   in Loop: Header=BB132_6 Depth=1
	global_load_ushort v2, v3, s[54:55]
	v_mov_b32_e32 v6, 0
	v_mov_b32_e32 v8, 0
	;; [unrolled: 1-line block ×6, first 2 shown]
	s_mov_b32 s43, exec_lo
	s_waitcnt vmcnt(0)
	v_readfirstlane_b32 s6, v2
	s_and_b32 s45, 0xffff, s6
	s_lshl_b32 s42, s45, 2
	v_cvt_f32_u32_e32 v4, s42
	s_sub_i32 s9, 0, s42
	v_rcp_iflag_f32_e32 v4, v4
	v_mul_f32_e32 v4, 0x4f7ffffe, v4
	v_cvt_u32_f32_e32 v4, v4
	v_readfirstlane_b32 s6, v4
	v_mov_b32_e32 v4, 0
	v_mov_b32_e32 v5, 0
	s_mul_i32 s9, s9, s6
	s_mul_hi_u32 s9, s6, s9
	s_add_i32 s6, s6, s9
	s_mul_hi_u32 s6, s58, s6
	s_mul_i32 s9, s6, s42
	s_add_i32 s11, s6, 1
	s_sub_i32 s9, s58, s9
	s_sub_i32 s12, s9, s42
	s_cmp_ge_u32 s9, s42
	s_cselect_b32 s6, s11, s6
	s_cselect_b32 s9, s12, s9
	s_add_i32 s11, s6, 1
	s_cmp_ge_u32 s9, s42
	s_cselect_b32 s6, s11, s6
	s_mul_hi_u32 s61, s45, s6
	s_mul_i32 s60, s45, s6
	s_lshl_b64 s[62:63], s[60:61], 2
	v_cmpx_gt_u64_e64 s[62:63], v[14:15]
	s_cbranch_execz .LBB132_66
; %bb.63:                               ;   in Loop: Header=BB132_6 Depth=1
	v_mov_b32_e32 v29, v15
	v_mov_b32_e32 v40, v14
	;; [unrolled: 1-line block ×3, first 2 shown]
	s_mov_b64 s[64:65], 0
	s_mov_b32 s48, 0
	s_mov_b64 s[66:67], 0
	s_mov_b64 s[68:69], 0
	;; [unrolled: 1-line block ×3, first 2 shown]
.LBB132_64:                             ;   Parent Loop BB132_6 Depth=1
                                        ; =>  This Inner Loop Header: Depth=2
	ds_read_b32 v4, v40
	v_add_nc_u32_e32 v40, s42, v40
	s_waitcnt lgkmcnt(0)
	v_add_nc_u32_sdwa v5, sext(v4), v36 dst_sel:DWORD dst_unused:UNUSED_PAD src0_sel:BYTE_0 src1_sel:DWORD
	v_and_b32_e32 v6, v5, v38
	v_bfe_u32 v5, v5, s92, 2
	v_cmp_eq_u32_e32 vcc_lo, v6, v20
	v_add_nc_u32_sdwa v6, sext(v4), v36 dst_sel:DWORD dst_unused:UNUSED_PAD src0_sel:BYTE_1 src1_sel:DWORD
	v_cmp_eq_u32_e64 s12, 0, v5
	v_cmp_eq_u32_e64 s13, 1, v5
	;; [unrolled: 1-line block ×4, first 2 shown]
	v_and_b32_e32 v7, v6, v38
	v_bfe_u32 v5, v6, s92, 2
	s_and_b32 s12, vcc_lo, s12
	v_cmp_eq_u32_e64 s6, v7, v20
	v_add_nc_u32_sdwa v7, sext(v4), v36 dst_sel:DWORD dst_unused:UNUSED_PAD src0_sel:BYTE_2 src1_sel:DWORD
	v_add_nc_u32_sdwa v4, sext(v4), v36 dst_sel:DWORD dst_unused:UNUSED_PAD src0_sel:BYTE_3 src1_sel:DWORD
	v_cmp_eq_u32_e64 s16, 0, v5
	v_cmp_eq_u32_e64 s17, 1, v5
	v_cmp_eq_u32_e64 s18, 2, v5
	v_and_b32_e32 v8, v7, v38
	v_cmp_eq_u32_e64 s19, 3, v5
	v_bfe_u32 v5, v7, s92, 2
	s_and_b32 s16, s6, s16
	v_cmp_eq_u32_e64 s9, v8, v20
	v_and_b32_e32 v8, v4, v38
	v_bfe_u32 v4, v4, s92, 2
	v_cmp_eq_u32_e64 s20, 0, v5
	v_cmp_eq_u32_e64 s21, 1, v5
	v_cmp_eq_u32_e64 s22, 2, v5
	v_cmp_eq_u32_e64 s11, v8, v20
	v_cmp_eq_u32_e64 s24, 0, v4
	v_cmp_eq_u32_e64 s25, 1, v4
	v_cmp_eq_u32_e64 s26, 2, v4
	v_cmp_eq_u32_e64 s27, 3, v4
	v_cndmask_b32_e64 v4, 0, 1, s12
	s_and_b32 s20, s9, s20
	s_and_b32 s24, s11, s24
	v_cmp_eq_u32_e64 s23, 3, v5
	v_cmp_ne_u32_e64 s12, 0, v4
	v_cndmask_b32_e64 v4, 0, 1, s16
	s_bcnt1_i32_b32 s12, s12
	v_cmp_ne_u32_e64 s16, 0, v4
	v_cndmask_b32_e64 v4, 0, 1, s20
	s_bcnt1_i32_b32 s16, s16
	v_cmp_ne_u32_e64 s20, 0, v4
	v_cndmask_b32_e64 v4, 0, 1, s24
	s_add_i32 s12, s16, s12
	s_bcnt1_i32_b32 s20, s20
	v_cmp_ne_u32_e64 s24, 0, v4
	s_add_i32 s12, s12, s20
	s_bcnt1_i32_b32 s24, s24
	s_add_i32 s12, s12, s24
	s_add_u32 s70, s70, s12
	s_addc_u32 s71, s71, 0
	s_and_b32 s12, vcc_lo, s13
	s_and_b32 s13, s6, s17
	v_cndmask_b32_e64 v4, 0, 1, s12
	s_and_b32 s16, s9, s21
	s_and_b32 s17, s11, s25
	v_cmp_ne_u32_e64 s12, 0, v4
	v_cndmask_b32_e64 v4, 0, 1, s13
	s_bcnt1_i32_b32 s12, s12
	v_cmp_ne_u32_e64 s13, 0, v4
	v_cndmask_b32_e64 v4, 0, 1, s16
	s_bcnt1_i32_b32 s13, s13
	v_cmp_ne_u32_e64 s16, 0, v4
	v_cndmask_b32_e64 v4, 0, 1, s17
	s_add_i32 s12, s13, s12
	s_bcnt1_i32_b32 s16, s16
	v_cmp_ne_u32_e64 s17, 0, v4
	s_add_i32 s12, s12, s16
	s_bcnt1_i32_b32 s17, s17
	s_add_i32 s12, s12, s17
	s_add_u32 s68, s68, s12
	s_addc_u32 s69, s69, 0
	s_and_b32 s12, vcc_lo, s14
	s_and_b32 s13, s6, s18
	v_cndmask_b32_e64 v4, 0, 1, s12
	s_and_b32 s14, s9, s22
	s_and_b32 s16, s11, s26
	v_mov_b32_e32 v6, s68
	v_mov_b32_e32 v7, s69
	v_cmp_ne_u32_e64 s12, 0, v4
	v_cndmask_b32_e64 v4, 0, 1, s13
	s_bcnt1_i32_b32 s12, s12
	v_cmp_ne_u32_e64 s13, 0, v4
	v_cndmask_b32_e64 v4, 0, 1, s14
	s_bcnt1_i32_b32 s13, s13
	v_cmp_ne_u32_e64 s14, 0, v4
	v_cndmask_b32_e64 v4, 0, 1, s16
	s_add_i32 s12, s13, s12
	s_bcnt1_i32_b32 s14, s14
	v_cmp_ne_u32_e64 s16, 0, v4
	s_add_i32 s12, s12, s14
	s_bcnt1_i32_b32 s16, s16
	s_add_i32 s12, s12, s16
	s_add_u32 s66, s66, s12
	s_addc_u32 s67, s67, 0
	s_and_b32 s12, vcc_lo, s15
	s_and_b32 s6, s6, s19
	v_cndmask_b32_e64 v4, 0, 1, s12
	s_and_b32 s9, s9, s23
	s_and_b32 s11, s11, s27
	v_add_co_u32 v28, s12, v28, s42
	v_cmp_ne_u32_e32 vcc_lo, 0, v4
	v_cndmask_b32_e64 v4, 0, 1, s6
	v_add_co_ci_u32_e64 v29, null, 0, v29, s12
	v_mov_b32_e32 v8, s66
	s_bcnt1_i32_b32 s13, vcc_lo
	v_cmp_ne_u32_e64 s6, 0, v4
	v_cndmask_b32_e64 v4, 0, 1, s9
	v_cmp_le_u64_e64 s12, s[62:63], v[28:29]
	v_mov_b32_e32 v9, s67
	s_bcnt1_i32_b32 s6, s6
	v_cmp_ne_u32_e64 s9, 0, v4
	v_cndmask_b32_e64 v4, 0, 1, s11
	s_add_i32 s6, s6, s13
	s_bcnt1_i32_b32 s9, s9
	v_cmp_ne_u32_e64 s11, 0, v4
	s_add_i32 s6, s6, s9
	v_mov_b32_e32 v4, s70
	v_mov_b32_e32 v5, s71
	s_bcnt1_i32_b32 s11, s11
	s_add_i32 s6, s6, s11
	s_add_u32 s64, s64, s6
	s_addc_u32 s65, s65, 0
	v_mov_b32_e32 v10, s64
	v_mov_b32_e32 v11, s65
	s_or_b32 s48, s12, s48
	s_andn2_b32 exec_lo, exec_lo, s48
	s_cbranch_execnz .LBB132_64
; %bb.65:                               ;   in Loop: Header=BB132_6 Depth=1
	s_or_b32 exec_lo, exec_lo, s48
.LBB132_66:                             ;   in Loop: Header=BB132_6 Depth=1
	s_or_b32 exec_lo, exec_lo, s43
	v_add_co_u32 v28, s6, s62, v0
	v_and_b32_e32 v2, 0xffff, v2
	v_add_co_ci_u32_e64 v29, null, s63, 0, s6
	s_and_b32 s48, s58, 0x7fffffff
	s_mov_b32 s14, exec_lo
	v_cmpx_gt_u64_e64 s[48:49], v[28:29]
	s_cbranch_execz .LBB132_70
; %bb.67:                               ;   in Loop: Header=BB132_6 Depth=1
	v_lshl_add_u32 v40, s60, 2, v0
	s_mov_b32 s15, 0
.LBB132_68:                             ;   Parent Loop BB132_6 Depth=1
                                        ; =>  This Inner Loop Header: Depth=2
	ds_read_i8 v41, v40
	v_add_co_u32 v28, vcc_lo, v28, v2
	v_add_co_ci_u32_e64 v29, null, 0, v29, vcc_lo
	v_add_nc_u32_e32 v40, s45, v40
	v_cmp_le_u64_e32 vcc_lo, s[48:49], v[28:29]
	s_waitcnt lgkmcnt(0)
	v_add_nc_u32_e32 v41, 0x80, v41
	v_and_b32_e32 v42, v41, v38
	v_bfe_u32 v41, v41, s92, 2
	v_cmp_eq_u32_e64 s6, v42, v20
	v_cmp_eq_u32_e64 s9, 0, v41
	v_cmp_eq_u32_e64 s11, 1, v41
	v_cmp_eq_u32_e64 s12, 2, v41
	v_cmp_eq_u32_e64 s13, 3, v41
	s_and_b32 s9, s6, s9
	v_cndmask_b32_e64 v41, 0, 1, s9
	s_and_b32 s9, s6, s11
	v_cndmask_b32_e64 v42, 0, 1, s9
	s_and_b32 s9, s6, s12
	s_and_b32 s6, s6, s13
	v_cndmask_b32_e64 v43, 0, 1, s9
	v_cndmask_b32_e64 v44, 0, 1, s6
	v_cmp_ne_u32_e64 s6, 0, v41
	v_cmp_ne_u32_e64 s9, 0, v42
	;; [unrolled: 1-line block ×4, first 2 shown]
	s_bcnt1_i32_b32 s6, s6
	s_bcnt1_i32_b32 s9, s9
	v_add_co_u32 v4, s6, v4, s6
	s_bcnt1_i32_b32 s11, s11
	v_add_co_ci_u32_e64 v5, null, 0, v5, s6
	v_add_co_u32 v6, s6, v6, s9
	s_bcnt1_i32_b32 s12, s12
	v_add_co_ci_u32_e64 v7, null, 0, v7, s6
	v_add_co_u32 v8, s6, v8, s11
	v_add_co_ci_u32_e64 v9, null, 0, v9, s6
	v_add_co_u32 v10, s6, v10, s12
	v_add_co_ci_u32_e64 v11, null, 0, v11, s6
	s_or_b32 s15, vcc_lo, s15
	s_andn2_b32 exec_lo, exec_lo, s15
	s_cbranch_execnz .LBB132_68
; %bb.69:                               ;   in Loop: Header=BB132_6 Depth=1
	s_or_b32 exec_lo, exec_lo, s15
.LBB132_70:                             ;   in Loop: Header=BB132_6 Depth=1
	s_or_b32 exec_lo, exec_lo, s14
	s_lshl_b32 s6, s95, 7
	s_and_saveexec_b32 s9, s0
	s_cbranch_execnz .LBB132_41
	s_branch .LBB132_42
.LBB132_71:                             ;   in Loop: Header=BB132_6 Depth=1
                                        ; implicit-def: $sgpr12_sgpr13
	s_branch .LBB132_50
.LBB132_72:                             ;   in Loop: Header=BB132_6 Depth=1
	s_mov_b32 s11, 0
	s_andn2_b32 vcc_lo, exec_lo, s91
	s_cbranch_vccnz .LBB132_75
.LBB132_73:                             ;   in Loop: Header=BB132_6 Depth=1
	s_lshl_b32 s12, s95, 10
	s_lshl_b32 s11, s11, 5
	v_add3_u32 v2, s12, s11, v35
	s_mov_b32 s11, s89
.LBB132_74:                             ;   Parent Loop BB132_6 Depth=1
                                        ; =>  This Inner Loop Header: Depth=2
	ds_read_b64 v[6:7], v2
	v_add_nc_u32_e32 v2, 32, v2
	s_add_i32 s11, s11, -1
	s_cmp_lg_u32 s11, 0
	s_waitcnt lgkmcnt(0)
	v_add_co_u32 v4, vcc_lo, v6, v4
	v_add_co_ci_u32_e64 v5, null, v7, v5, vcc_lo
	s_cbranch_scc1 .LBB132_74
.LBB132_75:                             ;   in Loop: Header=BB132_6 Depth=1
	v_add_lshl_u32 v2, s6, v31, 3
	ds_write_b64 v2, v[4:5] offset:3072
.LBB132_76:                             ;   in Loop: Header=BB132_6 Depth=1
	s_or_b32 exec_lo, exec_lo, s9
	s_lshl_b32 s6, s6, 3
	s_waitcnt lgkmcnt(0)
	v_mov_b32_e32 v2, s6
	s_barrier
	buffer_gl0_inv
	v_cmp_eq_u64_e64 s9, 1, v[26:27]
	s_lshl_b32 s11, 3, s92
	ds_read_b128 v[4:7], v2 offset:3072
	ds_read_b128 v[8:11], v2 offset:3088
	s_mov_b32 s61, -1
	s_not_b32 s26, s11
	s_mov_b32 s27, 0
	s_andn2_b32 vcc_lo, exec_lo, s75
	s_mov_b32 s58, 0
	s_mov_b32 s45, 0
                                        ; implicit-def: $sgpr59
                                        ; implicit-def: $sgpr60
                                        ; implicit-def: $vgpr2
	s_waitcnt lgkmcnt(1)
	v_readfirstlane_b32 s13, v5
	v_readfirstlane_b32 s12, v4
	v_readfirstlane_b32 s15, v7
	v_readfirstlane_b32 s14, v6
	s_waitcnt lgkmcnt(0)
	v_readfirstlane_b32 s17, v9
	v_readfirstlane_b32 s16, v8
	;; [unrolled: 1-line block ×4, first 2 shown]
                                        ; implicit-def: $vgpr4_vgpr5
                                        ; implicit-def: $vgpr10
                                        ; implicit-def: $vgpr11
                                        ; implicit-def: $vgpr8
	s_cbranch_vccnz .LBB132_271
; %bb.77:                               ;   in Loop: Header=BB132_6 Depth=1
	s_cmp_eq_u64 s[12:13], 1
	v_mov_b32_e32 v10, v20
	v_mov_b32_e32 v11, v38
	;; [unrolled: 1-line block ×3, first 2 shown]
	s_cselect_b32 s6, -1, 0
                                        ; implicit-def: $sgpr60
                                        ; implicit-def: $sgpr59
	s_and_b32 s63, s6, s9
	s_mov_b32 s6, -1
	s_and_saveexec_b32 s45, s63
	s_cbranch_execz .LBB132_112
; %bb.78:                               ;   in Loop: Header=BB132_6 Depth=1
	ds_read_b64 v[4:5], v3 offset:5120
	s_waitcnt lgkmcnt(0)
	s_barrier
	buffer_gl0_inv
	v_readfirstlane_b32 s20, v4
	v_readfirstlane_b32 s21, v5
	s_and_saveexec_b32 s6, s10
; %bb.79:                               ;   in Loop: Header=BB132_6 Depth=1
	ds_write_b8 v0, v3 offset:3072
; %bb.80:                               ;   in Loop: Header=BB132_6 Depth=1
	s_or_b32 exec_lo, exec_lo, s6
	v_and_b32_e32 v10, s26, v20
	v_or_b32_e32 v11, s11, v38
	s_mov_b32 s59, -1
	s_mov_b32 s60, 0
	s_cmp_eq_u64 s[20:21], 0
	s_mov_b32 s24, 0
	s_mov_b32 s6, -1
	s_waitcnt lgkmcnt(0)
	s_barrier
	buffer_gl0_inv
                                        ; implicit-def: $vgpr8
	s_cbranch_scc1 .LBB132_97
; %bb.81:                               ;   in Loop: Header=BB132_6 Depth=1
	s_add_u32 s6, s20, s80
	s_addc_u32 s23, s21, s81
	s_mov_b32 s22, s49
	s_cmp_lg_u64 s[22:23], 0
	s_cbranch_scc0 .LBB132_138
; %bb.82:                               ;   in Loop: Header=BB132_6 Depth=1
	v_cvt_f32_u32_e32 v2, s33
	s_sub_u32 s24, 0, s33
	s_subb_u32 s25, 0, 0
	v_fmac_f32_e64 v2, 0x4f800000, 0
	v_rcp_f32_e32 v2, v2
	v_mul_f32_e32 v2, 0x5f7ffffc, v2
	v_mul_f32_e32 v4, 0x2f800000, v2
	v_trunc_f32_e32 v4, v4
	v_fmac_f32_e32 v2, 0xcf800000, v4
	v_cvt_u32_f32_e32 v4, v4
	v_cvt_u32_f32_e32 v2, v2
	v_readfirstlane_b32 s8, v4
	v_readfirstlane_b32 s22, v2
	s_mul_i32 s42, s24, s8
	s_mul_hi_u32 s46, s24, s22
	s_mul_i32 s43, s25, s22
	s_add_i32 s42, s46, s42
	s_mul_i32 s47, s24, s22
	s_add_i32 s42, s42, s43
	s_mul_hi_u32 s46, s22, s47
	s_mul_i32 s52, s22, s42
	s_mul_hi_u32 s48, s8, s47
	s_mul_i32 s43, s8, s47
	s_mul_hi_u32 s47, s22, s42
	s_add_u32 s46, s46, s52
	s_addc_u32 s47, 0, s47
	s_mul_hi_u32 s58, s8, s42
	s_add_u32 s43, s46, s43
	s_mul_i32 s42, s8, s42
	s_addc_u32 s43, s47, s48
	s_addc_u32 s46, s58, 0
	s_add_u32 s42, s43, s42
	s_addc_u32 s43, 0, s46
	s_add_u32 s22, s22, s42
	s_cselect_b32 s42, -1, 0
	s_mul_hi_u32 s46, s24, s22
	s_cmp_lg_u32 s42, 0
	s_mul_i32 s42, s24, s22
	s_addc_u32 s8, s8, s43
	s_mul_i32 s25, s25, s22
	s_mul_i32 s24, s24, s8
	s_mul_hi_u32 s43, s22, s42
	s_add_i32 s24, s46, s24
	s_mul_hi_u32 s46, s8, s42
	s_add_i32 s24, s24, s25
	s_mul_i32 s25, s8, s42
	s_mul_i32 s48, s22, s24
	s_mul_hi_u32 s47, s22, s24
	s_add_u32 s43, s43, s48
	s_addc_u32 s47, 0, s47
	s_mul_hi_u32 s42, s8, s24
	s_add_u32 s25, s43, s25
	s_mul_i32 s24, s8, s24
	s_addc_u32 s25, s47, s46
	s_addc_u32 s42, s42, 0
	s_add_u32 s24, s25, s24
	s_addc_u32 s25, 0, s42
	s_add_u32 s22, s22, s24
	s_cselect_b32 s24, -1, 0
	s_mul_hi_u32 s42, s6, s22
	s_cmp_lg_u32 s24, 0
	s_mul_hi_u32 s24, s23, s22
	s_addc_u32 s8, s8, s25
	s_mul_i32 s22, s23, s22
	s_mul_i32 s43, s6, s8
	s_mul_hi_u32 s25, s6, s8
	s_add_u32 s42, s42, s43
	s_addc_u32 s25, 0, s25
	s_mul_hi_u32 s46, s23, s8
	s_add_u32 s22, s42, s22
	s_mul_i32 s8, s23, s8
	s_addc_u32 s22, s25, s24
	s_addc_u32 s24, s46, 0
	s_add_u32 s8, s22, s8
	s_addc_u32 s22, 0, s24
	s_mul_hi_u32 s24, s33, s8
	s_mul_i32 s22, s33, s22
	s_mul_i32 s8, s33, s8
	s_add_i32 s24, s24, s22
	s_sub_u32 s8, s6, s8
	s_cselect_b32 s22, -1, 0
	s_cmp_lg_u32 s22, 0
	s_subb_u32 s22, s23, s24
	s_sub_u32 s24, s8, s33
	s_cselect_b32 s25, -1, 0
	s_cmp_lg_u32 s25, 0
	s_subb_u32 s25, s22, 0
	;; [unrolled: 4-line block ×3, first 2 shown]
	s_cmp_ge_u32 s24, s33
	s_cselect_b32 s46, -1, 0
	s_cmp_eq_u32 s25, 0
	s_cselect_b32 s46, s46, -1
	s_cmp_lg_u32 s46, 0
	s_cselect_b32 s25, s43, s25
	s_cselect_b32 s24, s42, s24
	s_cmp_ge_u32 s8, s33
	s_cselect_b32 s42, -1, 0
	s_cmp_eq_u32 s22, 0
	s_cselect_b32 s42, s42, -1
	s_cmp_lg_u32 s42, 0
	s_cselect_b32 s25, s25, s22
	s_cselect_b32 s24, s24, s8
	s_cbranch_execnz .LBB132_84
.LBB132_83:                             ;   in Loop: Header=BB132_6 Depth=1
	v_cvt_f32_u32_e32 v2, s33
	s_sub_i32 s22, 0, s33
	v_rcp_iflag_f32_e32 v2, v2
	v_mul_f32_e32 v2, 0x4f7ffffe, v2
	v_cvt_u32_f32_e32 v2, v2
	v_readfirstlane_b32 s8, v2
	s_mul_i32 s22, s22, s8
	s_mul_hi_u32 s22, s8, s22
	s_add_i32 s8, s8, s22
	s_mul_hi_u32 s8, s6, s8
	s_mul_i32 s8, s8, s33
	s_sub_i32 s8, s6, s8
	s_sub_i32 s22, s8, s33
	s_cmp_ge_u32 s8, s33
	s_cselect_b32 s8, s22, s8
	s_sub_i32 s22, s8, s33
	s_cmp_ge_u32 s8, s33
	s_cselect_b32 s48, s22, s8
	s_mov_b64 s[24:25], s[48:49]
.LBB132_84:                             ;   in Loop: Header=BB132_6 Depth=1
	s_sub_u32 s22, s6, s24
	s_subb_u32 s23, s23, s25
	s_mov_b32 s6, 0
	s_mov_b32 s24, 0
	s_mov_b32 s25, exec_lo
                                        ; implicit-def: $vgpr8
	v_cmpx_gt_u64_e64 s[22:23], v[0:1]
	s_cbranch_execz .LBB132_96
; %bb.85:                               ;   in Loop: Header=BB132_6 Depth=1
	v_mov_b32_e32 v5, v1
	v_mov_b32_e32 v2, v0
	;; [unrolled: 1-line block ×3, first 2 shown]
                                        ; implicit-def: $sgpr42
	s_inst_prefetch 0x1
	s_branch .LBB132_88
	.p2align	6
.LBB132_86:                             ;   in Loop: Header=BB132_88 Depth=2
	s_or_b32 exec_lo, exec_lo, s43
	s_waitcnt lgkmcnt(0)
	s_barrier
	buffer_gl0_inv
	ds_read_u16 v6, v3 offset:3072
	s_mov_b32 s43, -1
	s_mov_b32 s48, -1
	s_waitcnt lgkmcnt(0)
	s_barrier
	buffer_gl0_inv
	v_cmp_ne_u32_sdwa s8, v6, v3 src0_sel:BYTE_0 src1_sel:DWORD
	s_and_b32 vcc_lo, exec_lo, s8
	s_cbranch_vccz .LBB132_91
.LBB132_87:                             ;   in Loop: Header=BB132_88 Depth=2
	s_and_b32 s8, exec_lo, s43
	s_or_b32 s24, s8, s24
	s_andn2_b32 s8, s42, exec_lo
	s_and_b32 s42, s48, exec_lo
	s_or_b32 s42, s8, s42
	s_andn2_b32 exec_lo, exec_lo, s24
	s_cbranch_execz .LBB132_95
.LBB132_88:                             ;   Parent Loop BB132_6 Depth=1
                                        ; =>  This Inner Loop Header: Depth=2
	s_mov_b32 s43, exec_lo
	v_cmpx_gt_u64_e64 s[20:21], v[4:5]
	s_cbranch_execz .LBB132_86
; %bb.89:                               ;   in Loop: Header=BB132_88 Depth=2
	ds_read_u8 v6, v2
	s_waitcnt lgkmcnt(0)
	v_add_nc_u32_sdwa v7, sext(v6), v36 dst_sel:DWORD dst_unused:UNUSED_PAD src0_sel:BYTE_0 src1_sel:DWORD
	v_and_b32_e32 v7, v7, v11
	v_cmp_eq_u32_e32 vcc_lo, v7, v10
	s_and_b32 exec_lo, exec_lo, vcc_lo
	s_cbranch_execz .LBB132_86
; %bb.90:                               ;   in Loop: Header=BB132_88 Depth=2
	v_lshlrev_b16 v6, 8, v6
	v_or_b32_e32 v6, 1, v6
	ds_write_b16 v3, v6 offset:3072
	s_branch .LBB132_86
.LBB132_91:                             ;   in Loop: Header=BB132_88 Depth=2
	v_add_co_u32 v4, vcc_lo, v4, s33
	v_add_co_ci_u32_e64 v5, null, 0, v5, vcc_lo
	v_add_nc_u32_e32 v2, s33, v2
	s_mov_b32 s48, 0
	v_cmp_le_u64_e32 vcc_lo, s[22:23], v[4:5]
	s_orn2_b32 s43, vcc_lo, exec_lo
	s_branch .LBB132_87
.LBB132_92:                             ;   in Loop: Header=BB132_6 Depth=1
	s_or_b32 exec_lo, exec_lo, s13
	s_waitcnt lgkmcnt(0)
	s_barrier
	buffer_gl0_inv
	s_and_saveexec_b32 s6, s3
	s_cbranch_execz .LBB132_94
; %bb.93:                               ;   in Loop: Header=BB132_6 Depth=1
	ds_read_b32 v4, v3 offset:5144
	s_waitcnt lgkmcnt(0)
	v_ashrrev_i32_e32 v5, 31, v4
	ds_write_b64 v3, v[4:5] offset:5120
.LBB132_94:                             ;   in Loop: Header=BB132_6 Depth=1
	s_or_b32 exec_lo, exec_lo, s6
	s_waitcnt lgkmcnt(0)
	s_mov_b32 s6, -1
	s_barrier
	s_and_b32 vcc_lo, exec_lo, s11
	s_cbranch_vccnz .LBB132_21
	s_branch .LBB132_36
.LBB132_95:                             ;   in Loop: Header=BB132_6 Depth=1
	s_inst_prefetch 0x2
	s_or_b32 exec_lo, exec_lo, s24
	v_lshrrev_b32_sdwa v8, v37, v6 dst_sel:DWORD dst_unused:UNUSED_PAD src0_sel:DWORD src1_sel:WORD_0
	s_and_b32 s24, s42, exec_lo
.LBB132_96:                             ;   in Loop: Header=BB132_6 Depth=1
	s_or_b32 exec_lo, exec_lo, s25
.LBB132_97:                             ;   in Loop: Header=BB132_6 Depth=1
	s_and_b32 vcc_lo, exec_lo, s6
	s_cbranch_vccz .LBB132_111
; %bb.98:                               ;   in Loop: Header=BB132_6 Depth=1
	s_mov_b32 s52, s49
	s_cmp_lg_u64 s[52:53], 0
	s_cbranch_scc0 .LBB132_139
; %bb.99:                               ;   in Loop: Header=BB132_6 Depth=1
	v_cvt_f32_u32_e32 v2, s33
	s_sub_u32 s20, 0, s33
	s_subb_u32 s21, 0, 0
	v_fmac_f32_e64 v2, 0x4f800000, 0
	v_rcp_f32_e32 v2, v2
	v_mul_f32_e32 v2, 0x5f7ffffc, v2
	v_mul_f32_e32 v4, 0x2f800000, v2
	v_trunc_f32_e32 v4, v4
	v_fmac_f32_e32 v2, 0xcf800000, v4
	v_cvt_u32_f32_e32 v4, v4
	v_cvt_u32_f32_e32 v2, v2
	v_readfirstlane_b32 s6, v4
	v_readfirstlane_b32 s8, v2
	s_mul_i32 s22, s20, s6
	s_mul_hi_u32 s25, s20, s8
	s_mul_i32 s23, s21, s8
	s_add_i32 s22, s25, s22
	s_mul_i32 s42, s20, s8
	s_add_i32 s22, s22, s23
	s_mul_hi_u32 s25, s8, s42
	s_mul_i32 s46, s8, s22
	s_mul_hi_u32 s43, s6, s42
	s_mul_i32 s23, s6, s42
	s_mul_hi_u32 s42, s8, s22
	s_add_u32 s25, s25, s46
	s_addc_u32 s42, 0, s42
	s_mul_hi_u32 s47, s6, s22
	s_add_u32 s23, s25, s23
	s_mul_i32 s22, s6, s22
	s_addc_u32 s23, s42, s43
	s_addc_u32 s25, s47, 0
	s_add_u32 s22, s23, s22
	s_addc_u32 s23, 0, s25
	s_add_u32 s8, s8, s22
	s_cselect_b32 s22, -1, 0
	s_mul_hi_u32 s25, s20, s8
	s_cmp_lg_u32 s22, 0
	s_mul_i32 s22, s20, s8
	s_addc_u32 s6, s6, s23
	s_mul_i32 s21, s21, s8
	s_mul_i32 s20, s20, s6
	s_mul_hi_u32 s23, s8, s22
	s_add_i32 s20, s25, s20
	s_mul_hi_u32 s25, s6, s22
	s_add_i32 s20, s20, s21
	s_mul_i32 s21, s6, s22
	s_mul_i32 s43, s8, s20
	s_mul_hi_u32 s42, s8, s20
	s_add_u32 s23, s23, s43
	s_addc_u32 s42, 0, s42
	s_mul_hi_u32 s22, s6, s20
	s_add_u32 s21, s23, s21
	s_mul_i32 s20, s6, s20
	s_addc_u32 s21, s42, s25
	s_addc_u32 s22, s22, 0
	s_add_u32 s20, s21, s20
	s_addc_u32 s21, 0, s22
	s_add_u32 s8, s8, s20
	s_cselect_b32 s20, -1, 0
	s_mul_hi_u32 s22, s82, s8
	s_cmp_lg_u32 s20, 0
	s_mul_hi_u32 s20, s53, s8
	s_addc_u32 s6, s6, s21
	s_mul_i32 s8, s53, s8
	s_mul_i32 s23, s82, s6
	s_mul_hi_u32 s21, s82, s6
	s_add_u32 s22, s22, s23
	s_addc_u32 s21, 0, s21
	s_mul_hi_u32 s25, s53, s6
	s_add_u32 s8, s22, s8
	s_mul_i32 s6, s53, s6
	s_addc_u32 s8, s21, s20
	s_addc_u32 s20, s25, 0
	s_add_u32 s6, s8, s6
	s_addc_u32 s8, 0, s20
	s_mul_hi_u32 s20, s33, s6
	s_mul_i32 s8, s33, s8
	s_mul_i32 s6, s33, s6
	s_add_i32 s20, s20, s8
	s_sub_u32 s6, s82, s6
	s_cselect_b32 s8, -1, 0
	s_cmp_lg_u32 s8, 0
	s_subb_u32 s8, s53, s20
	s_sub_u32 s20, s6, s33
	s_cselect_b32 s21, -1, 0
	s_cmp_lg_u32 s21, 0
	s_subb_u32 s21, s8, 0
	;; [unrolled: 4-line block ×3, first 2 shown]
	s_cmp_ge_u32 s20, s33
	s_cselect_b32 s25, -1, 0
	s_cmp_eq_u32 s21, 0
	s_cselect_b32 s25, s25, -1
	s_cmp_lg_u32 s25, 0
	s_cselect_b32 s21, s23, s21
	s_cselect_b32 s20, s22, s20
	s_cmp_ge_u32 s6, s33
	s_cselect_b32 s22, -1, 0
	s_cmp_eq_u32 s8, 0
	s_cselect_b32 s22, s22, -1
	s_cmp_lg_u32 s22, 0
	s_cselect_b32 s21, s21, s8
	s_cselect_b32 s20, s20, s6
	s_cbranch_execnz .LBB132_101
.LBB132_100:                            ;   in Loop: Header=BB132_6 Depth=1
	v_cvt_f32_u32_e32 v2, s33
	s_sub_i32 s8, 0, s33
	v_rcp_iflag_f32_e32 v2, v2
	v_mul_f32_e32 v2, 0x4f7ffffe, v2
	v_cvt_u32_f32_e32 v2, v2
	v_readfirstlane_b32 s6, v2
	s_mul_i32 s8, s8, s6
	s_mul_hi_u32 s8, s6, s8
	s_add_i32 s6, s6, s8
	s_mul_hi_u32 s6, s82, s6
	s_mul_i32 s6, s6, s33
	s_sub_i32 s6, s82, s6
	s_sub_i32 s8, s6, s33
	s_cmp_ge_u32 s6, s33
	s_cselect_b32 s6, s8, s6
	s_sub_i32 s8, s6, s33
	s_cmp_ge_u32 s6, s33
	s_cselect_b32 s48, s8, s6
	s_mov_b64 s[20:21], s[48:49]
.LBB132_101:                            ;   in Loop: Header=BB132_6 Depth=1
	s_sub_u32 s20, s82, s20
	s_subb_u32 s21, s53, s21
	s_mov_b32 s22, exec_lo
                                        ; implicit-def: $vgpr8
	v_cmpx_gt_u64_e64 s[20:21], v[0:1]
	s_cbranch_execz .LBB132_110
; %bb.102:                              ;   in Loop: Header=BB132_6 Depth=1
	v_mov_b32_e32 v4, v12
	v_mov_b32_e32 v7, v1
	;; [unrolled: 1-line block ×4, first 2 shown]
	s_mov_b32 s23, 0
                                        ; implicit-def: $sgpr25
	s_inst_prefetch 0x1
	s_branch .LBB132_105
	.p2align	6
.LBB132_103:                            ;   in Loop: Header=BB132_105 Depth=2
	s_or_b32 exec_lo, exec_lo, s6
	s_waitcnt lgkmcnt(0)
	s_barrier
	buffer_gl0_inv
	ds_read_u16 v2, v3 offset:3072
	s_mov_b32 s6, -1
	s_mov_b32 s42, -1
	s_waitcnt lgkmcnt(0)
	s_barrier
	buffer_gl0_inv
	v_cmp_ne_u32_sdwa s8, v2, v3 src0_sel:BYTE_0 src1_sel:DWORD
	s_and_b32 vcc_lo, exec_lo, s8
	s_cbranch_vccz .LBB132_108
.LBB132_104:                            ;   in Loop: Header=BB132_105 Depth=2
	s_and_b32 s6, exec_lo, s6
	s_or_b32 s23, s6, s23
	s_andn2_b32 s6, s25, exec_lo
	s_and_b32 s8, s42, exec_lo
	s_or_b32 s25, s6, s8
	s_andn2_b32 exec_lo, exec_lo, s23
	s_cbranch_execz .LBB132_109
.LBB132_105:                            ;   Parent Loop BB132_6 Depth=1
                                        ; =>  This Inner Loop Header: Depth=2
	s_mov_b32 s6, exec_lo
	v_cmpx_gt_u64_e64 s[28:29], v[6:7]
	s_cbranch_execz .LBB132_103
; %bb.106:                              ;   in Loop: Header=BB132_105 Depth=2
	global_load_ubyte v2, v[4:5], off
	s_waitcnt vmcnt(0)
	v_add_nc_u32_sdwa v8, sext(v2), v36 dst_sel:DWORD dst_unused:UNUSED_PAD src0_sel:BYTE_0 src1_sel:DWORD
	v_and_b32_e32 v8, v8, v11
	v_cmp_eq_u32_e32 vcc_lo, v8, v10
	s_and_b32 exec_lo, exec_lo, vcc_lo
	s_cbranch_execz .LBB132_103
; %bb.107:                              ;   in Loop: Header=BB132_105 Depth=2
	v_lshlrev_b16 v2, 8, v2
	v_or_b32_e32 v2, 1, v2
	ds_write_b16 v3, v2 offset:3072
	s_branch .LBB132_103
.LBB132_108:                            ;   in Loop: Header=BB132_105 Depth=2
	v_add_co_u32 v6, vcc_lo, v6, s33
	v_add_co_ci_u32_e64 v7, null, 0, v7, vcc_lo
	v_add_co_u32 v4, s6, v4, s72
	v_add_co_ci_u32_e64 v5, null, s41, v5, s6
	v_cmp_le_u64_e32 vcc_lo, s[20:21], v[6:7]
	s_mov_b32 s42, 0
	s_orn2_b32 s6, vcc_lo, exec_lo
	s_branch .LBB132_104
.LBB132_109:                            ;   in Loop: Header=BB132_6 Depth=1
	s_inst_prefetch 0x2
	s_or_b32 exec_lo, exec_lo, s23
	v_lshrrev_b32_sdwa v8, v37, v2 dst_sel:DWORD dst_unused:UNUSED_PAD src0_sel:DWORD src1_sel:WORD_0
	s_andn2_b32 s6, s24, exec_lo
	s_and_b32 s8, s25, exec_lo
	s_or_b32 s24, s6, s8
.LBB132_110:                            ;   in Loop: Header=BB132_6 Depth=1
	s_or_b32 exec_lo, exec_lo, s22
	s_mov_b32 s59, 0
	s_mov_b32 s60, -1
.LBB132_111:                            ;   in Loop: Header=BB132_6 Depth=1
	s_orn2_b32 s6, s24, exec_lo
.LBB132_112:                            ;   in Loop: Header=BB132_6 Depth=1
	s_or_b32 exec_lo, exec_lo, s45
	s_mov_b32 s61, 0
	s_mov_b32 s58, 0
	;; [unrolled: 1-line block ×3, first 2 shown]
                                        ; implicit-def: $vgpr4_vgpr5
                                        ; implicit-def: $vgpr2
	s_and_saveexec_b32 s62, s6
	s_cbranch_execz .LBB132_270
; %bb.113:                              ;   in Loop: Header=BB132_6 Depth=1
	v_mov_b32_e32 v4, 1
	v_mov_b32_e32 v5, 0
	;; [unrolled: 1-line block ×3, first 2 shown]
	s_xor_b32 s8, s63, -1
	s_mov_b32 s20, 0
	s_and_saveexec_b32 s6, s8
	s_cbranch_execz .LBB132_122
; %bb.114:                              ;   in Loop: Header=BB132_6 Depth=1
	s_mov_b32 s8, exec_lo
	v_cmpx_ge_u64_e64 s[12:13], v[26:27]
	s_xor_b32 s20, exec_lo, s8
	s_cbranch_execz .LBB132_119
; %bb.115:                              ;   in Loop: Header=BB132_6 Depth=1
	ds_read_b64 v[4:5], v3 offset:5120
	v_and_b32_e32 v10, s26, v10
	v_or_b32_e32 v11, s11, v11
	s_waitcnt lgkmcnt(0)
	v_cmp_ne_u64_e32 vcc_lo, 0, v[4:5]
	s_cbranch_vccnz .LBB132_119
; %bb.116:                              ;   in Loop: Header=BB132_6 Depth=1
	s_and_saveexec_b32 s21, s3
; %bb.117:                              ;   in Loop: Header=BB132_6 Depth=1
	v_mov_b32_e32 v4, s12
	v_mov_b32_e32 v5, s13
	ds_write_b64 v3, v[4:5] offset:5128
; %bb.118:                              ;   in Loop: Header=BB132_6 Depth=1
	s_or_b32 exec_lo, exec_lo, s21
	s_waitcnt lgkmcnt(0)
	s_barrier
	buffer_gl0_inv
.LBB132_119:                            ;   in Loop: Header=BB132_6 Depth=1
	s_or_saveexec_b32 s20, s20
	v_mov_b32_e32 v4, v26
	v_mov_b32_e32 v2, 8
	;; [unrolled: 1-line block ×3, first 2 shown]
	s_mov_b32 s21, 0
	s_xor_b32 exec_lo, exec_lo, s20
; %bb.120:                              ;   in Loop: Header=BB132_6 Depth=1
	v_sub_co_u32 v4, vcc_lo, v26, s12
	v_subrev_co_ci_u32_e64 v5, null, s13, v27, vcc_lo
	v_mov_b32_e32 v2, 0
	s_mov_b32 s21, exec_lo
; %bb.121:                              ;   in Loop: Header=BB132_6 Depth=1
	s_or_b32 exec_lo, exec_lo, s20
	s_and_b32 s20, s21, exec_lo
.LBB132_122:                            ;   in Loop: Header=BB132_6 Depth=1
	s_or_b32 exec_lo, exec_lo, s6
	s_mov_b32 s6, -1
                                        ; implicit-def: $sgpr58
                                        ; implicit-def: $sgpr63
	s_and_saveexec_b32 s8, s20
	s_xor_b32 s45, exec_lo, s8
	s_cbranch_execz .LBB132_267
; %bb.123:                              ;   in Loop: Header=BB132_6 Depth=1
	v_cmp_eq_u64_e32 vcc_lo, 1, v[4:5]
	s_cmp_eq_u64 s[14:15], 1
                                        ; implicit-def: $sgpr63
                                        ; implicit-def: $sgpr58
	s_cselect_b32 s6, -1, 0
	s_and_b32 s65, s6, vcc_lo
	s_mov_b32 s6, -1
	s_and_saveexec_b32 s64, s65
	s_cbranch_execz .LBB132_157
; %bb.124:                              ;   in Loop: Header=BB132_6 Depth=1
	ds_read_b64 v[6:7], v3 offset:5120
	s_waitcnt lgkmcnt(0)
	s_barrier
	buffer_gl0_inv
	v_readfirstlane_b32 s20, v6
	v_readfirstlane_b32 s21, v7
	s_and_saveexec_b32 s6, s10
; %bb.125:                              ;   in Loop: Header=BB132_6 Depth=1
	ds_write_b8 v0, v3 offset:3072
; %bb.126:                              ;   in Loop: Header=BB132_6 Depth=1
	s_or_b32 exec_lo, exec_lo, s6
	s_lshl_b32 s6, 1, s92
	v_or_b32_e32 v11, s11, v11
	v_and_or_b32 v10, v10, s26, s6
	s_mov_b32 s58, -1
	s_mov_b32 s63, 0
	s_cmp_eq_u64 s[20:21], 0
	s_mov_b32 s24, 0
	s_mov_b32 s6, -1
	s_waitcnt lgkmcnt(0)
	s_barrier
	buffer_gl0_inv
                                        ; implicit-def: $vgpr8
	s_cbranch_scc1 .LBB132_142
; %bb.127:                              ;   in Loop: Header=BB132_6 Depth=1
	s_add_u32 s6, s20, s80
	s_addc_u32 s23, s21, s81
	s_mov_b32 s22, s49
	s_cmp_lg_u64 s[22:23], 0
	s_cbranch_scc0 .LBB132_183
; %bb.128:                              ;   in Loop: Header=BB132_6 Depth=1
	v_cvt_f32_u32_e32 v6, s33
	s_sub_u32 s25, 0, s33
	s_subb_u32 s42, 0, 0
	v_fmac_f32_e64 v6, 0x4f800000, 0
	v_rcp_f32_e32 v6, v6
	v_mul_f32_e32 v6, 0x5f7ffffc, v6
	v_mul_f32_e32 v7, 0x2f800000, v6
	v_trunc_f32_e32 v7, v7
	v_fmac_f32_e32 v6, 0xcf800000, v7
	v_cvt_u32_f32_e32 v7, v7
	v_cvt_u32_f32_e32 v6, v6
	v_readfirstlane_b32 s22, v7
	v_readfirstlane_b32 s24, v6
	s_mul_i32 s43, s25, s22
	s_mul_hi_u32 s47, s25, s24
	s_mul_i32 s46, s42, s24
	s_add_i32 s43, s47, s43
	s_mul_i32 s48, s25, s24
	s_add_i32 s43, s43, s46
	s_mul_hi_u32 s47, s24, s48
	s_mul_i32 s66, s24, s43
	s_mul_hi_u32 s52, s22, s48
	s_mul_i32 s46, s22, s48
	s_mul_hi_u32 s48, s24, s43
	s_add_u32 s47, s47, s66
	s_addc_u32 s48, 0, s48
	s_mul_hi_u32 s67, s22, s43
	s_add_u32 s46, s47, s46
	s_mul_i32 s43, s22, s43
	s_addc_u32 s46, s48, s52
	s_addc_u32 s47, s67, 0
	s_add_u32 s43, s46, s43
	s_addc_u32 s46, 0, s47
	s_add_u32 s24, s24, s43
	s_cselect_b32 s43, -1, 0
	s_mul_hi_u32 s47, s25, s24
	s_cmp_lg_u32 s43, 0
	s_mul_i32 s43, s25, s24
	s_addc_u32 s22, s22, s46
	s_mul_i32 s42, s42, s24
	s_mul_i32 s25, s25, s22
	s_mul_hi_u32 s46, s24, s43
	s_add_i32 s25, s47, s25
	s_mul_hi_u32 s47, s22, s43
	s_add_i32 s25, s25, s42
	s_mul_i32 s42, s22, s43
	s_mul_i32 s52, s24, s25
	s_mul_hi_u32 s48, s24, s25
	s_add_u32 s46, s46, s52
	s_addc_u32 s48, 0, s48
	s_mul_hi_u32 s43, s22, s25
	s_add_u32 s42, s46, s42
	s_mul_i32 s25, s22, s25
	s_addc_u32 s42, s48, s47
	s_addc_u32 s43, s43, 0
	s_add_u32 s25, s42, s25
	s_addc_u32 s42, 0, s43
	s_add_u32 s24, s24, s25
	s_cselect_b32 s25, -1, 0
	s_mul_hi_u32 s43, s6, s24
	s_cmp_lg_u32 s25, 0
	s_mul_hi_u32 s25, s23, s24
	s_addc_u32 s22, s22, s42
	s_mul_i32 s24, s23, s24
	s_mul_i32 s46, s6, s22
	s_mul_hi_u32 s42, s6, s22
	s_add_u32 s43, s43, s46
	s_addc_u32 s42, 0, s42
	s_mul_hi_u32 s47, s23, s22
	s_add_u32 s24, s43, s24
	s_mul_i32 s22, s23, s22
	s_addc_u32 s24, s42, s25
	s_addc_u32 s25, s47, 0
	s_add_u32 s22, s24, s22
	s_addc_u32 s24, 0, s25
	s_mul_hi_u32 s25, s33, s22
	s_mul_i32 s24, s33, s24
	s_mul_i32 s22, s33, s22
	s_add_i32 s25, s25, s24
	s_sub_u32 s22, s6, s22
	s_cselect_b32 s24, -1, 0
	s_cmp_lg_u32 s24, 0
	s_subb_u32 s24, s23, s25
	s_sub_u32 s25, s22, s33
	s_cselect_b32 s42, -1, 0
	s_cmp_lg_u32 s42, 0
	s_subb_u32 s42, s24, 0
	;; [unrolled: 4-line block ×3, first 2 shown]
	s_cmp_ge_u32 s25, s33
	s_cselect_b32 s47, -1, 0
	s_cmp_eq_u32 s42, 0
	s_cselect_b32 s47, s47, -1
	s_cmp_lg_u32 s47, 0
	s_cselect_b32 s42, s46, s42
	s_cselect_b32 s43, s43, s25
	s_cmp_ge_u32 s22, s33
	s_cselect_b32 s25, -1, 0
	s_cmp_eq_u32 s24, 0
	s_cselect_b32 s25, s25, -1
	s_cmp_lg_u32 s25, 0
	s_cselect_b32 s25, s42, s24
	s_cselect_b32 s24, s43, s22
	s_cbranch_execnz .LBB132_130
.LBB132_129:                            ;   in Loop: Header=BB132_6 Depth=1
	v_cvt_f32_u32_e32 v6, s33
	s_sub_i32 s24, 0, s33
	v_rcp_iflag_f32_e32 v6, v6
	v_mul_f32_e32 v6, 0x4f7ffffe, v6
	v_cvt_u32_f32_e32 v6, v6
	v_readfirstlane_b32 s22, v6
	s_mul_i32 s24, s24, s22
	s_mul_hi_u32 s24, s22, s24
	s_add_i32 s22, s22, s24
	s_mul_hi_u32 s22, s6, s22
	s_mul_i32 s22, s22, s33
	s_sub_i32 s22, s6, s22
	s_sub_i32 s24, s22, s33
	s_cmp_ge_u32 s22, s33
	s_cselect_b32 s22, s24, s22
	s_sub_i32 s24, s22, s33
	s_cmp_ge_u32 s22, s33
	s_cselect_b32 s48, s24, s22
	s_mov_b64 s[24:25], s[48:49]
.LBB132_130:                            ;   in Loop: Header=BB132_6 Depth=1
	s_sub_u32 s22, s6, s24
	s_subb_u32 s23, s23, s25
	s_mov_b32 s6, 0
	s_mov_b32 s24, 0
	s_mov_b32 s25, exec_lo
                                        ; implicit-def: $vgpr8
	v_cmpx_gt_u64_e64 s[22:23], v[0:1]
	s_cbranch_execz .LBB132_141
; %bb.131:                              ;   in Loop: Header=BB132_6 Depth=1
	v_mov_b32_e32 v7, v1
	v_mov_b32_e32 v8, v0
	;; [unrolled: 1-line block ×3, first 2 shown]
                                        ; implicit-def: $sgpr42
	s_inst_prefetch 0x1
	s_branch .LBB132_134
	.p2align	6
.LBB132_132:                            ;   in Loop: Header=BB132_134 Depth=2
	s_or_b32 exec_lo, exec_lo, s43
	s_waitcnt lgkmcnt(0)
	s_barrier
	buffer_gl0_inv
	ds_read_u16 v9, v3 offset:3072
	s_mov_b32 s43, -1
	s_mov_b32 s48, -1
	s_waitcnt lgkmcnt(0)
	s_barrier
	buffer_gl0_inv
	v_cmp_ne_u32_sdwa s46, v9, v3 src0_sel:BYTE_0 src1_sel:DWORD
	s_and_b32 vcc_lo, exec_lo, s46
	s_cbranch_vccz .LBB132_137
.LBB132_133:                            ;   in Loop: Header=BB132_134 Depth=2
	s_and_b32 s8, exec_lo, s43
	s_or_b32 s24, s8, s24
	s_andn2_b32 s8, s42, exec_lo
	s_and_b32 s42, s48, exec_lo
	s_or_b32 s42, s8, s42
	s_andn2_b32 exec_lo, exec_lo, s24
	s_cbranch_execz .LBB132_140
.LBB132_134:                            ;   Parent Loop BB132_6 Depth=1
                                        ; =>  This Inner Loop Header: Depth=2
	s_mov_b32 s43, exec_lo
	v_cmpx_gt_u64_e64 s[20:21], v[6:7]
	s_cbranch_execz .LBB132_132
; %bb.135:                              ;   in Loop: Header=BB132_134 Depth=2
	ds_read_u8 v9, v8
	s_waitcnt lgkmcnt(0)
	v_add_nc_u32_sdwa v28, sext(v9), v36 dst_sel:DWORD dst_unused:UNUSED_PAD src0_sel:BYTE_0 src1_sel:DWORD
	v_and_b32_e32 v28, v28, v11
	v_cmp_eq_u32_e32 vcc_lo, v28, v10
	s_and_b32 exec_lo, exec_lo, vcc_lo
	s_cbranch_execz .LBB132_132
; %bb.136:                              ;   in Loop: Header=BB132_134 Depth=2
	v_lshlrev_b16 v9, 8, v9
	v_or_b32_e32 v9, 1, v9
	ds_write_b16 v3, v9 offset:3072
	s_branch .LBB132_132
.LBB132_137:                            ;   in Loop: Header=BB132_134 Depth=2
	v_add_co_u32 v6, vcc_lo, v6, s33
	v_add_co_ci_u32_e64 v7, null, 0, v7, vcc_lo
	v_add_nc_u32_e32 v8, s33, v8
	s_mov_b32 s48, 0
	v_cmp_le_u64_e32 vcc_lo, s[22:23], v[6:7]
	s_orn2_b32 s43, vcc_lo, exec_lo
	s_branch .LBB132_133
.LBB132_138:                            ;   in Loop: Header=BB132_6 Depth=1
                                        ; implicit-def: $sgpr24_sgpr25
	s_branch .LBB132_83
.LBB132_139:                            ;   in Loop: Header=BB132_6 Depth=1
                                        ; implicit-def: $sgpr20_sgpr21
	s_branch .LBB132_100
.LBB132_140:                            ;   in Loop: Header=BB132_6 Depth=1
	s_inst_prefetch 0x2
	s_or_b32 exec_lo, exec_lo, s24
	v_lshrrev_b32_sdwa v8, v37, v9 dst_sel:DWORD dst_unused:UNUSED_PAD src0_sel:DWORD src1_sel:WORD_0
	s_and_b32 s24, s42, exec_lo
.LBB132_141:                            ;   in Loop: Header=BB132_6 Depth=1
	s_or_b32 exec_lo, exec_lo, s25
.LBB132_142:                            ;   in Loop: Header=BB132_6 Depth=1
	s_and_b32 vcc_lo, exec_lo, s6
	s_cbranch_vccz .LBB132_156
; %bb.143:                              ;   in Loop: Header=BB132_6 Depth=1
	s_mov_b32 s52, s49
	s_cmp_lg_u64 s[52:53], 0
	s_cbranch_scc0 .LBB132_184
; %bb.144:                              ;   in Loop: Header=BB132_6 Depth=1
	v_cvt_f32_u32_e32 v6, s33
	s_sub_u32 s21, 0, s33
	s_subb_u32 s22, 0, 0
	v_fmac_f32_e64 v6, 0x4f800000, 0
	v_rcp_f32_e32 v6, v6
	v_mul_f32_e32 v6, 0x5f7ffffc, v6
	v_mul_f32_e32 v7, 0x2f800000, v6
	v_trunc_f32_e32 v7, v7
	v_fmac_f32_e32 v6, 0xcf800000, v7
	v_cvt_u32_f32_e32 v7, v7
	v_cvt_u32_f32_e32 v6, v6
	v_readfirstlane_b32 s6, v7
	v_readfirstlane_b32 s20, v6
	s_mul_i32 s23, s21, s6
	s_mul_hi_u32 s42, s21, s20
	s_mul_i32 s25, s22, s20
	s_add_i32 s23, s42, s23
	s_mul_i32 s43, s21, s20
	s_add_i32 s23, s23, s25
	s_mul_hi_u32 s42, s20, s43
	s_mul_i32 s47, s20, s23
	s_mul_hi_u32 s46, s6, s43
	s_mul_i32 s25, s6, s43
	s_mul_hi_u32 s43, s20, s23
	s_add_u32 s42, s42, s47
	s_addc_u32 s43, 0, s43
	s_mul_hi_u32 s48, s6, s23
	s_add_u32 s25, s42, s25
	s_mul_i32 s23, s6, s23
	s_addc_u32 s25, s43, s46
	s_addc_u32 s42, s48, 0
	s_add_u32 s23, s25, s23
	s_addc_u32 s25, 0, s42
	s_add_u32 s20, s20, s23
	s_cselect_b32 s23, -1, 0
	s_mul_hi_u32 s42, s21, s20
	s_cmp_lg_u32 s23, 0
	s_mul_i32 s23, s21, s20
	s_addc_u32 s6, s6, s25
	s_mul_i32 s22, s22, s20
	s_mul_i32 s21, s21, s6
	s_mul_hi_u32 s25, s20, s23
	s_add_i32 s21, s42, s21
	s_mul_hi_u32 s42, s6, s23
	s_add_i32 s21, s21, s22
	s_mul_i32 s22, s6, s23
	s_mul_i32 s46, s20, s21
	s_mul_hi_u32 s43, s20, s21
	s_add_u32 s25, s25, s46
	s_addc_u32 s43, 0, s43
	s_mul_hi_u32 s23, s6, s21
	s_add_u32 s22, s25, s22
	s_mul_i32 s21, s6, s21
	s_addc_u32 s22, s43, s42
	s_addc_u32 s23, s23, 0
	s_add_u32 s21, s22, s21
	s_addc_u32 s22, 0, s23
	s_add_u32 s20, s20, s21
	s_cselect_b32 s21, -1, 0
	s_mul_hi_u32 s23, s82, s20
	s_cmp_lg_u32 s21, 0
	s_mul_hi_u32 s21, s53, s20
	s_addc_u32 s6, s6, s22
	s_mul_i32 s20, s53, s20
	s_mul_i32 s25, s82, s6
	s_mul_hi_u32 s22, s82, s6
	s_add_u32 s23, s23, s25
	s_addc_u32 s22, 0, s22
	s_mul_hi_u32 s42, s53, s6
	s_add_u32 s20, s23, s20
	s_mul_i32 s6, s53, s6
	s_addc_u32 s20, s22, s21
	s_addc_u32 s21, s42, 0
	s_add_u32 s6, s20, s6
	s_addc_u32 s20, 0, s21
	s_mul_hi_u32 s21, s33, s6
	s_mul_i32 s20, s33, s20
	s_mul_i32 s6, s33, s6
	s_add_i32 s21, s21, s20
	s_sub_u32 s6, s82, s6
	s_cselect_b32 s20, -1, 0
	s_cmp_lg_u32 s20, 0
	s_subb_u32 s20, s53, s21
	s_sub_u32 s21, s6, s33
	s_cselect_b32 s22, -1, 0
	s_cmp_lg_u32 s22, 0
	s_subb_u32 s22, s20, 0
	;; [unrolled: 4-line block ×3, first 2 shown]
	s_cmp_ge_u32 s21, s33
	s_cselect_b32 s42, -1, 0
	s_cmp_eq_u32 s22, 0
	s_cselect_b32 s42, s42, -1
	s_cmp_lg_u32 s42, 0
	s_cselect_b32 s22, s25, s22
	s_cselect_b32 s23, s23, s21
	s_cmp_ge_u32 s6, s33
	s_cselect_b32 s21, -1, 0
	s_cmp_eq_u32 s20, 0
	s_cselect_b32 s21, s21, -1
	s_cmp_lg_u32 s21, 0
	s_cselect_b32 s21, s22, s20
	s_cselect_b32 s20, s23, s6
	s_cbranch_execnz .LBB132_146
.LBB132_145:                            ;   in Loop: Header=BB132_6 Depth=1
	v_cvt_f32_u32_e32 v6, s33
	s_sub_i32 s20, 0, s33
	v_rcp_iflag_f32_e32 v6, v6
	v_mul_f32_e32 v6, 0x4f7ffffe, v6
	v_cvt_u32_f32_e32 v6, v6
	v_readfirstlane_b32 s6, v6
	s_mul_i32 s20, s20, s6
	s_mul_hi_u32 s20, s6, s20
	s_add_i32 s6, s6, s20
	s_mul_hi_u32 s6, s82, s6
	s_mul_i32 s6, s6, s33
	s_sub_i32 s6, s82, s6
	s_sub_i32 s20, s6, s33
	s_cmp_ge_u32 s6, s33
	s_cselect_b32 s6, s20, s6
	s_sub_i32 s20, s6, s33
	s_cmp_ge_u32 s6, s33
	s_cselect_b32 s48, s20, s6
	s_mov_b64 s[20:21], s[48:49]
.LBB132_146:                            ;   in Loop: Header=BB132_6 Depth=1
	s_sub_u32 s20, s82, s20
	s_subb_u32 s21, s53, s21
	s_mov_b32 s22, exec_lo
                                        ; implicit-def: $vgpr8
	v_cmpx_gt_u64_e64 s[20:21], v[0:1]
	s_cbranch_execz .LBB132_155
; %bb.147:                              ;   in Loop: Header=BB132_6 Depth=1
	v_mov_b32_e32 v6, v12
	v_mov_b32_e32 v9, v1
	;; [unrolled: 1-line block ×4, first 2 shown]
	s_mov_b32 s23, 0
                                        ; implicit-def: $sgpr25
	s_inst_prefetch 0x1
	s_branch .LBB132_150
	.p2align	6
.LBB132_148:                            ;   in Loop: Header=BB132_150 Depth=2
	s_or_b32 exec_lo, exec_lo, s6
	s_waitcnt lgkmcnt(0)
	s_barrier
	buffer_gl0_inv
	ds_read_u16 v28, v3 offset:3072
	s_mov_b32 s6, -1
	s_waitcnt lgkmcnt(0)
	s_barrier
	buffer_gl0_inv
	v_cmp_eq_u32_sdwa s42, v28, v3 src0_sel:BYTE_0 src1_sel:DWORD
	s_and_b32 vcc_lo, exec_lo, s42
	s_mov_b32 s42, -1
	s_cbranch_vccnz .LBB132_153
.LBB132_149:                            ;   in Loop: Header=BB132_150 Depth=2
	s_and_b32 s6, exec_lo, s6
	s_or_b32 s23, s6, s23
	s_andn2_b32 s6, s25, exec_lo
	s_and_b32 s8, s42, exec_lo
	s_or_b32 s25, s6, s8
	s_andn2_b32 exec_lo, exec_lo, s23
	s_cbranch_execz .LBB132_154
.LBB132_150:                            ;   Parent Loop BB132_6 Depth=1
                                        ; =>  This Inner Loop Header: Depth=2
	s_mov_b32 s6, exec_lo
	v_cmpx_gt_u64_e64 s[28:29], v[8:9]
	s_cbranch_execz .LBB132_148
; %bb.151:                              ;   in Loop: Header=BB132_150 Depth=2
	global_load_ubyte v28, v[6:7], off
	s_waitcnt vmcnt(0)
	v_add_nc_u32_sdwa v29, sext(v28), v36 dst_sel:DWORD dst_unused:UNUSED_PAD src0_sel:BYTE_0 src1_sel:DWORD
	v_and_b32_e32 v29, v29, v11
	v_cmp_eq_u32_e32 vcc_lo, v29, v10
	s_and_b32 exec_lo, exec_lo, vcc_lo
	s_cbranch_execz .LBB132_148
; %bb.152:                              ;   in Loop: Header=BB132_150 Depth=2
	v_lshlrev_b16 v28, 8, v28
	v_or_b32_e32 v28, 1, v28
	ds_write_b16 v3, v28 offset:3072
	s_branch .LBB132_148
.LBB132_153:                            ;   in Loop: Header=BB132_150 Depth=2
	v_add_co_u32 v8, vcc_lo, v8, s33
	v_add_co_ci_u32_e64 v9, null, 0, v9, vcc_lo
	v_add_co_u32 v6, s6, v6, s72
	v_add_co_ci_u32_e64 v7, null, s41, v7, s6
	v_cmp_le_u64_e32 vcc_lo, s[20:21], v[8:9]
	s_mov_b32 s42, 0
	s_orn2_b32 s6, vcc_lo, exec_lo
	s_branch .LBB132_149
.LBB132_154:                            ;   in Loop: Header=BB132_6 Depth=1
	s_inst_prefetch 0x2
	s_or_b32 exec_lo, exec_lo, s23
	v_lshrrev_b32_sdwa v8, v37, v28 dst_sel:DWORD dst_unused:UNUSED_PAD src0_sel:DWORD src1_sel:WORD_0
	s_andn2_b32 s6, s24, exec_lo
	s_and_b32 s8, s25, exec_lo
	s_or_b32 s24, s6, s8
.LBB132_155:                            ;   in Loop: Header=BB132_6 Depth=1
	s_or_b32 exec_lo, exec_lo, s22
	s_mov_b32 s58, 0
	s_mov_b32 s63, -1
.LBB132_156:                            ;   in Loop: Header=BB132_6 Depth=1
	s_orn2_b32 s6, s24, exec_lo
.LBB132_157:                            ;   in Loop: Header=BB132_6 Depth=1
	s_or_b32 exec_lo, exec_lo, s64
	s_mov_b32 s20, 0
	s_and_saveexec_b32 s64, s6
	s_cbranch_execz .LBB132_266
; %bb.158:                              ;   in Loop: Header=BB132_6 Depth=1
	v_mov_b32_e32 v6, 1
	v_mov_b32_e32 v7, 0
	v_mov_b32_e32 v2, 1
	s_xor_b32 s21, s65, -1
	s_and_saveexec_b32 s6, s21
	s_cbranch_execz .LBB132_167
; %bb.159:                              ;   in Loop: Header=BB132_6 Depth=1
	s_mov_b32 s20, exec_lo
	v_cmpx_ge_u64_e64 s[14:15], v[4:5]
	s_xor_b32 s20, exec_lo, s20
	s_cbranch_execz .LBB132_164
; %bb.160:                              ;   in Loop: Header=BB132_6 Depth=1
	ds_read_b64 v[6:7], v3 offset:5120
	s_lshl_b32 s21, 1, s92
	v_or_b32_e32 v11, s11, v11
	v_and_or_b32 v10, v10, s26, s21
	s_waitcnt lgkmcnt(0)
	v_cmp_ne_u64_e32 vcc_lo, 0, v[6:7]
	s_cbranch_vccnz .LBB132_164
; %bb.161:                              ;   in Loop: Header=BB132_6 Depth=1
	s_and_saveexec_b32 s21, s3
; %bb.162:                              ;   in Loop: Header=BB132_6 Depth=1
	v_mov_b32_e32 v6, s14
	v_mov_b32_e32 v7, s15
	ds_write_b64 v3, v[6:7] offset:5128
; %bb.163:                              ;   in Loop: Header=BB132_6 Depth=1
	s_or_b32 exec_lo, exec_lo, s21
	s_waitcnt lgkmcnt(0)
	s_barrier
	buffer_gl0_inv
.LBB132_164:                            ;   in Loop: Header=BB132_6 Depth=1
	s_or_saveexec_b32 s20, s20
	v_mov_b32_e32 v2, 8
	s_mov_b32 s21, 0
	s_xor_b32 exec_lo, exec_lo, s20
; %bb.165:                              ;   in Loop: Header=BB132_6 Depth=1
	v_sub_co_u32 v4, vcc_lo, v4, s14
	v_subrev_co_ci_u32_e64 v5, null, s15, v5, vcc_lo
	v_mov_b32_e32 v2, 0
	s_mov_b32 s21, exec_lo
; %bb.166:                              ;   in Loop: Header=BB132_6 Depth=1
	s_or_b32 exec_lo, exec_lo, s20
	v_mov_b32_e32 v7, v5
	v_mov_b32_e32 v6, v4
	s_and_b32 s20, s21, exec_lo
.LBB132_167:                            ;   in Loop: Header=BB132_6 Depth=1
	s_or_b32 exec_lo, exec_lo, s6
	s_mov_b32 s6, -1
                                        ; implicit-def: $sgpr66
                                        ; implicit-def: $sgpr67
	s_and_saveexec_b32 s65, s20
	s_cbranch_execz .LBB132_265
; %bb.168:                              ;   in Loop: Header=BB132_6 Depth=1
	v_cmp_eq_u64_e32 vcc_lo, 1, v[6:7]
	s_cmp_eq_u64 s[16:17], 1
                                        ; implicit-def: $sgpr67
                                        ; implicit-def: $sgpr66
	s_cselect_b32 s6, -1, 0
	s_and_b32 s69, s6, vcc_lo
	s_mov_b32 s6, -1
	s_and_saveexec_b32 s68, s69
	s_cbranch_execz .LBB132_202
; %bb.169:                              ;   in Loop: Header=BB132_6 Depth=1
	ds_read_b64 v[4:5], v3 offset:5120
	s_waitcnt lgkmcnt(0)
	s_barrier
	buffer_gl0_inv
	v_readfirstlane_b32 s20, v4
	v_readfirstlane_b32 s21, v5
	s_and_saveexec_b32 s6, s10
; %bb.170:                              ;   in Loop: Header=BB132_6 Depth=1
	ds_write_b8 v0, v3 offset:3072
; %bb.171:                              ;   in Loop: Header=BB132_6 Depth=1
	s_or_b32 exec_lo, exec_lo, s6
	s_lshl_b32 s6, 2, s92
	v_or_b32_e32 v11, s11, v11
	v_and_or_b32 v10, v10, s26, s6
	s_mov_b32 s66, -1
	s_mov_b32 s67, 0
	s_cmp_eq_u64 s[20:21], 0
	s_mov_b32 s24, 0
	s_mov_b32 s6, -1
	s_waitcnt lgkmcnt(0)
	s_barrier
	buffer_gl0_inv
                                        ; implicit-def: $vgpr8
	s_cbranch_scc1 .LBB132_187
; %bb.172:                              ;   in Loop: Header=BB132_6 Depth=1
	s_add_u32 s6, s20, s80
	s_addc_u32 s23, s21, s81
	s_mov_b32 s22, s49
	s_cmp_lg_u64 s[22:23], 0
	s_cbranch_scc0 .LBB132_219
; %bb.173:                              ;   in Loop: Header=BB132_6 Depth=1
	v_cvt_f32_u32_e32 v4, s33
	s_sub_u32 s25, 0, s33
	s_subb_u32 s42, 0, 0
	v_fmac_f32_e64 v4, 0x4f800000, 0
	v_rcp_f32_e32 v4, v4
	v_mul_f32_e32 v4, 0x5f7ffffc, v4
	v_mul_f32_e32 v5, 0x2f800000, v4
	v_trunc_f32_e32 v5, v5
	v_fmac_f32_e32 v4, 0xcf800000, v5
	v_cvt_u32_f32_e32 v5, v5
	v_cvt_u32_f32_e32 v4, v4
	v_readfirstlane_b32 s22, v5
	v_readfirstlane_b32 s24, v4
	s_mul_i32 s43, s25, s22
	s_mul_hi_u32 s47, s25, s24
	s_mul_i32 s46, s42, s24
	s_add_i32 s43, s47, s43
	s_mul_i32 s48, s25, s24
	s_add_i32 s43, s43, s46
	s_mul_hi_u32 s47, s24, s48
	s_mul_i32 s70, s24, s43
	s_mul_hi_u32 s52, s22, s48
	s_mul_i32 s46, s22, s48
	s_mul_hi_u32 s48, s24, s43
	s_add_u32 s47, s47, s70
	s_addc_u32 s48, 0, s48
	s_mul_hi_u32 s71, s22, s43
	s_add_u32 s46, s47, s46
	s_mul_i32 s43, s22, s43
	s_addc_u32 s46, s48, s52
	s_addc_u32 s47, s71, 0
	s_add_u32 s43, s46, s43
	s_addc_u32 s46, 0, s47
	s_add_u32 s24, s24, s43
	s_cselect_b32 s43, -1, 0
	s_mul_hi_u32 s47, s25, s24
	s_cmp_lg_u32 s43, 0
	s_mul_i32 s43, s25, s24
	s_addc_u32 s22, s22, s46
	s_mul_i32 s42, s42, s24
	s_mul_i32 s25, s25, s22
	s_mul_hi_u32 s46, s24, s43
	s_add_i32 s25, s47, s25
	s_mul_hi_u32 s47, s22, s43
	s_add_i32 s25, s25, s42
	s_mul_i32 s42, s22, s43
	s_mul_i32 s52, s24, s25
	s_mul_hi_u32 s48, s24, s25
	s_add_u32 s46, s46, s52
	s_addc_u32 s48, 0, s48
	s_mul_hi_u32 s43, s22, s25
	s_add_u32 s42, s46, s42
	s_mul_i32 s25, s22, s25
	s_addc_u32 s42, s48, s47
	s_addc_u32 s43, s43, 0
	s_add_u32 s25, s42, s25
	s_addc_u32 s42, 0, s43
	s_add_u32 s24, s24, s25
	s_cselect_b32 s25, -1, 0
	s_mul_hi_u32 s43, s6, s24
	s_cmp_lg_u32 s25, 0
	s_mul_hi_u32 s25, s23, s24
	s_addc_u32 s22, s22, s42
	s_mul_i32 s24, s23, s24
	s_mul_i32 s46, s6, s22
	s_mul_hi_u32 s42, s6, s22
	s_add_u32 s43, s43, s46
	s_addc_u32 s42, 0, s42
	s_mul_hi_u32 s47, s23, s22
	s_add_u32 s24, s43, s24
	s_mul_i32 s22, s23, s22
	s_addc_u32 s24, s42, s25
	s_addc_u32 s25, s47, 0
	s_add_u32 s22, s24, s22
	s_addc_u32 s24, 0, s25
	s_mul_hi_u32 s25, s33, s22
	s_mul_i32 s24, s33, s24
	s_mul_i32 s22, s33, s22
	s_add_i32 s25, s25, s24
	s_sub_u32 s22, s6, s22
	s_cselect_b32 s24, -1, 0
	s_cmp_lg_u32 s24, 0
	s_subb_u32 s24, s23, s25
	s_sub_u32 s25, s22, s33
	s_cselect_b32 s42, -1, 0
	s_cmp_lg_u32 s42, 0
	s_subb_u32 s42, s24, 0
	s_sub_u32 s43, s25, s33
	s_cselect_b32 s46, -1, 0
	s_cmp_lg_u32 s46, 0
	s_subb_u32 s46, s42, 0
	s_cmp_ge_u32 s25, s33
	s_cselect_b32 s47, -1, 0
	s_cmp_eq_u32 s42, 0
	s_cselect_b32 s47, s47, -1
	s_cmp_lg_u32 s47, 0
	s_cselect_b32 s42, s46, s42
	s_cselect_b32 s43, s43, s25
	s_cmp_ge_u32 s22, s33
	s_cselect_b32 s25, -1, 0
	s_cmp_eq_u32 s24, 0
	s_cselect_b32 s25, s25, -1
	s_cmp_lg_u32 s25, 0
	s_cselect_b32 s25, s42, s24
	s_cselect_b32 s24, s43, s22
	s_cbranch_execnz .LBB132_175
.LBB132_174:                            ;   in Loop: Header=BB132_6 Depth=1
	v_cvt_f32_u32_e32 v4, s33
	s_sub_i32 s24, 0, s33
	v_rcp_iflag_f32_e32 v4, v4
	v_mul_f32_e32 v4, 0x4f7ffffe, v4
	v_cvt_u32_f32_e32 v4, v4
	v_readfirstlane_b32 s22, v4
	s_mul_i32 s24, s24, s22
	s_mul_hi_u32 s24, s22, s24
	s_add_i32 s22, s22, s24
	s_mul_hi_u32 s22, s6, s22
	s_mul_i32 s22, s22, s33
	s_sub_i32 s22, s6, s22
	s_sub_i32 s24, s22, s33
	s_cmp_ge_u32 s22, s33
	s_cselect_b32 s22, s24, s22
	s_sub_i32 s24, s22, s33
	s_cmp_ge_u32 s22, s33
	s_cselect_b32 s48, s24, s22
	s_mov_b64 s[24:25], s[48:49]
.LBB132_175:                            ;   in Loop: Header=BB132_6 Depth=1
	s_sub_u32 s22, s6, s24
	s_subb_u32 s23, s23, s25
	s_mov_b32 s6, 0
	s_mov_b32 s24, 0
	s_mov_b32 s25, exec_lo
                                        ; implicit-def: $vgpr8
	v_cmpx_gt_u64_e64 s[22:23], v[0:1]
	s_cbranch_execz .LBB132_186
; %bb.176:                              ;   in Loop: Header=BB132_6 Depth=1
	v_mov_b32_e32 v5, v1
	v_mov_b32_e32 v8, v0
	;; [unrolled: 1-line block ×3, first 2 shown]
                                        ; implicit-def: $sgpr42
	s_inst_prefetch 0x1
	s_branch .LBB132_179
	.p2align	6
.LBB132_177:                            ;   in Loop: Header=BB132_179 Depth=2
	s_or_b32 exec_lo, exec_lo, s43
	s_waitcnt lgkmcnt(0)
	s_barrier
	buffer_gl0_inv
	ds_read_u16 v9, v3 offset:3072
	s_mov_b32 s43, -1
	s_mov_b32 s48, -1
	s_waitcnt lgkmcnt(0)
	s_barrier
	buffer_gl0_inv
	v_cmp_ne_u32_sdwa s46, v9, v3 src0_sel:BYTE_0 src1_sel:DWORD
	s_and_b32 vcc_lo, exec_lo, s46
	s_cbranch_vccz .LBB132_182
.LBB132_178:                            ;   in Loop: Header=BB132_179 Depth=2
	s_and_b32 s8, exec_lo, s43
	s_or_b32 s24, s8, s24
	s_andn2_b32 s8, s42, exec_lo
	s_and_b32 s42, s48, exec_lo
	s_or_b32 s42, s8, s42
	s_andn2_b32 exec_lo, exec_lo, s24
	s_cbranch_execz .LBB132_185
.LBB132_179:                            ;   Parent Loop BB132_6 Depth=1
                                        ; =>  This Inner Loop Header: Depth=2
	s_mov_b32 s43, exec_lo
	v_cmpx_gt_u64_e64 s[20:21], v[4:5]
	s_cbranch_execz .LBB132_177
; %bb.180:                              ;   in Loop: Header=BB132_179 Depth=2
	ds_read_u8 v9, v8
	s_waitcnt lgkmcnt(0)
	v_add_nc_u32_sdwa v28, sext(v9), v36 dst_sel:DWORD dst_unused:UNUSED_PAD src0_sel:BYTE_0 src1_sel:DWORD
	v_and_b32_e32 v28, v28, v11
	v_cmp_eq_u32_e32 vcc_lo, v28, v10
	s_and_b32 exec_lo, exec_lo, vcc_lo
	s_cbranch_execz .LBB132_177
; %bb.181:                              ;   in Loop: Header=BB132_179 Depth=2
	v_lshlrev_b16 v9, 8, v9
	v_or_b32_e32 v9, 1, v9
	ds_write_b16 v3, v9 offset:3072
	s_branch .LBB132_177
.LBB132_182:                            ;   in Loop: Header=BB132_179 Depth=2
	v_add_co_u32 v4, vcc_lo, v4, s33
	v_add_co_ci_u32_e64 v5, null, 0, v5, vcc_lo
	v_add_nc_u32_e32 v8, s33, v8
	s_mov_b32 s48, 0
	v_cmp_le_u64_e32 vcc_lo, s[22:23], v[4:5]
	s_orn2_b32 s43, vcc_lo, exec_lo
	s_branch .LBB132_178
.LBB132_183:                            ;   in Loop: Header=BB132_6 Depth=1
                                        ; implicit-def: $sgpr24_sgpr25
	s_branch .LBB132_129
.LBB132_184:                            ;   in Loop: Header=BB132_6 Depth=1
                                        ; implicit-def: $sgpr20_sgpr21
	s_branch .LBB132_145
.LBB132_185:                            ;   in Loop: Header=BB132_6 Depth=1
	s_inst_prefetch 0x2
	s_or_b32 exec_lo, exec_lo, s24
	v_lshrrev_b32_sdwa v8, v37, v9 dst_sel:DWORD dst_unused:UNUSED_PAD src0_sel:DWORD src1_sel:WORD_0
	s_and_b32 s24, s42, exec_lo
.LBB132_186:                            ;   in Loop: Header=BB132_6 Depth=1
	s_or_b32 exec_lo, exec_lo, s25
.LBB132_187:                            ;   in Loop: Header=BB132_6 Depth=1
	s_and_b32 vcc_lo, exec_lo, s6
	s_cbranch_vccz .LBB132_201
; %bb.188:                              ;   in Loop: Header=BB132_6 Depth=1
	s_mov_b32 s52, s49
	s_cmp_lg_u64 s[52:53], 0
	s_cbranch_scc0 .LBB132_220
; %bb.189:                              ;   in Loop: Header=BB132_6 Depth=1
	v_cvt_f32_u32_e32 v4, s33
	s_sub_u32 s21, 0, s33
	s_subb_u32 s22, 0, 0
	v_fmac_f32_e64 v4, 0x4f800000, 0
	v_rcp_f32_e32 v4, v4
	v_mul_f32_e32 v4, 0x5f7ffffc, v4
	v_mul_f32_e32 v5, 0x2f800000, v4
	v_trunc_f32_e32 v5, v5
	v_fmac_f32_e32 v4, 0xcf800000, v5
	v_cvt_u32_f32_e32 v5, v5
	v_cvt_u32_f32_e32 v4, v4
	v_readfirstlane_b32 s6, v5
	v_readfirstlane_b32 s20, v4
	s_mul_i32 s23, s21, s6
	s_mul_hi_u32 s42, s21, s20
	s_mul_i32 s25, s22, s20
	s_add_i32 s23, s42, s23
	s_mul_i32 s43, s21, s20
	s_add_i32 s23, s23, s25
	s_mul_hi_u32 s42, s20, s43
	s_mul_i32 s47, s20, s23
	s_mul_hi_u32 s46, s6, s43
	s_mul_i32 s25, s6, s43
	s_mul_hi_u32 s43, s20, s23
	s_add_u32 s42, s42, s47
	s_addc_u32 s43, 0, s43
	s_mul_hi_u32 s48, s6, s23
	s_add_u32 s25, s42, s25
	s_mul_i32 s23, s6, s23
	s_addc_u32 s25, s43, s46
	s_addc_u32 s42, s48, 0
	s_add_u32 s23, s25, s23
	s_addc_u32 s25, 0, s42
	s_add_u32 s20, s20, s23
	s_cselect_b32 s23, -1, 0
	s_mul_hi_u32 s42, s21, s20
	s_cmp_lg_u32 s23, 0
	s_mul_i32 s23, s21, s20
	s_addc_u32 s6, s6, s25
	s_mul_i32 s22, s22, s20
	s_mul_i32 s21, s21, s6
	s_mul_hi_u32 s25, s20, s23
	s_add_i32 s21, s42, s21
	s_mul_hi_u32 s42, s6, s23
	s_add_i32 s21, s21, s22
	s_mul_i32 s22, s6, s23
	s_mul_i32 s46, s20, s21
	s_mul_hi_u32 s43, s20, s21
	s_add_u32 s25, s25, s46
	s_addc_u32 s43, 0, s43
	s_mul_hi_u32 s23, s6, s21
	s_add_u32 s22, s25, s22
	s_mul_i32 s21, s6, s21
	s_addc_u32 s22, s43, s42
	s_addc_u32 s23, s23, 0
	s_add_u32 s21, s22, s21
	s_addc_u32 s22, 0, s23
	s_add_u32 s20, s20, s21
	s_cselect_b32 s21, -1, 0
	s_mul_hi_u32 s23, s82, s20
	s_cmp_lg_u32 s21, 0
	s_mul_hi_u32 s21, s53, s20
	s_addc_u32 s6, s6, s22
	s_mul_i32 s20, s53, s20
	s_mul_i32 s25, s82, s6
	s_mul_hi_u32 s22, s82, s6
	s_add_u32 s23, s23, s25
	s_addc_u32 s22, 0, s22
	s_mul_hi_u32 s42, s53, s6
	s_add_u32 s20, s23, s20
	s_mul_i32 s6, s53, s6
	s_addc_u32 s20, s22, s21
	s_addc_u32 s21, s42, 0
	s_add_u32 s6, s20, s6
	s_addc_u32 s20, 0, s21
	s_mul_hi_u32 s21, s33, s6
	s_mul_i32 s20, s33, s20
	s_mul_i32 s6, s33, s6
	s_add_i32 s21, s21, s20
	s_sub_u32 s6, s82, s6
	s_cselect_b32 s20, -1, 0
	s_cmp_lg_u32 s20, 0
	s_subb_u32 s20, s53, s21
	s_sub_u32 s21, s6, s33
	s_cselect_b32 s22, -1, 0
	s_cmp_lg_u32 s22, 0
	s_subb_u32 s22, s20, 0
	;; [unrolled: 4-line block ×3, first 2 shown]
	s_cmp_ge_u32 s21, s33
	s_cselect_b32 s42, -1, 0
	s_cmp_eq_u32 s22, 0
	s_cselect_b32 s42, s42, -1
	s_cmp_lg_u32 s42, 0
	s_cselect_b32 s22, s25, s22
	s_cselect_b32 s23, s23, s21
	s_cmp_ge_u32 s6, s33
	s_cselect_b32 s21, -1, 0
	s_cmp_eq_u32 s20, 0
	s_cselect_b32 s21, s21, -1
	s_cmp_lg_u32 s21, 0
	s_cselect_b32 s21, s22, s20
	s_cselect_b32 s20, s23, s6
	s_cbranch_execnz .LBB132_191
.LBB132_190:                            ;   in Loop: Header=BB132_6 Depth=1
	v_cvt_f32_u32_e32 v4, s33
	s_sub_i32 s20, 0, s33
	v_rcp_iflag_f32_e32 v4, v4
	v_mul_f32_e32 v4, 0x4f7ffffe, v4
	v_cvt_u32_f32_e32 v4, v4
	v_readfirstlane_b32 s6, v4
	s_mul_i32 s20, s20, s6
	s_mul_hi_u32 s20, s6, s20
	s_add_i32 s6, s6, s20
	s_mul_hi_u32 s6, s82, s6
	s_mul_i32 s6, s6, s33
	s_sub_i32 s6, s82, s6
	s_sub_i32 s20, s6, s33
	s_cmp_ge_u32 s6, s33
	s_cselect_b32 s6, s20, s6
	s_sub_i32 s20, s6, s33
	s_cmp_ge_u32 s6, s33
	s_cselect_b32 s48, s20, s6
	s_mov_b64 s[20:21], s[48:49]
.LBB132_191:                            ;   in Loop: Header=BB132_6 Depth=1
	s_sub_u32 s20, s82, s20
	s_subb_u32 s21, s53, s21
	s_mov_b32 s22, exec_lo
                                        ; implicit-def: $vgpr8
	v_cmpx_gt_u64_e64 s[20:21], v[0:1]
	s_cbranch_execz .LBB132_200
; %bb.192:                              ;   in Loop: Header=BB132_6 Depth=1
	v_mov_b32_e32 v4, v12
	v_mov_b32_e32 v9, v1
	;; [unrolled: 1-line block ×4, first 2 shown]
	s_mov_b32 s23, 0
                                        ; implicit-def: $sgpr25
	s_inst_prefetch 0x1
	s_branch .LBB132_195
	.p2align	6
.LBB132_193:                            ;   in Loop: Header=BB132_195 Depth=2
	s_or_b32 exec_lo, exec_lo, s6
	s_waitcnt lgkmcnt(0)
	s_barrier
	buffer_gl0_inv
	ds_read_u16 v28, v3 offset:3072
	s_mov_b32 s6, -1
	s_waitcnt lgkmcnt(0)
	s_barrier
	buffer_gl0_inv
	v_cmp_eq_u32_sdwa s42, v28, v3 src0_sel:BYTE_0 src1_sel:DWORD
	s_and_b32 vcc_lo, exec_lo, s42
	s_mov_b32 s42, -1
	s_cbranch_vccnz .LBB132_198
.LBB132_194:                            ;   in Loop: Header=BB132_195 Depth=2
	s_and_b32 s6, exec_lo, s6
	s_or_b32 s23, s6, s23
	s_andn2_b32 s6, s25, exec_lo
	s_and_b32 s8, s42, exec_lo
	s_or_b32 s25, s6, s8
	s_andn2_b32 exec_lo, exec_lo, s23
	s_cbranch_execz .LBB132_199
.LBB132_195:                            ;   Parent Loop BB132_6 Depth=1
                                        ; =>  This Inner Loop Header: Depth=2
	s_mov_b32 s6, exec_lo
	v_cmpx_gt_u64_e64 s[28:29], v[8:9]
	s_cbranch_execz .LBB132_193
; %bb.196:                              ;   in Loop: Header=BB132_195 Depth=2
	global_load_ubyte v28, v[4:5], off
	s_waitcnt vmcnt(0)
	v_add_nc_u32_sdwa v29, sext(v28), v36 dst_sel:DWORD dst_unused:UNUSED_PAD src0_sel:BYTE_0 src1_sel:DWORD
	v_and_b32_e32 v29, v29, v11
	v_cmp_eq_u32_e32 vcc_lo, v29, v10
	s_and_b32 exec_lo, exec_lo, vcc_lo
	s_cbranch_execz .LBB132_193
; %bb.197:                              ;   in Loop: Header=BB132_195 Depth=2
	v_lshlrev_b16 v28, 8, v28
	v_or_b32_e32 v28, 1, v28
	ds_write_b16 v3, v28 offset:3072
	s_branch .LBB132_193
.LBB132_198:                            ;   in Loop: Header=BB132_195 Depth=2
	v_add_co_u32 v8, vcc_lo, v8, s33
	v_add_co_ci_u32_e64 v9, null, 0, v9, vcc_lo
	v_add_co_u32 v4, s6, v4, s72
	v_add_co_ci_u32_e64 v5, null, s41, v5, s6
	v_cmp_le_u64_e32 vcc_lo, s[20:21], v[8:9]
	s_mov_b32 s42, 0
	s_orn2_b32 s6, vcc_lo, exec_lo
	s_branch .LBB132_194
.LBB132_199:                            ;   in Loop: Header=BB132_6 Depth=1
	s_inst_prefetch 0x2
	s_or_b32 exec_lo, exec_lo, s23
	v_lshrrev_b32_sdwa v8, v37, v28 dst_sel:DWORD dst_unused:UNUSED_PAD src0_sel:DWORD src1_sel:WORD_0
	s_andn2_b32 s6, s24, exec_lo
	s_and_b32 s8, s25, exec_lo
	s_or_b32 s24, s6, s8
.LBB132_200:                            ;   in Loop: Header=BB132_6 Depth=1
	s_or_b32 exec_lo, exec_lo, s22
	s_mov_b32 s66, 0
	s_mov_b32 s67, -1
.LBB132_201:                            ;   in Loop: Header=BB132_6 Depth=1
	s_orn2_b32 s6, s24, exec_lo
.LBB132_202:                            ;   in Loop: Header=BB132_6 Depth=1
	s_or_b32 exec_lo, exec_lo, s68
	s_mov_b32 s20, 0
	s_and_saveexec_b32 s68, s6
	s_cbranch_execz .LBB132_264
; %bb.203:                              ;   in Loop: Header=BB132_6 Depth=1
	v_mov_b32_e32 v4, 1
	v_mov_b32_e32 v5, 0
	;; [unrolled: 1-line block ×3, first 2 shown]
	s_xor_b32 s20, s69, -1
	s_mov_b32 s21, 0
	s_and_saveexec_b32 s6, s20
	s_cbranch_execz .LBB132_212
; %bb.204:                              ;   in Loop: Header=BB132_6 Depth=1
	s_mov_b32 s20, exec_lo
	v_cmpx_ge_u64_e64 s[16:17], v[6:7]
	s_xor_b32 s20, exec_lo, s20
	s_cbranch_execz .LBB132_209
; %bb.205:                              ;   in Loop: Header=BB132_6 Depth=1
	ds_read_b64 v[4:5], v3 offset:5120
	s_lshl_b32 s21, 2, s92
	v_or_b32_e32 v11, s11, v11
	v_and_or_b32 v10, v10, s26, s21
	s_waitcnt lgkmcnt(0)
	v_cmp_ne_u64_e32 vcc_lo, 0, v[4:5]
	s_cbranch_vccnz .LBB132_209
; %bb.206:                              ;   in Loop: Header=BB132_6 Depth=1
	s_and_saveexec_b32 s21, s3
; %bb.207:                              ;   in Loop: Header=BB132_6 Depth=1
	v_mov_b32_e32 v4, s16
	v_mov_b32_e32 v5, s17
	ds_write_b64 v3, v[4:5] offset:5128
; %bb.208:                              ;   in Loop: Header=BB132_6 Depth=1
	s_or_b32 exec_lo, exec_lo, s21
	s_waitcnt lgkmcnt(0)
	s_barrier
	buffer_gl0_inv
.LBB132_209:                            ;   in Loop: Header=BB132_6 Depth=1
	s_or_saveexec_b32 s20, s20
	v_mov_b32_e32 v2, 8
	s_mov_b32 s21, 0
	s_xor_b32 exec_lo, exec_lo, s20
; %bb.210:                              ;   in Loop: Header=BB132_6 Depth=1
	v_sub_co_u32 v6, vcc_lo, v6, s16
	v_subrev_co_ci_u32_e64 v7, null, s17, v7, vcc_lo
	v_mov_b32_e32 v2, 0
	s_mov_b32 s21, exec_lo
; %bb.211:                              ;   in Loop: Header=BB132_6 Depth=1
	s_or_b32 exec_lo, exec_lo, s20
	v_mov_b32_e32 v4, v6
	v_mov_b32_e32 v5, v7
	s_and_b32 s21, s21, exec_lo
.LBB132_212:                            ;   in Loop: Header=BB132_6 Depth=1
	s_or_b32 exec_lo, exec_lo, s6
	s_mov_b32 s20, -1
                                        ; implicit-def: $sgpr52
                                        ; implicit-def: $sgpr6
	s_and_saveexec_b32 s69, s21
	s_cbranch_execz .LBB132_263
; %bb.213:                              ;   in Loop: Header=BB132_6 Depth=1
	v_cmp_eq_u64_e32 vcc_lo, 1, v[4:5]
	s_cmp_eq_u64 s[18:19], 1
	s_mov_b32 s21, -1
	s_cselect_b32 s6, -1, 0
                                        ; implicit-def: $sgpr52
	s_and_b32 s70, s6, vcc_lo
                                        ; implicit-def: $sgpr6
	s_and_saveexec_b32 s71, s70
	s_cbranch_execz .LBB132_251
; %bb.214:                              ;   in Loop: Header=BB132_6 Depth=1
	ds_read_b64 v[6:7], v3 offset:5120
	s_waitcnt lgkmcnt(0)
	s_barrier
	buffer_gl0_inv
	v_readfirstlane_b32 s20, v6
	v_readfirstlane_b32 s21, v7
	s_and_saveexec_b32 s6, s10
; %bb.215:                              ;   in Loop: Header=BB132_6 Depth=1
	ds_write_b8 v0, v3 offset:3072
; %bb.216:                              ;   in Loop: Header=BB132_6 Depth=1
	s_or_b32 exec_lo, exec_lo, s6
	v_or_b32_e32 v10, s11, v10
	v_or_b32_e32 v11, s11, v11
	s_mov_b32 s6, -1
	s_mov_b32 s52, 0
	s_cmp_eq_u64 s[20:21], 0
	s_mov_b32 s24, 0
	s_mov_b32 s25, -1
	s_waitcnt lgkmcnt(0)
	s_barrier
	buffer_gl0_inv
                                        ; implicit-def: $vgpr8
	s_cbranch_scc1 .LBB132_234
; %bb.217:                              ;   in Loop: Header=BB132_6 Depth=1
	s_add_u32 s42, s20, s80
	s_addc_u32 s23, s21, s81
	s_mov_b32 s22, s49
	v_writelane_b32 v58, s7, 7
	s_mov_b32 s34, s2
	s_mov_b32 s2, s74
	;; [unrolled: 1-line block ×3, first 2 shown]
	s_cmp_lg_u64 s[22:23], 0
	s_cbranch_scc0 .LBB132_221
; %bb.218:                              ;   in Loop: Header=BB132_6 Depth=1
	v_cvt_f32_u32_e32 v6, s33
	s_sub_u32 s25, 0, s33
	s_subb_u32 s43, 0, 0
	v_fmac_f32_e64 v6, 0x4f800000, 0
	v_rcp_f32_e32 v6, v6
	v_mul_f32_e32 v6, 0x5f7ffffc, v6
	v_mul_f32_e32 v7, 0x2f800000, v6
	v_trunc_f32_e32 v7, v7
	v_fmac_f32_e32 v6, 0xcf800000, v7
	v_cvt_u32_f32_e32 v7, v7
	v_cvt_u32_f32_e32 v6, v6
	v_readfirstlane_b32 s22, v7
	v_readfirstlane_b32 s24, v6
	s_mul_i32 s46, s25, s22
	s_mul_hi_u32 s48, s25, s24
	s_mul_i32 s47, s43, s24
	s_add_i32 s46, s48, s46
	s_mul_i32 vcc_lo, s25, s24
	s_add_i32 s46, s46, s47
	s_mul_hi_u32 s48, s24, vcc_lo
	s_mul_i32 s73, s24, s46
	s_mul_hi_u32 s8, s22, vcc_lo
	s_mul_i32 s47, s22, vcc_lo
	s_mul_hi_u32 vcc_lo, s24, s46
	s_add_u32 s48, s48, s73
	s_addc_u32 s73, 0, vcc_lo
	s_mul_hi_u32 s74, s22, s46
	s_add_u32 s47, s48, s47
	s_mul_i32 s46, s22, s46
	s_addc_u32 s8, s73, s8
	s_addc_u32 s47, s74, 0
	s_add_u32 s8, s8, s46
	s_addc_u32 s46, 0, s47
	s_add_u32 s8, s24, s8
	s_cselect_b32 s24, -1, 0
	s_mul_hi_u32 s47, s25, s8
	s_cmp_lg_u32 s24, 0
	s_mul_i32 s24, s25, s8
	s_addc_u32 s22, s22, s46
	s_mul_i32 s43, s43, s8
	s_mul_i32 s25, s25, s22
	s_mul_hi_u32 s46, s8, s24
	s_add_i32 s25, s47, s25
	s_mul_hi_u32 s47, s22, s24
	s_add_i32 s25, s25, s43
	s_mul_i32 s24, s22, s24
	s_mul_i32 s73, s8, s25
	s_mul_hi_u32 s48, s8, s25
	s_add_u32 s46, s46, s73
	s_addc_u32 s48, 0, s48
	s_mul_hi_u32 s43, s22, s25
	s_add_u32 s24, s46, s24
	s_mul_i32 s25, s22, s25
	s_addc_u32 s24, s48, s47
	s_addc_u32 s43, s43, 0
	s_add_u32 s24, s24, s25
	s_addc_u32 s25, 0, s43
	s_add_u32 s8, s8, s24
	s_cselect_b32 s24, -1, 0
	s_mul_hi_u32 s43, s42, s8
	s_cmp_lg_u32 s24, 0
	s_mul_hi_u32 s24, s23, s8
	s_addc_u32 s22, s22, s25
	s_mul_i32 s8, s23, s8
	s_mul_i32 s46, s42, s22
	s_mul_hi_u32 s25, s42, s22
	s_add_u32 s43, s43, s46
	s_addc_u32 s25, 0, s25
	s_mul_hi_u32 s47, s23, s22
	s_add_u32 s8, s43, s8
	s_mul_i32 s22, s23, s22
	s_addc_u32 s8, s25, s24
	s_addc_u32 s24, s47, 0
	s_add_u32 s8, s8, s22
	s_addc_u32 s22, 0, s24
	s_mul_hi_u32 s24, s33, s8
	s_mul_i32 s22, s33, s22
	s_mul_i32 s8, s33, s8
	s_add_i32 s24, s24, s22
	s_sub_u32 s8, s42, s8
	s_cselect_b32 s22, -1, 0
	s_cmp_lg_u32 s22, 0
	s_subb_u32 s22, s23, s24
	s_sub_u32 s24, s8, s33
	s_cselect_b32 s25, -1, 0
	s_cmp_lg_u32 s25, 0
	s_subb_u32 s25, s22, 0
	s_sub_u32 s43, s24, s33
	s_cselect_b32 s46, -1, 0
	s_cmp_lg_u32 s46, 0
	s_subb_u32 s46, s25, 0
	s_cmp_ge_u32 s24, s33
	s_cselect_b32 s47, -1, 0
	s_cmp_eq_u32 s25, 0
	s_cselect_b32 s47, s47, -1
	s_cmp_lg_u32 s47, 0
	s_cselect_b32 s25, s46, s25
	s_cselect_b32 s24, s43, s24
	s_cmp_ge_u32 s8, s33
	s_cselect_b32 s43, -1, 0
	s_cmp_eq_u32 s22, 0
	s_cselect_b32 s43, s43, -1
	s_cmp_lg_u32 s43, 0
	s_cselect_b32 s25, s25, s22
	s_cselect_b32 s24, s24, s8
	s_mov_b32 s22, 0
	s_branch .LBB132_222
.LBB132_219:                            ;   in Loop: Header=BB132_6 Depth=1
                                        ; implicit-def: $sgpr24_sgpr25
	s_branch .LBB132_174
.LBB132_220:                            ;   in Loop: Header=BB132_6 Depth=1
                                        ; implicit-def: $sgpr20_sgpr21
	s_branch .LBB132_190
.LBB132_221:                            ;   in Loop: Header=BB132_6 Depth=1
	s_mov_b32 s22, -1
                                        ; implicit-def: $sgpr24_sgpr25
.LBB132_222:                            ;   in Loop: Header=BB132_6 Depth=1
	s_andn2_b32 vcc_lo, exec_lo, s22
	s_cbranch_vccnz .LBB132_224
; %bb.223:                              ;   in Loop: Header=BB132_6 Depth=1
	v_cvt_f32_u32_e32 v6, s33
	s_sub_i32 s24, 0, s33
	v_rcp_iflag_f32_e32 v6, v6
	v_mul_f32_e32 v6, 0x4f7ffffe, v6
	v_cvt_u32_f32_e32 v6, v6
	v_readfirstlane_b32 s22, v6
	s_mul_i32 s24, s24, s22
	s_mul_hi_u32 s24, s22, s24
	s_add_i32 s22, s22, s24
	s_mul_hi_u32 s22, s42, s22
	s_mul_i32 s22, s22, s33
	s_sub_i32 s22, s42, s22
	s_sub_i32 s24, s22, s33
	s_cmp_ge_u32 s22, s33
	s_cselect_b32 s22, s24, s22
	s_sub_i32 s24, s22, s33
	s_cmp_ge_u32 s22, s33
	s_cselect_b32 s48, s24, s22
	s_mov_b64 s[24:25], s[48:49]
.LBB132_224:                            ;   in Loop: Header=BB132_6 Depth=1
	s_sub_u32 s22, s42, s24
	s_subb_u32 s23, s23, s25
	s_mov_b32 s25, 0
	s_mov_b32 s24, 0
	s_mov_b32 s42, exec_lo
                                        ; implicit-def: $vgpr8
	v_cmpx_gt_u64_e64 s[22:23], v[0:1]
	s_mov_b32 s74, s2
	s_mov_b32 s2, s34
	s_load_dwordx2 s[34:35], s[4:5], 0x0
	s_mov_b32 s73, s7
	v_readlane_b32 s7, v58, 7
	s_cbranch_execz .LBB132_233
; %bb.225:                              ;   in Loop: Header=BB132_6 Depth=1
	v_mov_b32_e32 v7, v1
	v_mov_b32_e32 v8, v0
	;; [unrolled: 1-line block ×3, first 2 shown]
                                        ; implicit-def: $sgpr43
	s_inst_prefetch 0x1
	s_branch .LBB132_228
	.p2align	6
.LBB132_226:                            ;   in Loop: Header=BB132_228 Depth=2
	s_or_b32 exec_lo, exec_lo, s48
	s_waitcnt lgkmcnt(0)
	s_barrier
	buffer_gl0_inv
	ds_read_u16 v9, v3 offset:3072
	s_mov_b32 s48, -1
	s_mov_b32 s46, -1
	s_waitcnt lgkmcnt(0)
	s_barrier
	buffer_gl0_inv
	v_cmp_ne_u32_sdwa s8, v9, v3 src0_sel:BYTE_0 src1_sel:DWORD
	s_and_b32 vcc_lo, exec_lo, s8
	s_cbranch_vccz .LBB132_231
.LBB132_227:                            ;   in Loop: Header=BB132_228 Depth=2
	s_and_b32 s8, exec_lo, s48
	s_or_b32 s24, s8, s24
	s_andn2_b32 s8, s43, exec_lo
	s_and_b32 s43, s46, exec_lo
	s_or_b32 s43, s8, s43
	s_andn2_b32 exec_lo, exec_lo, s24
	s_cbranch_execz .LBB132_232
.LBB132_228:                            ;   Parent Loop BB132_6 Depth=1
                                        ; =>  This Inner Loop Header: Depth=2
	s_mov_b32 s48, exec_lo
	v_cmpx_gt_u64_e64 s[20:21], v[6:7]
	s_cbranch_execz .LBB132_226
; %bb.229:                              ;   in Loop: Header=BB132_228 Depth=2
	ds_read_u8 v9, v8
	s_waitcnt lgkmcnt(0)
	v_add_nc_u32_sdwa v28, sext(v9), v36 dst_sel:DWORD dst_unused:UNUSED_PAD src0_sel:BYTE_0 src1_sel:DWORD
	v_and_b32_e32 v28, v28, v11
	v_cmp_eq_u32_e32 vcc_lo, v28, v10
	s_and_b32 exec_lo, exec_lo, vcc_lo
	s_cbranch_execz .LBB132_226
; %bb.230:                              ;   in Loop: Header=BB132_228 Depth=2
	v_lshlrev_b16 v9, 8, v9
	v_or_b32_e32 v9, 1, v9
	ds_write_b16 v3, v9 offset:3072
	s_branch .LBB132_226
.LBB132_231:                            ;   in Loop: Header=BB132_228 Depth=2
	v_add_co_u32 v6, vcc_lo, v6, s33
	v_add_co_ci_u32_e64 v7, null, 0, v7, vcc_lo
	v_add_nc_u32_e32 v8, s33, v8
	s_mov_b32 s46, 0
	v_cmp_le_u64_e32 vcc_lo, s[22:23], v[6:7]
	s_orn2_b32 s48, vcc_lo, exec_lo
	s_branch .LBB132_227
.LBB132_232:                            ;   in Loop: Header=BB132_6 Depth=1
	s_inst_prefetch 0x2
	s_or_b32 exec_lo, exec_lo, s24
	v_lshrrev_b32_sdwa v8, v37, v9 dst_sel:DWORD dst_unused:UNUSED_PAD src0_sel:DWORD src1_sel:WORD_0
	s_and_b32 s24, s43, exec_lo
.LBB132_233:                            ;   in Loop: Header=BB132_6 Depth=1
	s_or_b32 exec_lo, exec_lo, s42
.LBB132_234:                            ;   in Loop: Header=BB132_6 Depth=1
	s_and_b32 vcc_lo, exec_lo, s25
	s_cbranch_vccz .LBB132_250
; %bb.235:                              ;   in Loop: Header=BB132_6 Depth=1
	s_mov_b32 s52, s49
	s_cmp_lg_u64 s[52:53], 0
	s_cbranch_scc0 .LBB132_237
; %bb.236:                              ;   in Loop: Header=BB132_6 Depth=1
	v_cvt_f32_u32_e32 v6, s33
	s_sub_u32 s20, 0, s33
	s_subb_u32 s21, 0, 0
	v_fmac_f32_e64 v6, 0x4f800000, 0
	v_rcp_f32_e32 v6, v6
	v_mul_f32_e32 v6, 0x5f7ffffc, v6
	v_mul_f32_e32 v7, 0x2f800000, v6
	v_trunc_f32_e32 v7, v7
	v_fmac_f32_e32 v6, 0xcf800000, v7
	v_cvt_u32_f32_e32 v7, v7
	v_cvt_u32_f32_e32 v6, v6
	v_readfirstlane_b32 s6, v7
	v_readfirstlane_b32 s8, v6
	s_mul_i32 s22, s20, s6
	s_mul_hi_u32 s25, s20, s8
	s_mul_i32 s23, s21, s8
	s_add_i32 s22, s25, s22
	s_mul_i32 s42, s20, s8
	s_add_i32 s22, s22, s23
	s_mul_hi_u32 s25, s8, s42
	s_mul_i32 s46, s8, s22
	s_mul_hi_u32 s43, s6, s42
	s_mul_i32 s23, s6, s42
	s_mul_hi_u32 s42, s8, s22
	s_add_u32 s25, s25, s46
	s_addc_u32 s42, 0, s42
	s_mul_hi_u32 s47, s6, s22
	s_add_u32 s23, s25, s23
	s_mul_i32 s22, s6, s22
	s_addc_u32 s23, s42, s43
	s_addc_u32 s25, s47, 0
	s_add_u32 s22, s23, s22
	s_addc_u32 s23, 0, s25
	s_add_u32 s8, s8, s22
	s_cselect_b32 s22, -1, 0
	s_mul_hi_u32 s25, s20, s8
	s_cmp_lg_u32 s22, 0
	s_mul_i32 s22, s20, s8
	s_addc_u32 s6, s6, s23
	s_mul_i32 s21, s21, s8
	s_mul_i32 s20, s20, s6
	s_mul_hi_u32 s23, s8, s22
	s_add_i32 s20, s25, s20
	s_mul_hi_u32 s25, s6, s22
	s_add_i32 s20, s20, s21
	s_mul_i32 s21, s6, s22
	s_mul_i32 s43, s8, s20
	s_mul_hi_u32 s42, s8, s20
	s_add_u32 s23, s23, s43
	s_addc_u32 s42, 0, s42
	s_mul_hi_u32 s22, s6, s20
	s_add_u32 s21, s23, s21
	s_mul_i32 s20, s6, s20
	s_addc_u32 s21, s42, s25
	s_addc_u32 s22, s22, 0
	s_add_u32 s20, s21, s20
	s_addc_u32 s21, 0, s22
	s_add_u32 s8, s8, s20
	s_cselect_b32 s20, -1, 0
	s_mul_hi_u32 s22, s82, s8
	s_cmp_lg_u32 s20, 0
	s_mul_hi_u32 s20, s53, s8
	s_addc_u32 s6, s6, s21
	s_mul_i32 s8, s53, s8
	s_mul_i32 s23, s82, s6
	s_mul_hi_u32 s21, s82, s6
	s_add_u32 s22, s22, s23
	s_addc_u32 s21, 0, s21
	s_mul_hi_u32 s25, s53, s6
	s_add_u32 s8, s22, s8
	s_mul_i32 s6, s53, s6
	s_addc_u32 s8, s21, s20
	s_addc_u32 s20, s25, 0
	s_add_u32 s6, s8, s6
	s_addc_u32 s8, 0, s20
	s_mul_hi_u32 s20, s33, s6
	s_mul_i32 s8, s33, s8
	s_mul_i32 s6, s33, s6
	s_add_i32 s20, s20, s8
	s_sub_u32 s6, s82, s6
	s_cselect_b32 s8, -1, 0
	s_cmp_lg_u32 s8, 0
	s_subb_u32 s8, s53, s20
	s_sub_u32 s20, s6, s33
	s_cselect_b32 s21, -1, 0
	s_cmp_lg_u32 s21, 0
	s_subb_u32 s21, s8, 0
	;; [unrolled: 4-line block ×3, first 2 shown]
	s_cmp_ge_u32 s20, s33
	s_cselect_b32 s25, -1, 0
	s_cmp_eq_u32 s21, 0
	s_cselect_b32 s25, s25, -1
	s_cmp_lg_u32 s25, 0
	s_cselect_b32 s21, s23, s21
	s_cselect_b32 s20, s22, s20
	s_cmp_ge_u32 s6, s33
	s_cselect_b32 s22, -1, 0
	s_cmp_eq_u32 s8, 0
	s_cselect_b32 s22, s22, -1
	s_cmp_lg_u32 s22, 0
	s_cselect_b32 s21, s21, s8
	s_cselect_b32 s20, s20, s6
	s_mov_b32 s6, 0
	s_branch .LBB132_238
.LBB132_237:                            ;   in Loop: Header=BB132_6 Depth=1
	s_mov_b32 s6, -1
                                        ; implicit-def: $sgpr20_sgpr21
.LBB132_238:                            ;   in Loop: Header=BB132_6 Depth=1
	s_andn2_b32 vcc_lo, exec_lo, s6
	s_cbranch_vccnz .LBB132_240
; %bb.239:                              ;   in Loop: Header=BB132_6 Depth=1
	v_cvt_f32_u32_e32 v6, s33
	s_sub_i32 s8, 0, s33
	v_rcp_iflag_f32_e32 v6, v6
	v_mul_f32_e32 v6, 0x4f7ffffe, v6
	v_cvt_u32_f32_e32 v6, v6
	v_readfirstlane_b32 s6, v6
	s_mul_i32 s8, s8, s6
	s_mul_hi_u32 s8, s6, s8
	s_add_i32 s6, s6, s8
	s_mul_hi_u32 s6, s82, s6
	s_mul_i32 s6, s6, s33
	s_sub_i32 s6, s82, s6
	s_sub_i32 s8, s6, s33
	s_cmp_ge_u32 s6, s33
	s_cselect_b32 s6, s8, s6
	s_sub_i32 s8, s6, s33
	s_cmp_ge_u32 s6, s33
	s_cselect_b32 s48, s8, s6
	s_mov_b64 s[20:21], s[48:49]
.LBB132_240:                            ;   in Loop: Header=BB132_6 Depth=1
	s_sub_u32 s20, s82, s20
	s_subb_u32 s21, s53, s21
	s_mov_b32 s22, exec_lo
                                        ; implicit-def: $vgpr8
	v_cmpx_gt_u64_e64 s[20:21], v[0:1]
	s_cbranch_execz .LBB132_249
; %bb.241:                              ;   in Loop: Header=BB132_6 Depth=1
	v_mov_b32_e32 v6, v12
	v_mov_b32_e32 v9, v1
	;; [unrolled: 1-line block ×4, first 2 shown]
	s_mov_b32 s23, 0
                                        ; implicit-def: $sgpr25
	s_inst_prefetch 0x1
	s_branch .LBB132_244
	.p2align	6
.LBB132_242:                            ;   in Loop: Header=BB132_244 Depth=2
	s_or_b32 exec_lo, exec_lo, s6
	s_waitcnt lgkmcnt(0)
	s_barrier
	buffer_gl0_inv
	ds_read_u16 v28, v3 offset:3072
	s_mov_b32 s6, -1
	s_mov_b32 s42, -1
	s_waitcnt lgkmcnt(0)
	s_barrier
	buffer_gl0_inv
	v_cmp_eq_u32_sdwa s8, v28, v3 src0_sel:BYTE_0 src1_sel:DWORD
	s_and_b32 vcc_lo, exec_lo, s8
	s_cbranch_vccnz .LBB132_247
.LBB132_243:                            ;   in Loop: Header=BB132_244 Depth=2
	s_and_b32 s6, exec_lo, s6
	s_or_b32 s23, s6, s23
	s_andn2_b32 s6, s25, exec_lo
	s_and_b32 s8, s42, exec_lo
	s_or_b32 s25, s6, s8
	s_andn2_b32 exec_lo, exec_lo, s23
	s_cbranch_execz .LBB132_248
.LBB132_244:                            ;   Parent Loop BB132_6 Depth=1
                                        ; =>  This Inner Loop Header: Depth=2
	s_mov_b32 s6, exec_lo
	v_cmpx_gt_u64_e64 s[28:29], v[8:9]
	s_cbranch_execz .LBB132_242
; %bb.245:                              ;   in Loop: Header=BB132_244 Depth=2
	global_load_ubyte v28, v[6:7], off
	s_waitcnt vmcnt(0)
	v_add_nc_u32_sdwa v29, sext(v28), v36 dst_sel:DWORD dst_unused:UNUSED_PAD src0_sel:BYTE_0 src1_sel:DWORD
	v_and_b32_e32 v29, v29, v11
	v_cmp_eq_u32_e32 vcc_lo, v29, v10
	s_and_b32 exec_lo, exec_lo, vcc_lo
	s_cbranch_execz .LBB132_242
; %bb.246:                              ;   in Loop: Header=BB132_244 Depth=2
	v_lshlrev_b16 v28, 8, v28
	v_or_b32_e32 v28, 1, v28
	ds_write_b16 v3, v28 offset:3072
	s_branch .LBB132_242
.LBB132_247:                            ;   in Loop: Header=BB132_244 Depth=2
	v_add_co_u32 v8, vcc_lo, v8, s33
	v_add_co_ci_u32_e64 v9, null, 0, v9, vcc_lo
	v_add_co_u32 v6, s6, v6, s72
	v_add_co_ci_u32_e64 v7, null, s41, v7, s6
	v_cmp_le_u64_e32 vcc_lo, s[20:21], v[8:9]
	s_mov_b32 s42, 0
	s_orn2_b32 s6, vcc_lo, exec_lo
	s_branch .LBB132_243
.LBB132_248:                            ;   in Loop: Header=BB132_6 Depth=1
	s_inst_prefetch 0x2
	s_or_b32 exec_lo, exec_lo, s23
	v_lshrrev_b32_sdwa v8, v37, v28 dst_sel:DWORD dst_unused:UNUSED_PAD src0_sel:DWORD src1_sel:WORD_0
	s_andn2_b32 s6, s24, exec_lo
	s_and_b32 s8, s25, exec_lo
	s_or_b32 s24, s6, s8
.LBB132_249:                            ;   in Loop: Header=BB132_6 Depth=1
	s_or_b32 exec_lo, exec_lo, s22
	s_mov_b32 s6, 0
	s_mov_b32 s52, -1
.LBB132_250:                            ;   in Loop: Header=BB132_6 Depth=1
	s_orn2_b32 s21, s24, exec_lo
.LBB132_251:                            ;   in Loop: Header=BB132_6 Depth=1
	s_or_b32 exec_lo, exec_lo, s71
	s_mov_b32 s22, 0
	s_and_saveexec_b32 s20, s21
	s_cbranch_execz .LBB132_262
; %bb.252:                              ;   in Loop: Header=BB132_6 Depth=1
	v_mov_b32_e32 v6, 1
	v_mov_b32_e32 v7, 0
	;; [unrolled: 1-line block ×3, first 2 shown]
	s_xor_b32 s8, s70, -1
	s_and_saveexec_b32 s21, s8
	s_cbranch_execz .LBB132_261
; %bb.253:                              ;   in Loop: Header=BB132_6 Depth=1
	s_mov_b32 s8, exec_lo
	v_cmpx_ge_u64_e64 s[18:19], v[4:5]
	s_xor_b32 s22, exec_lo, s8
	s_cbranch_execz .LBB132_258
; %bb.254:                              ;   in Loop: Header=BB132_6 Depth=1
	ds_read_b64 v[6:7], v3 offset:5120
	v_or_b32_e32 v10, s11, v10
	v_or_b32_e32 v11, s11, v11
	s_waitcnt lgkmcnt(0)
	v_cmp_ne_u64_e32 vcc_lo, 0, v[6:7]
	s_cbranch_vccnz .LBB132_258
; %bb.255:                              ;   in Loop: Header=BB132_6 Depth=1
	s_and_saveexec_b32 s23, s3
; %bb.256:                              ;   in Loop: Header=BB132_6 Depth=1
	v_mov_b32_e32 v6, s18
	v_mov_b32_e32 v7, s19
	ds_write_b64 v3, v[6:7] offset:5128
; %bb.257:                              ;   in Loop: Header=BB132_6 Depth=1
	s_or_b32 exec_lo, exec_lo, s23
	s_waitcnt lgkmcnt(0)
	s_barrier
	buffer_gl0_inv
.LBB132_258:                            ;   in Loop: Header=BB132_6 Depth=1
	s_andn2_saveexec_b32 s22, s22
; %bb.259:                              ;   in Loop: Header=BB132_6 Depth=1
	v_sub_co_u32 v4, vcc_lo, v4, s18
	v_subrev_co_ci_u32_e64 v5, null, s19, v5, vcc_lo
; %bb.260:                              ;   in Loop: Header=BB132_6 Depth=1
	s_or_b32 exec_lo, exec_lo, s22
	v_mov_b32_e32 v7, v5
	v_mov_b32_e32 v2, 8
	;; [unrolled: 1-line block ×3, first 2 shown]
.LBB132_261:                            ;   in Loop: Header=BB132_6 Depth=1
	s_or_b32 exec_lo, exec_lo, s21
	v_mov_b32_e32 v4, v6
	v_mov_b32_e32 v5, v7
	s_mov_b32 s22, exec_lo
.LBB132_262:                            ;   in Loop: Header=BB132_6 Depth=1
	s_or_b32 exec_lo, exec_lo, s20
	s_orn2_b32 s20, s22, exec_lo
.LBB132_263:                            ;   in Loop: Header=BB132_6 Depth=1
	s_or_b32 exec_lo, exec_lo, s69
	v_mov_b32_e32 v7, v5
	v_mov_b32_e32 v6, v4
	s_andn2_b32 s21, s67, exec_lo
	s_and_b32 s22, s52, exec_lo
	s_andn2_b32 s23, s66, exec_lo
	s_and_b32 s6, s6, exec_lo
	s_or_b32 s67, s21, s22
	s_or_b32 s66, s23, s6
	s_and_b32 s20, s20, exec_lo
.LBB132_264:                            ;   in Loop: Header=BB132_6 Depth=1
	s_or_b32 exec_lo, exec_lo, s68
	s_orn2_b32 s6, s20, exec_lo
.LBB132_265:                            ;   in Loop: Header=BB132_6 Depth=1
	s_or_b32 exec_lo, exec_lo, s65
	v_mov_b32_e32 v4, v6
	v_mov_b32_e32 v5, v7
	s_andn2_b32 s20, s63, exec_lo
	s_and_b32 s21, s67, exec_lo
	s_andn2_b32 s22, s58, exec_lo
	s_and_b32 s23, s66, exec_lo
	s_or_b32 s63, s20, s21
	s_or_b32 s58, s22, s23
	s_and_b32 s20, s6, exec_lo
.LBB132_266:                            ;   in Loop: Header=BB132_6 Depth=1
	s_or_b32 exec_lo, exec_lo, s64
	s_orn2_b32 s6, s20, exec_lo
.LBB132_267:                            ;   in Loop: Header=BB132_6 Depth=1
	s_or_b32 exec_lo, exec_lo, s45
	s_mov_b32 s20, 0
	s_mov_b32 s21, 0
	s_and_saveexec_b32 s22, s6
	s_xor_b32 s22, exec_lo, s22
; %bb.268:                              ;   in Loop: Header=BB132_6 Depth=1
	v_cmp_ne_u32_e32 vcc_lo, 8, v2
	v_cmp_eq_u32_e64 s6, 8, v2
	s_and_b32 s21, vcc_lo, exec_lo
	s_and_b32 s20, s6, exec_lo
; %bb.269:                              ;   in Loop: Header=BB132_6 Depth=1
	s_or_b32 exec_lo, exec_lo, s22
	s_andn2_b32 s6, s60, exec_lo
	s_and_b32 s22, s63, exec_lo
	s_andn2_b32 s23, s59, exec_lo
	s_and_b32 s24, s58, exec_lo
	s_or_b32 s60, s6, s22
	s_or_b32 s59, s23, s24
	s_and_b32 s45, s21, exec_lo
	s_and_b32 s58, s20, exec_lo
.LBB132_270:                            ;   in Loop: Header=BB132_6 Depth=1
	s_or_b32 exec_lo, exec_lo, s62
.LBB132_271:                            ;   in Loop: Header=BB132_6 Depth=1
	s_and_b32 vcc_lo, exec_lo, s61
	s_cbranch_vccz .LBB132_287
; %bb.272:                              ;   in Loop: Header=BB132_6 Depth=1
	s_cmp_eq_u64 s[18:19], 1
                                        ; implicit-def: $sgpr27
	s_cselect_b32 s6, -1, 0
	s_and_b32 s59, s6, s9
	s_mov_b32 s6, -1
                                        ; implicit-def: $sgpr9
	s_and_saveexec_b32 s60, s59
	s_cbranch_execz .LBB132_305
; %bb.273:                              ;   in Loop: Header=BB132_6 Depth=1
	ds_read_b64 v[4:5], v3 offset:5120
	s_waitcnt lgkmcnt(0)
	s_barrier
	buffer_gl0_inv
	v_readfirstlane_b32 s20, v4
	v_readfirstlane_b32 s21, v5
	s_and_saveexec_b32 s6, s10
; %bb.274:                              ;   in Loop: Header=BB132_6 Depth=1
	ds_write_b8 v0, v3 offset:3072
; %bb.275:                              ;   in Loop: Header=BB132_6 Depth=1
	s_or_b32 exec_lo, exec_lo, s6
	v_or_b32_e32 v20, s11, v20
	v_or_b32_e32 v38, s11, v38
	s_mov_b32 s27, -1
	s_mov_b32 s9, 0
	s_cmp_eq_u64 s[20:21], 0
	s_mov_b32 s24, 0
	s_mov_b32 s6, -1
	s_waitcnt lgkmcnt(0)
	s_barrier
	buffer_gl0_inv
                                        ; implicit-def: $vgpr39
	s_cbranch_scc1 .LBB132_290
; %bb.276:                              ;   in Loop: Header=BB132_6 Depth=1
	s_add_u32 s6, s20, s80
	s_addc_u32 s23, s21, s81
	s_mov_b32 s22, s49
	s_cmp_lg_u64 s[22:23], 0
	s_cbranch_scc0 .LBB132_331
; %bb.277:                              ;   in Loop: Header=BB132_6 Depth=1
	v_cvt_f32_u32_e32 v2, s33
	s_sub_u32 s25, 0, s33
	s_subb_u32 s42, 0, 0
	v_fmac_f32_e64 v2, 0x4f800000, 0
	v_rcp_f32_e32 v2, v2
	v_mul_f32_e32 v2, 0x5f7ffffc, v2
	v_mul_f32_e32 v4, 0x2f800000, v2
	v_trunc_f32_e32 v4, v4
	v_fmac_f32_e32 v2, 0xcf800000, v4
	v_cvt_u32_f32_e32 v4, v4
	v_cvt_u32_f32_e32 v2, v2
	v_readfirstlane_b32 s22, v4
	v_readfirstlane_b32 s24, v2
	s_mul_i32 s43, s25, s22
	s_mul_hi_u32 s47, s25, s24
	s_mul_i32 s46, s42, s24
	s_add_i32 s43, s47, s43
	s_mul_i32 s48, s25, s24
	s_add_i32 s43, s43, s46
	s_mul_hi_u32 s47, s24, s48
	s_mul_i32 s61, s24, s43
	s_mul_hi_u32 s52, s22, s48
	s_mul_i32 s46, s22, s48
	s_mul_hi_u32 s48, s24, s43
	s_add_u32 s47, s47, s61
	s_addc_u32 s48, 0, s48
	s_mul_hi_u32 s62, s22, s43
	s_add_u32 s46, s47, s46
	s_mul_i32 s43, s22, s43
	s_addc_u32 s46, s48, s52
	s_addc_u32 s47, s62, 0
	s_add_u32 s43, s46, s43
	s_addc_u32 s46, 0, s47
	s_add_u32 s24, s24, s43
	s_cselect_b32 s43, -1, 0
	s_mul_hi_u32 s47, s25, s24
	s_cmp_lg_u32 s43, 0
	s_mul_i32 s43, s25, s24
	s_addc_u32 s22, s22, s46
	s_mul_i32 s42, s42, s24
	s_mul_i32 s25, s25, s22
	s_mul_hi_u32 s46, s24, s43
	s_add_i32 s25, s47, s25
	s_mul_hi_u32 s47, s22, s43
	s_add_i32 s25, s25, s42
	s_mul_i32 s42, s22, s43
	s_mul_i32 s52, s24, s25
	s_mul_hi_u32 s48, s24, s25
	s_add_u32 s46, s46, s52
	s_addc_u32 s48, 0, s48
	s_mul_hi_u32 s43, s22, s25
	s_add_u32 s42, s46, s42
	s_mul_i32 s25, s22, s25
	s_addc_u32 s42, s48, s47
	s_addc_u32 s43, s43, 0
	s_add_u32 s25, s42, s25
	s_addc_u32 s42, 0, s43
	s_add_u32 s24, s24, s25
	s_cselect_b32 s25, -1, 0
	s_mul_hi_u32 s43, s6, s24
	s_cmp_lg_u32 s25, 0
	s_mul_hi_u32 s25, s23, s24
	s_addc_u32 s22, s22, s42
	s_mul_i32 s24, s23, s24
	s_mul_i32 s46, s6, s22
	s_mul_hi_u32 s42, s6, s22
	s_add_u32 s43, s43, s46
	s_addc_u32 s42, 0, s42
	s_mul_hi_u32 s47, s23, s22
	s_add_u32 s24, s43, s24
	s_mul_i32 s22, s23, s22
	s_addc_u32 s24, s42, s25
	s_addc_u32 s25, s47, 0
	s_add_u32 s22, s24, s22
	s_addc_u32 s24, 0, s25
	s_mul_hi_u32 s25, s33, s22
	s_mul_i32 s24, s33, s24
	s_mul_i32 s22, s33, s22
	s_add_i32 s25, s25, s24
	s_sub_u32 s22, s6, s22
	s_cselect_b32 s24, -1, 0
	s_cmp_lg_u32 s24, 0
	s_subb_u32 s24, s23, s25
	s_sub_u32 s25, s22, s33
	s_cselect_b32 s42, -1, 0
	s_cmp_lg_u32 s42, 0
	s_subb_u32 s42, s24, 0
	;; [unrolled: 4-line block ×3, first 2 shown]
	s_cmp_ge_u32 s25, s33
	s_cselect_b32 s47, -1, 0
	s_cmp_eq_u32 s42, 0
	s_cselect_b32 s47, s47, -1
	s_cmp_lg_u32 s47, 0
	s_cselect_b32 s42, s46, s42
	s_cselect_b32 s43, s43, s25
	s_cmp_ge_u32 s22, s33
	s_cselect_b32 s25, -1, 0
	s_cmp_eq_u32 s24, 0
	s_cselect_b32 s25, s25, -1
	s_cmp_lg_u32 s25, 0
	s_cselect_b32 s25, s42, s24
	s_cselect_b32 s24, s43, s22
	s_cbranch_execnz .LBB132_279
.LBB132_278:                            ;   in Loop: Header=BB132_6 Depth=1
	v_cvt_f32_u32_e32 v2, s33
	s_sub_i32 s24, 0, s33
	v_rcp_iflag_f32_e32 v2, v2
	v_mul_f32_e32 v2, 0x4f7ffffe, v2
	v_cvt_u32_f32_e32 v2, v2
	v_readfirstlane_b32 s22, v2
	s_mul_i32 s24, s24, s22
	s_mul_hi_u32 s24, s22, s24
	s_add_i32 s22, s22, s24
	s_mul_hi_u32 s22, s6, s22
	s_mul_i32 s22, s22, s33
	s_sub_i32 s22, s6, s22
	s_sub_i32 s24, s22, s33
	s_cmp_ge_u32 s22, s33
	s_cselect_b32 s22, s24, s22
	s_sub_i32 s24, s22, s33
	s_cmp_ge_u32 s22, s33
	s_cselect_b32 s48, s24, s22
	s_mov_b64 s[24:25], s[48:49]
.LBB132_279:                            ;   in Loop: Header=BB132_6 Depth=1
	s_sub_u32 s22, s6, s24
	s_subb_u32 s23, s23, s25
	s_mov_b32 s6, 0
	s_mov_b32 s24, 0
	s_mov_b32 s25, exec_lo
                                        ; implicit-def: $vgpr39
	v_cmpx_gt_u64_e64 s[22:23], v[0:1]
	s_cbranch_execz .LBB132_289
; %bb.280:                              ;   in Loop: Header=BB132_6 Depth=1
	v_mov_b32_e32 v5, v1
	v_mov_b32_e32 v2, v0
	;; [unrolled: 1-line block ×3, first 2 shown]
                                        ; implicit-def: $sgpr42
	s_inst_prefetch 0x1
	s_branch .LBB132_283
	.p2align	6
.LBB132_281:                            ;   in Loop: Header=BB132_283 Depth=2
	s_or_b32 exec_lo, exec_lo, s43
	s_waitcnt lgkmcnt(0)
	s_barrier
	buffer_gl0_inv
	ds_read_u16 v6, v3 offset:3072
	s_mov_b32 s43, -1
	s_waitcnt lgkmcnt(0)
	s_barrier
	buffer_gl0_inv
	v_cmp_ne_u32_sdwa s46, v6, v3 src0_sel:BYTE_0 src1_sel:DWORD
	s_and_b32 vcc_lo, exec_lo, s46
	s_mov_b32 s46, -1
	s_cbranch_vccz .LBB132_286
.LBB132_282:                            ;   in Loop: Header=BB132_283 Depth=2
	s_and_b32 s8, exec_lo, s43
	s_or_b32 s24, s8, s24
	s_andn2_b32 s8, s42, exec_lo
	s_and_b32 s42, s46, exec_lo
	s_or_b32 s42, s8, s42
	s_andn2_b32 exec_lo, exec_lo, s24
	s_cbranch_execz .LBB132_288
.LBB132_283:                            ;   Parent Loop BB132_6 Depth=1
                                        ; =>  This Inner Loop Header: Depth=2
	s_mov_b32 s43, exec_lo
	v_cmpx_gt_u64_e64 s[20:21], v[4:5]
	s_cbranch_execz .LBB132_281
; %bb.284:                              ;   in Loop: Header=BB132_283 Depth=2
	ds_read_u8 v6, v2
	s_waitcnt lgkmcnt(0)
	v_add_nc_u32_sdwa v7, sext(v6), v36 dst_sel:DWORD dst_unused:UNUSED_PAD src0_sel:BYTE_0 src1_sel:DWORD
	v_and_b32_e32 v7, v7, v38
	v_cmp_eq_u32_e32 vcc_lo, v7, v20
	s_and_b32 exec_lo, exec_lo, vcc_lo
	s_cbranch_execz .LBB132_281
; %bb.285:                              ;   in Loop: Header=BB132_283 Depth=2
	v_lshlrev_b16 v6, 8, v6
	v_or_b32_e32 v6, 1, v6
	ds_write_b16 v3, v6 offset:3072
	s_branch .LBB132_281
.LBB132_286:                            ;   in Loop: Header=BB132_283 Depth=2
	v_add_co_u32 v4, vcc_lo, v4, s33
	v_add_co_ci_u32_e64 v5, null, 0, v5, vcc_lo
	v_add_nc_u32_e32 v2, s33, v2
	s_mov_b32 s46, 0
	v_cmp_le_u64_e32 vcc_lo, s[22:23], v[4:5]
	s_orn2_b32 s43, vcc_lo, exec_lo
	s_branch .LBB132_282
.LBB132_287:                            ;   in Loop: Header=BB132_6 Depth=1
	v_mov_b32_e32 v20, v10
	v_mov_b32_e32 v38, v11
	;; [unrolled: 1-line block ×3, first 2 shown]
	s_mov_b32 s9, 0
	s_and_saveexec_b32 s6, s58
	s_cbranch_execnz .LBB132_464
	s_branch .LBB132_465
.LBB132_288:                            ;   in Loop: Header=BB132_6 Depth=1
	s_inst_prefetch 0x2
	s_or_b32 exec_lo, exec_lo, s24
	v_lshrrev_b32_sdwa v39, v37, v6 dst_sel:DWORD dst_unused:UNUSED_PAD src0_sel:DWORD src1_sel:WORD_0
	s_and_b32 s24, s42, exec_lo
.LBB132_289:                            ;   in Loop: Header=BB132_6 Depth=1
	s_or_b32 exec_lo, exec_lo, s25
.LBB132_290:                            ;   in Loop: Header=BB132_6 Depth=1
	s_and_b32 vcc_lo, exec_lo, s6
	s_cbranch_vccz .LBB132_304
; %bb.291:                              ;   in Loop: Header=BB132_6 Depth=1
	s_mov_b32 s52, s49
	s_cmp_lg_u64 s[52:53], 0
	s_cbranch_scc0 .LBB132_332
; %bb.292:                              ;   in Loop: Header=BB132_6 Depth=1
	v_cvt_f32_u32_e32 v2, s33
	s_sub_u32 s20, 0, s33
	s_subb_u32 s21, 0, 0
	v_fmac_f32_e64 v2, 0x4f800000, 0
	v_rcp_f32_e32 v2, v2
	v_mul_f32_e32 v2, 0x5f7ffffc, v2
	v_mul_f32_e32 v4, 0x2f800000, v2
	v_trunc_f32_e32 v4, v4
	v_fmac_f32_e32 v2, 0xcf800000, v4
	v_cvt_u32_f32_e32 v4, v4
	v_cvt_u32_f32_e32 v2, v2
	v_readfirstlane_b32 s6, v4
	v_readfirstlane_b32 s9, v2
	s_mul_i32 s22, s20, s6
	s_mul_hi_u32 s25, s20, s9
	s_mul_i32 s23, s21, s9
	s_add_i32 s22, s25, s22
	s_mul_i32 s27, s20, s9
	s_add_i32 s22, s22, s23
	s_mul_hi_u32 s25, s9, s27
	s_mul_i32 s43, s9, s22
	s_mul_hi_u32 s42, s6, s27
	s_mul_i32 s23, s6, s27
	s_mul_hi_u32 s27, s9, s22
	s_add_u32 s25, s25, s43
	s_addc_u32 s27, 0, s27
	s_mul_hi_u32 s46, s6, s22
	s_add_u32 s23, s25, s23
	s_mul_i32 s22, s6, s22
	s_addc_u32 s23, s27, s42
	s_addc_u32 s25, s46, 0
	s_add_u32 s22, s23, s22
	s_addc_u32 s23, 0, s25
	s_add_u32 s9, s9, s22
	s_cselect_b32 s22, -1, 0
	s_mul_hi_u32 s25, s20, s9
	s_cmp_lg_u32 s22, 0
	s_mul_i32 s22, s20, s9
	s_addc_u32 s6, s6, s23
	s_mul_i32 s21, s21, s9
	s_mul_i32 s20, s20, s6
	s_mul_hi_u32 s23, s9, s22
	s_add_i32 s20, s25, s20
	s_mul_hi_u32 s25, s6, s22
	s_add_i32 s20, s20, s21
	s_mul_i32 s21, s6, s22
	s_mul_i32 s42, s9, s20
	s_mul_hi_u32 s27, s9, s20
	s_add_u32 s23, s23, s42
	s_addc_u32 s27, 0, s27
	s_mul_hi_u32 s22, s6, s20
	s_add_u32 s21, s23, s21
	s_mul_i32 s20, s6, s20
	s_addc_u32 s21, s27, s25
	s_addc_u32 s22, s22, 0
	s_add_u32 s20, s21, s20
	s_addc_u32 s21, 0, s22
	s_add_u32 s9, s9, s20
	s_cselect_b32 s20, -1, 0
	s_mul_hi_u32 s22, s82, s9
	s_cmp_lg_u32 s20, 0
	s_mul_hi_u32 s20, s53, s9
	s_addc_u32 s6, s6, s21
	s_mul_i32 s9, s53, s9
	s_mul_i32 s23, s82, s6
	s_mul_hi_u32 s21, s82, s6
	s_add_u32 s22, s22, s23
	s_addc_u32 s21, 0, s21
	s_mul_hi_u32 s25, s53, s6
	s_add_u32 s9, s22, s9
	s_mul_i32 s6, s53, s6
	s_addc_u32 s9, s21, s20
	s_addc_u32 s20, s25, 0
	s_add_u32 s6, s9, s6
	s_addc_u32 s9, 0, s20
	s_mul_hi_u32 s20, s33, s6
	s_mul_i32 s9, s33, s9
	s_mul_i32 s6, s33, s6
	s_add_i32 s20, s20, s9
	s_sub_u32 s6, s82, s6
	s_cselect_b32 s9, -1, 0
	s_cmp_lg_u32 s9, 0
	s_subb_u32 s9, s53, s20
	s_sub_u32 s20, s6, s33
	s_cselect_b32 s21, -1, 0
	s_cmp_lg_u32 s21, 0
	s_subb_u32 s21, s9, 0
	;; [unrolled: 4-line block ×3, first 2 shown]
	s_cmp_ge_u32 s20, s33
	s_cselect_b32 s25, -1, 0
	s_cmp_eq_u32 s21, 0
	s_cselect_b32 s25, s25, -1
	s_cmp_lg_u32 s25, 0
	s_cselect_b32 s21, s23, s21
	s_cselect_b32 s20, s22, s20
	s_cmp_ge_u32 s6, s33
	s_cselect_b32 s22, -1, 0
	s_cmp_eq_u32 s9, 0
	s_cselect_b32 s22, s22, -1
	s_cmp_lg_u32 s22, 0
	s_cselect_b32 s21, s21, s9
	s_cselect_b32 s20, s20, s6
	s_cbranch_execnz .LBB132_294
.LBB132_293:                            ;   in Loop: Header=BB132_6 Depth=1
	v_cvt_f32_u32_e32 v2, s33
	s_sub_i32 s9, 0, s33
	v_rcp_iflag_f32_e32 v2, v2
	v_mul_f32_e32 v2, 0x4f7ffffe, v2
	v_cvt_u32_f32_e32 v2, v2
	v_readfirstlane_b32 s6, v2
	s_mul_i32 s9, s9, s6
	s_mul_hi_u32 s9, s6, s9
	s_add_i32 s6, s6, s9
	s_mul_hi_u32 s6, s82, s6
	s_mul_i32 s6, s6, s33
	s_sub_i32 s6, s82, s6
	s_sub_i32 s9, s6, s33
	s_cmp_ge_u32 s6, s33
	s_cselect_b32 s6, s9, s6
	s_sub_i32 s9, s6, s33
	s_cmp_ge_u32 s6, s33
	s_cselect_b32 s48, s9, s6
	s_mov_b64 s[20:21], s[48:49]
.LBB132_294:                            ;   in Loop: Header=BB132_6 Depth=1
	s_sub_u32 s20, s82, s20
	s_subb_u32 s21, s53, s21
	s_mov_b32 s9, exec_lo
                                        ; implicit-def: $vgpr39
	v_cmpx_gt_u64_e64 s[20:21], v[0:1]
	s_cbranch_execz .LBB132_303
; %bb.295:                              ;   in Loop: Header=BB132_6 Depth=1
	v_mov_b32_e32 v4, v12
	v_mov_b32_e32 v7, v1
	;; [unrolled: 1-line block ×4, first 2 shown]
	s_mov_b32 s22, 0
                                        ; implicit-def: $sgpr23
	s_inst_prefetch 0x1
	s_branch .LBB132_298
	.p2align	6
.LBB132_296:                            ;   in Loop: Header=BB132_298 Depth=2
	s_or_b32 exec_lo, exec_lo, s6
	s_waitcnt lgkmcnt(0)
	s_barrier
	buffer_gl0_inv
	ds_read_u16 v2, v3 offset:3072
	s_mov_b32 s6, -1
	s_waitcnt lgkmcnt(0)
	s_barrier
	buffer_gl0_inv
	v_cmp_ne_u32_sdwa s25, v2, v3 src0_sel:BYTE_0 src1_sel:DWORD
	s_and_b32 vcc_lo, exec_lo, s25
	s_mov_b32 s25, -1
	s_cbranch_vccz .LBB132_301
.LBB132_297:                            ;   in Loop: Header=BB132_298 Depth=2
	s_and_b32 s6, exec_lo, s6
	s_or_b32 s22, s6, s22
	s_andn2_b32 s6, s23, exec_lo
	s_and_b32 s8, s25, exec_lo
	s_or_b32 s23, s6, s8
	s_andn2_b32 exec_lo, exec_lo, s22
	s_cbranch_execz .LBB132_302
.LBB132_298:                            ;   Parent Loop BB132_6 Depth=1
                                        ; =>  This Inner Loop Header: Depth=2
	s_mov_b32 s6, exec_lo
	v_cmpx_gt_u64_e64 s[28:29], v[6:7]
	s_cbranch_execz .LBB132_296
; %bb.299:                              ;   in Loop: Header=BB132_298 Depth=2
	global_load_ubyte v2, v[4:5], off
	s_waitcnt vmcnt(0)
	v_add_nc_u32_sdwa v8, sext(v2), v36 dst_sel:DWORD dst_unused:UNUSED_PAD src0_sel:BYTE_0 src1_sel:DWORD
	v_and_b32_e32 v8, v8, v38
	v_cmp_eq_u32_e32 vcc_lo, v8, v20
	s_and_b32 exec_lo, exec_lo, vcc_lo
	s_cbranch_execz .LBB132_296
; %bb.300:                              ;   in Loop: Header=BB132_298 Depth=2
	v_lshlrev_b16 v2, 8, v2
	v_or_b32_e32 v2, 1, v2
	ds_write_b16 v3, v2 offset:3072
	s_branch .LBB132_296
.LBB132_301:                            ;   in Loop: Header=BB132_298 Depth=2
	v_add_co_u32 v6, vcc_lo, v6, s33
	v_add_co_ci_u32_e64 v7, null, 0, v7, vcc_lo
	v_add_co_u32 v4, s6, v4, s72
	v_add_co_ci_u32_e64 v5, null, s41, v5, s6
	v_cmp_le_u64_e32 vcc_lo, s[20:21], v[6:7]
	s_mov_b32 s25, 0
	s_orn2_b32 s6, vcc_lo, exec_lo
	s_branch .LBB132_297
.LBB132_302:                            ;   in Loop: Header=BB132_6 Depth=1
	s_inst_prefetch 0x2
	s_or_b32 exec_lo, exec_lo, s22
	v_lshrrev_b32_sdwa v39, v37, v2 dst_sel:DWORD dst_unused:UNUSED_PAD src0_sel:DWORD src1_sel:WORD_0
	s_andn2_b32 s6, s24, exec_lo
	s_and_b32 s8, s23, exec_lo
	s_or_b32 s24, s6, s8
.LBB132_303:                            ;   in Loop: Header=BB132_6 Depth=1
	s_or_b32 exec_lo, exec_lo, s9
	s_mov_b32 s27, 0
	s_mov_b32 s9, -1
.LBB132_304:                            ;   in Loop: Header=BB132_6 Depth=1
	s_orn2_b32 s6, s24, exec_lo
.LBB132_305:                            ;   in Loop: Header=BB132_6 Depth=1
	s_or_b32 exec_lo, exec_lo, s60
                                        ; implicit-def: $vgpr4_vgpr5
                                        ; implicit-def: $vgpr2
	s_and_saveexec_b32 s24, s6
	s_cbranch_execz .LBB132_463
; %bb.306:                              ;   in Loop: Header=BB132_6 Depth=1
	v_mov_b32_e32 v4, 1
	v_mov_b32_e32 v5, 0
	;; [unrolled: 1-line block ×3, first 2 shown]
	s_xor_b32 s21, s59, -1
	s_mov_b32 s20, 0
	s_and_saveexec_b32 s6, s21
	s_cbranch_execz .LBB132_315
; %bb.307:                              ;   in Loop: Header=BB132_6 Depth=1
	s_mov_b32 s20, exec_lo
	v_cmpx_ge_u64_e64 s[18:19], v[26:27]
	s_xor_b32 s20, exec_lo, s20
	s_cbranch_execz .LBB132_312
; %bb.308:                              ;   in Loop: Header=BB132_6 Depth=1
	ds_read_b64 v[4:5], v3 offset:5120
	v_or_b32_e32 v20, s11, v20
	v_or_b32_e32 v38, s11, v38
	s_waitcnt lgkmcnt(0)
	v_cmp_ne_u64_e32 vcc_lo, 0, v[4:5]
	s_cbranch_vccnz .LBB132_312
; %bb.309:                              ;   in Loop: Header=BB132_6 Depth=1
	s_and_saveexec_b32 s21, s3
; %bb.310:                              ;   in Loop: Header=BB132_6 Depth=1
	v_mov_b32_e32 v4, s18
	v_mov_b32_e32 v5, s19
	ds_write_b64 v3, v[4:5] offset:5128
; %bb.311:                              ;   in Loop: Header=BB132_6 Depth=1
	s_or_b32 exec_lo, exec_lo, s21
	s_waitcnt lgkmcnt(0)
	s_barrier
	buffer_gl0_inv
.LBB132_312:                            ;   in Loop: Header=BB132_6 Depth=1
	s_or_saveexec_b32 s20, s20
	v_mov_b32_e32 v2, 5
	s_mov_b32 s21, 0
	s_xor_b32 exec_lo, exec_lo, s20
; %bb.313:                              ;   in Loop: Header=BB132_6 Depth=1
	v_sub_co_u32 v26, vcc_lo, v26, s18
	v_subrev_co_ci_u32_e64 v27, null, s19, v27, vcc_lo
	v_mov_b32_e32 v2, 0
	s_mov_b32 s21, exec_lo
; %bb.314:                              ;   in Loop: Header=BB132_6 Depth=1
	s_or_b32 exec_lo, exec_lo, s20
	v_mov_b32_e32 v4, v26
	v_mov_b32_e32 v5, v27
	s_and_b32 s20, s21, exec_lo
.LBB132_315:                            ;   in Loop: Header=BB132_6 Depth=1
	s_or_b32 exec_lo, exec_lo, s6
	s_mov_b32 s6, -1
                                        ; implicit-def: $sgpr59
                                        ; implicit-def: $sgpr60
	s_and_saveexec_b32 s18, s20
	s_xor_b32 s25, exec_lo, s18
	s_cbranch_execz .LBB132_460
; %bb.316:                              ;   in Loop: Header=BB132_6 Depth=1
	v_cmp_eq_u64_e32 vcc_lo, 1, v[4:5]
	s_cmp_eq_u64 s[16:17], 1
                                        ; implicit-def: $sgpr60
                                        ; implicit-def: $sgpr59
	s_cselect_b32 s6, -1, 0
	s_and_b32 s61, s6, vcc_lo
	s_mov_b32 s6, -1
	s_and_saveexec_b32 s62, s61
	s_cbranch_execz .LBB132_350
; %bb.317:                              ;   in Loop: Header=BB132_6 Depth=1
	ds_read_b64 v[6:7], v3 offset:5120
	s_waitcnt lgkmcnt(0)
	s_barrier
	buffer_gl0_inv
	v_readfirstlane_b32 s18, v6
	v_readfirstlane_b32 s19, v7
	s_and_saveexec_b32 s6, s10
; %bb.318:                              ;   in Loop: Header=BB132_6 Depth=1
	ds_write_b8 v0, v3 offset:3072
; %bb.319:                              ;   in Loop: Header=BB132_6 Depth=1
	s_or_b32 exec_lo, exec_lo, s6
	s_lshl_b32 s6, 2, s92
	v_or_b32_e32 v38, s11, v38
	v_and_or_b32 v20, v20, s26, s6
	s_mov_b32 s59, -1
	s_mov_b32 s60, 0
	s_cmp_eq_u64 s[18:19], 0
	s_mov_b32 s22, 0
	s_mov_b32 s6, -1
	s_waitcnt lgkmcnt(0)
	s_barrier
	buffer_gl0_inv
                                        ; implicit-def: $vgpr39
	s_cbranch_scc1 .LBB132_335
; %bb.320:                              ;   in Loop: Header=BB132_6 Depth=1
	s_add_u32 s6, s18, s80
	s_addc_u32 s21, s19, s81
	s_mov_b32 s20, s49
	s_cmp_lg_u64 s[20:21], 0
	s_cbranch_scc0 .LBB132_376
; %bb.321:                              ;   in Loop: Header=BB132_6 Depth=1
	v_cvt_f32_u32_e32 v6, s33
	s_sub_u32 s23, 0, s33
	s_subb_u32 s42, 0, 0
	v_fmac_f32_e64 v6, 0x4f800000, 0
	v_rcp_f32_e32 v6, v6
	v_mul_f32_e32 v6, 0x5f7ffffc, v6
	v_mul_f32_e32 v7, 0x2f800000, v6
	v_trunc_f32_e32 v7, v7
	v_fmac_f32_e32 v6, 0xcf800000, v7
	v_cvt_u32_f32_e32 v7, v7
	v_cvt_u32_f32_e32 v6, v6
	v_readfirstlane_b32 s20, v7
	v_readfirstlane_b32 s22, v6
	s_mul_i32 s43, s23, s20
	s_mul_hi_u32 s47, s23, s22
	s_mul_i32 s46, s42, s22
	s_add_i32 s43, s47, s43
	s_mul_i32 s48, s23, s22
	s_add_i32 s43, s43, s46
	s_mul_hi_u32 s47, s22, s48
	s_mul_i32 s63, s22, s43
	s_mul_hi_u32 s52, s20, s48
	s_mul_i32 s46, s20, s48
	s_mul_hi_u32 s48, s22, s43
	s_add_u32 s47, s47, s63
	s_addc_u32 s48, 0, s48
	s_mul_hi_u32 s64, s20, s43
	s_add_u32 s46, s47, s46
	s_mul_i32 s43, s20, s43
	s_addc_u32 s46, s48, s52
	s_addc_u32 s47, s64, 0
	s_add_u32 s43, s46, s43
	s_addc_u32 s46, 0, s47
	s_add_u32 s22, s22, s43
	s_cselect_b32 s43, -1, 0
	s_mul_hi_u32 s47, s23, s22
	s_cmp_lg_u32 s43, 0
	s_mul_i32 s43, s23, s22
	s_addc_u32 s20, s20, s46
	s_mul_i32 s42, s42, s22
	s_mul_i32 s23, s23, s20
	s_mul_hi_u32 s46, s22, s43
	s_add_i32 s23, s47, s23
	s_mul_hi_u32 s47, s20, s43
	s_add_i32 s23, s23, s42
	s_mul_i32 s42, s20, s43
	s_mul_i32 s52, s22, s23
	s_mul_hi_u32 s48, s22, s23
	s_add_u32 s46, s46, s52
	s_addc_u32 s48, 0, s48
	s_mul_hi_u32 s43, s20, s23
	s_add_u32 s42, s46, s42
	s_mul_i32 s23, s20, s23
	s_addc_u32 s42, s48, s47
	s_addc_u32 s43, s43, 0
	s_add_u32 s23, s42, s23
	s_addc_u32 s42, 0, s43
	s_add_u32 s22, s22, s23
	s_cselect_b32 s23, -1, 0
	s_mul_hi_u32 s43, s6, s22
	s_cmp_lg_u32 s23, 0
	s_mul_hi_u32 s23, s21, s22
	s_addc_u32 s20, s20, s42
	s_mul_i32 s22, s21, s22
	s_mul_i32 s46, s6, s20
	s_mul_hi_u32 s42, s6, s20
	s_add_u32 s43, s43, s46
	s_addc_u32 s42, 0, s42
	s_mul_hi_u32 s47, s21, s20
	s_add_u32 s22, s43, s22
	s_mul_i32 s20, s21, s20
	s_addc_u32 s22, s42, s23
	s_addc_u32 s23, s47, 0
	s_add_u32 s20, s22, s20
	s_addc_u32 s22, 0, s23
	s_mul_hi_u32 s23, s33, s20
	s_mul_i32 s22, s33, s22
	s_mul_i32 s20, s33, s20
	s_add_i32 s23, s23, s22
	s_sub_u32 s20, s6, s20
	s_cselect_b32 s22, -1, 0
	s_cmp_lg_u32 s22, 0
	s_subb_u32 s22, s21, s23
	s_sub_u32 s23, s20, s33
	s_cselect_b32 s42, -1, 0
	s_cmp_lg_u32 s42, 0
	s_subb_u32 s42, s22, 0
	;; [unrolled: 4-line block ×3, first 2 shown]
	s_cmp_ge_u32 s23, s33
	s_cselect_b32 s47, -1, 0
	s_cmp_eq_u32 s42, 0
	s_cselect_b32 s47, s47, -1
	s_cmp_lg_u32 s47, 0
	s_cselect_b32 s42, s46, s42
	s_cselect_b32 s43, s43, s23
	s_cmp_ge_u32 s20, s33
	s_cselect_b32 s23, -1, 0
	s_cmp_eq_u32 s22, 0
	s_cselect_b32 s23, s23, -1
	s_cmp_lg_u32 s23, 0
	s_cselect_b32 s23, s42, s22
	s_cselect_b32 s22, s43, s20
	s_cbranch_execnz .LBB132_323
.LBB132_322:                            ;   in Loop: Header=BB132_6 Depth=1
	v_cvt_f32_u32_e32 v6, s33
	s_sub_i32 s22, 0, s33
	v_rcp_iflag_f32_e32 v6, v6
	v_mul_f32_e32 v6, 0x4f7ffffe, v6
	v_cvt_u32_f32_e32 v6, v6
	v_readfirstlane_b32 s20, v6
	s_mul_i32 s22, s22, s20
	s_mul_hi_u32 s22, s20, s22
	s_add_i32 s20, s20, s22
	s_mul_hi_u32 s20, s6, s20
	s_mul_i32 s20, s20, s33
	s_sub_i32 s20, s6, s20
	s_sub_i32 s22, s20, s33
	s_cmp_ge_u32 s20, s33
	s_cselect_b32 s20, s22, s20
	s_sub_i32 s22, s20, s33
	s_cmp_ge_u32 s20, s33
	s_cselect_b32 s48, s22, s20
	s_mov_b64 s[22:23], s[48:49]
.LBB132_323:                            ;   in Loop: Header=BB132_6 Depth=1
	s_sub_u32 s20, s6, s22
	s_subb_u32 s21, s21, s23
	s_mov_b32 s6, 0
	s_mov_b32 s22, 0
	s_mov_b32 s23, exec_lo
                                        ; implicit-def: $vgpr39
	v_cmpx_gt_u64_e64 s[20:21], v[0:1]
	s_cbranch_execz .LBB132_334
; %bb.324:                              ;   in Loop: Header=BB132_6 Depth=1
	v_mov_b32_e32 v7, v1
	v_mov_b32_e32 v8, v0
	;; [unrolled: 1-line block ×3, first 2 shown]
                                        ; implicit-def: $sgpr42
	s_inst_prefetch 0x1
	s_branch .LBB132_327
	.p2align	6
.LBB132_325:                            ;   in Loop: Header=BB132_327 Depth=2
	s_or_b32 exec_lo, exec_lo, s43
	s_waitcnt lgkmcnt(0)
	s_barrier
	buffer_gl0_inv
	ds_read_u16 v9, v3 offset:3072
	s_mov_b32 s43, -1
	s_waitcnt lgkmcnt(0)
	s_barrier
	buffer_gl0_inv
	v_cmp_ne_u32_sdwa s46, v9, v3 src0_sel:BYTE_0 src1_sel:DWORD
	s_and_b32 vcc_lo, exec_lo, s46
	s_mov_b32 s46, -1
	s_cbranch_vccz .LBB132_330
.LBB132_326:                            ;   in Loop: Header=BB132_327 Depth=2
	s_and_b32 s8, exec_lo, s43
	s_or_b32 s22, s8, s22
	s_andn2_b32 s8, s42, exec_lo
	s_and_b32 s42, s46, exec_lo
	s_or_b32 s42, s8, s42
	s_andn2_b32 exec_lo, exec_lo, s22
	s_cbranch_execz .LBB132_333
.LBB132_327:                            ;   Parent Loop BB132_6 Depth=1
                                        ; =>  This Inner Loop Header: Depth=2
	s_mov_b32 s43, exec_lo
	v_cmpx_gt_u64_e64 s[18:19], v[6:7]
	s_cbranch_execz .LBB132_325
; %bb.328:                              ;   in Loop: Header=BB132_327 Depth=2
	ds_read_u8 v9, v8
	s_waitcnt lgkmcnt(0)
	v_add_nc_u32_sdwa v10, sext(v9), v36 dst_sel:DWORD dst_unused:UNUSED_PAD src0_sel:BYTE_0 src1_sel:DWORD
	v_and_b32_e32 v10, v10, v38
	v_cmp_eq_u32_e32 vcc_lo, v10, v20
	s_and_b32 exec_lo, exec_lo, vcc_lo
	s_cbranch_execz .LBB132_325
; %bb.329:                              ;   in Loop: Header=BB132_327 Depth=2
	v_lshlrev_b16 v9, 8, v9
	v_or_b32_e32 v9, 1, v9
	ds_write_b16 v3, v9 offset:3072
	s_branch .LBB132_325
.LBB132_330:                            ;   in Loop: Header=BB132_327 Depth=2
	v_add_co_u32 v6, vcc_lo, v6, s33
	v_add_co_ci_u32_e64 v7, null, 0, v7, vcc_lo
	v_add_nc_u32_e32 v8, s33, v8
	s_mov_b32 s46, 0
	v_cmp_le_u64_e32 vcc_lo, s[20:21], v[6:7]
	s_orn2_b32 s43, vcc_lo, exec_lo
	s_branch .LBB132_326
.LBB132_331:                            ;   in Loop: Header=BB132_6 Depth=1
                                        ; implicit-def: $sgpr24_sgpr25
	s_branch .LBB132_278
.LBB132_332:                            ;   in Loop: Header=BB132_6 Depth=1
                                        ; implicit-def: $sgpr20_sgpr21
	s_branch .LBB132_293
.LBB132_333:                            ;   in Loop: Header=BB132_6 Depth=1
	s_inst_prefetch 0x2
	s_or_b32 exec_lo, exec_lo, s22
	v_lshrrev_b32_sdwa v39, v37, v9 dst_sel:DWORD dst_unused:UNUSED_PAD src0_sel:DWORD src1_sel:WORD_0
	s_and_b32 s22, s42, exec_lo
.LBB132_334:                            ;   in Loop: Header=BB132_6 Depth=1
	s_or_b32 exec_lo, exec_lo, s23
.LBB132_335:                            ;   in Loop: Header=BB132_6 Depth=1
	s_and_b32 vcc_lo, exec_lo, s6
	s_cbranch_vccz .LBB132_349
; %bb.336:                              ;   in Loop: Header=BB132_6 Depth=1
	s_mov_b32 s52, s49
	s_cmp_lg_u64 s[52:53], 0
	s_cbranch_scc0 .LBB132_377
; %bb.337:                              ;   in Loop: Header=BB132_6 Depth=1
	v_cvt_f32_u32_e32 v6, s33
	s_sub_u32 s19, 0, s33
	s_subb_u32 s20, 0, 0
	v_fmac_f32_e64 v6, 0x4f800000, 0
	v_rcp_f32_e32 v6, v6
	v_mul_f32_e32 v6, 0x5f7ffffc, v6
	v_mul_f32_e32 v7, 0x2f800000, v6
	v_trunc_f32_e32 v7, v7
	v_fmac_f32_e32 v6, 0xcf800000, v7
	v_cvt_u32_f32_e32 v7, v7
	v_cvt_u32_f32_e32 v6, v6
	v_readfirstlane_b32 s6, v7
	v_readfirstlane_b32 s18, v6
	s_mul_i32 s21, s19, s6
	s_mul_hi_u32 s42, s19, s18
	s_mul_i32 s23, s20, s18
	s_add_i32 s21, s42, s21
	s_mul_i32 s43, s19, s18
	s_add_i32 s21, s21, s23
	s_mul_hi_u32 s42, s18, s43
	s_mul_i32 s47, s18, s21
	s_mul_hi_u32 s46, s6, s43
	s_mul_i32 s23, s6, s43
	s_mul_hi_u32 s43, s18, s21
	s_add_u32 s42, s42, s47
	s_addc_u32 s43, 0, s43
	s_mul_hi_u32 s48, s6, s21
	s_add_u32 s23, s42, s23
	s_mul_i32 s21, s6, s21
	s_addc_u32 s23, s43, s46
	s_addc_u32 s42, s48, 0
	s_add_u32 s21, s23, s21
	s_addc_u32 s23, 0, s42
	s_add_u32 s18, s18, s21
	s_cselect_b32 s21, -1, 0
	s_mul_hi_u32 s42, s19, s18
	s_cmp_lg_u32 s21, 0
	s_mul_i32 s21, s19, s18
	s_addc_u32 s6, s6, s23
	s_mul_i32 s20, s20, s18
	s_mul_i32 s19, s19, s6
	s_mul_hi_u32 s23, s18, s21
	s_add_i32 s19, s42, s19
	s_mul_hi_u32 s42, s6, s21
	s_add_i32 s19, s19, s20
	s_mul_i32 s20, s6, s21
	s_mul_i32 s46, s18, s19
	s_mul_hi_u32 s43, s18, s19
	s_add_u32 s23, s23, s46
	s_addc_u32 s43, 0, s43
	s_mul_hi_u32 s21, s6, s19
	s_add_u32 s20, s23, s20
	s_mul_i32 s19, s6, s19
	s_addc_u32 s20, s43, s42
	s_addc_u32 s21, s21, 0
	s_add_u32 s19, s20, s19
	s_addc_u32 s20, 0, s21
	s_add_u32 s18, s18, s19
	s_cselect_b32 s19, -1, 0
	s_mul_hi_u32 s21, s82, s18
	s_cmp_lg_u32 s19, 0
	s_mul_hi_u32 s19, s53, s18
	s_addc_u32 s6, s6, s20
	s_mul_i32 s18, s53, s18
	s_mul_i32 s23, s82, s6
	s_mul_hi_u32 s20, s82, s6
	s_add_u32 s21, s21, s23
	s_addc_u32 s20, 0, s20
	s_mul_hi_u32 s42, s53, s6
	s_add_u32 s18, s21, s18
	s_mul_i32 s6, s53, s6
	s_addc_u32 s18, s20, s19
	s_addc_u32 s19, s42, 0
	s_add_u32 s6, s18, s6
	s_addc_u32 s18, 0, s19
	s_mul_hi_u32 s19, s33, s6
	s_mul_i32 s18, s33, s18
	s_mul_i32 s6, s33, s6
	s_add_i32 s19, s19, s18
	s_sub_u32 s6, s82, s6
	s_cselect_b32 s18, -1, 0
	s_cmp_lg_u32 s18, 0
	s_subb_u32 s18, s53, s19
	s_sub_u32 s19, s6, s33
	s_cselect_b32 s20, -1, 0
	s_cmp_lg_u32 s20, 0
	s_subb_u32 s20, s18, 0
	;; [unrolled: 4-line block ×3, first 2 shown]
	s_cmp_ge_u32 s19, s33
	s_cselect_b32 s42, -1, 0
	s_cmp_eq_u32 s20, 0
	s_cselect_b32 s42, s42, -1
	s_cmp_lg_u32 s42, 0
	s_cselect_b32 s20, s23, s20
	s_cselect_b32 s21, s21, s19
	s_cmp_ge_u32 s6, s33
	s_cselect_b32 s19, -1, 0
	s_cmp_eq_u32 s18, 0
	s_cselect_b32 s19, s19, -1
	s_cmp_lg_u32 s19, 0
	s_cselect_b32 s19, s20, s18
	s_cselect_b32 s18, s21, s6
	s_cbranch_execnz .LBB132_339
.LBB132_338:                            ;   in Loop: Header=BB132_6 Depth=1
	v_cvt_f32_u32_e32 v6, s33
	s_sub_i32 s18, 0, s33
	v_rcp_iflag_f32_e32 v6, v6
	v_mul_f32_e32 v6, 0x4f7ffffe, v6
	v_cvt_u32_f32_e32 v6, v6
	v_readfirstlane_b32 s6, v6
	s_mul_i32 s18, s18, s6
	s_mul_hi_u32 s18, s6, s18
	s_add_i32 s6, s6, s18
	s_mul_hi_u32 s6, s82, s6
	s_mul_i32 s6, s6, s33
	s_sub_i32 s6, s82, s6
	s_sub_i32 s18, s6, s33
	s_cmp_ge_u32 s6, s33
	s_cselect_b32 s6, s18, s6
	s_sub_i32 s18, s6, s33
	s_cmp_ge_u32 s6, s33
	s_cselect_b32 s48, s18, s6
	s_mov_b64 s[18:19], s[48:49]
.LBB132_339:                            ;   in Loop: Header=BB132_6 Depth=1
	s_sub_u32 s18, s82, s18
	s_subb_u32 s19, s53, s19
	s_mov_b32 s20, exec_lo
                                        ; implicit-def: $vgpr39
	v_cmpx_gt_u64_e64 s[18:19], v[0:1]
	s_cbranch_execz .LBB132_348
; %bb.340:                              ;   in Loop: Header=BB132_6 Depth=1
	v_mov_b32_e32 v6, v12
	v_mov_b32_e32 v9, v1
	;; [unrolled: 1-line block ×4, first 2 shown]
	s_mov_b32 s21, 0
                                        ; implicit-def: $sgpr23
	s_inst_prefetch 0x1
	s_branch .LBB132_343
	.p2align	6
.LBB132_341:                            ;   in Loop: Header=BB132_343 Depth=2
	s_or_b32 exec_lo, exec_lo, s6
	s_waitcnt lgkmcnt(0)
	s_barrier
	buffer_gl0_inv
	ds_read_u16 v10, v3 offset:3072
	s_mov_b32 s6, -1
	s_waitcnt lgkmcnt(0)
	s_barrier
	buffer_gl0_inv
	v_cmp_eq_u32_sdwa s42, v10, v3 src0_sel:BYTE_0 src1_sel:DWORD
	s_and_b32 vcc_lo, exec_lo, s42
	s_mov_b32 s42, -1
	s_cbranch_vccnz .LBB132_346
.LBB132_342:                            ;   in Loop: Header=BB132_343 Depth=2
	s_and_b32 s6, exec_lo, s6
	s_or_b32 s21, s6, s21
	s_andn2_b32 s6, s23, exec_lo
	s_and_b32 s8, s42, exec_lo
	s_or_b32 s23, s6, s8
	s_andn2_b32 exec_lo, exec_lo, s21
	s_cbranch_execz .LBB132_347
.LBB132_343:                            ;   Parent Loop BB132_6 Depth=1
                                        ; =>  This Inner Loop Header: Depth=2
	s_mov_b32 s6, exec_lo
	v_cmpx_gt_u64_e64 s[28:29], v[8:9]
	s_cbranch_execz .LBB132_341
; %bb.344:                              ;   in Loop: Header=BB132_343 Depth=2
	global_load_ubyte v10, v[6:7], off
	s_waitcnt vmcnt(0)
	v_add_nc_u32_sdwa v11, sext(v10), v36 dst_sel:DWORD dst_unused:UNUSED_PAD src0_sel:BYTE_0 src1_sel:DWORD
	v_and_b32_e32 v11, v11, v38
	v_cmp_eq_u32_e32 vcc_lo, v11, v20
	s_and_b32 exec_lo, exec_lo, vcc_lo
	s_cbranch_execz .LBB132_341
; %bb.345:                              ;   in Loop: Header=BB132_343 Depth=2
	v_lshlrev_b16 v10, 8, v10
	v_or_b32_e32 v10, 1, v10
	ds_write_b16 v3, v10 offset:3072
	s_branch .LBB132_341
.LBB132_346:                            ;   in Loop: Header=BB132_343 Depth=2
	v_add_co_u32 v8, vcc_lo, v8, s33
	v_add_co_ci_u32_e64 v9, null, 0, v9, vcc_lo
	v_add_co_u32 v6, s6, v6, s72
	v_add_co_ci_u32_e64 v7, null, s41, v7, s6
	v_cmp_le_u64_e32 vcc_lo, s[18:19], v[8:9]
	s_mov_b32 s42, 0
	s_orn2_b32 s6, vcc_lo, exec_lo
	s_branch .LBB132_342
.LBB132_347:                            ;   in Loop: Header=BB132_6 Depth=1
	s_inst_prefetch 0x2
	s_or_b32 exec_lo, exec_lo, s21
	v_lshrrev_b32_sdwa v39, v37, v10 dst_sel:DWORD dst_unused:UNUSED_PAD src0_sel:DWORD src1_sel:WORD_0
	s_andn2_b32 s6, s22, exec_lo
	s_and_b32 s8, s23, exec_lo
	s_or_b32 s22, s6, s8
.LBB132_348:                            ;   in Loop: Header=BB132_6 Depth=1
	s_or_b32 exec_lo, exec_lo, s20
	s_mov_b32 s59, 0
	s_mov_b32 s60, -1
.LBB132_349:                            ;   in Loop: Header=BB132_6 Depth=1
	s_orn2_b32 s6, s22, exec_lo
.LBB132_350:                            ;   in Loop: Header=BB132_6 Depth=1
	s_or_b32 exec_lo, exec_lo, s62
	s_mov_b32 s18, 0
	s_and_saveexec_b32 s22, s6
	s_cbranch_execz .LBB132_459
; %bb.351:                              ;   in Loop: Header=BB132_6 Depth=1
	v_mov_b32_e32 v6, 1
	v_mov_b32_e32 v7, 0
	;; [unrolled: 1-line block ×3, first 2 shown]
	s_xor_b32 s19, s61, -1
	s_and_saveexec_b32 s6, s19
	s_cbranch_execz .LBB132_360
; %bb.352:                              ;   in Loop: Header=BB132_6 Depth=1
	s_mov_b32 s18, exec_lo
	v_cmpx_ge_u64_e64 s[16:17], v[4:5]
	s_xor_b32 s18, exec_lo, s18
	s_cbranch_execz .LBB132_357
; %bb.353:                              ;   in Loop: Header=BB132_6 Depth=1
	ds_read_b64 v[6:7], v3 offset:5120
	s_lshl_b32 s19, 2, s92
	v_or_b32_e32 v38, s11, v38
	v_and_or_b32 v20, v20, s26, s19
	s_waitcnt lgkmcnt(0)
	v_cmp_ne_u64_e32 vcc_lo, 0, v[6:7]
	s_cbranch_vccnz .LBB132_357
; %bb.354:                              ;   in Loop: Header=BB132_6 Depth=1
	s_and_saveexec_b32 s19, s3
; %bb.355:                              ;   in Loop: Header=BB132_6 Depth=1
	v_mov_b32_e32 v6, s16
	v_mov_b32_e32 v7, s17
	ds_write_b64 v3, v[6:7] offset:5128
; %bb.356:                              ;   in Loop: Header=BB132_6 Depth=1
	s_or_b32 exec_lo, exec_lo, s19
	s_waitcnt lgkmcnt(0)
	s_barrier
	buffer_gl0_inv
.LBB132_357:                            ;   in Loop: Header=BB132_6 Depth=1
	s_or_saveexec_b32 s18, s18
	v_mov_b32_e32 v2, 5
	s_mov_b32 s19, 0
	s_xor_b32 exec_lo, exec_lo, s18
; %bb.358:                              ;   in Loop: Header=BB132_6 Depth=1
	v_sub_co_u32 v4, vcc_lo, v4, s16
	v_subrev_co_ci_u32_e64 v5, null, s17, v5, vcc_lo
	v_mov_b32_e32 v2, 0
	s_mov_b32 s19, exec_lo
; %bb.359:                              ;   in Loop: Header=BB132_6 Depth=1
	s_or_b32 exec_lo, exec_lo, s18
	v_mov_b32_e32 v7, v5
	v_mov_b32_e32 v6, v4
	s_and_b32 s18, s19, exec_lo
.LBB132_360:                            ;   in Loop: Header=BB132_6 Depth=1
	s_or_b32 exec_lo, exec_lo, s6
	s_mov_b32 s6, -1
                                        ; implicit-def: $sgpr61
                                        ; implicit-def: $sgpr62
	s_and_saveexec_b32 s23, s18
	s_cbranch_execz .LBB132_458
; %bb.361:                              ;   in Loop: Header=BB132_6 Depth=1
	v_cmp_eq_u64_e32 vcc_lo, 1, v[6:7]
	s_cmp_eq_u64 s[14:15], 1
                                        ; implicit-def: $sgpr62
                                        ; implicit-def: $sgpr61
	s_cselect_b32 s6, -1, 0
	s_and_b32 s63, s6, vcc_lo
	s_mov_b32 s6, -1
	s_and_saveexec_b32 s64, s63
	s_cbranch_execz .LBB132_395
; %bb.362:                              ;   in Loop: Header=BB132_6 Depth=1
	ds_read_b64 v[4:5], v3 offset:5120
	s_waitcnt lgkmcnt(0)
	s_barrier
	buffer_gl0_inv
	v_readfirstlane_b32 s16, v4
	v_readfirstlane_b32 s17, v5
	s_and_saveexec_b32 s6, s10
; %bb.363:                              ;   in Loop: Header=BB132_6 Depth=1
	ds_write_b8 v0, v3 offset:3072
; %bb.364:                              ;   in Loop: Header=BB132_6 Depth=1
	s_or_b32 exec_lo, exec_lo, s6
	s_lshl_b32 s6, 1, s92
	v_or_b32_e32 v38, s11, v38
	v_and_or_b32 v20, v20, s26, s6
	s_mov_b32 s61, -1
	s_mov_b32 s62, 0
	s_cmp_eq_u64 s[16:17], 0
	s_mov_b32 s20, 0
	s_mov_b32 s6, -1
	s_waitcnt lgkmcnt(0)
	s_barrier
	buffer_gl0_inv
                                        ; implicit-def: $vgpr39
	s_cbranch_scc1 .LBB132_380
; %bb.365:                              ;   in Loop: Header=BB132_6 Depth=1
	s_add_u32 s6, s16, s80
	s_addc_u32 s19, s17, s81
	s_mov_b32 s18, s49
	s_cmp_lg_u64 s[18:19], 0
	s_cbranch_scc0 .LBB132_412
; %bb.366:                              ;   in Loop: Header=BB132_6 Depth=1
	v_cvt_f32_u32_e32 v4, s33
	s_sub_u32 s21, 0, s33
	s_subb_u32 s42, 0, 0
	v_fmac_f32_e64 v4, 0x4f800000, 0
	v_rcp_f32_e32 v4, v4
	v_mul_f32_e32 v4, 0x5f7ffffc, v4
	v_mul_f32_e32 v5, 0x2f800000, v4
	v_trunc_f32_e32 v5, v5
	v_fmac_f32_e32 v4, 0xcf800000, v5
	v_cvt_u32_f32_e32 v5, v5
	v_cvt_u32_f32_e32 v4, v4
	v_readfirstlane_b32 s18, v5
	v_readfirstlane_b32 s20, v4
	s_mul_i32 s43, s21, s18
	s_mul_hi_u32 s47, s21, s20
	s_mul_i32 s46, s42, s20
	s_add_i32 s43, s47, s43
	s_mul_i32 s48, s21, s20
	s_add_i32 s43, s43, s46
	s_mul_hi_u32 s47, s20, s48
	s_mul_i32 s65, s20, s43
	s_mul_hi_u32 s52, s18, s48
	s_mul_i32 s46, s18, s48
	s_mul_hi_u32 s48, s20, s43
	s_add_u32 s47, s47, s65
	s_addc_u32 s48, 0, s48
	s_mul_hi_u32 s66, s18, s43
	s_add_u32 s46, s47, s46
	s_mul_i32 s43, s18, s43
	s_addc_u32 s46, s48, s52
	s_addc_u32 s47, s66, 0
	s_add_u32 s43, s46, s43
	s_addc_u32 s46, 0, s47
	s_add_u32 s20, s20, s43
	s_cselect_b32 s43, -1, 0
	s_mul_hi_u32 s47, s21, s20
	s_cmp_lg_u32 s43, 0
	s_mul_i32 s43, s21, s20
	s_addc_u32 s18, s18, s46
	s_mul_i32 s42, s42, s20
	s_mul_i32 s21, s21, s18
	s_mul_hi_u32 s46, s20, s43
	s_add_i32 s21, s47, s21
	s_mul_hi_u32 s47, s18, s43
	s_add_i32 s21, s21, s42
	s_mul_i32 s42, s18, s43
	s_mul_i32 s52, s20, s21
	s_mul_hi_u32 s48, s20, s21
	s_add_u32 s46, s46, s52
	s_addc_u32 s48, 0, s48
	s_mul_hi_u32 s43, s18, s21
	s_add_u32 s42, s46, s42
	s_mul_i32 s21, s18, s21
	s_addc_u32 s42, s48, s47
	s_addc_u32 s43, s43, 0
	s_add_u32 s21, s42, s21
	s_addc_u32 s42, 0, s43
	s_add_u32 s20, s20, s21
	s_cselect_b32 s21, -1, 0
	s_mul_hi_u32 s43, s6, s20
	s_cmp_lg_u32 s21, 0
	s_mul_hi_u32 s21, s19, s20
	s_addc_u32 s18, s18, s42
	s_mul_i32 s20, s19, s20
	s_mul_i32 s46, s6, s18
	s_mul_hi_u32 s42, s6, s18
	s_add_u32 s43, s43, s46
	s_addc_u32 s42, 0, s42
	s_mul_hi_u32 s47, s19, s18
	s_add_u32 s20, s43, s20
	s_mul_i32 s18, s19, s18
	s_addc_u32 s20, s42, s21
	s_addc_u32 s21, s47, 0
	s_add_u32 s18, s20, s18
	s_addc_u32 s20, 0, s21
	s_mul_hi_u32 s21, s33, s18
	s_mul_i32 s20, s33, s20
	s_mul_i32 s18, s33, s18
	s_add_i32 s21, s21, s20
	s_sub_u32 s18, s6, s18
	s_cselect_b32 s20, -1, 0
	s_cmp_lg_u32 s20, 0
	s_subb_u32 s20, s19, s21
	s_sub_u32 s21, s18, s33
	s_cselect_b32 s42, -1, 0
	s_cmp_lg_u32 s42, 0
	s_subb_u32 s42, s20, 0
	;; [unrolled: 4-line block ×3, first 2 shown]
	s_cmp_ge_u32 s21, s33
	s_cselect_b32 s47, -1, 0
	s_cmp_eq_u32 s42, 0
	s_cselect_b32 s47, s47, -1
	s_cmp_lg_u32 s47, 0
	s_cselect_b32 s42, s46, s42
	s_cselect_b32 s43, s43, s21
	s_cmp_ge_u32 s18, s33
	s_cselect_b32 s21, -1, 0
	s_cmp_eq_u32 s20, 0
	s_cselect_b32 s21, s21, -1
	s_cmp_lg_u32 s21, 0
	s_cselect_b32 s21, s42, s20
	s_cselect_b32 s20, s43, s18
	s_cbranch_execnz .LBB132_368
.LBB132_367:                            ;   in Loop: Header=BB132_6 Depth=1
	v_cvt_f32_u32_e32 v4, s33
	s_sub_i32 s20, 0, s33
	v_rcp_iflag_f32_e32 v4, v4
	v_mul_f32_e32 v4, 0x4f7ffffe, v4
	v_cvt_u32_f32_e32 v4, v4
	v_readfirstlane_b32 s18, v4
	s_mul_i32 s20, s20, s18
	s_mul_hi_u32 s20, s18, s20
	s_add_i32 s18, s18, s20
	s_mul_hi_u32 s18, s6, s18
	s_mul_i32 s18, s18, s33
	s_sub_i32 s18, s6, s18
	s_sub_i32 s20, s18, s33
	s_cmp_ge_u32 s18, s33
	s_cselect_b32 s18, s20, s18
	s_sub_i32 s20, s18, s33
	s_cmp_ge_u32 s18, s33
	s_cselect_b32 s48, s20, s18
	s_mov_b64 s[20:21], s[48:49]
.LBB132_368:                            ;   in Loop: Header=BB132_6 Depth=1
	s_sub_u32 s18, s6, s20
	s_subb_u32 s19, s19, s21
	s_mov_b32 s6, 0
	s_mov_b32 s20, 0
	s_mov_b32 s21, exec_lo
                                        ; implicit-def: $vgpr39
	v_cmpx_gt_u64_e64 s[18:19], v[0:1]
	s_cbranch_execz .LBB132_379
; %bb.369:                              ;   in Loop: Header=BB132_6 Depth=1
	v_mov_b32_e32 v5, v1
	v_mov_b32_e32 v8, v0
	;; [unrolled: 1-line block ×3, first 2 shown]
                                        ; implicit-def: $sgpr42
	s_inst_prefetch 0x1
	s_branch .LBB132_372
	.p2align	6
.LBB132_370:                            ;   in Loop: Header=BB132_372 Depth=2
	s_or_b32 exec_lo, exec_lo, s43
	s_waitcnt lgkmcnt(0)
	s_barrier
	buffer_gl0_inv
	ds_read_u16 v9, v3 offset:3072
	s_mov_b32 s43, -1
	s_waitcnt lgkmcnt(0)
	s_barrier
	buffer_gl0_inv
	v_cmp_ne_u32_sdwa s46, v9, v3 src0_sel:BYTE_0 src1_sel:DWORD
	s_and_b32 vcc_lo, exec_lo, s46
	s_mov_b32 s46, -1
	s_cbranch_vccz .LBB132_375
.LBB132_371:                            ;   in Loop: Header=BB132_372 Depth=2
	s_and_b32 s8, exec_lo, s43
	s_or_b32 s20, s8, s20
	s_andn2_b32 s8, s42, exec_lo
	s_and_b32 s42, s46, exec_lo
	s_or_b32 s42, s8, s42
	s_andn2_b32 exec_lo, exec_lo, s20
	s_cbranch_execz .LBB132_378
.LBB132_372:                            ;   Parent Loop BB132_6 Depth=1
                                        ; =>  This Inner Loop Header: Depth=2
	s_mov_b32 s43, exec_lo
	v_cmpx_gt_u64_e64 s[16:17], v[4:5]
	s_cbranch_execz .LBB132_370
; %bb.373:                              ;   in Loop: Header=BB132_372 Depth=2
	ds_read_u8 v9, v8
	s_waitcnt lgkmcnt(0)
	v_add_nc_u32_sdwa v10, sext(v9), v36 dst_sel:DWORD dst_unused:UNUSED_PAD src0_sel:BYTE_0 src1_sel:DWORD
	v_and_b32_e32 v10, v10, v38
	v_cmp_eq_u32_e32 vcc_lo, v10, v20
	s_and_b32 exec_lo, exec_lo, vcc_lo
	s_cbranch_execz .LBB132_370
; %bb.374:                              ;   in Loop: Header=BB132_372 Depth=2
	v_lshlrev_b16 v9, 8, v9
	v_or_b32_e32 v9, 1, v9
	ds_write_b16 v3, v9 offset:3072
	s_branch .LBB132_370
.LBB132_375:                            ;   in Loop: Header=BB132_372 Depth=2
	v_add_co_u32 v4, vcc_lo, v4, s33
	v_add_co_ci_u32_e64 v5, null, 0, v5, vcc_lo
	v_add_nc_u32_e32 v8, s33, v8
	s_mov_b32 s46, 0
	v_cmp_le_u64_e32 vcc_lo, s[18:19], v[4:5]
	s_orn2_b32 s43, vcc_lo, exec_lo
	s_branch .LBB132_371
.LBB132_376:                            ;   in Loop: Header=BB132_6 Depth=1
                                        ; implicit-def: $sgpr22_sgpr23
	s_branch .LBB132_322
.LBB132_377:                            ;   in Loop: Header=BB132_6 Depth=1
                                        ; implicit-def: $sgpr18_sgpr19
	s_branch .LBB132_338
.LBB132_378:                            ;   in Loop: Header=BB132_6 Depth=1
	s_inst_prefetch 0x2
	s_or_b32 exec_lo, exec_lo, s20
	v_lshrrev_b32_sdwa v39, v37, v9 dst_sel:DWORD dst_unused:UNUSED_PAD src0_sel:DWORD src1_sel:WORD_0
	s_and_b32 s20, s42, exec_lo
.LBB132_379:                            ;   in Loop: Header=BB132_6 Depth=1
	s_or_b32 exec_lo, exec_lo, s21
.LBB132_380:                            ;   in Loop: Header=BB132_6 Depth=1
	s_and_b32 vcc_lo, exec_lo, s6
	s_cbranch_vccz .LBB132_394
; %bb.381:                              ;   in Loop: Header=BB132_6 Depth=1
	s_mov_b32 s52, s49
	s_cmp_lg_u64 s[52:53], 0
	s_cbranch_scc0 .LBB132_413
; %bb.382:                              ;   in Loop: Header=BB132_6 Depth=1
	v_cvt_f32_u32_e32 v4, s33
	s_sub_u32 s17, 0, s33
	s_subb_u32 s18, 0, 0
	v_fmac_f32_e64 v4, 0x4f800000, 0
	v_rcp_f32_e32 v4, v4
	v_mul_f32_e32 v4, 0x5f7ffffc, v4
	v_mul_f32_e32 v5, 0x2f800000, v4
	v_trunc_f32_e32 v5, v5
	v_fmac_f32_e32 v4, 0xcf800000, v5
	v_cvt_u32_f32_e32 v5, v5
	v_cvt_u32_f32_e32 v4, v4
	v_readfirstlane_b32 s6, v5
	v_readfirstlane_b32 s16, v4
	s_mul_i32 s19, s17, s6
	s_mul_hi_u32 s42, s17, s16
	s_mul_i32 s21, s18, s16
	s_add_i32 s19, s42, s19
	s_mul_i32 s43, s17, s16
	s_add_i32 s19, s19, s21
	s_mul_hi_u32 s42, s16, s43
	s_mul_i32 s47, s16, s19
	s_mul_hi_u32 s46, s6, s43
	s_mul_i32 s21, s6, s43
	s_mul_hi_u32 s43, s16, s19
	s_add_u32 s42, s42, s47
	s_addc_u32 s43, 0, s43
	s_mul_hi_u32 s48, s6, s19
	s_add_u32 s21, s42, s21
	s_mul_i32 s19, s6, s19
	s_addc_u32 s21, s43, s46
	s_addc_u32 s42, s48, 0
	s_add_u32 s19, s21, s19
	s_addc_u32 s21, 0, s42
	s_add_u32 s16, s16, s19
	s_cselect_b32 s19, -1, 0
	s_mul_hi_u32 s42, s17, s16
	s_cmp_lg_u32 s19, 0
	s_mul_i32 s19, s17, s16
	s_addc_u32 s6, s6, s21
	s_mul_i32 s18, s18, s16
	s_mul_i32 s17, s17, s6
	s_mul_hi_u32 s21, s16, s19
	s_add_i32 s17, s42, s17
	s_mul_hi_u32 s42, s6, s19
	s_add_i32 s17, s17, s18
	s_mul_i32 s18, s6, s19
	s_mul_i32 s46, s16, s17
	s_mul_hi_u32 s43, s16, s17
	s_add_u32 s21, s21, s46
	s_addc_u32 s43, 0, s43
	s_mul_hi_u32 s19, s6, s17
	s_add_u32 s18, s21, s18
	s_mul_i32 s17, s6, s17
	s_addc_u32 s18, s43, s42
	s_addc_u32 s19, s19, 0
	s_add_u32 s17, s18, s17
	s_addc_u32 s18, 0, s19
	s_add_u32 s16, s16, s17
	s_cselect_b32 s17, -1, 0
	s_mul_hi_u32 s19, s82, s16
	s_cmp_lg_u32 s17, 0
	s_mul_hi_u32 s17, s53, s16
	s_addc_u32 s6, s6, s18
	s_mul_i32 s16, s53, s16
	s_mul_i32 s21, s82, s6
	s_mul_hi_u32 s18, s82, s6
	s_add_u32 s19, s19, s21
	s_addc_u32 s18, 0, s18
	s_mul_hi_u32 s42, s53, s6
	s_add_u32 s16, s19, s16
	s_mul_i32 s6, s53, s6
	s_addc_u32 s16, s18, s17
	s_addc_u32 s17, s42, 0
	s_add_u32 s6, s16, s6
	s_addc_u32 s16, 0, s17
	s_mul_hi_u32 s17, s33, s6
	s_mul_i32 s16, s33, s16
	s_mul_i32 s6, s33, s6
	s_add_i32 s17, s17, s16
	s_sub_u32 s6, s82, s6
	s_cselect_b32 s16, -1, 0
	s_cmp_lg_u32 s16, 0
	s_subb_u32 s16, s53, s17
	s_sub_u32 s17, s6, s33
	s_cselect_b32 s18, -1, 0
	s_cmp_lg_u32 s18, 0
	s_subb_u32 s18, s16, 0
	;; [unrolled: 4-line block ×3, first 2 shown]
	s_cmp_ge_u32 s17, s33
	s_cselect_b32 s42, -1, 0
	s_cmp_eq_u32 s18, 0
	s_cselect_b32 s42, s42, -1
	s_cmp_lg_u32 s42, 0
	s_cselect_b32 s18, s21, s18
	s_cselect_b32 s19, s19, s17
	s_cmp_ge_u32 s6, s33
	s_cselect_b32 s17, -1, 0
	s_cmp_eq_u32 s16, 0
	s_cselect_b32 s17, s17, -1
	s_cmp_lg_u32 s17, 0
	s_cselect_b32 s17, s18, s16
	s_cselect_b32 s16, s19, s6
	s_cbranch_execnz .LBB132_384
.LBB132_383:                            ;   in Loop: Header=BB132_6 Depth=1
	v_cvt_f32_u32_e32 v4, s33
	s_sub_i32 s16, 0, s33
	v_rcp_iflag_f32_e32 v4, v4
	v_mul_f32_e32 v4, 0x4f7ffffe, v4
	v_cvt_u32_f32_e32 v4, v4
	v_readfirstlane_b32 s6, v4
	s_mul_i32 s16, s16, s6
	s_mul_hi_u32 s16, s6, s16
	s_add_i32 s6, s6, s16
	s_mul_hi_u32 s6, s82, s6
	s_mul_i32 s6, s6, s33
	s_sub_i32 s6, s82, s6
	s_sub_i32 s16, s6, s33
	s_cmp_ge_u32 s6, s33
	s_cselect_b32 s6, s16, s6
	s_sub_i32 s16, s6, s33
	s_cmp_ge_u32 s6, s33
	s_cselect_b32 s48, s16, s6
	s_mov_b64 s[16:17], s[48:49]
.LBB132_384:                            ;   in Loop: Header=BB132_6 Depth=1
	s_sub_u32 s16, s82, s16
	s_subb_u32 s17, s53, s17
	s_mov_b32 s18, exec_lo
                                        ; implicit-def: $vgpr39
	v_cmpx_gt_u64_e64 s[16:17], v[0:1]
	s_cbranch_execz .LBB132_393
; %bb.385:                              ;   in Loop: Header=BB132_6 Depth=1
	v_mov_b32_e32 v4, v12
	v_mov_b32_e32 v9, v1
	;; [unrolled: 1-line block ×4, first 2 shown]
	s_mov_b32 s19, 0
                                        ; implicit-def: $sgpr21
	s_inst_prefetch 0x1
	s_branch .LBB132_388
	.p2align	6
.LBB132_386:                            ;   in Loop: Header=BB132_388 Depth=2
	s_or_b32 exec_lo, exec_lo, s6
	s_waitcnt lgkmcnt(0)
	s_barrier
	buffer_gl0_inv
	ds_read_u16 v10, v3 offset:3072
	s_mov_b32 s6, -1
	s_waitcnt lgkmcnt(0)
	s_barrier
	buffer_gl0_inv
	v_cmp_eq_u32_sdwa s42, v10, v3 src0_sel:BYTE_0 src1_sel:DWORD
	s_and_b32 vcc_lo, exec_lo, s42
	s_mov_b32 s42, -1
	s_cbranch_vccnz .LBB132_391
.LBB132_387:                            ;   in Loop: Header=BB132_388 Depth=2
	s_and_b32 s6, exec_lo, s6
	s_or_b32 s19, s6, s19
	s_andn2_b32 s6, s21, exec_lo
	s_and_b32 s8, s42, exec_lo
	s_or_b32 s21, s6, s8
	s_andn2_b32 exec_lo, exec_lo, s19
	s_cbranch_execz .LBB132_392
.LBB132_388:                            ;   Parent Loop BB132_6 Depth=1
                                        ; =>  This Inner Loop Header: Depth=2
	s_mov_b32 s6, exec_lo
	v_cmpx_gt_u64_e64 s[28:29], v[8:9]
	s_cbranch_execz .LBB132_386
; %bb.389:                              ;   in Loop: Header=BB132_388 Depth=2
	global_load_ubyte v10, v[4:5], off
	s_waitcnt vmcnt(0)
	v_add_nc_u32_sdwa v11, sext(v10), v36 dst_sel:DWORD dst_unused:UNUSED_PAD src0_sel:BYTE_0 src1_sel:DWORD
	v_and_b32_e32 v11, v11, v38
	v_cmp_eq_u32_e32 vcc_lo, v11, v20
	s_and_b32 exec_lo, exec_lo, vcc_lo
	s_cbranch_execz .LBB132_386
; %bb.390:                              ;   in Loop: Header=BB132_388 Depth=2
	v_lshlrev_b16 v10, 8, v10
	v_or_b32_e32 v10, 1, v10
	ds_write_b16 v3, v10 offset:3072
	s_branch .LBB132_386
.LBB132_391:                            ;   in Loop: Header=BB132_388 Depth=2
	v_add_co_u32 v8, vcc_lo, v8, s33
	v_add_co_ci_u32_e64 v9, null, 0, v9, vcc_lo
	v_add_co_u32 v4, s6, v4, s72
	v_add_co_ci_u32_e64 v5, null, s41, v5, s6
	v_cmp_le_u64_e32 vcc_lo, s[16:17], v[8:9]
	s_mov_b32 s42, 0
	s_orn2_b32 s6, vcc_lo, exec_lo
	s_branch .LBB132_387
.LBB132_392:                            ;   in Loop: Header=BB132_6 Depth=1
	s_inst_prefetch 0x2
	s_or_b32 exec_lo, exec_lo, s19
	v_lshrrev_b32_sdwa v39, v37, v10 dst_sel:DWORD dst_unused:UNUSED_PAD src0_sel:DWORD src1_sel:WORD_0
	s_andn2_b32 s6, s20, exec_lo
	s_and_b32 s8, s21, exec_lo
	s_or_b32 s20, s6, s8
.LBB132_393:                            ;   in Loop: Header=BB132_6 Depth=1
	s_or_b32 exec_lo, exec_lo, s18
	s_mov_b32 s61, 0
	s_mov_b32 s62, -1
.LBB132_394:                            ;   in Loop: Header=BB132_6 Depth=1
	s_orn2_b32 s6, s20, exec_lo
.LBB132_395:                            ;   in Loop: Header=BB132_6 Depth=1
	s_or_b32 exec_lo, exec_lo, s64
	s_mov_b32 s16, 0
	s_and_saveexec_b32 s20, s6
	s_cbranch_execz .LBB132_457
; %bb.396:                              ;   in Loop: Header=BB132_6 Depth=1
	v_mov_b32_e32 v4, 1
	v_mov_b32_e32 v5, 0
	;; [unrolled: 1-line block ×3, first 2 shown]
	s_xor_b32 s17, s63, -1
	s_and_saveexec_b32 s6, s17
	s_cbranch_execz .LBB132_405
; %bb.397:                              ;   in Loop: Header=BB132_6 Depth=1
	s_mov_b32 s16, exec_lo
	v_cmpx_ge_u64_e64 s[14:15], v[6:7]
	s_xor_b32 s16, exec_lo, s16
	s_cbranch_execz .LBB132_402
; %bb.398:                              ;   in Loop: Header=BB132_6 Depth=1
	ds_read_b64 v[4:5], v3 offset:5120
	s_lshl_b32 s17, 1, s92
	v_or_b32_e32 v38, s11, v38
	v_and_or_b32 v20, v20, s26, s17
	s_waitcnt lgkmcnt(0)
	v_cmp_ne_u64_e32 vcc_lo, 0, v[4:5]
	s_cbranch_vccnz .LBB132_402
; %bb.399:                              ;   in Loop: Header=BB132_6 Depth=1
	s_and_saveexec_b32 s17, s3
; %bb.400:                              ;   in Loop: Header=BB132_6 Depth=1
	v_mov_b32_e32 v4, s14
	v_mov_b32_e32 v5, s15
	ds_write_b64 v3, v[4:5] offset:5128
; %bb.401:                              ;   in Loop: Header=BB132_6 Depth=1
	s_or_b32 exec_lo, exec_lo, s17
	s_waitcnt lgkmcnt(0)
	s_barrier
	buffer_gl0_inv
.LBB132_402:                            ;   in Loop: Header=BB132_6 Depth=1
	s_or_saveexec_b32 s16, s16
	v_mov_b32_e32 v2, 5
	s_mov_b32 s17, 0
	s_xor_b32 exec_lo, exec_lo, s16
; %bb.403:                              ;   in Loop: Header=BB132_6 Depth=1
	v_sub_co_u32 v6, vcc_lo, v6, s14
	v_subrev_co_ci_u32_e64 v7, null, s15, v7, vcc_lo
	v_mov_b32_e32 v2, 0
	s_mov_b32 s17, exec_lo
; %bb.404:                              ;   in Loop: Header=BB132_6 Depth=1
	s_or_b32 exec_lo, exec_lo, s16
	v_mov_b32_e32 v4, v6
	v_mov_b32_e32 v5, v7
	s_and_b32 s16, s17, exec_lo
.LBB132_405:                            ;   in Loop: Header=BB132_6 Depth=1
	s_or_b32 exec_lo, exec_lo, s6
	s_mov_b32 s14, -1
                                        ; implicit-def: $sgpr52
                                        ; implicit-def: $sgpr6
	s_and_saveexec_b32 s21, s16
	s_cbranch_execz .LBB132_456
; %bb.406:                              ;   in Loop: Header=BB132_6 Depth=1
	v_cmp_eq_u64_e32 vcc_lo, 1, v[4:5]
	s_cmp_eq_u64 s[12:13], 1
	s_mov_b32 s15, -1
	s_cselect_b32 s6, -1, 0
                                        ; implicit-def: $sgpr52
	s_and_b32 s63, s6, vcc_lo
                                        ; implicit-def: $sgpr6
	s_and_saveexec_b32 s64, s63
	s_cbranch_execz .LBB132_444
; %bb.407:                              ;   in Loop: Header=BB132_6 Depth=1
	ds_read_b64 v[6:7], v3 offset:5120
	s_waitcnt lgkmcnt(0)
	s_barrier
	buffer_gl0_inv
	v_readfirstlane_b32 s14, v6
	v_readfirstlane_b32 s15, v7
	s_and_saveexec_b32 s6, s10
; %bb.408:                              ;   in Loop: Header=BB132_6 Depth=1
	ds_write_b8 v0, v3 offset:3072
; %bb.409:                              ;   in Loop: Header=BB132_6 Depth=1
	s_or_b32 exec_lo, exec_lo, s6
	v_and_b32_e32 v20, s26, v20
	v_or_b32_e32 v38, s11, v38
	s_mov_b32 s6, -1
	s_mov_b32 s52, 0
	s_cmp_eq_u64 s[14:15], 0
	s_mov_b32 s18, 0
	s_mov_b32 s19, -1
	s_waitcnt lgkmcnt(0)
	s_barrier
	buffer_gl0_inv
                                        ; implicit-def: $vgpr39
	s_cbranch_scc1 .LBB132_427
; %bb.410:                              ;   in Loop: Header=BB132_6 Depth=1
	s_add_u32 s42, s14, s80
	s_addc_u32 s17, s15, s81
	s_mov_b32 s16, s49
	s_cmp_lg_u64 s[16:17], 0
	s_cbranch_scc0 .LBB132_414
; %bb.411:                              ;   in Loop: Header=BB132_6 Depth=1
	v_cvt_f32_u32_e32 v6, s33
	s_sub_u32 s19, 0, s33
	s_subb_u32 s43, 0, 0
	v_fmac_f32_e64 v6, 0x4f800000, 0
	v_rcp_f32_e32 v6, v6
	v_mul_f32_e32 v6, 0x5f7ffffc, v6
	v_mul_f32_e32 v7, 0x2f800000, v6
	v_trunc_f32_e32 v7, v7
	v_fmac_f32_e32 v6, 0xcf800000, v7
	v_cvt_u32_f32_e32 v7, v7
	v_cvt_u32_f32_e32 v6, v6
	v_readfirstlane_b32 s16, v7
	v_readfirstlane_b32 s18, v6
	s_mul_i32 s46, s19, s16
	s_mul_hi_u32 s48, s19, s18
	s_mul_i32 s47, s43, s18
	s_add_i32 s46, s48, s46
	s_mul_i32 s65, s19, s18
	s_add_i32 s46, s46, s47
	s_mul_hi_u32 s48, s18, s65
	s_mul_i32 s67, s18, s46
	s_mul_hi_u32 s66, s16, s65
	s_mul_i32 s47, s16, s65
	s_mul_hi_u32 s65, s18, s46
	s_add_u32 s48, s48, s67
	s_addc_u32 s65, 0, s65
	s_mul_hi_u32 s68, s16, s46
	s_add_u32 s47, s48, s47
	s_mul_i32 s46, s16, s46
	s_addc_u32 s47, s65, s66
	s_addc_u32 s48, s68, 0
	s_add_u32 s46, s47, s46
	s_addc_u32 s47, 0, s48
	s_add_u32 s18, s18, s46
	s_cselect_b32 s46, -1, 0
	s_mul_hi_u32 s48, s19, s18
	s_cmp_lg_u32 s46, 0
	s_mul_i32 s46, s19, s18
	s_addc_u32 s16, s16, s47
	s_mul_i32 s43, s43, s18
	s_mul_i32 s19, s19, s16
	s_mul_hi_u32 s47, s18, s46
	s_add_i32 s19, s48, s19
	s_mul_hi_u32 s48, s16, s46
	s_add_i32 s19, s19, s43
	s_mul_i32 s43, s16, s46
	s_mul_i32 s66, s18, s19
	s_mul_hi_u32 s65, s18, s19
	s_add_u32 s47, s47, s66
	s_addc_u32 s65, 0, s65
	s_mul_hi_u32 s46, s16, s19
	s_add_u32 s43, s47, s43
	s_mul_i32 s19, s16, s19
	s_addc_u32 s43, s65, s48
	s_addc_u32 s46, s46, 0
	s_add_u32 s19, s43, s19
	s_addc_u32 s43, 0, s46
	s_add_u32 s18, s18, s19
	s_cselect_b32 s19, -1, 0
	s_mul_hi_u32 s46, s42, s18
	s_cmp_lg_u32 s19, 0
	s_mul_hi_u32 s19, s17, s18
	s_addc_u32 s16, s16, s43
	s_mul_i32 s18, s17, s18
	s_mul_i32 s47, s42, s16
	s_mul_hi_u32 s43, s42, s16
	s_add_u32 s46, s46, s47
	s_addc_u32 s43, 0, s43
	s_mul_hi_u32 s48, s17, s16
	s_add_u32 s18, s46, s18
	s_mul_i32 s16, s17, s16
	s_addc_u32 s18, s43, s19
	s_addc_u32 s19, s48, 0
	s_add_u32 s16, s18, s16
	s_addc_u32 s18, 0, s19
	s_mul_hi_u32 s19, s33, s16
	s_mul_i32 s18, s33, s18
	s_mul_i32 s16, s33, s16
	s_add_i32 s19, s19, s18
	s_sub_u32 s16, s42, s16
	s_cselect_b32 s18, -1, 0
	s_cmp_lg_u32 s18, 0
	s_subb_u32 s18, s17, s19
	s_sub_u32 s19, s16, s33
	s_cselect_b32 s43, -1, 0
	s_cmp_lg_u32 s43, 0
	s_subb_u32 s43, s18, 0
	;; [unrolled: 4-line block ×3, first 2 shown]
	s_cmp_ge_u32 s19, s33
	s_cselect_b32 s48, -1, 0
	s_cmp_eq_u32 s43, 0
	s_cselect_b32 s48, s48, -1
	s_cmp_lg_u32 s48, 0
	s_cselect_b32 s43, s47, s43
	s_cselect_b32 s46, s46, s19
	s_cmp_ge_u32 s16, s33
	s_cselect_b32 s19, -1, 0
	s_cmp_eq_u32 s18, 0
	s_cselect_b32 s19, s19, -1
	s_cmp_lg_u32 s19, 0
	s_cselect_b32 s19, s43, s18
	s_cselect_b32 s18, s46, s16
	s_mov_b32 s16, 0
	s_branch .LBB132_415
.LBB132_412:                            ;   in Loop: Header=BB132_6 Depth=1
                                        ; implicit-def: $sgpr20_sgpr21
	s_branch .LBB132_367
.LBB132_413:                            ;   in Loop: Header=BB132_6 Depth=1
                                        ; implicit-def: $sgpr16_sgpr17
	s_branch .LBB132_383
.LBB132_414:                            ;   in Loop: Header=BB132_6 Depth=1
	s_mov_b32 s16, -1
                                        ; implicit-def: $sgpr18_sgpr19
.LBB132_415:                            ;   in Loop: Header=BB132_6 Depth=1
	s_andn2_b32 vcc_lo, exec_lo, s16
	s_cbranch_vccnz .LBB132_417
; %bb.416:                              ;   in Loop: Header=BB132_6 Depth=1
	v_cvt_f32_u32_e32 v6, s33
	s_sub_i32 s18, 0, s33
	v_rcp_iflag_f32_e32 v6, v6
	v_mul_f32_e32 v6, 0x4f7ffffe, v6
	v_cvt_u32_f32_e32 v6, v6
	v_readfirstlane_b32 s16, v6
	s_mul_i32 s18, s18, s16
	s_mul_hi_u32 s18, s16, s18
	s_add_i32 s16, s16, s18
	s_mul_hi_u32 s16, s42, s16
	s_mul_i32 s16, s16, s33
	s_sub_i32 s16, s42, s16
	s_sub_i32 s18, s16, s33
	s_cmp_ge_u32 s16, s33
	s_cselect_b32 s16, s18, s16
	s_sub_i32 s18, s16, s33
	s_cmp_ge_u32 s16, s33
	s_cselect_b32 s48, s18, s16
	s_mov_b64 s[18:19], s[48:49]
.LBB132_417:                            ;   in Loop: Header=BB132_6 Depth=1
	s_sub_u32 s16, s42, s18
	s_subb_u32 s17, s17, s19
	s_mov_b32 s19, 0
	s_mov_b32 s18, 0
	s_mov_b32 s42, exec_lo
                                        ; implicit-def: $vgpr39
	v_cmpx_gt_u64_e64 s[16:17], v[0:1]
	s_cbranch_execz .LBB132_426
; %bb.418:                              ;   in Loop: Header=BB132_6 Depth=1
	v_mov_b32_e32 v7, v1
	v_mov_b32_e32 v8, v0
	;; [unrolled: 1-line block ×3, first 2 shown]
                                        ; implicit-def: $sgpr43
	s_inst_prefetch 0x1
	s_branch .LBB132_421
	.p2align	6
.LBB132_419:                            ;   in Loop: Header=BB132_421 Depth=2
	s_or_b32 exec_lo, exec_lo, s48
	s_waitcnt lgkmcnt(0)
	s_barrier
	buffer_gl0_inv
	ds_read_u16 v9, v3 offset:3072
	s_mov_b32 s46, -1
	s_waitcnt lgkmcnt(0)
	s_barrier
	buffer_gl0_inv
	v_cmp_ne_u32_sdwa s47, v9, v3 src0_sel:BYTE_0 src1_sel:DWORD
	s_and_b32 vcc_lo, exec_lo, s47
	s_mov_b32 s47, -1
	s_cbranch_vccz .LBB132_424
.LBB132_420:                            ;   in Loop: Header=BB132_421 Depth=2
	s_and_b32 s8, exec_lo, s46
	s_or_b32 s18, s8, s18
	s_andn2_b32 s8, s43, exec_lo
	s_and_b32 s43, s47, exec_lo
	s_or_b32 s43, s8, s43
	s_andn2_b32 exec_lo, exec_lo, s18
	s_cbranch_execz .LBB132_425
.LBB132_421:                            ;   Parent Loop BB132_6 Depth=1
                                        ; =>  This Inner Loop Header: Depth=2
	s_mov_b32 s48, exec_lo
	v_cmpx_gt_u64_e64 s[14:15], v[6:7]
	s_cbranch_execz .LBB132_419
; %bb.422:                              ;   in Loop: Header=BB132_421 Depth=2
	ds_read_u8 v9, v8
	s_waitcnt lgkmcnt(0)
	v_add_nc_u32_sdwa v10, sext(v9), v36 dst_sel:DWORD dst_unused:UNUSED_PAD src0_sel:BYTE_0 src1_sel:DWORD
	v_and_b32_e32 v10, v10, v38
	v_cmp_eq_u32_e32 vcc_lo, v10, v20
	s_and_b32 exec_lo, exec_lo, vcc_lo
	s_cbranch_execz .LBB132_419
; %bb.423:                              ;   in Loop: Header=BB132_421 Depth=2
	v_lshlrev_b16 v9, 8, v9
	v_or_b32_e32 v9, 1, v9
	ds_write_b16 v3, v9 offset:3072
	s_branch .LBB132_419
.LBB132_424:                            ;   in Loop: Header=BB132_421 Depth=2
	v_add_co_u32 v6, vcc_lo, v6, s33
	v_add_co_ci_u32_e64 v7, null, 0, v7, vcc_lo
	v_add_nc_u32_e32 v8, s33, v8
	s_mov_b32 s47, 0
	v_cmp_le_u64_e32 vcc_lo, s[16:17], v[6:7]
	s_orn2_b32 s46, vcc_lo, exec_lo
	s_branch .LBB132_420
.LBB132_425:                            ;   in Loop: Header=BB132_6 Depth=1
	s_inst_prefetch 0x2
	s_or_b32 exec_lo, exec_lo, s18
	v_lshrrev_b32_sdwa v39, v37, v9 dst_sel:DWORD dst_unused:UNUSED_PAD src0_sel:DWORD src1_sel:WORD_0
	s_and_b32 s18, s43, exec_lo
.LBB132_426:                            ;   in Loop: Header=BB132_6 Depth=1
	s_or_b32 exec_lo, exec_lo, s42
.LBB132_427:                            ;   in Loop: Header=BB132_6 Depth=1
	s_and_b32 vcc_lo, exec_lo, s19
	s_cbranch_vccz .LBB132_443
; %bb.428:                              ;   in Loop: Header=BB132_6 Depth=1
	s_mov_b32 s52, s49
	s_cmp_lg_u64 s[52:53], 0
	s_cbranch_scc0 .LBB132_430
; %bb.429:                              ;   in Loop: Header=BB132_6 Depth=1
	v_cvt_f32_u32_e32 v6, s33
	s_sub_u32 s15, 0, s33
	s_subb_u32 s16, 0, 0
	v_fmac_f32_e64 v6, 0x4f800000, 0
	v_rcp_f32_e32 v6, v6
	v_mul_f32_e32 v6, 0x5f7ffffc, v6
	v_mul_f32_e32 v7, 0x2f800000, v6
	v_trunc_f32_e32 v7, v7
	v_fmac_f32_e32 v6, 0xcf800000, v7
	v_cvt_u32_f32_e32 v7, v7
	v_cvt_u32_f32_e32 v6, v6
	v_readfirstlane_b32 s6, v7
	v_readfirstlane_b32 s14, v6
	s_mul_i32 s17, s15, s6
	s_mul_hi_u32 s42, s15, s14
	s_mul_i32 s19, s16, s14
	s_add_i32 s17, s42, s17
	s_mul_i32 s43, s15, s14
	s_add_i32 s17, s17, s19
	s_mul_hi_u32 s42, s14, s43
	s_mul_i32 s47, s14, s17
	s_mul_hi_u32 s46, s6, s43
	s_mul_i32 s19, s6, s43
	s_mul_hi_u32 s43, s14, s17
	s_add_u32 s42, s42, s47
	s_addc_u32 s43, 0, s43
	s_mul_hi_u32 s48, s6, s17
	s_add_u32 s19, s42, s19
	s_mul_i32 s17, s6, s17
	s_addc_u32 s19, s43, s46
	s_addc_u32 s42, s48, 0
	s_add_u32 s17, s19, s17
	s_addc_u32 s19, 0, s42
	s_add_u32 s14, s14, s17
	s_cselect_b32 s17, -1, 0
	s_mul_hi_u32 s42, s15, s14
	s_cmp_lg_u32 s17, 0
	s_mul_i32 s17, s15, s14
	s_addc_u32 s6, s6, s19
	s_mul_i32 s16, s16, s14
	s_mul_i32 s15, s15, s6
	s_mul_hi_u32 s19, s14, s17
	s_add_i32 s15, s42, s15
	s_mul_hi_u32 s42, s6, s17
	s_add_i32 s15, s15, s16
	s_mul_i32 s16, s6, s17
	s_mul_i32 s46, s14, s15
	s_mul_hi_u32 s43, s14, s15
	s_add_u32 s19, s19, s46
	s_addc_u32 s43, 0, s43
	s_mul_hi_u32 s17, s6, s15
	s_add_u32 s16, s19, s16
	s_mul_i32 s15, s6, s15
	s_addc_u32 s16, s43, s42
	s_addc_u32 s17, s17, 0
	s_add_u32 s15, s16, s15
	s_addc_u32 s16, 0, s17
	s_add_u32 s14, s14, s15
	s_cselect_b32 s15, -1, 0
	s_mul_hi_u32 s17, s82, s14
	s_cmp_lg_u32 s15, 0
	s_mul_hi_u32 s15, s53, s14
	s_addc_u32 s6, s6, s16
	s_mul_i32 s14, s53, s14
	s_mul_i32 s19, s82, s6
	s_mul_hi_u32 s16, s82, s6
	s_add_u32 s17, s17, s19
	s_addc_u32 s16, 0, s16
	s_mul_hi_u32 s42, s53, s6
	s_add_u32 s14, s17, s14
	s_mul_i32 s6, s53, s6
	s_addc_u32 s14, s16, s15
	s_addc_u32 s15, s42, 0
	s_add_u32 s6, s14, s6
	s_addc_u32 s14, 0, s15
	s_mul_hi_u32 s15, s33, s6
	s_mul_i32 s14, s33, s14
	s_mul_i32 s6, s33, s6
	s_add_i32 s15, s15, s14
	s_sub_u32 s6, s82, s6
	s_cselect_b32 s14, -1, 0
	s_cmp_lg_u32 s14, 0
	s_subb_u32 s14, s53, s15
	s_sub_u32 s15, s6, s33
	s_cselect_b32 s16, -1, 0
	s_cmp_lg_u32 s16, 0
	s_subb_u32 s16, s14, 0
	;; [unrolled: 4-line block ×3, first 2 shown]
	s_cmp_ge_u32 s15, s33
	s_cselect_b32 s42, -1, 0
	s_cmp_eq_u32 s16, 0
	s_cselect_b32 s42, s42, -1
	s_cmp_lg_u32 s42, 0
	s_cselect_b32 s16, s19, s16
	s_cselect_b32 s17, s17, s15
	s_cmp_ge_u32 s6, s33
	s_cselect_b32 s15, -1, 0
	s_cmp_eq_u32 s14, 0
	s_cselect_b32 s15, s15, -1
	s_cmp_lg_u32 s15, 0
	s_cselect_b32 s15, s16, s14
	s_cselect_b32 s14, s17, s6
	s_mov_b32 s6, 0
	s_branch .LBB132_431
.LBB132_430:                            ;   in Loop: Header=BB132_6 Depth=1
	s_mov_b32 s6, -1
                                        ; implicit-def: $sgpr14_sgpr15
.LBB132_431:                            ;   in Loop: Header=BB132_6 Depth=1
	s_andn2_b32 vcc_lo, exec_lo, s6
	s_cbranch_vccnz .LBB132_433
; %bb.432:                              ;   in Loop: Header=BB132_6 Depth=1
	v_cvt_f32_u32_e32 v6, s33
	s_sub_i32 s14, 0, s33
	v_rcp_iflag_f32_e32 v6, v6
	v_mul_f32_e32 v6, 0x4f7ffffe, v6
	v_cvt_u32_f32_e32 v6, v6
	v_readfirstlane_b32 s6, v6
	s_mul_i32 s14, s14, s6
	s_mul_hi_u32 s14, s6, s14
	s_add_i32 s6, s6, s14
	s_mul_hi_u32 s6, s82, s6
	s_mul_i32 s6, s6, s33
	s_sub_i32 s6, s82, s6
	s_sub_i32 s14, s6, s33
	s_cmp_ge_u32 s6, s33
	s_cselect_b32 s6, s14, s6
	s_sub_i32 s14, s6, s33
	s_cmp_ge_u32 s6, s33
	s_cselect_b32 s48, s14, s6
	s_mov_b64 s[14:15], s[48:49]
.LBB132_433:                            ;   in Loop: Header=BB132_6 Depth=1
	s_sub_u32 s14, s82, s14
	s_subb_u32 s15, s53, s15
	s_mov_b32 s16, exec_lo
                                        ; implicit-def: $vgpr39
	v_cmpx_gt_u64_e64 s[14:15], v[0:1]
	s_cbranch_execz .LBB132_442
; %bb.434:                              ;   in Loop: Header=BB132_6 Depth=1
	v_mov_b32_e32 v6, v12
	v_mov_b32_e32 v9, v1
	;; [unrolled: 1-line block ×4, first 2 shown]
	s_mov_b32 s17, 0
                                        ; implicit-def: $sgpr19
	s_inst_prefetch 0x1
	s_branch .LBB132_437
	.p2align	6
.LBB132_435:                            ;   in Loop: Header=BB132_437 Depth=2
	s_or_b32 exec_lo, exec_lo, s6
	s_waitcnt lgkmcnt(0)
	s_barrier
	buffer_gl0_inv
	ds_read_u16 v10, v3 offset:3072
	s_mov_b32 s6, -1
	s_waitcnt lgkmcnt(0)
	s_barrier
	buffer_gl0_inv
	v_cmp_eq_u32_sdwa s42, v10, v3 src0_sel:BYTE_0 src1_sel:DWORD
	s_and_b32 vcc_lo, exec_lo, s42
	s_mov_b32 s42, -1
	s_cbranch_vccnz .LBB132_440
.LBB132_436:                            ;   in Loop: Header=BB132_437 Depth=2
	s_and_b32 s6, exec_lo, s6
	s_or_b32 s17, s6, s17
	s_andn2_b32 s6, s19, exec_lo
	s_and_b32 s8, s42, exec_lo
	s_or_b32 s19, s6, s8
	s_andn2_b32 exec_lo, exec_lo, s17
	s_cbranch_execz .LBB132_441
.LBB132_437:                            ;   Parent Loop BB132_6 Depth=1
                                        ; =>  This Inner Loop Header: Depth=2
	s_mov_b32 s6, exec_lo
	v_cmpx_gt_u64_e64 s[28:29], v[8:9]
	s_cbranch_execz .LBB132_435
; %bb.438:                              ;   in Loop: Header=BB132_437 Depth=2
	global_load_ubyte v10, v[6:7], off
	s_waitcnt vmcnt(0)
	v_add_nc_u32_sdwa v11, sext(v10), v36 dst_sel:DWORD dst_unused:UNUSED_PAD src0_sel:BYTE_0 src1_sel:DWORD
	v_and_b32_e32 v11, v11, v38
	v_cmp_eq_u32_e32 vcc_lo, v11, v20
	s_and_b32 exec_lo, exec_lo, vcc_lo
	s_cbranch_execz .LBB132_435
; %bb.439:                              ;   in Loop: Header=BB132_437 Depth=2
	v_lshlrev_b16 v10, 8, v10
	v_or_b32_e32 v10, 1, v10
	ds_write_b16 v3, v10 offset:3072
	s_branch .LBB132_435
.LBB132_440:                            ;   in Loop: Header=BB132_437 Depth=2
	v_add_co_u32 v8, vcc_lo, v8, s33
	v_add_co_ci_u32_e64 v9, null, 0, v9, vcc_lo
	v_add_co_u32 v6, s6, v6, s72
	v_add_co_ci_u32_e64 v7, null, s41, v7, s6
	v_cmp_le_u64_e32 vcc_lo, s[14:15], v[8:9]
	s_mov_b32 s42, 0
	s_orn2_b32 s6, vcc_lo, exec_lo
	s_branch .LBB132_436
.LBB132_441:                            ;   in Loop: Header=BB132_6 Depth=1
	s_inst_prefetch 0x2
	s_or_b32 exec_lo, exec_lo, s17
	v_lshrrev_b32_sdwa v39, v37, v10 dst_sel:DWORD dst_unused:UNUSED_PAD src0_sel:DWORD src1_sel:WORD_0
	s_andn2_b32 s6, s18, exec_lo
	s_and_b32 s8, s19, exec_lo
	s_or_b32 s18, s6, s8
.LBB132_442:                            ;   in Loop: Header=BB132_6 Depth=1
	s_or_b32 exec_lo, exec_lo, s16
	s_mov_b32 s6, 0
	s_mov_b32 s52, -1
.LBB132_443:                            ;   in Loop: Header=BB132_6 Depth=1
	s_orn2_b32 s15, s18, exec_lo
.LBB132_444:                            ;   in Loop: Header=BB132_6 Depth=1
	s_or_b32 exec_lo, exec_lo, s64
	s_mov_b32 s16, 0
	s_and_saveexec_b32 s14, s15
	s_cbranch_execz .LBB132_455
; %bb.445:                              ;   in Loop: Header=BB132_6 Depth=1
	v_mov_b32_e32 v6, 1
	v_mov_b32_e32 v7, 0
	;; [unrolled: 1-line block ×3, first 2 shown]
	s_xor_b32 s16, s63, -1
	s_and_saveexec_b32 s15, s16
	s_cbranch_execz .LBB132_454
; %bb.446:                              ;   in Loop: Header=BB132_6 Depth=1
	s_mov_b32 s16, exec_lo
	v_cmpx_ge_u64_e64 s[12:13], v[4:5]
	s_xor_b32 s16, exec_lo, s16
	s_cbranch_execz .LBB132_451
; %bb.447:                              ;   in Loop: Header=BB132_6 Depth=1
	ds_read_b64 v[6:7], v3 offset:5120
	v_and_b32_e32 v20, s26, v20
	v_or_b32_e32 v38, s11, v38
	s_waitcnt lgkmcnt(0)
	v_cmp_ne_u64_e32 vcc_lo, 0, v[6:7]
	s_cbranch_vccnz .LBB132_451
; %bb.448:                              ;   in Loop: Header=BB132_6 Depth=1
	s_and_saveexec_b32 s11, s3
; %bb.449:                              ;   in Loop: Header=BB132_6 Depth=1
	v_mov_b32_e32 v6, s12
	v_mov_b32_e32 v7, s13
	ds_write_b64 v3, v[6:7] offset:5128
; %bb.450:                              ;   in Loop: Header=BB132_6 Depth=1
	s_or_b32 exec_lo, exec_lo, s11
	s_waitcnt lgkmcnt(0)
	s_barrier
	buffer_gl0_inv
.LBB132_451:                            ;   in Loop: Header=BB132_6 Depth=1
	s_andn2_saveexec_b32 s11, s16
; %bb.452:                              ;   in Loop: Header=BB132_6 Depth=1
	v_sub_co_u32 v4, vcc_lo, v4, s12
	v_subrev_co_ci_u32_e64 v5, null, s13, v5, vcc_lo
; %bb.453:                              ;   in Loop: Header=BB132_6 Depth=1
	s_or_b32 exec_lo, exec_lo, s11
	v_mov_b32_e32 v7, v5
	v_mov_b32_e32 v2, 5
	;; [unrolled: 1-line block ×3, first 2 shown]
.LBB132_454:                            ;   in Loop: Header=BB132_6 Depth=1
	s_or_b32 exec_lo, exec_lo, s15
	v_mov_b32_e32 v4, v6
	v_mov_b32_e32 v5, v7
	s_mov_b32 s16, exec_lo
.LBB132_455:                            ;   in Loop: Header=BB132_6 Depth=1
	s_or_b32 exec_lo, exec_lo, s14
	s_orn2_b32 s14, s16, exec_lo
.LBB132_456:                            ;   in Loop: Header=BB132_6 Depth=1
	s_or_b32 exec_lo, exec_lo, s21
	v_mov_b32_e32 v7, v5
	v_mov_b32_e32 v6, v4
	s_andn2_b32 s11, s62, exec_lo
	s_and_b32 s12, s52, exec_lo
	s_andn2_b32 s13, s61, exec_lo
	s_and_b32 s6, s6, exec_lo
	s_or_b32 s62, s11, s12
	s_or_b32 s61, s13, s6
	s_and_b32 s16, s14, exec_lo
.LBB132_457:                            ;   in Loop: Header=BB132_6 Depth=1
	s_or_b32 exec_lo, exec_lo, s20
	s_orn2_b32 s6, s16, exec_lo
.LBB132_458:                            ;   in Loop: Header=BB132_6 Depth=1
	s_or_b32 exec_lo, exec_lo, s23
	v_mov_b32_e32 v4, v6
	v_mov_b32_e32 v5, v7
	s_andn2_b32 s11, s60, exec_lo
	s_and_b32 s12, s62, exec_lo
	s_andn2_b32 s13, s59, exec_lo
	s_and_b32 s14, s61, exec_lo
	s_or_b32 s60, s11, s12
	s_or_b32 s59, s13, s14
	s_and_b32 s18, s6, exec_lo
.LBB132_459:                            ;   in Loop: Header=BB132_6 Depth=1
	s_or_b32 exec_lo, exec_lo, s22
	s_orn2_b32 s6, s18, exec_lo
.LBB132_460:                            ;   in Loop: Header=BB132_6 Depth=1
	s_or_b32 exec_lo, exec_lo, s25
	s_mov_b32 s11, s58
	s_mov_b32 s12, s45
	s_and_saveexec_b32 s13, s6
; %bb.461:                              ;   in Loop: Header=BB132_6 Depth=1
	v_cmp_ne_u32_e32 vcc_lo, 5, v2
	v_cmp_eq_u32_e64 s6, 5, v2
	s_andn2_b32 s11, s45, exec_lo
	s_andn2_b32 s14, s58, exec_lo
	s_and_b32 s12, vcc_lo, exec_lo
	s_and_b32 s6, s6, exec_lo
	s_or_b32 s12, s11, s12
	s_or_b32 s11, s14, s6
; %bb.462:                              ;   in Loop: Header=BB132_6 Depth=1
	s_or_b32 exec_lo, exec_lo, s13
	s_andn2_b32 s6, s9, exec_lo
	s_and_b32 s8, s60, exec_lo
	s_andn2_b32 s13, s27, exec_lo
	s_and_b32 s14, s59, exec_lo
	s_or_b32 s9, s6, s8
	s_andn2_b32 s6, s45, exec_lo
	s_and_b32 s8, s12, exec_lo
	s_andn2_b32 s12, s58, exec_lo
	s_and_b32 s11, s11, exec_lo
	s_or_b32 s27, s13, s14
	s_or_b32 s45, s6, s8
	;; [unrolled: 1-line block ×3, first 2 shown]
.LBB132_463:                            ;   in Loop: Header=BB132_6 Depth=1
	s_or_b32 exec_lo, exec_lo, s24
	s_mov_b32 s59, 0
	s_mov_b32 s60, 0
	s_and_saveexec_b32 s6, s58
.LBB132_464:                            ;   in Loop: Header=BB132_6 Depth=1
	v_mov_b32_e32 v2, 0
	s_or_b32 s45, s45, exec_lo
.LBB132_465:                            ;   in Loop: Header=BB132_6 Depth=1
	s_or_b32 exec_lo, exec_lo, s6
	s_andn2_b32 s6, s36, exec_lo
	s_and_b32 s8, s9, exec_lo
	s_andn2_b32 s9, s104, exec_lo
	s_and_b32 s12, s27, exec_lo
	v_mov_b32_e32 v27, v5
	v_mov_b32_e32 v26, v4
	s_or_b32 s36, s6, s8
	s_or_b32 s104, s9, s12
	s_andn2_b32 s6, s44, exec_lo
	s_and_b32 s8, s60, exec_lo
	s_andn2_b32 s9, s37, exec_lo
	s_and_b32 s12, s59, exec_lo
	s_mov_b32 s11, -1
	s_andn2_b32 vcc_hi, vcc_hi, exec_lo
	s_or_b32 s44, s6, s8
	s_or_b32 s37, s9, s12
	s_and_saveexec_b32 s6, s45
	s_xor_b32 s6, exec_lo, s6
	s_cbranch_execz .LBB132_5
; %bb.466:                              ;   in Loop: Header=BB132_6 Depth=1
	s_mov_b32 s9, -1
	s_mov_b32 s12, exec_lo
	v_cmpx_eq_u32_e32 0, v2
	s_cbranch_execz .LBB132_4
; %bb.467:                              ;   in Loop: Header=BB132_6 Depth=1
	s_xor_b32 s95, s95, 1
	s_add_i32 s13, s92, -2
	s_cmp_eq_u32 s92, 0
	s_mov_b32 s92, s13
	s_cselect_b32 s9, -1, 0
	s_xor_b32 s11, exec_lo, -1
	s_orn2_b32 s9, s9, exec_lo
	s_branch .LBB132_4
.LBB132_468:
	s_or_b32 exec_lo, exec_lo, s93
	s_xor_b32 s7, s99, -1
	s_xor_b32 s9, s97, -1
	;; [unrolled: 1-line block ×5, first 2 shown]
	s_mov_b32 s8, 0
	s_and_saveexec_b32 s12, s11
	s_xor_b32 s14, exec_lo, s12
	s_cbranch_execnz .LBB132_473
; %bb.469:
	s_andn2_saveexec_b32 s0, s14
	s_cbranch_execnz .LBB132_492
.LBB132_470:
	s_or_b32 exec_lo, exec_lo, s0
	s_and_saveexec_b32 s0, s8
.LBB132_471:
	; divergent unreachable
.LBB132_472:
	s_endpgm
.LBB132_473:
	s_and_saveexec_b32 s11, s10
	s_xor_b32 s15, exec_lo, s11
	s_cbranch_execz .LBB132_490
; %bb.474:
	s_and_saveexec_b32 s10, s9
	s_xor_b32 s16, exec_lo, s10
	s_cbranch_execz .LBB132_488
; %bb.475:
	;; [unrolled: 4-line block ×3, first 2 shown]
	s_and_saveexec_b32 s7, s6
	s_xor_b32 s6, exec_lo, s7
; %bb.477:
	v_xor_b32_e32 v39, 0xffffff80, v20
; %bb.478:
	s_or_b32 exec_lo, exec_lo, s6
	s_and_saveexec_b32 s6, s3
; %bb.479:
	v_mov_b32_e32 v2, 0
	v_mov_b32_e32 v3, v2
	ds_write_b64 v2, v[2:3] offset:5136
; %bb.480:
	s_or_b32 exec_lo, exec_lo, s6
	v_mov_b32_e32 v16, 0
	s_waitcnt lgkmcnt(0)
	s_barrier
	buffer_gl0_inv
	s_and_saveexec_b32 s3, s1
	s_cbranch_execz .LBB132_482
; %bb.481:
	global_load_ubyte v16, v[12:13], off
.LBB132_482:
	s_or_b32 exec_lo, exec_lo, s3
	s_clause 0x2
	s_load_dwordx2 s[20:21], s[4:5], 0x298
	s_load_dwordx2 s[8:9], s[4:5], 0x368
	;; [unrolled: 1-line block ×3, first 2 shown]
	v_readlane_b32 s18, v58, 0
	v_readlane_b32 s19, v58, 1
	s_add_u32 s3, s28, 31
	s_addc_u32 s7, s29, 0
	s_and_b32 s6, s3, 0xffffffe0
	s_mul_hi_u32 s5, s18, s40
	v_cmp_gt_u64_e32 vcc_lo, s[6:7], v[0:1]
	s_waitcnt lgkmcnt(0)
	s_mul_i32 s12, s21, s40
	s_mul_hi_u32 s4, s20, s40
	s_add_i32 s3, s4, s12
	s_mul_i32 s4, s19, s40
	s_mul_i32 s12, s20, s40
	s_add_i32 s5, s5, s4
	s_mul_i32 s4, s18, s40
	v_readlane_b32 s18, v58, 4
	v_readlane_b32 s19, v58, 5
	;; [unrolled: 1-line block ×4, first 2 shown]
	s_add_u32 s12, s18, s12
	s_addc_u32 s13, s19, s3
	s_lshl_b64 s[18:19], s[4:5], 3
	s_mov_b32 s4, -1
	s_add_u32 s5, s20, s18
	s_addc_u32 s18, s21, s19
	s_mov_b32 s19, 0
	s_mov_b32 s3, 0
	s_and_saveexec_b32 s20, vcc_lo
	s_cbranch_execnz .LBB132_493
; %bb.483:
	s_or_b32 exec_lo, exec_lo, s20
	s_and_saveexec_b32 s2, s4
	s_cbranch_execnz .LBB132_508
.LBB132_484:
	s_or_b32 exec_lo, exec_lo, s2
	s_and_saveexec_b32 s0, s3
	s_xor_b32 s0, exec_lo, s0
	s_cbranch_execnz .LBB132_531
.LBB132_485:
	s_or_b32 exec_lo, exec_lo, s0
	s_and_b32 s8, s19, exec_lo
.LBB132_486:
	s_andn2_saveexec_b32 s0, s17
	s_cbranch_execnz .LBB132_533
.LBB132_487:
	s_or_b32 exec_lo, exec_lo, s0
	s_and_b32 s8, s8, exec_lo
.LBB132_488:
	s_andn2_saveexec_b32 s0, s16
	s_cbranch_execnz .LBB132_532
.LBB132_489:
	s_or_b32 exec_lo, exec_lo, s0
	s_and_b32 s8, s8, exec_lo
.LBB132_490:
	s_andn2_saveexec_b32 s0, s15
	s_cbranch_execnz .LBB132_527
.LBB132_491:
	s_or_b32 exec_lo, exec_lo, s0
	s_and_b32 s8, s8, exec_lo
	s_andn2_saveexec_b32 s0, s14
	s_cbranch_execz .LBB132_470
.LBB132_492:
	s_or_b32 s8, s8, exec_lo
	s_trap 2
	s_or_b32 exec_lo, exec_lo, s0
	s_and_saveexec_b32 s0, s8
	s_cbranch_execnz .LBB132_471
	s_branch .LBB132_472
.LBB132_493:
	v_add_co_u32 v4, s3, v0, s33
	v_add_co_ci_u32_e64 v5, null, 0, 0, s3
	s_add_u32 s22, s34, s73
	s_addc_u32 s23, s35, s74
	v_mov_b32_e32 v17, 0x80
	v_mad_u64_u32 v[2:3], null, s38, v4, s[22:23]
	v_mul_lo_u32 v6, s38, v5
	v_mul_lo_u32 v4, s39, v4
	v_mov_b32_e32 v11, v1
	v_mov_b32_e32 v5, 0
	v_add_nc_u32_sdwa v18, sext(v39), v17 dst_sel:DWORD dst_unused:UNUSED_PAD src0_sel:BYTE_0 src1_sel:DWORD
	v_mov_b32_e32 v10, v0
	s_mov_b32 s21, 0
                                        ; implicit-def: $sgpr22
                                        ; implicit-def: $vgpr8_vgpr9
	v_add3_u32 v3, v4, v3, v6
	s_branch .LBB132_495
.LBB132_494:                            ;   in Loop: Header=BB132_495 Depth=1
	s_or_b32 exec_lo, exec_lo, s23
	s_xor_b32 s3, s24, -1
	s_and_b32 s4, exec_lo, s4
	v_mov_b32_e32 v11, v7
	v_mov_b32_e32 v16, v19
	s_or_b32 s21, s4, s21
	v_mov_b32_e32 v10, v6
	s_andn2_b32 s4, s22, exec_lo
	s_and_b32 s3, s3, exec_lo
	s_or_b32 s22, s4, s3
	s_andn2_b32 exec_lo, exec_lo, s21
	s_cbranch_execz .LBB132_507
.LBB132_495:                            ; =>This Inner Loop Header: Depth=1
	v_add_co_u32 v6, s3, v10, s33
	v_add_co_ci_u32_e64 v7, null, 0, v11, s3
	v_mov_b32_e32 v19, 0
	s_mov_b32 s4, exec_lo
	v_cmpx_gt_u64_e64 s[28:29], v[6:7]
	s_cbranch_execz .LBB132_497
; %bb.496:                              ;   in Loop: Header=BB132_495 Depth=1
	global_load_ubyte v19, v[2:3], off
.LBB132_497:                            ;   in Loop: Header=BB132_495 Depth=1
	s_or_b32 exec_lo, exec_lo, s4
	s_waitcnt vmcnt(0)
	v_add_nc_u32_sdwa v4, sext(v16), v17 dst_sel:DWORD dst_unused:UNUSED_PAD src0_sel:BYTE_0 src1_sel:DWORD
	v_cmp_gt_u32_e64 s3, v4, v18
	v_cndmask_b32_e64 v14, 0, 1, s3
	v_cmp_lt_u32_e64 s3, v4, v18
	v_cndmask_b32_e64 v4, 0, 1, s3
	v_cmp_gt_u64_e64 s3, s[28:29], v[10:11]
	v_cndmask_b32_e64 v4, v4, v14, s2
	v_and_b32_e32 v4, 1, v4
	v_cmp_eq_u32_e64 s4, 1, v4
	s_and_b32 s23, s3, s4
	v_cndmask_b32_e64 v4, 0, 1, s23
	v_cmp_ne_u32_e64 s3, 0, v4
	s_cmp_lg_u32 s3, 0
	s_cselect_b32 s4, -1, 0
	s_and_b32 s4, s0, s4
	s_and_saveexec_b32 s24, s4
	s_cbranch_execz .LBB132_501
; %bb.498:                              ;   in Loop: Header=BB132_495 Depth=1
	s_mov_b32 s27, exec_lo
	s_bcnt1_i32_b32 s25, s3
	v_mbcnt_lo_u32_b32 v14, s27, 0
	s_mov_b32 s26, exec_lo
                                        ; implicit-def: $vgpr8_vgpr9
	v_cmpx_eq_u32_e32 0, v14
	s_cbranch_execz .LBB132_500
; %bb.499:                              ;   in Loop: Header=BB132_495 Depth=1
	s_bcnt1_i32_b32 s4, s27
	s_mul_i32 s4, s25, s4
	v_mov_b32_e32 v4, s4
	s_waitcnt lgkmcnt(0)
	ds_add_rtn_u64 v[8:9], v5, v[4:5] offset:5136
.LBB132_500:                            ;   in Loop: Header=BB132_495 Depth=1
	s_or_b32 exec_lo, exec_lo, s26
	s_waitcnt lgkmcnt(0)
	v_readfirstlane_b32 s27, v9
	v_readfirstlane_b32 s26, v8
	v_mad_u64_u32 v[8:9], null, s25, v14, s[26:27]
.LBB132_501:                            ;   in Loop: Header=BB132_495 Depth=1
	s_or_b32 exec_lo, exec_lo, s24
	s_waitcnt lgkmcnt(1)
	ds_bpermute_b32 v8, v5, v8
	s_waitcnt lgkmcnt(1)
	ds_bpermute_b32 v9, v5, v9
	s_mov_b32 s4, -1
	s_mov_b32 s25, -1
	s_and_saveexec_b32 s24, s23
	s_cbranch_execz .LBB132_505
; %bb.502:                              ;   in Loop: Header=BB132_495 Depth=1
	v_and_b32_e32 v4, s3, v30
	s_mov_b32 s23, 0
	s_mov_b32 s25, exec_lo
	v_bcnt_u32_b32 v4, v4, 0
	s_waitcnt lgkmcnt(1)
	v_add_co_u32 v14, s3, v8, v4
	s_waitcnt lgkmcnt(0)
	v_add_co_ci_u32_e64 v15, null, 0, v9, s3
	v_cmpx_gt_u64_e64 s[30:31], v[14:15]
; %bb.503:                              ;   in Loop: Header=BB132_495 Depth=1
	v_mul_lo_u32 v4, v15, s10
	v_mul_lo_u32 v24, v14, s11
	v_mad_u64_u32 v[20:21], null, v14, s10, 0
	v_mad_u64_u32 v[22:23], null, v14, s8, s[12:13]
	v_mul_lo_u32 v25, v14, s9
	s_mov_b32 s23, exec_lo
	v_add3_u32 v21, v21, v24, v4
	v_mul_lo_u32 v4, v15, s8
	v_lshlrev_b64 v[14:15], 3, v[20:21]
	v_add3_u32 v23, v4, v23, v25
	v_add_co_u32 v14, s3, s5, v14
	v_add_co_ci_u32_e64 v15, null, s18, v15, s3
	global_store_byte v[22:23], v16, off
	global_store_dwordx2 v[14:15], v[10:11], off
; %bb.504:                              ;   in Loop: Header=BB132_495 Depth=1
	s_or_b32 exec_lo, exec_lo, s25
	s_orn2_b32 s25, s23, exec_lo
.LBB132_505:                            ;   in Loop: Header=BB132_495 Depth=1
	s_or_b32 exec_lo, exec_lo, s24
	s_mov_b32 s24, -1
	s_and_saveexec_b32 s23, s25
	s_cbranch_execz .LBB132_494
; %bb.506:                              ;   in Loop: Header=BB132_495 Depth=1
	v_cmp_le_u64_e64 s3, s[6:7], v[6:7]
	v_add_co_u32 v2, s4, v2, s72
	v_add_co_ci_u32_e64 v3, null, s41, v3, s4
	s_xor_b32 s24, exec_lo, -1
	s_orn2_b32 s4, s3, exec_lo
	s_branch .LBB132_494
.LBB132_507:
	s_or_b32 exec_lo, exec_lo, s21
	s_mov_b32 s3, exec_lo
	s_orn2_b32 s4, s22, exec_lo
	s_or_b32 exec_lo, exec_lo, s20
	s_and_saveexec_b32 s2, s4
	s_cbranch_execz .LBB132_484
.LBB132_508:
	v_mov_b32_e32 v4, 0
	s_waitcnt vmcnt(0) lgkmcnt(0)
	s_waitcnt_vscnt null, 0x0
	s_barrier
	buffer_gl0_inv
	s_and_saveexec_b32 s4, s1
	s_cbranch_execz .LBB132_510
; %bb.509:
	global_load_ubyte v4, v[12:13], off
.LBB132_510:
	s_or_b32 exec_lo, exec_lo, s4
	s_mov_b32 s1, 0
	s_and_saveexec_b32 s4, vcc_lo
	s_cbranch_execz .LBB132_530
; %bb.511:
	v_add_co_u32 v5, s1, v0, s33
	v_add_co_ci_u32_e64 v6, null, 0, 0, s1
	s_add_u32 s20, s34, s73
	s_addc_u32 s21, s35, s74
	s_mov_b32 s19, 0
	v_mad_u64_u32 v[2:3], null, s38, v5, s[20:21]
	v_mul_lo_u32 v6, s38, v6
	v_mul_lo_u32 v5, s39, v5
                                        ; implicit-def: $sgpr20
                                        ; implicit-def: $vgpr8_vgpr9
	v_add3_u32 v3, v5, v3, v6
	v_mov_b32_e32 v5, 0
	s_branch .LBB132_514
.LBB132_512:                            ;   in Loop: Header=BB132_514 Depth=1
	s_or_b32 exec_lo, exec_lo, s22
	s_orn2_b32 s24, s23, exec_lo
	s_orn2_b32 s23, s1, exec_lo
.LBB132_513:                            ;   in Loop: Header=BB132_514 Depth=1
	s_or_b32 exec_lo, exec_lo, s21
	s_xor_b32 s1, s24, -1
	s_and_b32 s21, exec_lo, s23
	v_mov_b32_e32 v0, v6
	v_mov_b32_e32 v1, v7
	s_or_b32 s19, s21, s19
	v_mov_b32_e32 v4, v12
	s_andn2_b32 s20, s20, exec_lo
	s_and_b32 s1, s1, exec_lo
	s_or_b32 s20, s20, s1
	s_andn2_b32 exec_lo, exec_lo, s19
	s_cbranch_execz .LBB132_528
.LBB132_514:                            ; =>This Inner Loop Header: Depth=1
	v_add_co_u32 v6, vcc_lo, v0, s33
	v_add_co_ci_u32_e64 v7, null, 0, v1, vcc_lo
	v_mov_b32_e32 v12, 0
	s_mov_b32 s1, exec_lo
	v_cmpx_gt_u64_e64 s[28:29], v[6:7]
	s_cbranch_execz .LBB132_516
; %bb.515:                              ;   in Loop: Header=BB132_514 Depth=1
	global_load_ubyte v12, v[2:3], off
.LBB132_516:                            ;   in Loop: Header=BB132_514 Depth=1
	s_or_b32 exec_lo, exec_lo, s1
	v_cmp_gt_u64_e32 vcc_lo, s[28:29], v[0:1]
	s_waitcnt vmcnt(0)
	v_cmp_eq_u16_sdwa s1, v4, v39 src0_sel:BYTE_0 src1_sel:BYTE_0
	s_and_b32 s22, vcc_lo, s1
	v_cndmask_b32_e64 v4, 0, 1, s22
	v_cmp_ne_u32_e32 vcc_lo, 0, v4
	s_cmp_lg_u32 vcc_lo, 0
	s_cselect_b32 s1, -1, 0
	s_and_b32 s1, s0, s1
	s_and_saveexec_b32 s21, s1
	s_cbranch_execz .LBB132_520
; %bb.517:                              ;   in Loop: Header=BB132_514 Depth=1
	s_mov_b32 s25, exec_lo
	s_bcnt1_i32_b32 s23, vcc_lo
	v_mbcnt_lo_u32_b32 v10, s25, 0
	s_mov_b32 s24, exec_lo
                                        ; implicit-def: $vgpr8_vgpr9
	v_cmpx_eq_u32_e32 0, v10
; %bb.518:                              ;   in Loop: Header=BB132_514 Depth=1
	s_bcnt1_i32_b32 s1, s25
	s_mul_i32 s1, s23, s1
	v_mov_b32_e32 v4, s1
	ds_add_rtn_u64 v[8:9], v5, v[4:5] offset:5136
; %bb.519:                              ;   in Loop: Header=BB132_514 Depth=1
	s_or_b32 exec_lo, exec_lo, s24
	s_waitcnt lgkmcnt(0)
	v_readfirstlane_b32 s25, v9
	v_readfirstlane_b32 s24, v8
	v_mad_u64_u32 v[8:9], null, s23, v10, s[24:25]
.LBB132_520:                            ;   in Loop: Header=BB132_514 Depth=1
	s_or_b32 exec_lo, exec_lo, s21
	ds_bpermute_b32 v8, v5, v8
	ds_bpermute_b32 v9, v5, v9
	s_cmp_eq_u32 vcc_lo, 0
	s_mov_b32 s23, -1
	s_cselect_b32 s21, -1, 0
	s_mov_b32 s24, -1
	s_waitcnt lgkmcnt(0)
	v_cmp_gt_u64_e64 s1, s[30:31], v[8:9]
	s_or_b32 s1, s21, s1
	s_and_saveexec_b32 s21, s1
	s_cbranch_execz .LBB132_513
; %bb.521:                              ;   in Loop: Header=BB132_514 Depth=1
	v_and_b32_e32 v4, vcc_lo, v30
	v_sub_co_u32 v10, vcc_lo, s30, v8
	v_sub_co_ci_u32_e64 v11, null, s31, v9, vcc_lo
	v_bcnt_u32_b32 v4, v4, 0
	s_mov_b32 s1, -1
	v_bcnt_u32_b32 v4, 0, v4
	v_cmp_gt_u64_e32 vcc_lo, v[10:11], v[4:5]
	s_and_b32 s25, s22, vcc_lo
	s_and_saveexec_b32 s22, s25
	s_cbranch_execz .LBB132_525
; %bb.522:                              ;   in Loop: Header=BB132_514 Depth=1
	v_add_co_u32 v10, vcc_lo, v8, v4
	v_add_co_ci_u32_e64 v11, null, 0, v9, vcc_lo
	s_mov_b32 s24, 0
	s_mov_b32 s23, exec_lo
	v_cmpx_gt_u64_e64 s[30:31], v[10:11]
; %bb.523:                              ;   in Loop: Header=BB132_514 Depth=1
	v_mul_lo_u32 v4, v11, s10
	v_mul_lo_u32 v17, v10, s11
	v_mad_u64_u32 v[13:14], null, v10, s10, 0
	v_mad_u64_u32 v[15:16], null, v10, s8, s[12:13]
	v_mul_lo_u32 v18, v10, s9
	s_mov_b32 s24, exec_lo
	v_add3_u32 v14, v14, v17, v4
	v_mul_lo_u32 v4, v11, s8
	v_lshlrev_b64 v[10:11], 3, v[13:14]
	v_add3_u32 v16, v4, v16, v18
	v_add_co_u32 v10, vcc_lo, s5, v10
	v_add_co_ci_u32_e64 v11, null, s18, v11, vcc_lo
	global_store_byte v[15:16], v39, off
	global_store_dwordx2 v[10:11], v[0:1], off
; %bb.524:                              ;   in Loop: Header=BB132_514 Depth=1
	s_or_b32 exec_lo, exec_lo, s23
	s_xor_b32 s23, exec_lo, -1
	s_orn2_b32 s24, s24, exec_lo
.LBB132_525:                            ;   in Loop: Header=BB132_514 Depth=1
	s_or_b32 exec_lo, exec_lo, s22
	s_and_saveexec_b32 s22, s24
	s_cbranch_execz .LBB132_512
; %bb.526:                              ;   in Loop: Header=BB132_514 Depth=1
	v_cmp_le_u64_e32 vcc_lo, s[6:7], v[6:7]
	v_add_co_u32 v2, s1, v2, s72
	v_add_co_ci_u32_e64 v3, null, s41, v3, s1
	s_or_b32 s23, s23, exec_lo
	s_orn2_b32 s1, vcc_lo, exec_lo
	s_branch .LBB132_512
.LBB132_527:
	s_or_b32 s8, s8, exec_lo
	s_trap 2
	s_branch .LBB132_491
.LBB132_528:
	s_or_b32 exec_lo, exec_lo, s19
	s_mov_b32 s0, 0
	s_and_saveexec_b32 s1, s20
	s_xor_b32 s1, exec_lo, s1
	s_cbranch_execnz .LBB132_534
.LBB132_529:
	s_or_b32 exec_lo, exec_lo, s1
	s_and_b32 s1, s0, exec_lo
.LBB132_530:
	s_or_b32 exec_lo, exec_lo, s4
	s_and_b32 s19, s1, exec_lo
	s_andn2_b32 s3, s3, exec_lo
	s_or_b32 exec_lo, exec_lo, s2
	s_and_saveexec_b32 s0, s3
	s_xor_b32 s0, exec_lo, s0
	s_cbranch_execz .LBB132_485
.LBB132_531:
	s_or_b32 s19, s19, exec_lo
	s_trap 2
	s_branch .LBB132_485
.LBB132_532:
	s_or_b32 s8, s8, exec_lo
	s_trap 2
	s_branch .LBB132_489
.LBB132_533:
	s_or_b32 s8, s8, exec_lo
	s_trap 2
	s_branch .LBB132_487
.LBB132_534:
	s_mov_b32 s0, exec_lo
	s_trap 2
	s_branch .LBB132_529
	.section	.rodata,"a",@progbits
	.p2align	6, 0x0
	.amdhsa_kernel _ZN2at6native6sbtopk10gatherTopKIamLi1ELb0EEEvNS_4cuda6detail10TensorInfoIKT_T0_EES8_S8_bS8_S8_NS5_IS6_S8_EES8_NS5_IlS8_EES8_PS6_
		.amdhsa_group_segment_fixed_size 5152
		.amdhsa_private_segment_fixed_size 0
		.amdhsa_kernarg_size 1568
		.amdhsa_user_sgpr_count 6
		.amdhsa_user_sgpr_private_segment_buffer 1
		.amdhsa_user_sgpr_dispatch_ptr 0
		.amdhsa_user_sgpr_queue_ptr 0
		.amdhsa_user_sgpr_kernarg_segment_ptr 1
		.amdhsa_user_sgpr_dispatch_id 0
		.amdhsa_user_sgpr_flat_scratch_init 0
		.amdhsa_user_sgpr_private_segment_size 0
		.amdhsa_wavefront_size32 1
		.amdhsa_uses_dynamic_stack 0
		.amdhsa_system_sgpr_private_segment_wavefront_offset 0
		.amdhsa_system_sgpr_workgroup_id_x 1
		.amdhsa_system_sgpr_workgroup_id_y 1
		.amdhsa_system_sgpr_workgroup_id_z 1
		.amdhsa_system_sgpr_workgroup_info 0
		.amdhsa_system_vgpr_workitem_id 0
		.amdhsa_next_free_vgpr 59
		.amdhsa_next_free_sgpr 105
		.amdhsa_reserve_vcc 1
		.amdhsa_reserve_flat_scratch 0
		.amdhsa_float_round_mode_32 0
		.amdhsa_float_round_mode_16_64 0
		.amdhsa_float_denorm_mode_32 3
		.amdhsa_float_denorm_mode_16_64 3
		.amdhsa_dx10_clamp 1
		.amdhsa_ieee_mode 1
		.amdhsa_fp16_overflow 0
		.amdhsa_workgroup_processor_mode 1
		.amdhsa_memory_ordered 1
		.amdhsa_forward_progress 1
		.amdhsa_shared_vgpr_count 0
		.amdhsa_exception_fp_ieee_invalid_op 0
		.amdhsa_exception_fp_denorm_src 0
		.amdhsa_exception_fp_ieee_div_zero 0
		.amdhsa_exception_fp_ieee_overflow 0
		.amdhsa_exception_fp_ieee_underflow 0
		.amdhsa_exception_fp_ieee_inexact 0
		.amdhsa_exception_int_div_zero 0
	.end_amdhsa_kernel
	.section	.text._ZN2at6native6sbtopk10gatherTopKIamLi1ELb0EEEvNS_4cuda6detail10TensorInfoIKT_T0_EES8_S8_bS8_S8_NS5_IS6_S8_EES8_NS5_IlS8_EES8_PS6_,"axG",@progbits,_ZN2at6native6sbtopk10gatherTopKIamLi1ELb0EEEvNS_4cuda6detail10TensorInfoIKT_T0_EES8_S8_bS8_S8_NS5_IS6_S8_EES8_NS5_IlS8_EES8_PS6_,comdat
.Lfunc_end132:
	.size	_ZN2at6native6sbtopk10gatherTopKIamLi1ELb0EEEvNS_4cuda6detail10TensorInfoIKT_T0_EES8_S8_bS8_S8_NS5_IS6_S8_EES8_NS5_IlS8_EES8_PS6_, .Lfunc_end132-_ZN2at6native6sbtopk10gatherTopKIamLi1ELb0EEEvNS_4cuda6detail10TensorInfoIKT_T0_EES8_S8_bS8_S8_NS5_IS6_S8_EES8_NS5_IlS8_EES8_PS6_
                                        ; -- End function
	.set _ZN2at6native6sbtopk10gatherTopKIamLi1ELb0EEEvNS_4cuda6detail10TensorInfoIKT_T0_EES8_S8_bS8_S8_NS5_IS6_S8_EES8_NS5_IlS8_EES8_PS6_.num_vgpr, 59
	.set _ZN2at6native6sbtopk10gatherTopKIamLi1ELb0EEEvNS_4cuda6detail10TensorInfoIKT_T0_EES8_S8_bS8_S8_NS5_IS6_S8_EES8_NS5_IlS8_EES8_PS6_.num_agpr, 0
	.set _ZN2at6native6sbtopk10gatherTopKIamLi1ELb0EEEvNS_4cuda6detail10TensorInfoIKT_T0_EES8_S8_bS8_S8_NS5_IS6_S8_EES8_NS5_IlS8_EES8_PS6_.numbered_sgpr, 105
	.set _ZN2at6native6sbtopk10gatherTopKIamLi1ELb0EEEvNS_4cuda6detail10TensorInfoIKT_T0_EES8_S8_bS8_S8_NS5_IS6_S8_EES8_NS5_IlS8_EES8_PS6_.num_named_barrier, 0
	.set _ZN2at6native6sbtopk10gatherTopKIamLi1ELb0EEEvNS_4cuda6detail10TensorInfoIKT_T0_EES8_S8_bS8_S8_NS5_IS6_S8_EES8_NS5_IlS8_EES8_PS6_.private_seg_size, 0
	.set _ZN2at6native6sbtopk10gatherTopKIamLi1ELb0EEEvNS_4cuda6detail10TensorInfoIKT_T0_EES8_S8_bS8_S8_NS5_IS6_S8_EES8_NS5_IlS8_EES8_PS6_.uses_vcc, 1
	.set _ZN2at6native6sbtopk10gatherTopKIamLi1ELb0EEEvNS_4cuda6detail10TensorInfoIKT_T0_EES8_S8_bS8_S8_NS5_IS6_S8_EES8_NS5_IlS8_EES8_PS6_.uses_flat_scratch, 0
	.set _ZN2at6native6sbtopk10gatherTopKIamLi1ELb0EEEvNS_4cuda6detail10TensorInfoIKT_T0_EES8_S8_bS8_S8_NS5_IS6_S8_EES8_NS5_IlS8_EES8_PS6_.has_dyn_sized_stack, 0
	.set _ZN2at6native6sbtopk10gatherTopKIamLi1ELb0EEEvNS_4cuda6detail10TensorInfoIKT_T0_EES8_S8_bS8_S8_NS5_IS6_S8_EES8_NS5_IlS8_EES8_PS6_.has_recursion, 0
	.set _ZN2at6native6sbtopk10gatherTopKIamLi1ELb0EEEvNS_4cuda6detail10TensorInfoIKT_T0_EES8_S8_bS8_S8_NS5_IS6_S8_EES8_NS5_IlS8_EES8_PS6_.has_indirect_call, 0
	.section	.AMDGPU.csdata,"",@progbits
; Kernel info:
; codeLenInByte = 25756
; TotalNumSgprs: 107
; NumVgprs: 59
; ScratchSize: 0
; MemoryBound: 0
; FloatMode: 240
; IeeeMode: 1
; LDSByteSize: 5152 bytes/workgroup (compile time only)
; SGPRBlocks: 0
; VGPRBlocks: 7
; NumSGPRsForWavesPerEU: 107
; NumVGPRsForWavesPerEU: 59
; Occupancy: 16
; WaveLimiterHint : 1
; COMPUTE_PGM_RSRC2:SCRATCH_EN: 0
; COMPUTE_PGM_RSRC2:USER_SGPR: 6
; COMPUTE_PGM_RSRC2:TRAP_HANDLER: 0
; COMPUTE_PGM_RSRC2:TGID_X_EN: 1
; COMPUTE_PGM_RSRC2:TGID_Y_EN: 1
; COMPUTE_PGM_RSRC2:TGID_Z_EN: 1
; COMPUTE_PGM_RSRC2:TIDIG_COMP_CNT: 0
	.section	.text._ZN2at6native6mbtopk23computeBlockDigitCountsIamjLi2EEEvNS_4cuda6detail10TensorInfoIKT_T0_EEjPjjS8_iijT1_PSB_Ps,"axG",@progbits,_ZN2at6native6mbtopk23computeBlockDigitCountsIamjLi2EEEvNS_4cuda6detail10TensorInfoIKT_T0_EEjPjjS8_iijT1_PSB_Ps,comdat
	.protected	_ZN2at6native6mbtopk23computeBlockDigitCountsIamjLi2EEEvNS_4cuda6detail10TensorInfoIKT_T0_EEjPjjS8_iijT1_PSB_Ps ; -- Begin function _ZN2at6native6mbtopk23computeBlockDigitCountsIamjLi2EEEvNS_4cuda6detail10TensorInfoIKT_T0_EEjPjjS8_iijT1_PSB_Ps
	.globl	_ZN2at6native6mbtopk23computeBlockDigitCountsIamjLi2EEEvNS_4cuda6detail10TensorInfoIKT_T0_EEjPjjS8_iijT1_PSB_Ps
	.p2align	8
	.type	_ZN2at6native6mbtopk23computeBlockDigitCountsIamjLi2EEEvNS_4cuda6detail10TensorInfoIKT_T0_EEjPjjS8_iijT1_PSB_Ps,@function
_ZN2at6native6mbtopk23computeBlockDigitCountsIamjLi2EEEvNS_4cuda6detail10TensorInfoIKT_T0_EEjPjjS8_iijT1_PSB_Ps: ; @_ZN2at6native6mbtopk23computeBlockDigitCountsIamjLi2EEEvNS_4cuda6detail10TensorInfoIKT_T0_EEjPjjS8_iijT1_PSB_Ps
; %bb.0:
	s_clause 0x2
	s_load_dwordx4 s[0:3], s[4:5], 0x1c0
	s_load_dword s12, s[4:5], 0x1b0
	s_load_dwordx2 s[10:11], s[4:5], 0x1e0
	s_waitcnt lgkmcnt(0)
	v_cvt_f32_u32_e32 v1, s2
	s_mul_i32 s8, s11, s8
	s_sub_i32 s11, 0, s2
	s_add_i32 s7, s8, s7
	v_rcp_iflag_f32_e32 v1, v1
	s_mul_i32 s16, s7, s10
	s_add_i32 s16, s16, s6
	v_mul_f32_e32 v1, 0x4f7ffffe, v1
	v_cvt_u32_f32_e32 v1, v1
	v_readfirstlane_b32 s9, v1
	s_mul_i32 s11, s11, s9
	s_mul_hi_u32 s7, s9, s11
	s_add_i32 s9, s9, s7
	s_mul_hi_u32 s6, s16, s9
	s_mul_i32 s7, s6, s2
	s_add_i32 s8, s6, 1
	s_sub_i32 s7, s16, s7
	s_sub_i32 s9, s7, s2
	s_cmp_ge_u32 s7, s2
	s_cselect_b32 s6, s8, s6
	s_cselect_b32 s7, s9, s7
	s_add_i32 s8, s6, 1
	s_cmp_ge_u32 s7, s2
	s_mov_b32 s7, 0
	s_cselect_b32 s6, s8, s6
	s_cmp_ge_u32 s6, s12
	s_cbranch_scc1 .LBB133_23
; %bb.1:
	s_clause 0x1
	s_load_dwordx2 s[12:13], s[4:5], 0x10
	s_load_dwordx4 s[8:11], s[4:5], 0x1d0
	s_lshl_b64 s[14:15], s[6:7], 2
	s_waitcnt lgkmcnt(0)
	v_cmp_lt_u64_e64 s17, s[6:7], s[12:13]
	s_add_u32 s14, s8, s14
	s_addc_u32 s15, s9, s15
	s_mov_b64 s[8:9], 0
	s_and_b32 vcc_lo, exec_lo, s17
	s_cbranch_vccnz .LBB133_3
; %bb.2:
	v_cvt_f32_u32_e32 v1, s12
	s_sub_i32 s8, 0, s12
	v_rcp_iflag_f32_e32 v1, v1
	v_mul_f32_e32 v1, 0x4f7ffffe, v1
	v_cvt_u32_f32_e32 v1, v1
	v_readfirstlane_b32 s7, v1
	s_mul_i32 s8, s8, s7
	s_mul_hi_u32 s8, s7, s8
	s_add_i32 s7, s7, s8
	s_mul_hi_u32 s7, s6, s7
	s_mul_i32 s8, s7, s12
	s_add_i32 s9, s7, 1
	s_sub_i32 s8, s6, s8
	s_sub_i32 s17, s8, s12
	s_cmp_ge_u32 s8, s12
	s_cselect_b32 s7, s9, s7
	s_cselect_b32 s8, s17, s8
	s_add_i32 s9, s7, 1
	s_cmp_ge_u32 s8, s12
	s_cselect_b32 s8, s9, s7
.LBB133_3:
	v_cmp_gt_u32_e32 vcc_lo, 0x100, v0
	v_lshlrev_b32_e32 v1, 2, v0
	s_and_saveexec_b32 s7, vcc_lo
; %bb.4:
	v_mov_b32_e32 v2, 0
	ds_write_b32 v1, v2
; %bb.5:
	s_or_b32 exec_lo, exec_lo, s7
	s_load_dword s9, s[4:5], 0x1a0
	s_mul_i32 s7, s6, s2
	s_waitcnt lgkmcnt(0)
	s_sub_i32 s17, s16, s7
	s_barrier
	s_mul_i32 s7, s1, s17
	s_add_i32 s17, s17, 1
	s_lshl_b32 s7, s7, 8
	buffer_gl0_inv
	s_sub_i32 s18, s9, s7
	s_add_u32 s18, s18, 0xff
	s_addc_u32 s19, 0, 0
	s_lshr_b64 s[18:19], s[18:19], 8
	s_cmp_lt_u32 s17, s2
	s_mov_b32 s17, 0
	s_cselect_b32 s2, s1, s18
	s_cmp_lt_i32 s2, 1
	s_cbranch_scc1 .LBB133_21
; %bb.6:
	s_clause 0x1
	s_load_dwordx4 s[20:23], s[4:5], 0xd0
	s_load_dwordx2 s[18:19], s[4:5], 0x0
	s_load_dword s1, s[14:15], 0x0
	s_load_dwordx2 s[4:5], s[4:5], 0x1b8
	s_mul_i32 s13, s8, s13
	s_mul_hi_u32 s14, s8, s12
	s_mul_i32 s12, s8, s12
	s_add_i32 s14, s14, s13
	s_sub_u32 s6, s6, s12
	v_add_nc_u32_e32 v2, s7, v0
	s_subb_u32 s7, 0, s14
	s_waitcnt lgkmcnt(0)
	s_mul_i32 s12, s6, s23
	s_mul_hi_u32 s13, s6, s22
	s_mul_i32 s7, s7, s22
	s_mul_i32 s14, s8, s21
	s_mul_hi_u32 s15, s8, s20
	s_add_i32 s12, s13, s12
	s_mul_i32 s8, s8, s20
	s_add_i32 s15, s15, s14
	s_add_i32 s12, s12, s7
	s_mul_i32 s6, s6, s22
	s_add_u32 s7, s18, s8
	s_addc_u32 s8, s19, s15
	s_add_u32 s6, s7, s6
	s_addc_u32 s7, s8, s12
	s_and_b32 s8, s0, 0xff
	s_cmp_eq_u32 s2, 1
	s_cbranch_scc1 .LBB133_16
; %bb.7:
	v_mov_b32_e32 v3, 1
	v_mov_b32_e32 v4, v2
	s_and_b32 s12, s2, 0x7ffffffe
	s_mov_b32 s13, 0
	s_branch .LBB133_9
.LBB133_8:                              ;   in Loop: Header=BB133_9 Depth=1
	s_or_b32 exec_lo, exec_lo, s14
	v_add_nc_u32_e32 v4, 0x200, v4
	s_add_i32 s13, s13, 2
	s_cmp_eq_u32 s12, s13
	s_cbranch_scc1 .LBB133_15
.LBB133_9:                              ; =>This Inner Loop Header: Depth=1
	s_mov_b32 s14, exec_lo
	v_cmpx_gt_u32_e64 s9, v4
	s_cbranch_execz .LBB133_12
; %bb.10:                               ;   in Loop: Header=BB133_9 Depth=1
	v_mad_u64_u32 v[5:6], null, s4, v4, s[6:7]
	v_mad_u64_u32 v[6:7], null, s5, v4, v[6:7]
	global_load_sbyte v5, v[5:6], off
	s_waitcnt vmcnt(0)
	v_add_nc_u32_e32 v5, 0x80, v5
	v_xor_b32_e32 v6, s1, v5
	v_and_b32_e32 v6, s3, v6
	v_cmp_eq_u32_e64 s0, 0, v6
	s_and_b32 exec_lo, exec_lo, s0
; %bb.11:                               ;   in Loop: Header=BB133_9 Depth=1
	v_lshrrev_b32_e32 v5, s8, v5
	v_lshlrev_b32_e32 v5, 2, v5
	ds_add_u32 v5, v3
.LBB133_12:                             ;   in Loop: Header=BB133_9 Depth=1
	s_or_b32 exec_lo, exec_lo, s14
	v_add_nc_u32_e32 v5, 0x100, v4
	s_mov_b32 s14, exec_lo
	v_cmpx_gt_u32_e64 s9, v5
	s_cbranch_execz .LBB133_8
; %bb.13:                               ;   in Loop: Header=BB133_9 Depth=1
	v_mad_u64_u32 v[6:7], null, s4, v5, s[6:7]
	v_mad_u64_u32 v[7:8], null, s5, v5, v[7:8]
	global_load_sbyte v5, v[6:7], off
	s_waitcnt vmcnt(0)
	v_add_nc_u32_e32 v5, 0x80, v5
	v_xor_b32_e32 v6, s1, v5
	v_and_b32_e32 v6, s3, v6
	v_cmp_eq_u32_e64 s0, 0, v6
	s_and_b32 exec_lo, exec_lo, s0
	s_cbranch_execz .LBB133_8
; %bb.14:                               ;   in Loop: Header=BB133_9 Depth=1
	v_lshrrev_b32_e32 v5, s8, v5
	v_lshlrev_b32_e32 v5, 2, v5
	ds_add_u32 v5, v3
	s_branch .LBB133_8
.LBB133_15:
	s_lshl_b32 s17, s12, 8
.LBB133_16:
	s_bitcmp0_b32 s2, 0
	s_cbranch_scc1 .LBB133_21
; %bb.17:
	v_add_nc_u32_e32 v2, s17, v2
	s_mov_b32 s2, exec_lo
	v_cmpx_gt_u32_e64 s9, v2
	s_cbranch_execz .LBB133_20
; %bb.18:
	v_mad_u64_u32 v[3:4], null, s4, v2, s[6:7]
	v_mad_u64_u32 v[4:5], null, s5, v2, v[4:5]
	global_load_sbyte v2, v[3:4], off
	s_waitcnt vmcnt(0)
	v_add_nc_u32_e32 v2, 0x80, v2
	v_xor_b32_e32 v3, s1, v2
	v_and_b32_e32 v3, s3, v3
	v_cmp_eq_u32_e64 s0, 0, v3
	s_and_b32 exec_lo, exec_lo, s0
	s_cbranch_execz .LBB133_20
; %bb.19:
	v_lshrrev_b32_e32 v2, s8, v2
	v_mov_b32_e32 v3, 1
	v_lshlrev_b32_e32 v2, 2, v2
	ds_add_u32 v2, v3
.LBB133_20:
	s_or_b32 exec_lo, exec_lo, s2
.LBB133_21:
	s_waitcnt lgkmcnt(0)
	s_barrier
	buffer_gl0_inv
	s_and_saveexec_b32 s0, vcc_lo
	s_cbranch_execz .LBB133_23
; %bb.22:
	ds_read_b32 v2, v1
	v_lshl_or_b32 v0, s16, 8, v0
	v_mov_b32_e32 v1, 0
	v_lshlrev_b64 v[0:1], 1, v[0:1]
	v_add_co_u32 v0, vcc_lo, s10, v0
	v_add_co_ci_u32_e64 v1, null, s11, v1, vcc_lo
	s_waitcnt lgkmcnt(0)
	global_store_short v[0:1], v2, off
.LBB133_23:
	s_endpgm
	.section	.rodata,"a",@progbits
	.p2align	6, 0x0
	.amdhsa_kernel _ZN2at6native6mbtopk23computeBlockDigitCountsIamjLi2EEEvNS_4cuda6detail10TensorInfoIKT_T0_EEjPjjS8_iijT1_PSB_Ps
		.amdhsa_group_segment_fixed_size 1024
		.amdhsa_private_segment_fixed_size 0
		.amdhsa_kernarg_size 736
		.amdhsa_user_sgpr_count 6
		.amdhsa_user_sgpr_private_segment_buffer 1
		.amdhsa_user_sgpr_dispatch_ptr 0
		.amdhsa_user_sgpr_queue_ptr 0
		.amdhsa_user_sgpr_kernarg_segment_ptr 1
		.amdhsa_user_sgpr_dispatch_id 0
		.amdhsa_user_sgpr_flat_scratch_init 0
		.amdhsa_user_sgpr_private_segment_size 0
		.amdhsa_wavefront_size32 1
		.amdhsa_uses_dynamic_stack 0
		.amdhsa_system_sgpr_private_segment_wavefront_offset 0
		.amdhsa_system_sgpr_workgroup_id_x 1
		.amdhsa_system_sgpr_workgroup_id_y 1
		.amdhsa_system_sgpr_workgroup_id_z 1
		.amdhsa_system_sgpr_workgroup_info 0
		.amdhsa_system_vgpr_workitem_id 0
		.amdhsa_next_free_vgpr 9
		.amdhsa_next_free_sgpr 24
		.amdhsa_reserve_vcc 1
		.amdhsa_reserve_flat_scratch 0
		.amdhsa_float_round_mode_32 0
		.amdhsa_float_round_mode_16_64 0
		.amdhsa_float_denorm_mode_32 3
		.amdhsa_float_denorm_mode_16_64 3
		.amdhsa_dx10_clamp 1
		.amdhsa_ieee_mode 1
		.amdhsa_fp16_overflow 0
		.amdhsa_workgroup_processor_mode 1
		.amdhsa_memory_ordered 1
		.amdhsa_forward_progress 1
		.amdhsa_shared_vgpr_count 0
		.amdhsa_exception_fp_ieee_invalid_op 0
		.amdhsa_exception_fp_denorm_src 0
		.amdhsa_exception_fp_ieee_div_zero 0
		.amdhsa_exception_fp_ieee_overflow 0
		.amdhsa_exception_fp_ieee_underflow 0
		.amdhsa_exception_fp_ieee_inexact 0
		.amdhsa_exception_int_div_zero 0
	.end_amdhsa_kernel
	.section	.text._ZN2at6native6mbtopk23computeBlockDigitCountsIamjLi2EEEvNS_4cuda6detail10TensorInfoIKT_T0_EEjPjjS8_iijT1_PSB_Ps,"axG",@progbits,_ZN2at6native6mbtopk23computeBlockDigitCountsIamjLi2EEEvNS_4cuda6detail10TensorInfoIKT_T0_EEjPjjS8_iijT1_PSB_Ps,comdat
.Lfunc_end133:
	.size	_ZN2at6native6mbtopk23computeBlockDigitCountsIamjLi2EEEvNS_4cuda6detail10TensorInfoIKT_T0_EEjPjjS8_iijT1_PSB_Ps, .Lfunc_end133-_ZN2at6native6mbtopk23computeBlockDigitCountsIamjLi2EEEvNS_4cuda6detail10TensorInfoIKT_T0_EEjPjjS8_iijT1_PSB_Ps
                                        ; -- End function
	.set _ZN2at6native6mbtopk23computeBlockDigitCountsIamjLi2EEEvNS_4cuda6detail10TensorInfoIKT_T0_EEjPjjS8_iijT1_PSB_Ps.num_vgpr, 9
	.set _ZN2at6native6mbtopk23computeBlockDigitCountsIamjLi2EEEvNS_4cuda6detail10TensorInfoIKT_T0_EEjPjjS8_iijT1_PSB_Ps.num_agpr, 0
	.set _ZN2at6native6mbtopk23computeBlockDigitCountsIamjLi2EEEvNS_4cuda6detail10TensorInfoIKT_T0_EEjPjjS8_iijT1_PSB_Ps.numbered_sgpr, 24
	.set _ZN2at6native6mbtopk23computeBlockDigitCountsIamjLi2EEEvNS_4cuda6detail10TensorInfoIKT_T0_EEjPjjS8_iijT1_PSB_Ps.num_named_barrier, 0
	.set _ZN2at6native6mbtopk23computeBlockDigitCountsIamjLi2EEEvNS_4cuda6detail10TensorInfoIKT_T0_EEjPjjS8_iijT1_PSB_Ps.private_seg_size, 0
	.set _ZN2at6native6mbtopk23computeBlockDigitCountsIamjLi2EEEvNS_4cuda6detail10TensorInfoIKT_T0_EEjPjjS8_iijT1_PSB_Ps.uses_vcc, 1
	.set _ZN2at6native6mbtopk23computeBlockDigitCountsIamjLi2EEEvNS_4cuda6detail10TensorInfoIKT_T0_EEjPjjS8_iijT1_PSB_Ps.uses_flat_scratch, 0
	.set _ZN2at6native6mbtopk23computeBlockDigitCountsIamjLi2EEEvNS_4cuda6detail10TensorInfoIKT_T0_EEjPjjS8_iijT1_PSB_Ps.has_dyn_sized_stack, 0
	.set _ZN2at6native6mbtopk23computeBlockDigitCountsIamjLi2EEEvNS_4cuda6detail10TensorInfoIKT_T0_EEjPjjS8_iijT1_PSB_Ps.has_recursion, 0
	.set _ZN2at6native6mbtopk23computeBlockDigitCountsIamjLi2EEEvNS_4cuda6detail10TensorInfoIKT_T0_EEjPjjS8_iijT1_PSB_Ps.has_indirect_call, 0
	.section	.AMDGPU.csdata,"",@progbits
; Kernel info:
; codeLenInByte = 984
; TotalNumSgprs: 26
; NumVgprs: 9
; ScratchSize: 0
; MemoryBound: 0
; FloatMode: 240
; IeeeMode: 1
; LDSByteSize: 1024 bytes/workgroup (compile time only)
; SGPRBlocks: 0
; VGPRBlocks: 1
; NumSGPRsForWavesPerEU: 26
; NumVGPRsForWavesPerEU: 9
; Occupancy: 16
; WaveLimiterHint : 1
; COMPUTE_PGM_RSRC2:SCRATCH_EN: 0
; COMPUTE_PGM_RSRC2:USER_SGPR: 6
; COMPUTE_PGM_RSRC2:TRAP_HANDLER: 0
; COMPUTE_PGM_RSRC2:TGID_X_EN: 1
; COMPUTE_PGM_RSRC2:TGID_Y_EN: 1
; COMPUTE_PGM_RSRC2:TGID_Z_EN: 1
; COMPUTE_PGM_RSRC2:TIDIG_COMP_CNT: 0
	.section	.text._ZN2at6native6mbtopk10gatherTopKIamLi2EEEvNS_4cuda6detail10TensorInfoIKT_T0_EES8_S8_bjS8_NS5_IS6_S8_EES8_NS5_IlS8_EES8_jjPS6_PjSD_j,"axG",@progbits,_ZN2at6native6mbtopk10gatherTopKIamLi2EEEvNS_4cuda6detail10TensorInfoIKT_T0_EES8_S8_bjS8_NS5_IS6_S8_EES8_NS5_IlS8_EES8_jjPS6_PjSD_j,comdat
	.protected	_ZN2at6native6mbtopk10gatherTopKIamLi2EEEvNS_4cuda6detail10TensorInfoIKT_T0_EES8_S8_bjS8_NS5_IS6_S8_EES8_NS5_IlS8_EES8_jjPS6_PjSD_j ; -- Begin function _ZN2at6native6mbtopk10gatherTopKIamLi2EEEvNS_4cuda6detail10TensorInfoIKT_T0_EES8_S8_bjS8_NS5_IS6_S8_EES8_NS5_IlS8_EES8_jjPS6_PjSD_j
	.globl	_ZN2at6native6mbtopk10gatherTopKIamLi2EEEvNS_4cuda6detail10TensorInfoIKT_T0_EES8_S8_bjS8_NS5_IS6_S8_EES8_NS5_IlS8_EES8_jjPS6_PjSD_j
	.p2align	8
	.type	_ZN2at6native6mbtopk10gatherTopKIamLi2EEEvNS_4cuda6detail10TensorInfoIKT_T0_EES8_S8_bjS8_NS5_IS6_S8_EES8_NS5_IlS8_EES8_jjPS6_PjSD_j,@function
_ZN2at6native6mbtopk10gatherTopKIamLi2EEEvNS_4cuda6detail10TensorInfoIKT_T0_EES8_S8_bjS8_NS5_IS6_S8_EES8_NS5_IlS8_EES8_jjPS6_PjSD_j: ; @_ZN2at6native6mbtopk10gatherTopKIamLi2EEEvNS_4cuda6detail10TensorInfoIKT_T0_EES8_S8_bjS8_NS5_IS6_S8_EES8_NS5_IlS8_EES8_jjPS6_PjSD_j
; %bb.0:
	s_clause 0x1
	s_load_dwordx2 s[0:1], s[4:5], 0x538
	s_load_dword s2, s[4:5], 0x530
	s_waitcnt lgkmcnt(0)
	s_mul_i32 s1, s1, s8
	s_add_i32 s1, s1, s7
	s_mul_i32 s0, s1, s0
	s_add_i32 s0, s0, s6
	s_cmp_ge_u32 s0, s2
	s_cbranch_scc1 .LBB134_48
; %bb.1:
	s_clause 0x3
	s_load_dwordx2 s[6:7], s[4:5], 0x510
	s_load_dwordx2 s[38:39], s[4:5], 0x1d0
	s_load_dwordx4 s[8:11], s[4:5], 0x1a0
	s_load_dwordx2 s[36:37], s[4:5], 0x10
	s_mov_b32 s35, 0
	s_waitcnt lgkmcnt(0)
	v_cvt_f32_u32_e32 v1, s7
	s_sub_i32 s2, 0, s7
	s_lshl_b32 s33, s6, 8
	v_rcp_iflag_f32_e32 v1, v1
	v_mul_f32_e32 v1, 0x4f7ffffe, v1
	v_cvt_u32_f32_e32 v1, v1
	v_readfirstlane_b32 s1, v1
	s_mul_i32 s2, s2, s1
	s_mul_hi_u32 s2, s1, s2
	s_add_i32 s1, s1, s2
	s_mul_hi_u32 s1, s0, s1
	s_mul_i32 s2, s1, s7
	s_add_i32 s3, s1, 1
	s_sub_i32 s2, s0, s2
	s_sub_i32 s12, s2, s7
	s_cmp_ge_u32 s2, s7
	s_cselect_b32 s1, s3, s1
	s_cselect_b32 s2, s12, s2
	s_add_i32 s3, s1, 1
	s_cmp_ge_u32 s2, s7
	s_cselect_b32 s34, s3, s1
	s_mul_i32 s16, s34, s7
	s_sub_i32 s50, s0, s16
	s_add_i32 s0, s50, 1
	s_cmp_lt_u32 s0, s7
	s_cbranch_scc1 .LBB134_3
; %bb.2:
	s_mul_i32 s0, s50, s33
	s_sub_u32 s0, s8, s0
	s_subb_u32 s1, s9, 0
	s_add_u32 s0, s0, 0xff
	s_addc_u32 s1, s1, 0
	s_ashr_i32 s2, s1, 31
	s_lshr_b32 s2, s2, 24
	s_add_u32 s0, s0, s2
	s_addc_u32 s1, s1, 0
	s_lshr_b64 s[0:1], s[0:1], 8
	s_mov_b32 s6, s0
.LBB134_3:
	s_load_dwordx2 s[40:41], s[4:5], 0x378
	v_cmp_lt_u64_e64 s0, s[34:35], s[36:37]
	s_mov_b64 s[44:45], 0
	s_mov_b64 s[42:43], 0
	s_and_b32 vcc_lo, exec_lo, s0
	s_cbranch_vccz .LBB134_20
; %bb.4:
	v_cmp_lt_u64_e64 s0, s[34:35], s[38:39]
	s_and_b32 vcc_lo, exec_lo, s0
	s_cbranch_vccz .LBB134_21
.LBB134_5:
	s_waitcnt lgkmcnt(0)
	v_cmp_lt_u64_e64 s0, s[34:35], s[40:41]
	s_mov_b64 s[48:49], 0
	s_and_b32 vcc_lo, exec_lo, s0
	s_cbranch_vccnz .LBB134_7
.LBB134_6:
	v_cvt_f32_u32_e32 v1, s40
	s_sub_i32 s1, 0, s40
	v_rcp_iflag_f32_e32 v1, v1
	v_mul_f32_e32 v1, 0x4f7ffffe, v1
	v_cvt_u32_f32_e32 v1, v1
	v_readfirstlane_b32 s0, v1
	s_mul_i32 s1, s1, s0
	s_mul_hi_u32 s1, s0, s1
	s_add_i32 s0, s0, s1
	s_mul_hi_u32 s0, s34, s0
	s_mul_i32 s1, s0, s40
	s_add_i32 s2, s0, 1
	s_sub_i32 s1, s34, s1
	s_sub_i32 s3, s1, s40
	s_cmp_ge_u32 s1, s40
	s_cselect_b32 s0, s2, s0
	s_cselect_b32 s1, s3, s1
	s_add_i32 s2, s0, 1
	s_cmp_ge_u32 s1, s40
	s_cselect_b32 s48, s2, s0
.LBB134_7:
	s_clause 0x1
	s_load_dwordx4 s[0:3], s[4:5], 0x518
	s_load_dwordx2 s[46:47], s[4:5], 0x0
	v_mov_b32_e32 v1, 0
	s_mov_b32 s17, 0
	s_waitcnt lgkmcnt(0)
	s_add_u32 s0, s0, s34
	s_addc_u32 s1, s1, 0
	global_load_ubyte v8, v1, s[0:1]
	v_cmp_ne_u32_e64 s0, 0, v0
	v_cmp_eq_u32_e64 s1, 0, v0
	s_and_saveexec_b32 s24, s1
	s_cbranch_execz .LBB134_25
; %bb.8:
	s_load_dwordx2 s[18:19], s[4:5], 0x528
	s_lshl_b64 s[20:21], s[16:17], 2
	s_mov_b32 s16, 0
	s_add_u32 s12, s2, s20
	s_addc_u32 s13, s3, s21
	s_mov_b32 s25, 0
	s_waitcnt lgkmcnt(0)
	s_add_u32 s14, s18, s20
	s_addc_u32 s15, s19, s21
	s_cmp_lt_u32 s7, 4
	s_cbranch_scc1 .LBB134_22
; %bb.9:
	s_mov_b32 s26, 0
.LBB134_10:                             ; =>This Inner Loop Header: Depth=1
	s_add_u32 s12, s2, s20
	s_addc_u32 s13, s3, s21
	s_add_u32 s22, s18, s20
	s_load_dwordx4 s[12:15], s[12:13], 0x0
	s_addc_u32 s23, s19, s21
	s_cmp_ge_u32 s26, s50
	s_cbranch_scc0 .LBB134_17
; %bb.11:                               ;   in Loop: Header=BB134_10 Depth=1
	s_add_i32 s27, s26, 1
	s_cmp_ge_u32 s27, s50
	s_cbranch_scc0 .LBB134_18
.LBB134_12:                             ;   in Loop: Header=BB134_10 Depth=1
	s_add_i32 s27, s27, 1
	s_cmp_ge_u32 s27, s50
	s_cbranch_scc0 .LBB134_19
.LBB134_13:                             ;   in Loop: Header=BB134_10 Depth=1
	s_add_i32 s27, s27, 1
	s_cmp_ge_u32 s27, s50
	s_cbranch_scc1 .LBB134_15
.LBB134_14:                             ;   in Loop: Header=BB134_10 Depth=1
	s_load_dword s22, s[22:23], 0xc
	s_waitcnt lgkmcnt(0)
	s_add_i32 s17, s17, s15
	s_add_i32 s16, s22, s16
.LBB134_15:                             ;   in Loop: Header=BB134_10 Depth=1
	s_waitcnt lgkmcnt(0)
	s_add_i32 s12, s12, s25
	s_add_i32 s12, s12, s13
	;; [unrolled: 1-line block ×4, first 2 shown]
	s_add_u32 s2, s2, 16
	s_addc_u32 s3, s3, 0
	s_add_u32 s18, s18, 16
	s_addc_u32 s19, s19, 0
	s_add_i32 s23, s27, 4
	s_add_u32 s14, s18, s20
	s_addc_u32 s15, s19, s21
	s_add_u32 s12, s2, s20
	s_addc_u32 s13, s3, s21
	s_add_i32 s22, s27, 1
	s_cmp_ge_u32 s23, s7
	s_cbranch_scc1 .LBB134_23
; %bb.16:                               ;   in Loop: Header=BB134_10 Depth=1
	s_mov_b32 s26, s22
	s_branch .LBB134_10
.LBB134_17:                             ;   in Loop: Header=BB134_10 Depth=1
	s_load_dword s27, s[22:23], 0x0
	s_waitcnt lgkmcnt(0)
	s_add_i32 s17, s12, s17
	s_add_i32 s16, s27, s16
	s_add_i32 s27, s26, 1
	s_cmp_ge_u32 s27, s50
	s_cbranch_scc1 .LBB134_12
.LBB134_18:                             ;   in Loop: Header=BB134_10 Depth=1
	s_load_dword s28, s[22:23], 0x4
	s_waitcnt lgkmcnt(0)
	s_add_i32 s17, s17, s13
	s_add_i32 s16, s28, s16
	;; [unrolled: 1-line block ×3, first 2 shown]
	s_cmp_ge_u32 s27, s50
	s_cbranch_scc1 .LBB134_13
.LBB134_19:                             ;   in Loop: Header=BB134_10 Depth=1
	s_load_dword s28, s[22:23], 0x8
	s_waitcnt lgkmcnt(0)
	s_add_i32 s17, s17, s14
	s_add_i32 s16, s28, s16
	;; [unrolled: 1-line block ×3, first 2 shown]
	s_cmp_ge_u32 s27, s50
	s_cbranch_scc0 .LBB134_14
	s_branch .LBB134_15
.LBB134_20:
	v_cvt_f32_u32_e32 v1, s36
	s_sub_i32 s1, 0, s36
	v_rcp_iflag_f32_e32 v1, v1
	v_mul_f32_e32 v1, 0x4f7ffffe, v1
	v_cvt_u32_f32_e32 v1, v1
	v_readfirstlane_b32 s0, v1
	s_mul_i32 s1, s1, s0
	s_mul_hi_u32 s1, s0, s1
	s_add_i32 s0, s0, s1
	s_mul_hi_u32 s0, s34, s0
	s_mul_i32 s1, s0, s36
	s_add_i32 s2, s0, 1
	s_sub_i32 s1, s34, s1
	s_sub_i32 s3, s1, s36
	s_cmp_ge_u32 s1, s36
	s_cselect_b32 s0, s2, s0
	s_cselect_b32 s1, s3, s1
	s_add_i32 s2, s0, 1
	s_cmp_ge_u32 s1, s36
	s_cselect_b32 s42, s2, s0
	v_cmp_lt_u64_e64 s0, s[34:35], s[38:39]
	s_and_b32 vcc_lo, exec_lo, s0
	s_cbranch_vccnz .LBB134_5
.LBB134_21:
	v_cvt_f32_u32_e32 v1, s38
	s_sub_i32 s1, 0, s38
	v_rcp_iflag_f32_e32 v1, v1
	v_mul_f32_e32 v1, 0x4f7ffffe, v1
	v_cvt_u32_f32_e32 v1, v1
	v_readfirstlane_b32 s0, v1
	s_mul_i32 s1, s1, s0
	s_mul_hi_u32 s1, s0, s1
	s_add_i32 s0, s0, s1
	s_mul_hi_u32 s0, s34, s0
	s_mul_i32 s1, s0, s38
	s_add_i32 s2, s0, 1
	s_sub_i32 s1, s34, s1
	s_sub_i32 s3, s1, s38
	s_cmp_ge_u32 s1, s38
	s_cselect_b32 s0, s2, s0
	s_cselect_b32 s1, s3, s1
	s_add_i32 s2, s0, 1
	s_cmp_ge_u32 s1, s38
	s_cselect_b32 s44, s2, s0
	s_waitcnt lgkmcnt(0)
	v_cmp_lt_u64_e64 s0, s[34:35], s[40:41]
	s_mov_b64 s[48:49], 0
	s_and_b32 vcc_lo, exec_lo, s0
	s_cbranch_vccz .LBB134_6
	s_branch .LBB134_7
.LBB134_22:
	s_mov_b32 s2, 0
	s_cmp_ge_u32 s2, s7
	s_cbranch_scc0 .LBB134_46
	s_branch .LBB134_24
.LBB134_23:
	s_add_i32 s2, s26, 4
	s_cmp_ge_u32 s2, s7
	s_cbranch_scc0 .LBB134_46
.LBB134_24:
	v_mov_b32_e32 v1, s16
	v_mov_b32_e32 v2, s25
	;; [unrolled: 1-line block ×4, first 2 shown]
	ds_write_b96 v4, v[1:3] offset:1056
.LBB134_25:
	s_or_b32 exec_lo, exec_lo, s24
	s_clause 0x4
	s_load_dwordx4 s[12:15], s[4:5], 0x1b8
	s_load_dwordx4 s[24:27], s[4:5], 0xd0
	;; [unrolled: 1-line block ×5, first 2 shown]
	s_cmp_eq_u32 s6, 0
	s_waitcnt vmcnt(0) lgkmcnt(0)
	s_barrier
	buffer_gl0_inv
	s_cbranch_scc1 .LBB134_48
; %bb.26:
	s_mul_i32 s2, s44, s39
	s_mul_hi_u32 s3, s44, s38
	s_mul_i32 s7, s44, s38
	s_add_i32 s3, s3, s2
	s_sub_u32 s2, s34, s7
	s_subb_u32 s3, 0, s3
	s_mul_i32 s7, s2, s31
	s_mul_hi_u32 s31, s2, s30
	s_mul_i32 s3, s3, s30
	s_add_i32 s7, s31, s7
	s_mul_i32 s29, s44, s29
	s_mul_hi_u32 s31, s44, s28
	s_add_i32 s7, s7, s3
	s_add_i32 s31, s31, s29
	s_mul_i32 s3, s42, s37
	s_mul_hi_u32 s29, s42, s36
	s_mul_i32 s35, s42, s36
	s_add_i32 s29, s29, s3
	s_sub_u32 s3, s34, s35
	s_mul_i32 s2, s2, s30
	s_mul_i32 s27, s3, s27
	s_mul_hi_u32 s30, s3, s26
	s_subb_u32 s29, 0, s29
	s_add_i32 s27, s30, s27
	s_mul_i32 s29, s29, s26
	s_mul_i32 s25, s42, s25
	s_add_i32 s27, s27, s29
	s_mul_hi_u32 s29, s42, s24
	s_mul_i32 s26, s3, s26
	s_add_i32 s29, s29, s25
	s_mul_i32 s3, s48, s41
	s_mul_hi_u32 s25, s48, s40
	s_mul_i32 s30, s48, s40
	s_add_i32 s25, s25, s3
	s_sub_u32 s30, s34, s30
	v_mov_b32_e32 v5, 0
	s_mul_i32 s34, s42, s24
	s_mul_i32 s3, s30, s23
	s_mul_hi_u32 s23, s30, s22
	s_subb_u32 s24, 0, s25
	s_add_i32 s3, s23, s3
	s_mul_i32 s24, s24, s22
	s_mul_i32 s21, s48, s21
	s_mul_hi_u32 s23, s48, s20
	s_add_i32 s3, s3, s24
	s_add_i32 s25, s23, s21
	ds_read_b96 v[1:3], v5 offset:1056
	s_mul_i32 s24, s48, s20
	s_add_u32 s20, s46, s34
	s_addc_u32 s21, s47, s29
	s_mul_i32 s28, s44, s28
	s_add_u32 s20, s20, s26
	s_addc_u32 s21, s21, s27
	s_add_u32 s14, s14, s28
	s_addc_u32 s15, s15, s31
	;; [unrolled: 2-line block ×3, first 2 shown]
	s_lshl_b64 s[24:25], s[24:25], 3
	s_mul_i32 s2, s30, s22
	s_add_u32 s7, s18, s24
	s_addc_u32 s18, s19, s25
	s_lshl_b64 s[2:3], s[2:3], 3
	v_add_nc_u32_e32 v4, -1, v0
	s_add_u32 s7, s7, s2
	s_addc_u32 s18, s18, s3
	s_clause 0x1
	s_load_dword s3, s[4:5], 0x1b0
	s_load_dwordx2 s[4:5], s[4:5], 0x508
	v_lshrrev_b32_e32 v6, 3, v0
	v_lshrrev_b32_e32 v7, 3, v4
	s_waitcnt lgkmcnt(0)
	v_add_nc_u32_e32 v1, v1, v2
	v_mov_b32_e32 v9, 0x80
	v_and_b32_e32 v13, 0xfc, v0
	v_and_b32_e32 v2, 28, v6
	;; [unrolled: 1-line block ×3, first 2 shown]
	v_mad_u64_u32 v[6:7], null, s50, s33, v[0:1]
	v_lshlrev_b32_e32 v14, 5, v0
	v_mbcnt_lo_u32_b32 v11, -1, 0
	v_add_nc_u32_sdwa v10, sext(v8), v9 dst_sel:DWORD dst_unused:UNUSED_PAD src0_sel:BYTE_0 src1_sel:DWORD
	v_lshl_add_u32 v12, v0, 2, v2
	v_cmp_gt_u32_e64 s2, 32, v0
	v_lshl_add_u32 v0, v4, 2, v15
	v_add_nc_u32_e32 v13, v13, v14
	v_and_b32_e32 v14, 15, v11
	v_bfe_i32 v15, v11, 4, 1
	v_add_nc_u32_e32 v16, -1, v11
	v_mov_b32_e32 v4, v6
	s_bitcmp1_b32 s3, 0
                                        ; implicit-def: $vgpr17
	s_cselect_b32 s3, -1, 0
	s_branch .LBB134_29
.LBB134_27:                             ;   in Loop: Header=BB134_29 Depth=1
	s_or_b32 exec_lo, exec_lo, s19
	v_add_nc_u32_e32 v1, v2, v1
.LBB134_28:                             ;   in Loop: Header=BB134_29 Depth=1
	v_add_nc_u32_e32 v3, v18, v3
	v_add_nc_u32_e32 v4, 0x100, v4
	s_add_i32 s6, s6, -1
	s_cmp_lg_u32 s6, 0
	s_cbranch_scc0 .LBB134_48
.LBB134_29:                             ; =>This Inner Loop Header: Depth=1
	v_mov_b32_e32 v2, v5
	v_mov_b32_e32 v6, v5
	s_mov_b32 s19, exec_lo
	v_cmpx_gt_u64_e64 s[8:9], v[4:5]
	s_cbranch_execz .LBB134_31
; %bb.30:                               ;   in Loop: Header=BB134_29 Depth=1
	v_mad_u64_u32 v[6:7], null, s12, v4, s[20:21]
	v_mov_b32_e32 v2, v7
	v_mad_u64_u32 v[17:18], null, s13, v4, v[2:3]
	v_mov_b32_e32 v7, v17
	global_load_ubyte v17, v[6:7], off
	s_waitcnt vmcnt(0)
	v_add_nc_u32_sdwa v2, sext(v17), v9 dst_sel:DWORD dst_unused:UNUSED_PAD src0_sel:BYTE_0 src1_sel:DWORD
	v_cmp_eq_u16_sdwa s22, v17, v8 src0_sel:DWORD src1_sel:BYTE_0
	v_cmp_gt_u32_e32 vcc_lo, v2, v10
	v_cndmask_b32_e64 v6, 0, 1, vcc_lo
	v_cmp_lt_u32_e32 vcc_lo, v2, v10
	v_cndmask_b32_e64 v2, 0, 1, vcc_lo
	v_cndmask_b32_e64 v2, v2, v6, s3
	v_cndmask_b32_e64 v6, 0, 1, s22
	v_and_b32_e32 v2, 1, v2
.LBB134_31:                             ;   in Loop: Header=BB134_29 Depth=1
	s_or_b32 exec_lo, exec_lo, s19
	ds_write_b32 v12, v2
	s_waitcnt lgkmcnt(0)
	s_barrier
	buffer_gl0_inv
	s_and_saveexec_b32 s19, s2
	s_cbranch_execz .LBB134_33
; %bb.32:                               ;   in Loop: Header=BB134_29 Depth=1
	ds_read2_b32 v[18:19], v13 offset1:1
	ds_read2_b32 v[20:21], v13 offset0:2 offset1:3
	ds_read2_b32 v[22:23], v13 offset0:4 offset1:5
	;; [unrolled: 1-line block ×3, first 2 shown]
	v_cmp_ne_u32_e32 vcc_lo, 0, v14
	; wave barrier
	s_waitcnt lgkmcnt(3)
	v_add_nc_u32_e32 v7, v19, v18
	s_waitcnt lgkmcnt(2)
	v_add3_u32 v7, v7, v20, v21
	s_waitcnt lgkmcnt(1)
	v_add3_u32 v7, v7, v22, v23
	;; [unrolled: 2-line block ×3, first 2 shown]
	v_mov_b32_dpp v19, v7 row_shr:1 row_mask:0xf bank_mask:0xf
	v_cndmask_b32_e32 v19, 0, v19, vcc_lo
	v_cmp_lt_u32_e32 vcc_lo, 1, v14
	v_add_nc_u32_e32 v7, v19, v7
	v_mov_b32_dpp v19, v7 row_shr:2 row_mask:0xf bank_mask:0xf
	v_cndmask_b32_e32 v19, 0, v19, vcc_lo
	v_cmp_lt_u32_e32 vcc_lo, 3, v14
	v_add_nc_u32_e32 v7, v7, v19
	;; [unrolled: 4-line block ×3, first 2 shown]
	v_mov_b32_dpp v19, v7 row_shr:8 row_mask:0xf bank_mask:0xf
	v_cndmask_b32_e32 v19, 0, v19, vcc_lo
	v_cmp_gt_i32_e32 vcc_lo, 0, v16
	v_add_nc_u32_e32 v7, v7, v19
	v_cndmask_b32_e32 v20, v16, v11, vcc_lo
	ds_swizzle_b32 v19, v7 offset:swizzle(BROADCAST,32,15)
	v_lshlrev_b32_e32 v20, 2, v20
	s_waitcnt lgkmcnt(0)
	v_and_b32_e32 v19, v15, v19
	v_add_nc_u32_e32 v7, v7, v19
	ds_bpermute_b32 v7, v20, v7
	s_waitcnt lgkmcnt(0)
	v_add_nc_u32_e32 v7, v7, v18
	v_cndmask_b32_e64 v7, v7, v2, s1
	ds_write_b32 v13, v7
	; wave barrier
	ds_read2_b32 v[18:19], v13 offset0:1 offset1:2
	ds_read2_b32 v[20:21], v13 offset0:3 offset1:4
	;; [unrolled: 1-line block ×3, first 2 shown]
	ds_read_b32 v24, v13 offset:28
	s_waitcnt lgkmcnt(3)
	v_add_nc_u32_e32 v7, v18, v7
	v_add_nc_u32_e32 v18, v19, v7
	s_waitcnt lgkmcnt(2)
	v_add_nc_u32_e32 v19, v20, v18
	v_add_nc_u32_e32 v20, v21, v19
	;; [unrolled: 3-line block ×3, first 2 shown]
	s_waitcnt lgkmcnt(0)
	v_add_nc_u32_e32 v23, v24, v22
	ds_write2_b32 v13, v7, v18 offset0:1 offset1:2
	ds_write2_b32 v13, v19, v20 offset0:3 offset1:4
	;; [unrolled: 1-line block ×3, first 2 shown]
	ds_write_b32 v13, v23 offset:28
.LBB134_33:                             ;   in Loop: Header=BB134_29 Depth=1
	s_or_b32 exec_lo, exec_lo, s19
	v_mov_b32_e32 v7, 0
	s_waitcnt lgkmcnt(0)
	s_barrier
	buffer_gl0_inv
	s_and_saveexec_b32 s19, s0
; %bb.34:                               ;   in Loop: Header=BB134_29 Depth=1
	ds_read_b32 v7, v0
; %bb.35:                               ;   in Loop: Header=BB134_29 Depth=1
	s_or_b32 exec_lo, exec_lo, s19
	ds_read_b32 v18, v5 offset:1048
	s_mov_b32 s19, exec_lo
	s_waitcnt lgkmcnt(0)
	s_barrier
	buffer_gl0_inv
	v_cmpx_ne_u32_e32 0, v2
	s_cbranch_execz .LBB134_37
; %bb.36:                               ;   in Loop: Header=BB134_29 Depth=1
	v_add_nc_u32_e32 v7, v7, v3
	v_mad_u64_u32 v[19:20], null, s4, v7, 0
	v_mad_u64_u32 v[21:22], null, s16, v7, s[14:15]
	v_mov_b32_e32 v2, v20
	v_mad_u64_u32 v[23:24], null, s5, v7, v[2:3]
	v_mov_b32_e32 v2, v22
	v_mov_b32_e32 v20, v23
	v_mad_u64_u32 v[22:23], null, s17, v7, v[2:3]
	v_lshlrev_b64 v[19:20], 3, v[19:20]
	v_add_co_u32 v19, vcc_lo, s7, v19
	v_add_co_ci_u32_e64 v20, null, s18, v20, vcc_lo
	global_store_byte v[21:22], v17, off
	global_store_dwordx2 v[19:20], v[4:5], off
.LBB134_37:                             ;   in Loop: Header=BB134_29 Depth=1
	s_or_b32 exec_lo, exec_lo, s19
	v_mov_b32_e32 v2, v5
	v_cmp_le_u64_e32 vcc_lo, s[10:11], v[1:2]
	s_cbranch_vccnz .LBB134_28
; %bb.38:                               ;   in Loop: Header=BB134_29 Depth=1
	ds_write_b32 v12, v6
	s_waitcnt lgkmcnt(0)
	s_waitcnt_vscnt null, 0x0
	s_barrier
	buffer_gl0_inv
	s_and_saveexec_b32 s19, s2
	s_cbranch_execz .LBB134_40
; %bb.39:                               ;   in Loop: Header=BB134_29 Depth=1
	ds_read2_b32 v[19:20], v13 offset1:1
	ds_read2_b32 v[21:22], v13 offset0:2 offset1:3
	ds_read2_b32 v[23:24], v13 offset0:4 offset1:5
	;; [unrolled: 1-line block ×3, first 2 shown]
	v_cmp_ne_u32_e32 vcc_lo, 0, v14
	; wave barrier
	s_waitcnt lgkmcnt(3)
	v_add_nc_u32_e32 v2, v20, v19
	s_waitcnt lgkmcnt(2)
	v_add3_u32 v2, v2, v21, v22
	s_waitcnt lgkmcnt(1)
	v_add3_u32 v2, v2, v23, v24
	;; [unrolled: 2-line block ×3, first 2 shown]
	v_mov_b32_dpp v7, v2 row_shr:1 row_mask:0xf bank_mask:0xf
	v_cndmask_b32_e32 v7, 0, v7, vcc_lo
	v_cmp_lt_u32_e32 vcc_lo, 1, v14
	v_add_nc_u32_e32 v2, v7, v2
	v_mov_b32_dpp v7, v2 row_shr:2 row_mask:0xf bank_mask:0xf
	v_cndmask_b32_e32 v7, 0, v7, vcc_lo
	v_cmp_lt_u32_e32 vcc_lo, 3, v14
	v_add_nc_u32_e32 v2, v2, v7
	;; [unrolled: 4-line block ×3, first 2 shown]
	v_mov_b32_dpp v7, v2 row_shr:8 row_mask:0xf bank_mask:0xf
	v_cndmask_b32_e32 v7, 0, v7, vcc_lo
	v_cmp_gt_i32_e32 vcc_lo, 0, v16
	v_add_nc_u32_e32 v2, v2, v7
	v_cndmask_b32_e32 v20, v16, v11, vcc_lo
	ds_swizzle_b32 v7, v2 offset:swizzle(BROADCAST,32,15)
	v_lshlrev_b32_e32 v20, 2, v20
	s_waitcnt lgkmcnt(0)
	v_and_b32_e32 v7, v15, v7
	v_add_nc_u32_e32 v2, v2, v7
	ds_bpermute_b32 v2, v20, v2
	s_waitcnt lgkmcnt(0)
	v_add_nc_u32_e32 v2, v2, v19
	v_cndmask_b32_e64 v2, v2, v6, s1
	ds_write_b32 v13, v2
	; wave barrier
	ds_read2_b32 v[19:20], v13 offset0:1 offset1:2
	ds_read2_b32 v[21:22], v13 offset0:3 offset1:4
	;; [unrolled: 1-line block ×3, first 2 shown]
	ds_read_b32 v7, v13 offset:28
	s_waitcnt lgkmcnt(3)
	v_add_nc_u32_e32 v2, v19, v2
	v_add_nc_u32_e32 v19, v20, v2
	s_waitcnt lgkmcnt(2)
	v_add_nc_u32_e32 v20, v21, v19
	v_add_nc_u32_e32 v21, v22, v20
	s_waitcnt lgkmcnt(1)
	v_add_nc_u32_e32 v22, v23, v21
	v_add_nc_u32_e32 v23, v24, v22
	s_waitcnt lgkmcnt(0)
	v_add_nc_u32_e32 v7, v7, v23
	ds_write2_b32 v13, v2, v19 offset0:1 offset1:2
	ds_write2_b32 v13, v20, v21 offset0:3 offset1:4
	;; [unrolled: 1-line block ×3, first 2 shown]
	ds_write_b32 v13, v7 offset:28
.LBB134_40:                             ;   in Loop: Header=BB134_29 Depth=1
	s_or_b32 exec_lo, exec_lo, s19
	v_mov_b32_e32 v7, 0
	s_waitcnt lgkmcnt(0)
	s_barrier
	buffer_gl0_inv
	s_and_saveexec_b32 s19, s0
; %bb.41:                               ;   in Loop: Header=BB134_29 Depth=1
	ds_read_b32 v7, v0
; %bb.42:                               ;   in Loop: Header=BB134_29 Depth=1
	s_or_b32 exec_lo, exec_lo, s19
	ds_read_b32 v2, v5 offset:1048
	s_mov_b32 s19, exec_lo
	s_waitcnt lgkmcnt(0)
	s_barrier
	buffer_gl0_inv
	v_cmpx_ne_u32_e32 0, v6
	s_cbranch_execz .LBB134_27
; %bb.43:                               ;   in Loop: Header=BB134_29 Depth=1
	v_add_nc_u32_e32 v6, v7, v1
	v_mov_b32_e32 v7, v5
	v_cmp_gt_u64_e32 vcc_lo, s[10:11], v[6:7]
	s_and_b32 exec_lo, exec_lo, vcc_lo
	s_cbranch_execz .LBB134_27
; %bb.44:                               ;   in Loop: Header=BB134_29 Depth=1
	v_mad_u64_u32 v[19:20], null, s4, v6, 0
	v_mad_u64_u32 v[21:22], null, s16, v6, s[14:15]
	v_mov_b32_e32 v7, v20
	v_mad_u64_u32 v[23:24], null, s5, v6, v[7:8]
	v_mov_b32_e32 v7, v22
	;; [unrolled: 2-line block ×3, first 2 shown]
	v_lshlrev_b64 v[19:20], 3, v[19:20]
	v_mov_b32_e32 v22, v6
	v_add_co_u32 v6, vcc_lo, s7, v19
	v_add_co_ci_u32_e64 v7, null, s18, v20, vcc_lo
	global_store_byte v[21:22], v17, off
	global_store_dwordx2 v[6:7], v[4:5], off
	s_branch .LBB134_27
	.p2align	6
.LBB134_45:                             ;   in Loop: Header=BB134_46 Depth=1
	s_add_u32 s12, s12, 4
	s_addc_u32 s13, s13, 0
	s_waitcnt lgkmcnt(0)
	s_add_i32 s25, s3, s25
	s_add_u32 s14, s14, 4
	s_addc_u32 s15, s15, 0
	s_add_i32 s2, s2, 1
	s_cmp_lt_u32 s2, s7
	s_cbranch_scc0 .LBB134_24
.LBB134_46:                             ; =>This Inner Loop Header: Depth=1
	s_load_dword s3, s[12:13], 0x0
	s_cmp_ge_u32 s2, s50
	s_cbranch_scc1 .LBB134_45
; %bb.47:                               ;   in Loop: Header=BB134_46 Depth=1
	s_load_dword s18, s[14:15], 0x0
	s_waitcnt lgkmcnt(0)
	s_add_i32 s17, s3, s17
	s_add_i32 s16, s18, s16
	s_branch .LBB134_45
.LBB134_48:
	s_endpgm
	.section	.rodata,"a",@progbits
	.p2align	6, 0x0
	.amdhsa_kernel _ZN2at6native6mbtopk10gatherTopKIamLi2EEEvNS_4cuda6detail10TensorInfoIKT_T0_EES8_S8_bjS8_NS5_IS6_S8_EES8_NS5_IlS8_EES8_jjPS6_PjSD_j
		.amdhsa_group_segment_fixed_size 1068
		.amdhsa_private_segment_fixed_size 0
		.amdhsa_kernarg_size 1592
		.amdhsa_user_sgpr_count 6
		.amdhsa_user_sgpr_private_segment_buffer 1
		.amdhsa_user_sgpr_dispatch_ptr 0
		.amdhsa_user_sgpr_queue_ptr 0
		.amdhsa_user_sgpr_kernarg_segment_ptr 1
		.amdhsa_user_sgpr_dispatch_id 0
		.amdhsa_user_sgpr_flat_scratch_init 0
		.amdhsa_user_sgpr_private_segment_size 0
		.amdhsa_wavefront_size32 1
		.amdhsa_uses_dynamic_stack 0
		.amdhsa_system_sgpr_private_segment_wavefront_offset 0
		.amdhsa_system_sgpr_workgroup_id_x 1
		.amdhsa_system_sgpr_workgroup_id_y 1
		.amdhsa_system_sgpr_workgroup_id_z 1
		.amdhsa_system_sgpr_workgroup_info 0
		.amdhsa_system_vgpr_workitem_id 0
		.amdhsa_next_free_vgpr 27
		.amdhsa_next_free_sgpr 51
		.amdhsa_reserve_vcc 1
		.amdhsa_reserve_flat_scratch 0
		.amdhsa_float_round_mode_32 0
		.amdhsa_float_round_mode_16_64 0
		.amdhsa_float_denorm_mode_32 3
		.amdhsa_float_denorm_mode_16_64 3
		.amdhsa_dx10_clamp 1
		.amdhsa_ieee_mode 1
		.amdhsa_fp16_overflow 0
		.amdhsa_workgroup_processor_mode 1
		.amdhsa_memory_ordered 1
		.amdhsa_forward_progress 1
		.amdhsa_shared_vgpr_count 0
		.amdhsa_exception_fp_ieee_invalid_op 0
		.amdhsa_exception_fp_denorm_src 0
		.amdhsa_exception_fp_ieee_div_zero 0
		.amdhsa_exception_fp_ieee_overflow 0
		.amdhsa_exception_fp_ieee_underflow 0
		.amdhsa_exception_fp_ieee_inexact 0
		.amdhsa_exception_int_div_zero 0
	.end_amdhsa_kernel
	.section	.text._ZN2at6native6mbtopk10gatherTopKIamLi2EEEvNS_4cuda6detail10TensorInfoIKT_T0_EES8_S8_bjS8_NS5_IS6_S8_EES8_NS5_IlS8_EES8_jjPS6_PjSD_j,"axG",@progbits,_ZN2at6native6mbtopk10gatherTopKIamLi2EEEvNS_4cuda6detail10TensorInfoIKT_T0_EES8_S8_bjS8_NS5_IS6_S8_EES8_NS5_IlS8_EES8_jjPS6_PjSD_j,comdat
.Lfunc_end134:
	.size	_ZN2at6native6mbtopk10gatherTopKIamLi2EEEvNS_4cuda6detail10TensorInfoIKT_T0_EES8_S8_bjS8_NS5_IS6_S8_EES8_NS5_IlS8_EES8_jjPS6_PjSD_j, .Lfunc_end134-_ZN2at6native6mbtopk10gatherTopKIamLi2EEEvNS_4cuda6detail10TensorInfoIKT_T0_EES8_S8_bjS8_NS5_IS6_S8_EES8_NS5_IlS8_EES8_jjPS6_PjSD_j
                                        ; -- End function
	.set _ZN2at6native6mbtopk10gatherTopKIamLi2EEEvNS_4cuda6detail10TensorInfoIKT_T0_EES8_S8_bjS8_NS5_IS6_S8_EES8_NS5_IlS8_EES8_jjPS6_PjSD_j.num_vgpr, 27
	.set _ZN2at6native6mbtopk10gatherTopKIamLi2EEEvNS_4cuda6detail10TensorInfoIKT_T0_EES8_S8_bjS8_NS5_IS6_S8_EES8_NS5_IlS8_EES8_jjPS6_PjSD_j.num_agpr, 0
	.set _ZN2at6native6mbtopk10gatherTopKIamLi2EEEvNS_4cuda6detail10TensorInfoIKT_T0_EES8_S8_bjS8_NS5_IS6_S8_EES8_NS5_IlS8_EES8_jjPS6_PjSD_j.numbered_sgpr, 51
	.set _ZN2at6native6mbtopk10gatherTopKIamLi2EEEvNS_4cuda6detail10TensorInfoIKT_T0_EES8_S8_bjS8_NS5_IS6_S8_EES8_NS5_IlS8_EES8_jjPS6_PjSD_j.num_named_barrier, 0
	.set _ZN2at6native6mbtopk10gatherTopKIamLi2EEEvNS_4cuda6detail10TensorInfoIKT_T0_EES8_S8_bjS8_NS5_IS6_S8_EES8_NS5_IlS8_EES8_jjPS6_PjSD_j.private_seg_size, 0
	.set _ZN2at6native6mbtopk10gatherTopKIamLi2EEEvNS_4cuda6detail10TensorInfoIKT_T0_EES8_S8_bjS8_NS5_IS6_S8_EES8_NS5_IlS8_EES8_jjPS6_PjSD_j.uses_vcc, 1
	.set _ZN2at6native6mbtopk10gatherTopKIamLi2EEEvNS_4cuda6detail10TensorInfoIKT_T0_EES8_S8_bjS8_NS5_IS6_S8_EES8_NS5_IlS8_EES8_jjPS6_PjSD_j.uses_flat_scratch, 0
	.set _ZN2at6native6mbtopk10gatherTopKIamLi2EEEvNS_4cuda6detail10TensorInfoIKT_T0_EES8_S8_bjS8_NS5_IS6_S8_EES8_NS5_IlS8_EES8_jjPS6_PjSD_j.has_dyn_sized_stack, 0
	.set _ZN2at6native6mbtopk10gatherTopKIamLi2EEEvNS_4cuda6detail10TensorInfoIKT_T0_EES8_S8_bjS8_NS5_IS6_S8_EES8_NS5_IlS8_EES8_jjPS6_PjSD_j.has_recursion, 0
	.set _ZN2at6native6mbtopk10gatherTopKIamLi2EEEvNS_4cuda6detail10TensorInfoIKT_T0_EES8_S8_bjS8_NS5_IS6_S8_EES8_NS5_IlS8_EES8_jjPS6_PjSD_j.has_indirect_call, 0
	.section	.AMDGPU.csdata,"",@progbits
; Kernel info:
; codeLenInByte = 2896
; TotalNumSgprs: 53
; NumVgprs: 27
; ScratchSize: 0
; MemoryBound: 0
; FloatMode: 240
; IeeeMode: 1
; LDSByteSize: 1068 bytes/workgroup (compile time only)
; SGPRBlocks: 0
; VGPRBlocks: 3
; NumSGPRsForWavesPerEU: 53
; NumVGPRsForWavesPerEU: 27
; Occupancy: 16
; WaveLimiterHint : 1
; COMPUTE_PGM_RSRC2:SCRATCH_EN: 0
; COMPUTE_PGM_RSRC2:USER_SGPR: 6
; COMPUTE_PGM_RSRC2:TRAP_HANDLER: 0
; COMPUTE_PGM_RSRC2:TGID_X_EN: 1
; COMPUTE_PGM_RSRC2:TGID_Y_EN: 1
; COMPUTE_PGM_RSRC2:TGID_Z_EN: 1
; COMPUTE_PGM_RSRC2:TIDIG_COMP_CNT: 0
	.section	.text._ZN2at6native6sbtopk10gatherTopKIamLi2ELb0EEEvNS_4cuda6detail10TensorInfoIKT_T0_EES8_S8_bS8_S8_NS5_IS6_S8_EES8_NS5_IlS8_EES8_PS6_,"axG",@progbits,_ZN2at6native6sbtopk10gatherTopKIamLi2ELb0EEEvNS_4cuda6detail10TensorInfoIKT_T0_EES8_S8_bS8_S8_NS5_IS6_S8_EES8_NS5_IlS8_EES8_PS6_,comdat
	.protected	_ZN2at6native6sbtopk10gatherTopKIamLi2ELb0EEEvNS_4cuda6detail10TensorInfoIKT_T0_EES8_S8_bS8_S8_NS5_IS6_S8_EES8_NS5_IlS8_EES8_PS6_ ; -- Begin function _ZN2at6native6sbtopk10gatherTopKIamLi2ELb0EEEvNS_4cuda6detail10TensorInfoIKT_T0_EES8_S8_bS8_S8_NS5_IS6_S8_EES8_NS5_IlS8_EES8_PS6_
	.globl	_ZN2at6native6sbtopk10gatherTopKIamLi2ELb0EEEvNS_4cuda6detail10TensorInfoIKT_T0_EES8_S8_bS8_S8_NS5_IS6_S8_EES8_NS5_IlS8_EES8_PS6_
	.p2align	8
	.type	_ZN2at6native6sbtopk10gatherTopKIamLi2ELb0EEEvNS_4cuda6detail10TensorInfoIKT_T0_EES8_S8_bS8_S8_NS5_IS6_S8_EES8_NS5_IlS8_EES8_PS6_,@function
_ZN2at6native6sbtopk10gatherTopKIamLi2ELb0EEEvNS_4cuda6detail10TensorInfoIKT_T0_EES8_S8_bS8_S8_NS5_IS6_S8_EES8_NS5_IlS8_EES8_PS6_: ; @_ZN2at6native6sbtopk10gatherTopKIamLi2ELb0EEEvNS_4cuda6detail10TensorInfoIKT_T0_EES8_S8_bS8_S8_NS5_IS6_S8_EES8_NS5_IlS8_EES8_PS6_
; %bb.0:
	s_clause 0x1
	s_load_dwordx2 s[14:15], s[4:5], 0x520
	s_load_dwordx4 s[28:31], s[4:5], 0x1b8
	s_add_u32 s12, s4, 0x520
	s_addc_u32 s13, s5, 0
	s_mov_b32 s35, 0
	s_waitcnt lgkmcnt(0)
	s_mul_i32 s0, s15, s8
	s_add_i32 s0, s0, s7
	s_mul_i32 s0, s0, s14
	s_add_i32 s34, s0, s6
	v_cmp_le_u64_e64 s0, s[28:29], s[34:35]
	s_and_b32 vcc_lo, exec_lo, s0
	s_cbranch_vccnz .LBB135_478
; %bb.1:
	s_clause 0x2
	s_load_dwordx2 s[16:17], s[4:5], 0x10
	s_load_dwordx2 s[48:49], s[4:5], 0x380
	;; [unrolled: 1-line block ×3, first 2 shown]
	s_mov_b64 s[50:51], 0
	s_waitcnt lgkmcnt(0)
	v_cmp_lt_u64_e64 s0, s[34:35], s[16:17]
	s_and_b32 vcc_lo, exec_lo, s0
	s_mov_b64 s[0:1], 0
	s_cbranch_vccnz .LBB135_3
; %bb.2:
	v_cvt_f32_u32_e32 v1, s16
	s_sub_i32 s1, 0, s16
	v_rcp_iflag_f32_e32 v1, v1
	v_mul_f32_e32 v1, 0x4f7ffffe, v1
	v_cvt_u32_f32_e32 v1, v1
	v_readfirstlane_b32 s0, v1
	s_mul_i32 s1, s1, s0
	s_mul_hi_u32 s1, s0, s1
	s_add_i32 s0, s0, s1
	s_mul_hi_u32 s0, s34, s0
	s_mul_i32 s1, s0, s16
	s_add_i32 s2, s0, 1
	s_sub_i32 s1, s34, s1
	s_sub_i32 s3, s1, s16
	s_cmp_ge_u32 s1, s16
	s_cselect_b32 s0, s2, s0
	s_cselect_b32 s1, s3, s1
	s_add_i32 s2, s0, 1
	s_cmp_ge_u32 s1, s16
	s_cselect_b32 s0, s2, s0
.LBB135_3:
	v_cmp_lt_u64_e64 s1, s[34:35], s[52:53]
	s_and_b32 vcc_lo, exec_lo, s1
	s_cbranch_vccnz .LBB135_5
; %bb.4:
	v_cvt_f32_u32_e32 v1, s52
	s_sub_i32 s2, 0, s52
	v_rcp_iflag_f32_e32 v1, v1
	v_mul_f32_e32 v1, 0x4f7ffffe, v1
	v_cvt_u32_f32_e32 v1, v1
	v_readfirstlane_b32 s1, v1
	s_mul_i32 s2, s2, s1
	s_mul_hi_u32 s2, s1, s2
	s_add_i32 s1, s1, s2
	s_mul_hi_u32 s1, s34, s1
	s_mul_i32 s2, s1, s52
	s_add_i32 s3, s1, 1
	s_sub_i32 s2, s34, s2
	s_sub_i32 s7, s2, s52
	s_cmp_ge_u32 s2, s52
	s_cselect_b32 s1, s3, s1
	s_cselect_b32 s2, s7, s2
	s_add_i32 s3, s1, 1
	s_cmp_ge_u32 s2, s52
	s_cselect_b32 s50, s3, s1
.LBB135_5:
	s_load_dwordx2 s[18:19], s[4:5], 0x0
	v_cmp_lt_u64_e64 s1, s[34:35], s[48:49]
	s_mov_b64 s[54:55], 0
	s_and_b32 vcc_lo, exec_lo, s1
	s_cbranch_vccnz .LBB135_7
; %bb.6:
	v_cvt_f32_u32_e32 v1, s48
	s_sub_i32 s2, 0, s48
	v_rcp_iflag_f32_e32 v1, v1
	v_mul_f32_e32 v1, 0x4f7ffffe, v1
	v_cvt_u32_f32_e32 v1, v1
	v_readfirstlane_b32 s1, v1
	s_mul_i32 s2, s2, s1
	s_mul_hi_u32 s2, s1, s2
	s_add_i32 s1, s1, s2
	s_mul_hi_u32 s1, s34, s1
	s_mul_i32 s2, s1, s48
	s_add_i32 s3, s1, 1
	s_sub_i32 s2, s34, s2
	s_sub_i32 s7, s2, s48
	s_cmp_ge_u32 s2, s48
	s_cselect_b32 s1, s3, s1
	s_cselect_b32 s2, s7, s2
	s_add_i32 s3, s1, 1
	s_cmp_ge_u32 s2, s48
	s_cselect_b32 s54, s3, s1
.LBB135_7:
	s_clause 0x2
	s_load_dwordx2 s[2:3], s[4:5], 0x370
	; meta instruction
	s_load_dwordx4 s[8:11], s[4:5], 0xd0
	s_load_dwordx4 s[36:39], s[4:5], 0x1a0
	s_mov_b32 s61, 0
	s_waitcnt lgkmcnt(0)
	v_writelane_b32 v50, s2, 0
	v_writelane_b32 v50, s3, 1
	s_load_dwordx2 s[2:3], s[4:5], 0x1c8
	s_waitcnt lgkmcnt(0)
	v_writelane_b32 v50, s2, 2
	v_writelane_b32 v50, s3, 3
	v_cmp_eq_u32_e64 s3, 0, v0
	s_and_saveexec_b32 s1, s3
	s_cbranch_execz .LBB135_9
; %bb.8:
	v_mov_b32_e32 v1, 0
	v_mov_b32_e32 v3, s36
	v_mov_b32_e32 v4, s37
	v_mov_b32_e32 v2, v1
	ds_write_b32 v1, v1 offset:5144
	ds_write_b128 v1, v[1:4] offset:5120
.LBB135_9:
	s_or_b32 exec_lo, exec_lo, s1
	s_mul_i32 s1, s0, s17
	s_mul_hi_u32 s2, s0, s16
	s_mul_i32 s7, s0, s16
	s_add_i32 s2, s2, s1
	s_sub_u32 s1, s34, s7
	s_load_dword s7, s[4:5], 0x1b0
	s_mul_i32 s11, s1, s11
	s_mul_hi_u32 s15, s1, s10
	s_subb_u32 s2, 0, s2
	s_add_i32 s11, s15, s11
	s_mul_i32 s2, s2, s10
	s_mul_i32 s1, s1, s10
	s_add_i32 s11, s11, s2
	s_mul_i32 s2, s0, s9
	s_mul_hi_u32 s9, s0, s8
	s_mul_i32 s0, s0, s8
	s_add_i32 s9, s9, s2
	s_add_u32 s0, s18, s0
	s_addc_u32 s2, s19, s9
	s_add_u32 s28, s0, s1
	s_addc_u32 s29, s2, s11
	s_waitcnt lgkmcnt(0)
	v_mad_u64_u32 v[12:13], null, s30, v0, s[28:29]
	s_barrier
	s_bitcmp1_b32 s7, 0
	buffer_gl0_inv
	s_load_dword s7, s[12:13], 0xc
	v_mbcnt_lo_u32_b32 v24, -1, 0
	v_cmp_gt_u32_e32 vcc_lo, 32, v0
	v_mov_b32_e32 v1, v13
	v_mov_b32_e32 v3, 0
	s_cselect_b32 s2, -1, 0
	v_cmp_gt_i32_e64 s1, 4, v24
	s_xor_b32 s35, s2, -1
	v_mad_u64_u32 v[4:5], null, s31, v0, v[1:2]
	v_add_nc_u32_e32 v2, 2, v0
	s_and_b32 s51, vcc_lo, s1
	v_mov_b32_e32 v1, v3
	v_cmp_lt_u64_e64 s55, 0xc00, s[36:37]
	v_mov_b32_e32 v19, s38
	v_cmp_gt_u64_e32 vcc_lo, s[36:37], v[2:3]
	v_mov_b32_e32 v13, v4
	v_lshlrev_b64 v[4:5], v24, -1
	v_cmp_gt_u64_e64 s1, s[36:37], v[0:1]
	v_cmp_eq_u32_e64 s0, 0, v24
	s_waitcnt lgkmcnt(0)
	s_and_b32 s33, s7, 0xffff
	v_cndmask_b32_e64 v2, v2, s36, vcc_lo
	s_bfe_u32 s8, s33, 0x80008
	v_not_b32_e32 v23, v4
	v_not_b32_e32 v4, v0
	s_lshl_b32 s80, s8, 3
	s_bfe_u32 s8, s7, 0xb0005
	s_cmp_gt_u32 s33, 31
	v_cndmask_b32_e64 v5, 0, s37, vcc_lo
	s_cselect_b32 s81, -1, 0
	s_add_u32 s82, s33, -1
	s_addc_u32 s83, 0, -1
	v_add_co_u32 v4, vcc_lo, v2, v4
	s_add_u32 s84, s82, s36
	s_addc_u32 s63, s83, s37
	v_add_co_ci_u32_e64 v5, null, -1, v5, vcc_lo
	s_cmp_lt_u32 s6, s14
	s_movk_i32 s6, 0x3e0
	s_cselect_b32 s7, 12, 18
	v_and_b32_e32 v16, -4, v4
	s_add_u32 s64, s12, s7
	v_mov_b32_e32 v17, v5
	v_and_or_b32 v25, v0, s6, 0xc00
	s_addc_u32 s65, s13, 0
	s_add_i32 s6, s8, -1
	s_bfe_u32 s91, s33, 0x30005
	s_and_b32 s6, s6, 0xffff
	v_cmp_lt_u64_e64 s7, 3, v[4:5]
	v_cmp_ne_u64_e64 s8, v[4:5], v[16:17]
	s_cmp_gt_u32 s6, 6
	v_lshlrev_b32_e32 v14, 2, v0
	v_mov_b32_e32 v15, v3
	v_cmp_gt_u32_e64 s10, 2, v0
	v_add_co_u32 v18, vcc_lo, v16, v0
	v_lshl_or_b32 v27, v24, 3, 0xc00
	v_mov_b32_e32 v20, s39
	v_mov_b32_e32 v28, 0x80
	;; [unrolled: 1-line block ×6, first 2 shown]
	s_cselect_b32 s92, -1, 0
	s_cmp_lg_u32 s91, 0
	s_mov_b32 s85, s30
	s_mov_b32 s86, s31
	s_mov_b32 s87, s30
	s_mov_b32 s88, s31
	s_mov_b32 s89, s30
	s_mov_b32 s90, s31
	s_mov_b32 s93, 6
	s_cselect_b32 s95, -1, 0
	s_mov_b32 s94, 0
	s_mov_b32 s97, 0
	v_add_co_ci_u32_e64 v2, null, 0, v5, vcc_lo
	v_writelane_b32 v50, s8, 4
                                        ; implicit-def: $sgpr96
                                        ; implicit-def: $sgpr104
                                        ; implicit-def: $sgpr99
                                        ; implicit-def: $vcc_hi
                                        ; implicit-def: $sgpr98
                                        ; implicit-def: $sgpr47
                                        ; implicit-def: $sgpr56
                                        ; implicit-def: $sgpr44
                                        ; implicit-def: $sgpr46
                                        ; implicit-def: $sgpr45
	s_branch .LBB135_12
.LBB135_10:                             ;   in Loop: Header=BB135_12 Depth=1
	s_or_b32 exec_lo, exec_lo, s12
	v_mov_b32_e32 v20, v5
	v_mov_b32_e32 v19, v4
	s_andn2_b32 s8, s45, exec_lo
	s_and_b32 s11, s11, exec_lo
	s_andn2_b32 s46, s46, exec_lo
	s_or_b32 s45, s8, s11
	s_andn2_b32 s44, s44, exec_lo
	s_andn2_b32 s56, s56, exec_lo
	s_andn2_b32 s47, s47, exec_lo
	s_orn2_b32 s11, s9, exec_lo
.LBB135_11:                             ;   in Loop: Header=BB135_12 Depth=1
	s_or_b32 exec_lo, exec_lo, s6
	s_and_b32 s6, exec_lo, s11
	s_or_b32 s94, s6, s94
	s_andn2_b32 s6, s98, exec_lo
	s_and_b32 s9, s45, exec_lo
	s_andn2_b32 s11, vcc_hi, exec_lo
	s_or_b32 s98, s6, s9
	s_and_b32 s6, s46, exec_lo
	s_andn2_b32 s9, s99, exec_lo
	s_and_b32 s12, s44, exec_lo
	s_or_b32 vcc_hi, s11, s6
	s_or_b32 s99, s9, s12
	s_andn2_b32 s6, s104, exec_lo
	s_and_b32 s9, s56, exec_lo
	s_andn2_b32 s11, s96, exec_lo
	s_and_b32 s12, s47, exec_lo
	s_or_b32 s104, s6, s9
	s_or_b32 s96, s11, s12
	s_andn2_b32 exec_lo, exec_lo, s94
	s_cbranch_execz .LBB135_474
.LBB135_12:                             ; =>This Loop Header: Depth=1
                                        ;     Child Loop BB135_17 Depth 2
                                        ;     Child Loop BB135_31 Depth 2
	;; [unrolled: 1-line block ×25, first 2 shown]
	ds_read_b128 v[4:7], v3 offset:5120
	s_waitcnt lgkmcnt(0)
	v_readfirstlane_b32 s67, v5
	v_readfirstlane_b32 s66, v4
	s_cmp_lg_u64 s[66:67], 0
	s_cbranch_scc1 .LBB135_44
; %bb.13:                               ;   in Loop: Header=BB135_12 Depth=1
	s_and_b32 vcc_lo, exec_lo, s55
	s_cbranch_vccz .LBB135_25
; %bb.14:                               ;   in Loop: Header=BB135_12 Depth=1
	v_cmp_gt_u64_e32 vcc_lo, 0xc01, v[6:7]
	s_mov_b32 s11, 0
	s_mov_b32 s6, 0
	s_cbranch_vccz .LBB135_26
; %bb.15:                               ;   in Loop: Header=BB135_12 Depth=1
	global_load_ushort v2, v3, s[64:65]
	global_load_ubyte v6, v[12:13], off
	v_mov_b32_e32 v5, v1
	v_mov_b32_e32 v4, v0
	s_mov_b32 s12, 0
	s_waitcnt vmcnt(1)
	v_and_b32_e32 v2, 0xffff, v2
	s_branch .LBB135_17
.LBB135_16:                             ;   in Loop: Header=BB135_17 Depth=2
	s_or_b32 exec_lo, exec_lo, s9
	v_mov_b32_e32 v6, v7
	s_andn2_b32 exec_lo, exec_lo, s12
	s_cbranch_execz .LBB135_98
.LBB135_17:                             ;   Parent Loop BB135_12 Depth=1
                                        ; =>  This Inner Loop Header: Depth=2
	v_add_co_u32 v4, vcc_lo, v4, v2
	v_add_co_ci_u32_e64 v5, null, 0, v5, vcc_lo
	s_waitcnt lgkmcnt(0)
	v_mov_b32_e32 v8, 0
	v_mov_b32_e32 v7, 0
	s_mov_b32 s9, exec_lo
	v_cmp_le_u64_e32 vcc_lo, s[36:37], v[4:5]
	v_cmpx_gt_u64_e64 s[36:37], v[4:5]
	s_cbranch_execz .LBB135_19
; %bb.18:                               ;   in Loop: Header=BB135_17 Depth=2
	v_mad_u64_u32 v[9:10], null, v4, s30, s[28:29]
	v_mul_lo_u32 v7, v4, s31
	v_mul_lo_u32 v11, v5, s30
	v_add3_u32 v10, v11, v10, v7
	global_load_ubyte v7, v[9:10], off
.LBB135_19:                             ;   in Loop: Header=BB135_17 Depth=2
	s_or_b32 exec_lo, exec_lo, s9
	s_waitcnt vmcnt(0)
	v_add_nc_u32_sdwa v9, sext(v6), v28 dst_sel:DWORD dst_unused:UNUSED_PAD src0_sel:BYTE_0 src1_sel:DWORD
	v_and_b32_e32 v9, v9, v30
	v_cmp_eq_u32_e64 s6, v9, v26
	s_cmp_lg_u32 s6, 0
	s_cselect_b32 s9, -1, 0
	s_and_b32 s9, s0, s9
	s_and_saveexec_b32 s13, s9
	s_cbranch_execz .LBB135_23
; %bb.20:                               ;   in Loop: Header=BB135_17 Depth=2
	s_mov_b32 s16, exec_lo
	s_bcnt1_i32_b32 s14, s6
	v_mbcnt_lo_u32_b32 v8, s16, 0
	s_mov_b32 s15, exec_lo
                                        ; implicit-def: $vgpr9
	v_cmpx_eq_u32_e32 0, v8
; %bb.21:                               ;   in Loop: Header=BB135_17 Depth=2
	s_bcnt1_i32_b32 s9, s16
	s_mul_i32 s9, s14, s9
	v_mov_b32_e32 v9, s9
	ds_add_rtn_u32 v9, v3, v9 offset:5144
; %bb.22:                               ;   in Loop: Header=BB135_17 Depth=2
	s_or_b32 exec_lo, exec_lo, s15
	s_waitcnt lgkmcnt(0)
	v_readfirstlane_b32 s9, v9
	v_mad_u32_u24 v8, s14, v8, s9
.LBB135_23:                             ;   in Loop: Header=BB135_17 Depth=2
	s_or_b32 exec_lo, exec_lo, s13
	ds_bpermute_b32 v8, v3, v8
	s_and_b32 s9, exec_lo, vcc_lo
	s_or_b32 s12, s9, s12
	s_and_saveexec_b32 s9, s6
	s_cbranch_execz .LBB135_16
; %bb.24:                               ;   in Loop: Header=BB135_17 Depth=2
	v_and_b32_e32 v9, s6, v23
	s_waitcnt lgkmcnt(0)
	v_bcnt_u32_b32 v8, v9, v8
	ds_write_b8 v8, v6
	s_branch .LBB135_16
.LBB135_25:                             ;   in Loop: Header=BB135_12 Depth=1
	s_mov_b32 s11, -1
	s_mov_b32 s6, 0
.LBB135_26:                             ;   in Loop: Header=BB135_12 Depth=1
	s_and_b32 vcc_lo, exec_lo, s11
	s_cbranch_vccz .LBB135_42
.LBB135_27:                             ;   in Loop: Header=BB135_12 Depth=1
	s_and_saveexec_b32 s11, s1
	s_cbranch_execz .LBB135_39
; %bb.28:                               ;   in Loop: Header=BB135_12 Depth=1
	global_load_ushort v4, v3, s[64:65]
	global_load_ubyte v32, v[12:13], off
	v_mov_b32_e32 v6, v0
	s_mov_b32 s12, exec_lo
	s_waitcnt vmcnt(1)
	v_add_nc_u32_sdwa v2, v4, v0 dst_sel:DWORD dst_unused:UNUSED_PAD src0_sel:WORD_0 src1_sel:DWORD
	v_readfirstlane_b32 s6, v4
	v_cmpx_gt_u64_e64 s[36:37], v[2:3]
	s_cbranch_execz .LBB135_38
; %bb.29:                               ;   in Loop: Header=BB135_12 Depth=1
	s_and_b32 s13, s6, 0xffff
	v_mov_b32_e32 v9, v1
	s_cmp_eq_u32 s13, 1
	v_mov_b32_e32 v5, v3
	v_mov_b32_e32 v8, v0
	;; [unrolled: 1-line block ×3, first 2 shown]
	s_cselect_b32 s6, -1, 0
                                        ; implicit-def: $vgpr6_vgpr7
	s_and_b32 s9, s7, s6
	s_mov_b32 s6, -1
	s_and_saveexec_b32 s14, s9
	s_cbranch_execz .LBB135_33
; %bb.30:                               ;   in Loop: Header=BB135_12 Depth=1
	v_add_co_u32 v8, s6, v2, 3
	v_add_co_ci_u32_e64 v9, null, 0, 0, s6
	v_add_co_u32 v6, s6, v2, 2
	v_add_co_ci_u32_e64 v7, null, 0, 0, s6
	;; [unrolled: 2-line block ×3, first 2 shown]
	v_mov_b32_e32 v22, v17
	v_mov_b32_e32 v11, v9
	s_waitcnt vmcnt(0)
	v_lshlrev_b32_e32 v34, 24, v32
	v_mov_b32_e32 v21, v16
	v_mov_b32_e32 v33, v0
	v_mov_b32_e32 v10, v8
	v_mov_b32_e32 v9, v7
	v_mov_b32_e32 v8, v6
	v_mov_b32_e32 v7, v5
	v_mov_b32_e32 v6, v4
	v_mov_b32_e32 v5, v3
	v_mov_b32_e32 v4, v2
	s_mov_b32 s15, 0
.LBB135_31:                             ;   Parent Loop BB135_12 Depth=1
                                        ; =>  This Inner Loop Header: Depth=2
	v_mul_lo_u32 v44, v7, s30
	v_mul_lo_u32 v45, v6, s31
	v_mad_u64_u32 v[37:38], null, v6, s30, 0
	v_mul_lo_u32 v32, v9, s87
	v_mul_lo_u32 v43, v8, s88
	v_mad_u64_u32 v[35:36], null, v8, s87, 0
	;; [unrolled: 3-line block ×3, first 2 shown]
	v_mad_u64_u32 v[41:42], null, v10, s89, s[28:29]
	v_mul_lo_u32 v48, v10, s90
	v_mul_lo_u32 v49, v11, s89
	v_add3_u32 v44, v38, v45, v44
	v_add3_u32 v32, v36, v43, v32
	;; [unrolled: 1-line block ×3, first 2 shown]
	v_add_co_u32 v43, s9, s28, v37
	v_add_co_u32 v38, s6, s28, v35
	v_add3_u32 v42, v49, v42, v48
	v_add_co_u32 v36, vcc_lo, s28, v39
	v_add_co_ci_u32_e64 v44, null, s29, v44, s9
	v_add_co_ci_u32_e64 v39, null, s29, v32, s6
	v_add_co_ci_u32_e64 v37, null, s29, v40, vcc_lo
	s_clause 0x3
	global_load_ubyte v32, v[41:42], off
	global_load_ubyte v35, v[43:44], off
	;; [unrolled: 1-line block ×4, first 2 shown]
	v_add_co_u32 v10, vcc_lo, v10, 4
	v_add_co_ci_u32_e64 v11, null, 0, v11, vcc_lo
	v_add_co_u32 v8, vcc_lo, v8, 4
	v_add_co_ci_u32_e64 v9, null, 0, v9, vcc_lo
	;; [unrolled: 2-line block ×3, first 2 shown]
	v_add_co_u32 v21, vcc_lo, v21, -4
	v_add_co_ci_u32_e64 v22, null, -1, v22, vcc_lo
	v_add_co_u32 v4, vcc_lo, v4, 4
	v_add_co_ci_u32_e64 v5, null, 0, v5, vcc_lo
	v_cmp_eq_u64_e64 s6, 0, v[21:22]
	s_or_b32 s15, s6, s15
	s_waitcnt vmcnt(0)
	v_perm_b32 v37, v36, v35, 0xc0c0004
	v_perm_b32 v35, v35, v38, 0xc0c0004
	;; [unrolled: 1-line block ×4, first 2 shown]
	v_lshl_or_b32 v34, v35, 16, v34
	v_lshl_or_b32 v35, v36, 16, v37
	ds_write_b32 v33, v34
	v_add_nc_u32_e32 v33, 4, v33
	v_mov_b32_e32 v34, v35
	s_andn2_b32 exec_lo, exec_lo, s15
	s_cbranch_execnz .LBB135_31
; %bb.32:                               ;   in Loop: Header=BB135_12 Depth=1
	s_or_b32 exec_lo, exec_lo, s15
	v_add_co_u32 v4, vcc_lo, v2, v16
	v_readlane_b32 s6, v50, 4
	v_add_co_ci_u32_e64 v5, null, 0, v17, vcc_lo
	v_add_co_u32 v6, vcc_lo, v4, -1
	v_mov_b32_e32 v8, v18
	s_orn2_b32 s6, s6, exec_lo
	v_add_co_ci_u32_e64 v2, null, -1, v5, vcc_lo
	v_mov_b32_e32 v9, v19
.LBB135_33:                             ;   in Loop: Header=BB135_12 Depth=1
	s_or_b32 exec_lo, exec_lo, s14
	s_and_saveexec_b32 s9, s6
	s_cbranch_execz .LBB135_37
; %bb.34:                               ;   in Loop: Header=BB135_12 Depth=1
	s_sub_u32 s14, 0, s13
	s_subb_u32 s16, 0, 0
	s_mov_b32 s15, 0
	.p2align	6
.LBB135_35:                             ;   Parent Loop BB135_12 Depth=1
                                        ; =>  This Inner Loop Header: Depth=2
	v_mov_b32_e32 v7, v5
	v_mov_b32_e32 v6, v4
	s_waitcnt vmcnt(0)
	ds_write_b8 v8, v32
	v_mul_lo_u32 v9, v7, s30
	v_mad_u64_u32 v[4:5], null, v6, s30, s[28:29]
	v_mul_lo_u32 v2, v6, s31
	v_add3_u32 v5, v9, v5, v2
	v_mov_b32_e32 v9, v7
	v_mov_b32_e32 v8, v6
	global_load_ubyte v2, v[4:5], off
	v_add_co_u32 v4, vcc_lo, v6, s13
	v_add_co_ci_u32_e64 v5, null, 0, v7, vcc_lo
	v_add_co_u32 v6, s6, s14, v4
	v_cmp_le_u64_e32 vcc_lo, s[36:37], v[4:5]
	v_add_co_ci_u32_e64 v7, null, s16, v5, s6
	s_or_b32 s15, vcc_lo, s15
	s_waitcnt vmcnt(0)
	v_mov_b32_e32 v32, v2
	s_andn2_b32 exec_lo, exec_lo, s15
	s_cbranch_execnz .LBB135_35
; %bb.36:                               ;   in Loop: Header=BB135_12 Depth=1
	s_or_b32 exec_lo, exec_lo, s15
	v_mov_b32_e32 v32, v2
.LBB135_37:                             ;   in Loop: Header=BB135_12 Depth=1
	s_or_b32 exec_lo, exec_lo, s9
.LBB135_38:                             ;   in Loop: Header=BB135_12 Depth=1
	s_or_b32 exec_lo, exec_lo, s12
	s_waitcnt vmcnt(0)
	ds_write_b8 v6, v32
.LBB135_39:                             ;   in Loop: Header=BB135_12 Depth=1
	s_or_b32 exec_lo, exec_lo, s11
	s_waitcnt lgkmcnt(0)
	s_barrier
	buffer_gl0_inv
	s_and_saveexec_b32 s6, s3
; %bb.40:                               ;   in Loop: Header=BB135_12 Depth=1
	v_mov_b32_e32 v4, s36
	v_mov_b32_e32 v5, s37
	ds_write_b64 v3, v[4:5] offset:5120
; %bb.41:                               ;   in Loop: Header=BB135_12 Depth=1
	s_or_b32 exec_lo, exec_lo, s6
	s_mov_b32 s6, -1
	s_waitcnt lgkmcnt(0)
	s_barrier
.LBB135_42:                             ;   in Loop: Header=BB135_12 Depth=1
	s_and_b32 vcc_lo, exec_lo, s6
	s_mov_b64 s[66:67], 0
	s_cbranch_vccz .LBB135_44
; %bb.43:                               ;   in Loop: Header=BB135_12 Depth=1
	buffer_gl0_inv
	ds_read_b64 v[4:5], v3 offset:5120
	s_waitcnt lgkmcnt(0)
	v_readfirstlane_b32 s66, v4
.LBB135_44:                             ;   in Loop: Header=BB135_12 Depth=1
	s_cmp_lt_i32 s66, 1
	s_mov_b32 s6, -1
                                        ; implicit-def: $vgpr10_vgpr11
                                        ; implicit-def: $vgpr6_vgpr7
	s_cbranch_scc1 .LBB135_54
; %bb.45:                               ;   in Loop: Header=BB135_12 Depth=1
	s_and_b32 vcc_lo, exec_lo, s6
	s_cbranch_vccnz .LBB135_68
.LBB135_46:                             ;   in Loop: Header=BB135_12 Depth=1
	s_lshl_b32 s6, s97, 7
	s_and_saveexec_b32 s9, s0
	s_cbranch_execz .LBB135_48
.LBB135_47:                             ;   in Loop: Header=BB135_12 Depth=1
	v_lshl_add_u32 v2, s6, 3, v25
	ds_write_b128 v2, v[4:7]
	ds_write_b128 v2, v[8:11] offset:16
.LBB135_48:                             ;   in Loop: Header=BB135_12 Depth=1
	s_or_b32 exec_lo, exec_lo, s9
	s_waitcnt lgkmcnt(0)
	s_barrier
	buffer_gl0_inv
	s_and_saveexec_b32 s9, s51
	s_cbranch_execz .LBB135_82
; %bb.49:                               ;   in Loop: Header=BB135_12 Depth=1
	v_mov_b32_e32 v4, 0
	v_mov_b32_e32 v5, 0
	s_andn2_b32 vcc_lo, exec_lo, s81
	s_cbranch_vccnz .LBB135_81
; %bb.50:                               ;   in Loop: Header=BB135_12 Depth=1
	v_mov_b32_e32 v4, 0
	v_mov_b32_e32 v5, 0
	s_andn2_b32 vcc_lo, exec_lo, s92
	s_cbranch_vccnz .LBB135_78
; %bb.51:                               ;   in Loop: Header=BB135_12 Depth=1
	v_lshl_add_u32 v2, s97, 10, v27
	s_mov_b32 s11, 0
	s_inst_prefetch 0x1
	.p2align	6
.LBB135_52:                             ;   Parent Loop BB135_12 Depth=1
                                        ; =>  This Inner Loop Header: Depth=2
	ds_read2_b64 v[6:9], v2 offset1:4
	ds_read2_b64 v[32:35], v2 offset0:8 offset1:12
	ds_read2_b64 v[36:39], v2 offset0:16 offset1:20
	s_add_i32 s11, s11, 8
	s_cmp_eq_u32 s80, s11
	s_waitcnt lgkmcnt(2)
	v_add_co_u32 v4, vcc_lo, v6, v4
	v_add_co_ci_u32_e64 v5, null, v7, v5, vcc_lo
	v_add_co_u32 v8, vcc_lo, v8, v4
	v_add_co_ci_u32_e64 v9, null, v9, v5, vcc_lo
	ds_read2_b64 v[4:7], v2 offset0:24 offset1:28
	s_waitcnt lgkmcnt(2)
	v_add_co_u32 v8, vcc_lo, v32, v8
	v_add_co_ci_u32_e64 v9, null, v33, v9, vcc_lo
	v_add_nc_u32_e32 v2, 0x100, v2
	v_add_co_u32 v8, vcc_lo, v34, v8
	v_add_co_ci_u32_e64 v9, null, v35, v9, vcc_lo
	s_waitcnt lgkmcnt(1)
	v_add_co_u32 v8, vcc_lo, v36, v8
	v_add_co_ci_u32_e64 v9, null, v37, v9, vcc_lo
	v_add_co_u32 v8, vcc_lo, v38, v8
	v_add_co_ci_u32_e64 v9, null, v39, v9, vcc_lo
	s_waitcnt lgkmcnt(0)
	v_add_co_u32 v4, vcc_lo, v4, v8
	v_add_co_ci_u32_e64 v5, null, v5, v9, vcc_lo
	v_add_co_u32 v4, vcc_lo, v6, v4
	v_add_co_ci_u32_e64 v5, null, v7, v5, vcc_lo
	s_cbranch_scc0 .LBB135_52
; %bb.53:                               ;   in Loop: Header=BB135_12 Depth=1
	s_inst_prefetch 0x2
	s_mov_b32 s11, s80
	s_andn2_b32 vcc_lo, exec_lo, s95
	s_cbranch_vccz .LBB135_79
	s_branch .LBB135_81
.LBB135_54:                             ;   in Loop: Header=BB135_12 Depth=1
	global_load_ushort v2, v3, s[64:65]
	s_mov_b32 s12, s61
	s_mov_b32 s13, s37
	s_waitcnt vmcnt(0)
	v_readfirstlane_b32 s6, v2
	s_and_b32 s6, 0xffff, s6
	s_lshl_b32 s27, s6, 2
	s_cmp_lg_u64 s[12:13], 0
	s_cbranch_scc0 .LBB135_77
; %bb.55:                               ;   in Loop: Header=BB135_12 Depth=1
	v_cvt_f32_u32_e32 v4, s27
	s_sub_u32 s11, 0, s27
	s_subb_u32 s12, 0, 0
	v_fmac_f32_e64 v4, 0x4f800000, 0
	v_rcp_f32_e32 v4, v4
	v_mul_f32_e32 v4, 0x5f7ffffc, v4
	v_mul_f32_e32 v5, 0x2f800000, v4
	v_trunc_f32_e32 v5, v5
	v_fmac_f32_e32 v4, 0xcf800000, v5
	v_cvt_u32_f32_e32 v5, v5
	v_cvt_u32_f32_e32 v4, v4
	v_readfirstlane_b32 s6, v5
	v_readfirstlane_b32 s9, v4
	s_mul_i32 s13, s11, s6
	s_mul_hi_u32 s15, s11, s9
	s_mul_i32 s14, s12, s9
	s_add_i32 s13, s15, s13
	s_mul_i32 s16, s11, s9
	s_add_i32 s13, s13, s14
	s_mul_hi_u32 s15, s9, s16
	s_mul_i32 s18, s9, s13
	s_mul_hi_u32 s17, s6, s16
	s_mul_i32 s14, s6, s16
	s_mul_hi_u32 s16, s9, s13
	s_add_u32 s15, s15, s18
	s_addc_u32 s16, 0, s16
	s_mul_hi_u32 s19, s6, s13
	s_add_u32 s14, s15, s14
	s_mul_i32 s13, s6, s13
	s_addc_u32 s14, s16, s17
	s_addc_u32 s15, s19, 0
	s_add_u32 s13, s14, s13
	s_addc_u32 s14, 0, s15
	s_add_u32 s9, s9, s13
	s_cselect_b32 s13, -1, 0
	s_mul_hi_u32 s15, s11, s9
	s_cmp_lg_u32 s13, 0
	s_mul_i32 s13, s11, s9
	s_addc_u32 s6, s6, s14
	s_mul_i32 s12, s12, s9
	s_mul_i32 s11, s11, s6
	s_mul_hi_u32 s14, s9, s13
	s_add_i32 s11, s15, s11
	s_mul_hi_u32 s15, s6, s13
	s_add_i32 s11, s11, s12
	s_mul_i32 s12, s6, s13
	s_mul_i32 s17, s9, s11
	s_mul_hi_u32 s16, s9, s11
	s_add_u32 s14, s14, s17
	s_addc_u32 s16, 0, s16
	s_mul_hi_u32 s13, s6, s11
	s_add_u32 s12, s14, s12
	s_mul_i32 s11, s6, s11
	s_addc_u32 s12, s16, s15
	s_addc_u32 s13, s13, 0
	s_add_u32 s11, s12, s11
	s_addc_u32 s12, 0, s13
	s_add_u32 s9, s9, s11
	s_cselect_b32 s11, -1, 0
	s_mul_hi_u32 s13, s36, s9
	s_cmp_lg_u32 s11, 0
	s_mul_hi_u32 s11, s37, s9
	s_addc_u32 s6, s6, s12
	s_mul_i32 s9, s37, s9
	s_mul_i32 s14, s36, s6
	s_mul_hi_u32 s12, s36, s6
	s_add_u32 s13, s13, s14
	s_addc_u32 s12, 0, s12
	s_mul_hi_u32 s15, s37, s6
	s_add_u32 s9, s13, s9
	s_mul_i32 s6, s37, s6
	s_addc_u32 s9, s12, s11
	s_addc_u32 s11, s15, 0
	s_add_u32 s6, s9, s6
	s_addc_u32 s9, 0, s11
	s_mul_hi_u32 s11, s27, s6
	s_mul_i32 s9, s27, s9
	s_mul_i32 s6, s27, s6
	s_add_i32 s11, s11, s9
	s_sub_u32 s6, s36, s6
	s_cselect_b32 s9, -1, 0
	s_cmp_lg_u32 s9, 0
	s_subb_u32 s9, s37, s11
	s_sub_u32 s11, s6, s27
	s_cselect_b32 s12, -1, 0
	s_cmp_lg_u32 s12, 0
	s_subb_u32 s12, s9, 0
	;; [unrolled: 4-line block ×3, first 2 shown]
	s_cmp_ge_u32 s11, s27
	s_cselect_b32 s15, -1, 0
	s_cmp_eq_u32 s12, 0
	s_cselect_b32 s15, s15, -1
	s_cmp_lg_u32 s15, 0
	s_cselect_b32 s12, s14, s12
	s_cselect_b32 s11, s13, s11
	s_cmp_ge_u32 s6, s27
	s_cselect_b32 s13, -1, 0
	s_cmp_eq_u32 s9, 0
	s_cselect_b32 s13, s13, -1
	s_cmp_lg_u32 s13, 0
	s_cselect_b32 s13, s12, s9
	s_cselect_b32 s12, s11, s6
	s_cbranch_execnz .LBB135_57
.LBB135_56:                             ;   in Loop: Header=BB135_12 Depth=1
	v_cvt_f32_u32_e32 v4, s27
	s_sub_i32 s9, 0, s27
	v_rcp_iflag_f32_e32 v4, v4
	v_mul_f32_e32 v4, 0x4f7ffffe, v4
	v_cvt_u32_f32_e32 v4, v4
	v_readfirstlane_b32 s6, v4
	s_mul_i32 s9, s9, s6
	s_mul_hi_u32 s9, s6, s9
	s_add_i32 s6, s6, s9
	s_mul_hi_u32 s6, s36, s6
	s_mul_i32 s6, s6, s27
	s_sub_i32 s6, s36, s6
	s_sub_i32 s9, s6, s27
	s_cmp_ge_u32 s6, s27
	s_cselect_b32 s6, s9, s6
	s_sub_i32 s9, s6, s27
	s_cmp_ge_u32 s6, s27
	s_cselect_b32 s60, s9, s6
	s_mov_b64 s[12:13], s[60:61]
.LBB135_57:                             ;   in Loop: Header=BB135_12 Depth=1
	v_mov_b32_e32 v4, 0
	v_mov_b32_e32 v6, 0
	;; [unrolled: 1-line block ×8, first 2 shown]
	s_sub_u32 s68, s36, s12
	s_subb_u32 s69, s37, s13
	s_mov_b32 s57, exec_lo
	v_cmpx_gt_u64_e64 s[68:69], v[14:15]
	s_cbranch_execz .LBB135_61
; %bb.58:                               ;   in Loop: Header=BB135_12 Depth=1
	v_mov_b32_e32 v22, v15
	v_mov_b32_e32 v21, v14
	s_mov_b64 s[70:71], 0
	s_mov_b32 s60, 0
	s_mov_b64 s[72:73], 0
	s_mov_b64 s[74:75], 0
	;; [unrolled: 1-line block ×3, first 2 shown]
.LBB135_59:                             ;   Parent Loop BB135_12 Depth=1
                                        ; =>  This Inner Loop Header: Depth=2
	v_mad_u64_u32 v[4:5], null, v21, s30, s[28:29]
	v_mul_lo_u32 v6, v21, s31
	v_mul_lo_u32 v7, v22, s30
	v_add3_u32 v5, v7, v5, v6
	v_add_co_u32 v6, vcc_lo, v4, s30
	v_add_co_ci_u32_e64 v7, null, s31, v5, vcc_lo
	s_clause 0x1
	global_load_sbyte v8, v[4:5], off
	global_load_sbyte v9, v[6:7], off
	v_add_co_u32 v4, vcc_lo, v6, s30
	v_add_co_ci_u32_e64 v5, null, s31, v7, vcc_lo
	v_add_co_u32 v6, vcc_lo, v4, s30
	global_load_sbyte v4, v[4:5], off
	v_add_co_ci_u32_e64 v7, null, s31, v5, vcc_lo
	v_add_co_u32 v21, vcc_lo, v21, s27
	v_add_co_ci_u32_e64 v22, null, 0, v22, vcc_lo
	global_load_sbyte v5, v[6:7], off
	v_cmp_le_u64_e32 vcc_lo, s[68:69], v[21:22]
	s_waitcnt vmcnt(3)
	v_add_nc_u32_e32 v6, 0x80, v8
	s_waitcnt vmcnt(2)
	v_add_nc_u32_e32 v8, 0x80, v9
	v_and_b32_e32 v7, v6, v30
	v_bfe_u32 v6, v6, s93, 2
	v_cmp_eq_u32_e64 s6, v7, v26
	s_waitcnt vmcnt(1)
	v_add_nc_u32_e32 v4, 0x80, v4
	v_and_b32_e32 v7, v8, v30
	v_bfe_u32 v8, v8, s93, 2
	v_cmp_eq_u32_e64 s9, 0, v6
	v_cmp_eq_u32_e64 s11, 1, v6
	;; [unrolled: 1-line block ×4, first 2 shown]
	s_waitcnt vmcnt(0)
	v_add_nc_u32_e32 v5, 0x80, v5
	v_and_b32_e32 v6, v4, v30
	v_cmp_eq_u32_e64 s14, v7, v26
	v_bfe_u32 v4, v4, s93, 2
	v_cmp_eq_u32_e64 s15, 0, v8
	s_and_b32 s9, s6, s9
	v_cmp_eq_u32_e64 s18, v6, v26
	v_cndmask_b32_e64 v7, 0, 1, s9
	v_and_b32_e32 v6, v5, v30
	v_bfe_u32 v5, v5, s93, 2
	v_cmp_eq_u32_e64 s19, 0, v4
	s_and_b32 s15, s14, s15
	v_cmp_ne_u32_e64 s20, 0, v7
	v_cndmask_b32_e64 v7, 0, 1, s15
	v_cmp_eq_u32_e64 s23, v6, v26
	v_cmp_eq_u32_e64 s24, 0, v5
	s_and_b32 s19, s18, s19
	v_cmp_eq_u32_e64 s15, 1, v4
	v_cmp_eq_u32_e64 s21, 2, v4
	;; [unrolled: 1-line block ×3, first 2 shown]
	s_bcnt1_i32_b32 s40, s20
	v_cmp_ne_u32_e64 s20, 0, v7
	v_cndmask_b32_e64 v4, 0, 1, s19
	s_and_b32 s24, s23, s24
	v_cmp_eq_u32_e64 s19, 1, v5
	v_cmp_eq_u32_e64 s25, 2, v5
	;; [unrolled: 1-line block ×3, first 2 shown]
	v_cndmask_b32_e64 v5, 0, 1, s24
	s_bcnt1_i32_b32 s24, s20
	v_cmp_ne_u32_e64 s20, 0, v4
	s_add_i32 s40, s24, s40
	v_cmp_eq_u32_e64 s9, 1, v8
	v_cmp_ne_u32_e64 s24, 0, v5
	v_cmp_eq_u32_e64 s16, 2, v8
	s_bcnt1_i32_b32 s20, s20
	v_cmp_eq_u32_e64 s17, 3, v8
	s_add_i32 s20, s40, s20
	s_bcnt1_i32_b32 s24, s24
	s_add_i32 s20, s20, s24
	s_add_u32 s76, s76, s20
	s_addc_u32 s77, s77, 0
	s_and_b32 s11, s6, s11
	s_and_b32 s9, s14, s9
	v_cndmask_b32_e64 v4, 0, 1, s11
	v_cndmask_b32_e64 v5, 0, 1, s9
	s_and_b32 s9, s18, s15
	v_cndmask_b32_e64 v6, 0, 1, s9
	s_and_b32 s9, s23, s19
	v_cmp_ne_u32_e64 s11, 0, v5
	v_cndmask_b32_e64 v7, 0, 1, s9
	v_cmp_ne_u32_e64 s9, 0, v4
	v_cmp_ne_u32_e64 s15, 0, v6
	s_bcnt1_i32_b32 s11, s11
	v_cmp_ne_u32_e64 s19, 0, v7
	s_bcnt1_i32_b32 s9, s9
	s_bcnt1_i32_b32 s15, s15
	s_add_i32 s9, s11, s9
	s_bcnt1_i32_b32 s19, s19
	s_add_i32 s9, s9, s15
	s_add_i32 s9, s9, s19
	s_add_u32 s74, s74, s9
	s_addc_u32 s75, s75, 0
	s_and_b32 s9, s6, s12
	v_cndmask_b32_e64 v4, 0, 1, s9
	s_and_b32 s9, s14, s16
	v_cndmask_b32_e64 v5, 0, 1, s9
	;; [unrolled: 2-line block ×3, first 2 shown]
	s_and_b32 s9, s23, s25
	v_cmp_ne_u32_e64 s11, 0, v5
	v_cndmask_b32_e64 v7, 0, 1, s9
	v_cmp_ne_u32_e64 s9, 0, v4
	v_cmp_ne_u32_e64 s12, 0, v6
	s_bcnt1_i32_b32 s11, s11
	v_cmp_ne_u32_e64 s15, 0, v7
	s_bcnt1_i32_b32 s9, s9
	s_bcnt1_i32_b32 s12, s12
	s_add_i32 s9, s11, s9
	s_bcnt1_i32_b32 s15, s15
	s_add_i32 s9, s9, s12
	s_add_i32 s9, s9, s15
	s_add_u32 s72, s72, s9
	s_addc_u32 s73, s73, 0
	s_and_b32 s6, s6, s13
	v_mov_b32_e32 v8, s72
	v_cndmask_b32_e64 v4, 0, 1, s6
	s_and_b32 s6, s14, s17
	v_mov_b32_e32 v9, s73
	v_cndmask_b32_e64 v5, 0, 1, s6
	s_and_b32 s6, s18, s22
	v_cndmask_b32_e64 v6, 0, 1, s6
	s_and_b32 s6, s23, s26
	v_cmp_ne_u32_e64 s9, 0, v5
	v_cndmask_b32_e64 v7, 0, 1, s6
	v_cmp_ne_u32_e64 s6, 0, v4
	v_cmp_ne_u32_e64 s11, 0, v6
	v_mov_b32_e32 v4, s76
	s_bcnt1_i32_b32 s9, s9
	v_cmp_ne_u32_e64 s12, 0, v7
	s_bcnt1_i32_b32 s6, s6
	s_bcnt1_i32_b32 s11, s11
	s_add_i32 s6, s9, s6
	v_mov_b32_e32 v6, s74
	s_bcnt1_i32_b32 s9, s12
	s_add_i32 s6, s6, s11
	v_mov_b32_e32 v5, s77
	s_add_i32 s6, s6, s9
	v_mov_b32_e32 v7, s75
	s_add_u32 s70, s70, s6
	s_addc_u32 s71, s71, 0
	v_mov_b32_e32 v10, s70
	v_mov_b32_e32 v11, s71
	s_or_b32 s60, vcc_lo, s60
	s_andn2_b32 exec_lo, exec_lo, s60
	s_cbranch_execnz .LBB135_59
; %bb.60:                               ;   in Loop: Header=BB135_12 Depth=1
	s_or_b32 exec_lo, exec_lo, s60
.LBB135_61:                             ;   in Loop: Header=BB135_12 Depth=1
	s_or_b32 exec_lo, exec_lo, s57
	v_add_co_u32 v21, s6, s68, v0
	v_and_b32_e32 v2, 0xffff, v2
	v_add_co_ci_u32_e64 v22, null, s69, 0, s6
	s_mov_b32 s12, exec_lo
	v_cmpx_gt_u64_e64 s[36:37], v[21:22]
	s_cbranch_execz .LBB135_67
; %bb.62:                               ;   in Loop: Header=BB135_12 Depth=1
	v_mad_u64_u32 v[32:33], null, v21, s30, s[28:29]
	v_mul_lo_u32 v34, v21, s31
	v_mul_lo_u32 v35, v22, s30
	s_mov_b32 s13, 0
	v_add3_u32 v33, v35, v33, v34
	global_load_ubyte v33, v[32:33], off
	s_branch .LBB135_64
.LBB135_63:                             ;   in Loop: Header=BB135_64 Depth=2
	s_or_b32 exec_lo, exec_lo, s9
	s_waitcnt vmcnt(0)
	v_add_nc_u32_sdwa v33, sext(v33), v28 dst_sel:DWORD dst_unused:UNUSED_PAD src0_sel:BYTE_0 src1_sel:DWORD
	s_and_b32 s11, exec_lo, vcc_lo
	s_or_b32 s13, s11, s13
	v_and_b32_e32 v34, v33, v30
	v_bfe_u32 v33, v33, s93, 2
	v_cmp_eq_u32_e64 s6, v34, v26
	v_cmp_eq_u32_e64 s9, 0, v33
	v_cmp_eq_u32_e32 vcc_lo, 1, v33
	v_cmp_eq_u32_e64 s11, 2, v33
	s_and_b32 s9, s6, s9
	v_cndmask_b32_e64 v34, 0, 1, s9
	s_and_b32 s9, s6, vcc_lo
	v_cmp_eq_u32_e32 vcc_lo, 3, v33
	v_cndmask_b32_e64 v35, 0, 1, s9
	s_and_b32 s9, s6, s11
	v_cndmask_b32_e64 v33, 0, 1, s9
	v_cmp_ne_u32_e64 s9, 0, v34
	v_cmp_ne_u32_e64 s11, 0, v35
	s_and_b32 s6, s6, vcc_lo
	v_cndmask_b32_e64 v34, 0, 1, s6
	s_bcnt1_i32_b32 s6, s9
	v_cmp_ne_u32_e32 vcc_lo, 0, v33
	s_bcnt1_i32_b32 s9, s11
	v_add_co_u32 v4, s6, v4, s6
	v_add_co_ci_u32_e64 v5, null, 0, v5, s6
	v_add_co_u32 v6, s6, v6, s9
	v_add_co_ci_u32_e64 v7, null, 0, v7, s6
	s_bcnt1_i32_b32 s6, vcc_lo
	v_cmp_ne_u32_e32 vcc_lo, 0, v34
	v_add_co_u32 v8, s6, v8, s6
	v_add_co_ci_u32_e64 v9, null, 0, v9, s6
	s_bcnt1_i32_b32 s6, vcc_lo
	v_mov_b32_e32 v33, v32
	v_add_co_u32 v10, vcc_lo, v10, s6
	v_add_co_ci_u32_e64 v11, null, 0, v11, vcc_lo
	s_andn2_b32 exec_lo, exec_lo, s13
	s_cbranch_execz .LBB135_66
.LBB135_64:                             ;   Parent Loop BB135_12 Depth=1
                                        ; =>  This Inner Loop Header: Depth=2
	v_add_co_u32 v21, vcc_lo, v21, v2
	v_add_co_ci_u32_e64 v22, null, 0, v22, vcc_lo
	v_mov_b32_e32 v32, 0
	s_mov_b32 s9, exec_lo
	v_cmp_le_u64_e32 vcc_lo, s[36:37], v[21:22]
	v_cmpx_gt_u64_e64 s[36:37], v[21:22]
	s_cbranch_execz .LBB135_63
; %bb.65:                               ;   in Loop: Header=BB135_64 Depth=2
	v_mad_u64_u32 v[34:35], null, v21, s30, s[28:29]
	v_mul_lo_u32 v32, v21, s31
	v_mul_lo_u32 v36, v22, s30
	v_add3_u32 v35, v36, v35, v32
	global_load_ubyte v32, v[34:35], off
	s_branch .LBB135_63
.LBB135_66:                             ;   in Loop: Header=BB135_12 Depth=1
	s_or_b32 exec_lo, exec_lo, s13
.LBB135_67:                             ;   in Loop: Header=BB135_12 Depth=1
	s_or_b32 exec_lo, exec_lo, s12
	s_branch .LBB135_46
.LBB135_68:                             ;   in Loop: Header=BB135_12 Depth=1
	global_load_ushort v2, v3, s[64:65]
	v_mov_b32_e32 v6, 0
	v_mov_b32_e32 v8, 0
	;; [unrolled: 1-line block ×6, first 2 shown]
	s_mov_b32 s62, exec_lo
	s_waitcnt vmcnt(0)
	v_readfirstlane_b32 s6, v2
	s_and_b32 s57, 0xffff, s6
	s_lshl_b32 s60, s57, 2
	v_cvt_f32_u32_e32 v4, s60
	s_sub_i32 s9, 0, s60
	v_rcp_iflag_f32_e32 v4, v4
	v_mul_f32_e32 v4, 0x4f7ffffe, v4
	v_cvt_u32_f32_e32 v4, v4
	v_readfirstlane_b32 s6, v4
	v_mov_b32_e32 v4, 0
	v_mov_b32_e32 v5, 0
	s_mul_i32 s9, s9, s6
	s_mul_hi_u32 s9, s6, s9
	s_add_i32 s6, s6, s9
	s_mul_hi_u32 s6, s66, s6
	s_mul_i32 s9, s6, s60
	s_add_i32 s11, s6, 1
	s_sub_i32 s9, s66, s9
	s_sub_i32 s12, s9, s60
	s_cmp_ge_u32 s9, s60
	s_cselect_b32 s6, s11, s6
	s_cselect_b32 s9, s12, s9
	s_add_i32 s11, s6, 1
	s_cmp_ge_u32 s9, s60
	s_cselect_b32 s6, s11, s6
	s_mul_hi_u32 s69, s57, s6
	s_mul_i32 s68, s57, s6
	s_lshl_b64 s[70:71], s[68:69], 2
	v_cmpx_gt_u64_e64 s[70:71], v[14:15]
	s_cbranch_execz .LBB135_72
; %bb.69:                               ;   in Loop: Header=BB135_12 Depth=1
	v_mov_b32_e32 v22, v15
	v_mov_b32_e32 v32, v14
	;; [unrolled: 1-line block ×3, first 2 shown]
	s_mov_b64 s[72:73], 0
	s_mov_b32 s67, 0
	s_mov_b64 s[74:75], 0
	s_mov_b64 s[76:77], 0
	;; [unrolled: 1-line block ×3, first 2 shown]
.LBB135_70:                             ;   Parent Loop BB135_12 Depth=1
                                        ; =>  This Inner Loop Header: Depth=2
	ds_read_b32 v4, v32
	v_add_nc_u32_e32 v32, s60, v32
	s_waitcnt lgkmcnt(0)
	v_add_nc_u32_sdwa v5, sext(v4), v28 dst_sel:DWORD dst_unused:UNUSED_PAD src0_sel:BYTE_0 src1_sel:DWORD
	v_and_b32_e32 v6, v5, v30
	v_bfe_u32 v5, v5, s93, 2
	v_cmp_eq_u32_e32 vcc_lo, v6, v26
	v_add_nc_u32_sdwa v6, sext(v4), v28 dst_sel:DWORD dst_unused:UNUSED_PAD src0_sel:BYTE_1 src1_sel:DWORD
	v_cmp_eq_u32_e64 s12, 0, v5
	v_cmp_eq_u32_e64 s13, 1, v5
	v_cmp_eq_u32_e64 s14, 2, v5
	v_cmp_eq_u32_e64 s15, 3, v5
	v_and_b32_e32 v7, v6, v30
	v_bfe_u32 v5, v6, s93, 2
	s_and_b32 s12, vcc_lo, s12
	v_cmp_eq_u32_e64 s6, v7, v26
	v_add_nc_u32_sdwa v7, sext(v4), v28 dst_sel:DWORD dst_unused:UNUSED_PAD src0_sel:BYTE_2 src1_sel:DWORD
	v_add_nc_u32_sdwa v4, sext(v4), v28 dst_sel:DWORD dst_unused:UNUSED_PAD src0_sel:BYTE_3 src1_sel:DWORD
	v_cmp_eq_u32_e64 s16, 0, v5
	v_cmp_eq_u32_e64 s17, 1, v5
	;; [unrolled: 1-line block ×3, first 2 shown]
	v_and_b32_e32 v8, v7, v30
	v_cmp_eq_u32_e64 s19, 3, v5
	v_bfe_u32 v5, v7, s93, 2
	s_and_b32 s16, s6, s16
	v_cmp_eq_u32_e64 s9, v8, v26
	v_and_b32_e32 v8, v4, v30
	v_bfe_u32 v4, v4, s93, 2
	v_cmp_eq_u32_e64 s20, 0, v5
	v_cmp_eq_u32_e64 s21, 1, v5
	;; [unrolled: 1-line block ×8, first 2 shown]
	v_cndmask_b32_e64 v4, 0, 1, s12
	s_and_b32 s20, s9, s20
	s_and_b32 s24, s11, s24
	v_cmp_eq_u32_e64 s23, 3, v5
	v_cmp_ne_u32_e64 s12, 0, v4
	v_cndmask_b32_e64 v4, 0, 1, s16
	s_bcnt1_i32_b32 s12, s12
	v_cmp_ne_u32_e64 s16, 0, v4
	v_cndmask_b32_e64 v4, 0, 1, s20
	s_bcnt1_i32_b32 s16, s16
	v_cmp_ne_u32_e64 s20, 0, v4
	v_cndmask_b32_e64 v4, 0, 1, s24
	s_add_i32 s12, s16, s12
	s_bcnt1_i32_b32 s20, s20
	v_cmp_ne_u32_e64 s24, 0, v4
	s_add_i32 s12, s12, s20
	s_bcnt1_i32_b32 s24, s24
	s_add_i32 s12, s12, s24
	s_add_u32 s78, s78, s12
	s_addc_u32 s79, s79, 0
	s_and_b32 s12, vcc_lo, s13
	s_and_b32 s13, s6, s17
	v_cndmask_b32_e64 v4, 0, 1, s12
	s_and_b32 s16, s9, s21
	s_and_b32 s17, s11, s25
	v_cmp_ne_u32_e64 s12, 0, v4
	v_cndmask_b32_e64 v4, 0, 1, s13
	s_bcnt1_i32_b32 s12, s12
	v_cmp_ne_u32_e64 s13, 0, v4
	v_cndmask_b32_e64 v4, 0, 1, s16
	s_bcnt1_i32_b32 s13, s13
	v_cmp_ne_u32_e64 s16, 0, v4
	v_cndmask_b32_e64 v4, 0, 1, s17
	s_add_i32 s12, s13, s12
	s_bcnt1_i32_b32 s16, s16
	v_cmp_ne_u32_e64 s17, 0, v4
	s_add_i32 s12, s12, s16
	s_bcnt1_i32_b32 s17, s17
	s_add_i32 s12, s12, s17
	s_add_u32 s76, s76, s12
	s_addc_u32 s77, s77, 0
	s_and_b32 s12, vcc_lo, s14
	s_and_b32 s13, s6, s18
	v_cndmask_b32_e64 v4, 0, 1, s12
	s_and_b32 s14, s9, s22
	s_and_b32 s16, s11, s26
	v_mov_b32_e32 v6, s76
	v_mov_b32_e32 v7, s77
	v_cmp_ne_u32_e64 s12, 0, v4
	v_cndmask_b32_e64 v4, 0, 1, s13
	s_bcnt1_i32_b32 s12, s12
	v_cmp_ne_u32_e64 s13, 0, v4
	v_cndmask_b32_e64 v4, 0, 1, s14
	s_bcnt1_i32_b32 s13, s13
	v_cmp_ne_u32_e64 s14, 0, v4
	v_cndmask_b32_e64 v4, 0, 1, s16
	s_add_i32 s12, s13, s12
	s_bcnt1_i32_b32 s14, s14
	v_cmp_ne_u32_e64 s16, 0, v4
	s_add_i32 s12, s12, s14
	s_bcnt1_i32_b32 s16, s16
	s_add_i32 s12, s12, s16
	s_add_u32 s74, s74, s12
	s_addc_u32 s75, s75, 0
	s_and_b32 s12, vcc_lo, s15
	s_and_b32 s6, s6, s19
	v_cndmask_b32_e64 v4, 0, 1, s12
	s_and_b32 s9, s9, s23
	s_and_b32 s11, s11, s27
	v_add_co_u32 v21, s12, v21, s60
	v_cmp_ne_u32_e32 vcc_lo, 0, v4
	v_cndmask_b32_e64 v4, 0, 1, s6
	v_add_co_ci_u32_e64 v22, null, 0, v22, s12
	v_mov_b32_e32 v8, s74
	s_bcnt1_i32_b32 s13, vcc_lo
	v_cmp_ne_u32_e64 s6, 0, v4
	v_cndmask_b32_e64 v4, 0, 1, s9
	v_cmp_le_u64_e64 s12, s[70:71], v[21:22]
	v_mov_b32_e32 v9, s75
	s_bcnt1_i32_b32 s6, s6
	v_cmp_ne_u32_e64 s9, 0, v4
	v_cndmask_b32_e64 v4, 0, 1, s11
	s_add_i32 s6, s6, s13
	s_bcnt1_i32_b32 s9, s9
	v_cmp_ne_u32_e64 s11, 0, v4
	s_add_i32 s6, s6, s9
	v_mov_b32_e32 v4, s78
	v_mov_b32_e32 v5, s79
	s_bcnt1_i32_b32 s11, s11
	s_add_i32 s6, s6, s11
	s_add_u32 s72, s72, s6
	s_addc_u32 s73, s73, 0
	v_mov_b32_e32 v10, s72
	v_mov_b32_e32 v11, s73
	s_or_b32 s67, s12, s67
	s_andn2_b32 exec_lo, exec_lo, s67
	s_cbranch_execnz .LBB135_70
; %bb.71:                               ;   in Loop: Header=BB135_12 Depth=1
	s_or_b32 exec_lo, exec_lo, s67
.LBB135_72:                             ;   in Loop: Header=BB135_12 Depth=1
	s_or_b32 exec_lo, exec_lo, s62
	v_add_co_u32 v21, s6, s70, v0
	v_and_b32_e32 v2, 0xffff, v2
	v_add_co_ci_u32_e64 v22, null, s71, 0, s6
	s_and_b32 s60, s66, 0x7fffffff
	s_mov_b32 s14, exec_lo
	v_cmpx_gt_u64_e64 s[60:61], v[21:22]
	s_cbranch_execz .LBB135_76
; %bb.73:                               ;   in Loop: Header=BB135_12 Depth=1
	v_lshl_add_u32 v32, s68, 2, v0
	s_mov_b32 s15, 0
.LBB135_74:                             ;   Parent Loop BB135_12 Depth=1
                                        ; =>  This Inner Loop Header: Depth=2
	ds_read_i8 v33, v32
	v_add_co_u32 v21, vcc_lo, v21, v2
	v_add_co_ci_u32_e64 v22, null, 0, v22, vcc_lo
	v_add_nc_u32_e32 v32, s57, v32
	v_cmp_le_u64_e32 vcc_lo, s[60:61], v[21:22]
	s_waitcnt lgkmcnt(0)
	v_add_nc_u32_e32 v33, 0x80, v33
	v_and_b32_e32 v34, v33, v30
	v_bfe_u32 v33, v33, s93, 2
	v_cmp_eq_u32_e64 s6, v34, v26
	v_cmp_eq_u32_e64 s9, 0, v33
	;; [unrolled: 1-line block ×5, first 2 shown]
	s_and_b32 s9, s6, s9
	v_cndmask_b32_e64 v33, 0, 1, s9
	s_and_b32 s9, s6, s11
	v_cndmask_b32_e64 v34, 0, 1, s9
	s_and_b32 s9, s6, s12
	s_and_b32 s6, s6, s13
	v_cndmask_b32_e64 v35, 0, 1, s9
	v_cndmask_b32_e64 v36, 0, 1, s6
	v_cmp_ne_u32_e64 s6, 0, v33
	v_cmp_ne_u32_e64 s9, 0, v34
	v_cmp_ne_u32_e64 s11, 0, v35
	v_cmp_ne_u32_e64 s12, 0, v36
	s_bcnt1_i32_b32 s6, s6
	s_bcnt1_i32_b32 s9, s9
	v_add_co_u32 v4, s6, v4, s6
	s_bcnt1_i32_b32 s11, s11
	v_add_co_ci_u32_e64 v5, null, 0, v5, s6
	v_add_co_u32 v6, s6, v6, s9
	s_bcnt1_i32_b32 s12, s12
	v_add_co_ci_u32_e64 v7, null, 0, v7, s6
	v_add_co_u32 v8, s6, v8, s11
	v_add_co_ci_u32_e64 v9, null, 0, v9, s6
	v_add_co_u32 v10, s6, v10, s12
	v_add_co_ci_u32_e64 v11, null, 0, v11, s6
	s_or_b32 s15, vcc_lo, s15
	s_andn2_b32 exec_lo, exec_lo, s15
	s_cbranch_execnz .LBB135_74
; %bb.75:                               ;   in Loop: Header=BB135_12 Depth=1
	s_or_b32 exec_lo, exec_lo, s15
.LBB135_76:                             ;   in Loop: Header=BB135_12 Depth=1
	s_or_b32 exec_lo, exec_lo, s14
	s_lshl_b32 s6, s97, 7
	s_and_saveexec_b32 s9, s0
	s_cbranch_execnz .LBB135_47
	s_branch .LBB135_48
.LBB135_77:                             ;   in Loop: Header=BB135_12 Depth=1
                                        ; implicit-def: $sgpr12_sgpr13
	s_branch .LBB135_56
.LBB135_78:                             ;   in Loop: Header=BB135_12 Depth=1
	s_mov_b32 s11, 0
	s_andn2_b32 vcc_lo, exec_lo, s95
	s_cbranch_vccnz .LBB135_81
.LBB135_79:                             ;   in Loop: Header=BB135_12 Depth=1
	s_lshl_b32 s12, s97, 10
	s_lshl_b32 s11, s11, 5
	v_add3_u32 v2, s12, s11, v27
	s_mov_b32 s11, s91
.LBB135_80:                             ;   Parent Loop BB135_12 Depth=1
                                        ; =>  This Inner Loop Header: Depth=2
	ds_read_b64 v[6:7], v2
	v_add_nc_u32_e32 v2, 32, v2
	s_add_i32 s11, s11, -1
	s_cmp_lg_u32 s11, 0
	s_waitcnt lgkmcnt(0)
	v_add_co_u32 v4, vcc_lo, v6, v4
	v_add_co_ci_u32_e64 v5, null, v7, v5, vcc_lo
	s_cbranch_scc1 .LBB135_80
.LBB135_81:                             ;   in Loop: Header=BB135_12 Depth=1
	v_add_lshl_u32 v2, s6, v24, 3
	ds_write_b64 v2, v[4:5] offset:3072
.LBB135_82:                             ;   in Loop: Header=BB135_12 Depth=1
	s_or_b32 exec_lo, exec_lo, s9
	s_lshl_b32 s6, s6, 3
	s_waitcnt lgkmcnt(0)
	v_mov_b32_e32 v2, s6
	s_barrier
	buffer_gl0_inv
	v_cmp_eq_u64_e64 s9, 1, v[19:20]
	s_lshl_b32 s11, 3, s93
	ds_read_b128 v[4:7], v2 offset:3072
	ds_read_b128 v[8:11], v2 offset:3088
	s_mov_b32 s69, -1
	s_not_b32 s26, s11
	s_mov_b32 s27, 0
	s_andn2_b32 vcc_lo, exec_lo, s35
	s_mov_b32 s66, 0
	s_mov_b32 s57, 0
                                        ; implicit-def: $sgpr67
                                        ; implicit-def: $sgpr68
                                        ; implicit-def: $vgpr2
	s_waitcnt lgkmcnt(1)
	v_readfirstlane_b32 s13, v5
	v_readfirstlane_b32 s12, v4
	;; [unrolled: 1-line block ×4, first 2 shown]
	s_waitcnt lgkmcnt(0)
	v_readfirstlane_b32 s17, v9
	v_readfirstlane_b32 s16, v8
	;; [unrolled: 1-line block ×4, first 2 shown]
                                        ; implicit-def: $vgpr4_vgpr5
                                        ; implicit-def: $vgpr8
                                        ; implicit-def: $vgpr9
                                        ; implicit-def: $vgpr10
	s_cbranch_vccnz .LBB135_277
; %bb.83:                               ;   in Loop: Header=BB135_12 Depth=1
	s_cmp_eq_u64 s[12:13], 1
	v_mov_b32_e32 v8, v26
	v_mov_b32_e32 v9, v30
	;; [unrolled: 1-line block ×3, first 2 shown]
	s_cselect_b32 s6, -1, 0
	s_mov_b32 s20, -1
	s_and_b32 s6, s6, s9
                                        ; implicit-def: $sgpr68
                                        ; implicit-def: $sgpr67
	s_and_saveexec_b32 s57, s6
	s_cbranch_execz .LBB135_118
; %bb.84:                               ;   in Loop: Header=BB135_12 Depth=1
	ds_read_b64 v[4:5], v3 offset:5120
	s_waitcnt lgkmcnt(0)
	s_barrier
	buffer_gl0_inv
	v_readfirstlane_b32 s20, v4
	v_readfirstlane_b32 s21, v5
	s_and_saveexec_b32 s22, s10
; %bb.85:                               ;   in Loop: Header=BB135_12 Depth=1
	ds_write_b8 v0, v3 offset:3072
; %bb.86:                               ;   in Loop: Header=BB135_12 Depth=1
	s_or_b32 exec_lo, exec_lo, s22
	v_and_b32_e32 v8, s26, v26
	v_or_b32_e32 v9, s11, v30
	s_mov_b32 s67, -1
	s_mov_b32 s68, 0
	s_cmp_eq_u64 s[20:21], 0
	s_mov_b32 s24, 0
	s_mov_b32 s25, -1
	s_waitcnt lgkmcnt(0)
	s_barrier
	buffer_gl0_inv
                                        ; implicit-def: $vgpr10
	s_cbranch_scc1 .LBB135_103
; %bb.87:                               ;   in Loop: Header=BB135_12 Depth=1
	s_add_u32 s58, s20, s82
	s_addc_u32 s23, s21, s83
	s_mov_b32 s22, s61
	s_cmp_lg_u64 s[22:23], 0
	s_cbranch_scc0 .LBB135_144
; %bb.88:                               ;   in Loop: Header=BB135_12 Depth=1
	v_cvt_f32_u32_e32 v2, s33
	s_sub_u32 s24, 0, s33
	s_subb_u32 s25, 0, 0
	v_fmac_f32_e64 v2, 0x4f800000, 0
	v_rcp_f32_e32 v2, v2
	v_mul_f32_e32 v2, 0x5f7ffffc, v2
	v_mul_f32_e32 v4, 0x2f800000, v2
	v_trunc_f32_e32 v4, v4
	v_fmac_f32_e32 v2, 0xcf800000, v4
	v_cvt_u32_f32_e32 v4, v4
	v_cvt_u32_f32_e32 v2, v2
	v_readfirstlane_b32 s8, v4
	v_readfirstlane_b32 s22, v2
	s_mul_i32 s40, s24, s8
	s_mul_hi_u32 s42, s24, s22
	s_mul_i32 s41, s25, s22
	s_add_i32 s40, s42, s40
	s_mul_i32 s43, s24, s22
	s_add_i32 s40, s40, s41
	s_mul_hi_u32 s42, s22, s43
	s_mul_i32 s60, s22, s40
	s_mul_hi_u32 s59, s8, s43
	s_mul_i32 s41, s8, s43
	s_mul_hi_u32 s43, s22, s40
	s_add_u32 s42, s42, s60
	s_addc_u32 s43, 0, s43
	s_mul_hi_u32 s62, s8, s40
	s_add_u32 s41, s42, s41
	s_mul_i32 s40, s8, s40
	s_addc_u32 s41, s43, s59
	s_addc_u32 s42, s62, 0
	s_add_u32 s40, s41, s40
	s_addc_u32 s41, 0, s42
	s_add_u32 s22, s22, s40
	s_cselect_b32 s40, -1, 0
	s_mul_hi_u32 s42, s24, s22
	s_cmp_lg_u32 s40, 0
	s_mul_i32 s40, s24, s22
	s_addc_u32 s8, s8, s41
	s_mul_i32 s25, s25, s22
	s_mul_i32 s24, s24, s8
	s_mul_hi_u32 s41, s22, s40
	s_add_i32 s24, s42, s24
	s_mul_hi_u32 s42, s8, s40
	s_add_i32 s24, s24, s25
	s_mul_i32 s25, s8, s40
	s_mul_i32 s59, s22, s24
	s_mul_hi_u32 s43, s22, s24
	s_add_u32 s41, s41, s59
	s_addc_u32 s43, 0, s43
	s_mul_hi_u32 s40, s8, s24
	s_add_u32 s25, s41, s25
	s_mul_i32 s24, s8, s24
	s_addc_u32 s25, s43, s42
	s_addc_u32 s40, s40, 0
	s_add_u32 s24, s25, s24
	s_addc_u32 s25, 0, s40
	s_add_u32 s22, s22, s24
	s_cselect_b32 s24, -1, 0
	s_mul_hi_u32 s40, s58, s22
	s_cmp_lg_u32 s24, 0
	s_mul_hi_u32 s24, s23, s22
	s_addc_u32 s8, s8, s25
	s_mul_i32 s22, s23, s22
	s_mul_i32 s41, s58, s8
	s_mul_hi_u32 s25, s58, s8
	s_add_u32 s40, s40, s41
	s_addc_u32 s25, 0, s25
	s_mul_hi_u32 s42, s23, s8
	s_add_u32 s22, s40, s22
	s_mul_i32 s8, s23, s8
	s_addc_u32 s22, s25, s24
	s_addc_u32 s24, s42, 0
	s_add_u32 s8, s22, s8
	s_addc_u32 s22, 0, s24
	s_mul_hi_u32 s24, s33, s8
	s_mul_i32 s22, s33, s22
	s_mul_i32 s8, s33, s8
	s_add_i32 s24, s24, s22
	s_sub_u32 s8, s58, s8
	s_cselect_b32 s22, -1, 0
	s_cmp_lg_u32 s22, 0
	s_subb_u32 s22, s23, s24
	s_sub_u32 s24, s8, s33
	s_cselect_b32 s25, -1, 0
	s_cmp_lg_u32 s25, 0
	s_subb_u32 s25, s22, 0
	;; [unrolled: 4-line block ×3, first 2 shown]
	s_cmp_ge_u32 s24, s33
	s_cselect_b32 s42, -1, 0
	s_cmp_eq_u32 s25, 0
	s_cselect_b32 s42, s42, -1
	s_cmp_lg_u32 s42, 0
	s_cselect_b32 s25, s41, s25
	s_cselect_b32 s24, s40, s24
	s_cmp_ge_u32 s8, s33
	s_cselect_b32 s40, -1, 0
	s_cmp_eq_u32 s22, 0
	s_cselect_b32 s40, s40, -1
	s_cmp_lg_u32 s40, 0
	s_cselect_b32 s25, s25, s22
	s_cselect_b32 s24, s24, s8
	s_cbranch_execnz .LBB135_90
.LBB135_89:                             ;   in Loop: Header=BB135_12 Depth=1
	v_cvt_f32_u32_e32 v2, s33
	s_sub_i32 s22, 0, s33
	v_rcp_iflag_f32_e32 v2, v2
	v_mul_f32_e32 v2, 0x4f7ffffe, v2
	v_cvt_u32_f32_e32 v2, v2
	v_readfirstlane_b32 s8, v2
	s_mul_i32 s22, s22, s8
	s_mul_hi_u32 s22, s8, s22
	s_add_i32 s8, s8, s22
	s_mul_hi_u32 s8, s58, s8
	s_mul_i32 s8, s8, s33
	s_sub_i32 s8, s58, s8
	s_sub_i32 s22, s8, s33
	s_cmp_ge_u32 s8, s33
	s_cselect_b32 s8, s22, s8
	s_sub_i32 s22, s8, s33
	s_cmp_ge_u32 s8, s33
	s_cselect_b32 s60, s22, s8
	s_mov_b64 s[24:25], s[60:61]
.LBB135_90:                             ;   in Loop: Header=BB135_12 Depth=1
	s_sub_u32 s22, s58, s24
	s_subb_u32 s23, s23, s25
	s_mov_b32 s25, 0
	s_mov_b32 s24, 0
	s_mov_b32 s58, exec_lo
                                        ; implicit-def: $vgpr10
	v_cmpx_gt_u64_e64 s[22:23], v[0:1]
	s_cbranch_execz .LBB135_102
; %bb.91:                               ;   in Loop: Header=BB135_12 Depth=1
	v_mov_b32_e32 v5, v1
	v_mov_b32_e32 v2, v0
	;; [unrolled: 1-line block ×3, first 2 shown]
                                        ; implicit-def: $sgpr59
	s_inst_prefetch 0x1
	s_branch .LBB135_94
	.p2align	6
.LBB135_92:                             ;   in Loop: Header=BB135_94 Depth=2
	s_or_b32 exec_lo, exec_lo, s60
	s_waitcnt lgkmcnt(0)
	s_barrier
	buffer_gl0_inv
	ds_read_u16 v6, v3 offset:3072
	s_mov_b32 s60, -1
	s_mov_b32 s62, -1
	s_waitcnt lgkmcnt(0)
	s_barrier
	buffer_gl0_inv
	v_cmp_ne_u32_sdwa s8, v6, v3 src0_sel:BYTE_0 src1_sel:DWORD
	s_and_b32 vcc_lo, exec_lo, s8
	s_cbranch_vccz .LBB135_97
.LBB135_93:                             ;   in Loop: Header=BB135_94 Depth=2
	s_and_b32 s8, exec_lo, s60
	s_or_b32 s24, s8, s24
	s_andn2_b32 s8, s59, exec_lo
	s_and_b32 s40, s62, exec_lo
	s_or_b32 s59, s8, s40
	s_andn2_b32 exec_lo, exec_lo, s24
	s_cbranch_execz .LBB135_101
.LBB135_94:                             ;   Parent Loop BB135_12 Depth=1
                                        ; =>  This Inner Loop Header: Depth=2
	s_mov_b32 s60, exec_lo
	v_cmpx_gt_u64_e64 s[20:21], v[4:5]
	s_cbranch_execz .LBB135_92
; %bb.95:                               ;   in Loop: Header=BB135_94 Depth=2
	ds_read_u8 v6, v2
	s_waitcnt lgkmcnt(0)
	v_add_nc_u32_sdwa v7, sext(v6), v28 dst_sel:DWORD dst_unused:UNUSED_PAD src0_sel:BYTE_0 src1_sel:DWORD
	v_and_b32_e32 v7, v7, v9
	v_cmp_eq_u32_e32 vcc_lo, v7, v8
	s_and_b32 exec_lo, exec_lo, vcc_lo
	s_cbranch_execz .LBB135_92
; %bb.96:                               ;   in Loop: Header=BB135_94 Depth=2
	v_lshlrev_b16 v6, 8, v6
	v_or_b32_e32 v6, 1, v6
	ds_write_b16 v3, v6 offset:3072
	s_branch .LBB135_92
.LBB135_97:                             ;   in Loop: Header=BB135_94 Depth=2
	v_add_co_u32 v4, vcc_lo, v4, s33
	v_add_co_ci_u32_e64 v5, null, 0, v5, vcc_lo
	v_add_nc_u32_e32 v2, s33, v2
	s_mov_b32 s62, 0
	v_cmp_le_u64_e32 vcc_lo, s[22:23], v[4:5]
	s_orn2_b32 s60, vcc_lo, exec_lo
	s_branch .LBB135_93
.LBB135_98:                             ;   in Loop: Header=BB135_12 Depth=1
	s_or_b32 exec_lo, exec_lo, s12
	s_waitcnt lgkmcnt(0)
	s_barrier
	buffer_gl0_inv
	s_and_saveexec_b32 s6, s3
	s_cbranch_execz .LBB135_100
; %bb.99:                               ;   in Loop: Header=BB135_12 Depth=1
	ds_read_b32 v4, v3 offset:5144
	s_waitcnt lgkmcnt(0)
	v_ashrrev_i32_e32 v5, 31, v4
	ds_write_b64 v3, v[4:5] offset:5120
.LBB135_100:                            ;   in Loop: Header=BB135_12 Depth=1
	s_or_b32 exec_lo, exec_lo, s6
	s_waitcnt lgkmcnt(0)
	s_mov_b32 s6, -1
	s_barrier
	s_and_b32 vcc_lo, exec_lo, s11
	s_cbranch_vccnz .LBB135_27
	s_branch .LBB135_42
.LBB135_101:                            ;   in Loop: Header=BB135_12 Depth=1
	s_inst_prefetch 0x2
	s_or_b32 exec_lo, exec_lo, s24
	v_lshrrev_b32_sdwa v10, v29, v6 dst_sel:DWORD dst_unused:UNUSED_PAD src0_sel:DWORD src1_sel:WORD_0
	s_and_b32 s24, s59, exec_lo
.LBB135_102:                            ;   in Loop: Header=BB135_12 Depth=1
	s_or_b32 exec_lo, exec_lo, s58
.LBB135_103:                            ;   in Loop: Header=BB135_12 Depth=1
	s_and_b32 vcc_lo, exec_lo, s25
	s_cbranch_vccz .LBB135_117
; %bb.104:                              ;   in Loop: Header=BB135_12 Depth=1
	s_mov_b32 s62, s61
	s_cmp_lg_u64 s[62:63], 0
	s_cbranch_scc0 .LBB135_145
; %bb.105:                              ;   in Loop: Header=BB135_12 Depth=1
	v_cvt_f32_u32_e32 v2, s33
	s_sub_u32 s21, 0, s33
	s_subb_u32 s22, 0, 0
	v_fmac_f32_e64 v2, 0x4f800000, 0
	v_rcp_f32_e32 v2, v2
	v_mul_f32_e32 v2, 0x5f7ffffc, v2
	v_mul_f32_e32 v4, 0x2f800000, v2
	v_trunc_f32_e32 v4, v4
	v_fmac_f32_e32 v2, 0xcf800000, v4
	v_cvt_u32_f32_e32 v4, v4
	v_cvt_u32_f32_e32 v2, v2
	v_readfirstlane_b32 s8, v4
	v_readfirstlane_b32 s20, v2
	s_mul_i32 s23, s21, s8
	s_mul_hi_u32 s40, s21, s20
	s_mul_i32 s25, s22, s20
	s_add_i32 s23, s40, s23
	s_mul_i32 s41, s21, s20
	s_add_i32 s23, s23, s25
	s_mul_hi_u32 s40, s20, s41
	s_mul_i32 s43, s20, s23
	s_mul_hi_u32 s42, s8, s41
	s_mul_i32 s25, s8, s41
	s_mul_hi_u32 s41, s20, s23
	s_add_u32 s40, s40, s43
	s_addc_u32 s41, 0, s41
	s_mul_hi_u32 s58, s8, s23
	s_add_u32 s25, s40, s25
	s_mul_i32 s23, s8, s23
	s_addc_u32 s25, s41, s42
	s_addc_u32 s40, s58, 0
	s_add_u32 s23, s25, s23
	s_addc_u32 s25, 0, s40
	s_add_u32 s20, s20, s23
	s_cselect_b32 s23, -1, 0
	s_mul_hi_u32 s40, s21, s20
	s_cmp_lg_u32 s23, 0
	s_mul_i32 s23, s21, s20
	s_addc_u32 s8, s8, s25
	s_mul_i32 s22, s22, s20
	s_mul_i32 s21, s21, s8
	s_mul_hi_u32 s25, s20, s23
	s_add_i32 s21, s40, s21
	s_mul_hi_u32 s40, s8, s23
	s_add_i32 s21, s21, s22
	s_mul_i32 s22, s8, s23
	s_mul_i32 s42, s20, s21
	s_mul_hi_u32 s41, s20, s21
	s_add_u32 s25, s25, s42
	s_addc_u32 s41, 0, s41
	s_mul_hi_u32 s23, s8, s21
	s_add_u32 s22, s25, s22
	s_mul_i32 s21, s8, s21
	s_addc_u32 s22, s41, s40
	s_addc_u32 s23, s23, 0
	s_add_u32 s21, s22, s21
	s_addc_u32 s22, 0, s23
	s_add_u32 s20, s20, s21
	s_cselect_b32 s21, -1, 0
	s_mul_hi_u32 s23, s84, s20
	s_cmp_lg_u32 s21, 0
	s_mul_hi_u32 s21, s63, s20
	s_addc_u32 s8, s8, s22
	s_mul_i32 s20, s63, s20
	s_mul_i32 s25, s84, s8
	s_mul_hi_u32 s22, s84, s8
	s_add_u32 s23, s23, s25
	s_addc_u32 s22, 0, s22
	s_mul_hi_u32 s40, s63, s8
	s_add_u32 s20, s23, s20
	s_mul_i32 s8, s63, s8
	s_addc_u32 s20, s22, s21
	s_addc_u32 s21, s40, 0
	s_add_u32 s8, s20, s8
	s_addc_u32 s20, 0, s21
	s_mul_hi_u32 s21, s33, s8
	s_mul_i32 s20, s33, s20
	s_mul_i32 s8, s33, s8
	s_add_i32 s21, s21, s20
	s_sub_u32 s8, s84, s8
	s_cselect_b32 s20, -1, 0
	s_cmp_lg_u32 s20, 0
	s_subb_u32 s20, s63, s21
	s_sub_u32 s21, s8, s33
	s_cselect_b32 s22, -1, 0
	s_cmp_lg_u32 s22, 0
	s_subb_u32 s22, s20, 0
	;; [unrolled: 4-line block ×3, first 2 shown]
	s_cmp_ge_u32 s21, s33
	s_cselect_b32 s40, -1, 0
	s_cmp_eq_u32 s22, 0
	s_cselect_b32 s40, s40, -1
	s_cmp_lg_u32 s40, 0
	s_cselect_b32 s22, s25, s22
	s_cselect_b32 s23, s23, s21
	s_cmp_ge_u32 s8, s33
	s_cselect_b32 s21, -1, 0
	s_cmp_eq_u32 s20, 0
	s_cselect_b32 s21, s21, -1
	s_cmp_lg_u32 s21, 0
	s_cselect_b32 s21, s22, s20
	s_cselect_b32 s20, s23, s8
	s_cbranch_execnz .LBB135_107
.LBB135_106:                            ;   in Loop: Header=BB135_12 Depth=1
	v_cvt_f32_u32_e32 v2, s33
	s_sub_i32 s20, 0, s33
	v_rcp_iflag_f32_e32 v2, v2
	v_mul_f32_e32 v2, 0x4f7ffffe, v2
	v_cvt_u32_f32_e32 v2, v2
	v_readfirstlane_b32 s8, v2
	s_mul_i32 s20, s20, s8
	s_mul_hi_u32 s20, s8, s20
	s_add_i32 s8, s8, s20
	s_mul_hi_u32 s8, s84, s8
	s_mul_i32 s8, s8, s33
	s_sub_i32 s8, s84, s8
	s_sub_i32 s20, s8, s33
	s_cmp_ge_u32 s8, s33
	s_cselect_b32 s8, s20, s8
	s_sub_i32 s20, s8, s33
	s_cmp_ge_u32 s8, s33
	s_cselect_b32 s60, s20, s8
	s_mov_b64 s[20:21], s[60:61]
.LBB135_107:                            ;   in Loop: Header=BB135_12 Depth=1
	s_sub_u32 s20, s84, s20
	s_subb_u32 s21, s63, s21
	s_mov_b32 s22, exec_lo
                                        ; implicit-def: $vgpr10
	v_cmpx_gt_u64_e64 s[20:21], v[0:1]
	s_cbranch_execz .LBB135_116
; %bb.108:                              ;   in Loop: Header=BB135_12 Depth=1
	v_mov_b32_e32 v5, v1
	v_mov_b32_e32 v4, v0
	s_mov_b32 s23, 0
                                        ; implicit-def: $sgpr25
	s_branch .LBB135_111
.LBB135_109:                            ;   in Loop: Header=BB135_111 Depth=2
	s_or_b32 exec_lo, exec_lo, s58
	s_waitcnt lgkmcnt(0)
	s_barrier
	buffer_gl0_inv
	ds_read_u16 v2, v3 offset:3072
	s_mov_b32 s41, -1
	s_mov_b32 s40, -1
	s_waitcnt lgkmcnt(0)
	s_barrier
	buffer_gl0_inv
	v_cmp_ne_u32_sdwa s8, v2, v3 src0_sel:BYTE_0 src1_sel:DWORD
	s_and_b32 vcc_lo, exec_lo, s8
	s_cbranch_vccz .LBB135_114
.LBB135_110:                            ;   in Loop: Header=BB135_111 Depth=2
	s_and_b32 s8, exec_lo, s41
	s_or_b32 s23, s8, s23
	s_andn2_b32 s8, s25, exec_lo
	s_and_b32 s25, s40, exec_lo
	s_or_b32 s25, s8, s25
	s_andn2_b32 exec_lo, exec_lo, s23
	s_cbranch_execz .LBB135_115
.LBB135_111:                            ;   Parent Loop BB135_12 Depth=1
                                        ; =>  This Inner Loop Header: Depth=2
	s_mov_b32 s58, exec_lo
	v_cmpx_gt_u64_e64 s[36:37], v[4:5]
	s_cbranch_execz .LBB135_109
; %bb.112:                              ;   in Loop: Header=BB135_111 Depth=2
	v_mad_u64_u32 v[6:7], null, v4, s30, s[28:29]
	v_mul_lo_u32 v2, v4, s31
	v_mul_lo_u32 v10, v5, s30
	v_add3_u32 v7, v10, v7, v2
	global_load_ubyte v2, v[6:7], off
	s_waitcnt vmcnt(0)
	v_add_nc_u32_sdwa v6, sext(v2), v28 dst_sel:DWORD dst_unused:UNUSED_PAD src0_sel:BYTE_0 src1_sel:DWORD
	v_and_b32_e32 v6, v6, v9
	v_cmp_eq_u32_e32 vcc_lo, v6, v8
	s_and_b32 exec_lo, exec_lo, vcc_lo
	s_cbranch_execz .LBB135_109
; %bb.113:                              ;   in Loop: Header=BB135_111 Depth=2
	v_lshlrev_b16 v2, 8, v2
	v_or_b32_e32 v2, 1, v2
	ds_write_b16 v3, v2 offset:3072
	s_branch .LBB135_109
.LBB135_114:                            ;   in Loop: Header=BB135_111 Depth=2
	v_add_co_u32 v4, vcc_lo, v4, s33
	v_add_co_ci_u32_e64 v5, null, 0, v5, vcc_lo
	s_mov_b32 s40, 0
	v_cmp_le_u64_e32 vcc_lo, s[20:21], v[4:5]
	s_orn2_b32 s41, vcc_lo, exec_lo
	s_branch .LBB135_110
.LBB135_115:                            ;   in Loop: Header=BB135_12 Depth=1
	s_or_b32 exec_lo, exec_lo, s23
	v_lshrrev_b32_sdwa v10, v29, v2 dst_sel:DWORD dst_unused:UNUSED_PAD src0_sel:DWORD src1_sel:WORD_0
	s_andn2_b32 s8, s24, exec_lo
	s_and_b32 s20, s25, exec_lo
	s_or_b32 s24, s8, s20
.LBB135_116:                            ;   in Loop: Header=BB135_12 Depth=1
	s_or_b32 exec_lo, exec_lo, s22
	s_mov_b32 s67, 0
	s_mov_b32 s68, -1
.LBB135_117:                            ;   in Loop: Header=BB135_12 Depth=1
	s_orn2_b32 s20, s24, exec_lo
.LBB135_118:                            ;   in Loop: Header=BB135_12 Depth=1
	s_or_b32 exec_lo, exec_lo, s57
	s_mov_b32 s69, 0
	s_mov_b32 s66, 0
	;; [unrolled: 1-line block ×3, first 2 shown]
                                        ; implicit-def: $vgpr4_vgpr5
                                        ; implicit-def: $vgpr2
	s_and_saveexec_b32 s70, s20
	s_cbranch_execz .LBB135_276
; %bb.119:                              ;   in Loop: Header=BB135_12 Depth=1
	v_mov_b32_e32 v4, 1
	v_mov_b32_e32 v5, 0
	v_mov_b32_e32 v2, 1
	s_xor_b32 s8, s6, -1
	s_mov_b32 s21, 0
	s_and_saveexec_b32 s6, s8
	s_cbranch_execz .LBB135_128
; %bb.120:                              ;   in Loop: Header=BB135_12 Depth=1
	s_mov_b32 s8, exec_lo
	v_cmpx_ge_u64_e64 s[12:13], v[19:20]
	s_xor_b32 s20, exec_lo, s8
	s_cbranch_execz .LBB135_125
; %bb.121:                              ;   in Loop: Header=BB135_12 Depth=1
	ds_read_b64 v[4:5], v3 offset:5120
	v_and_b32_e32 v8, s26, v8
	v_or_b32_e32 v9, s11, v9
	s_waitcnt lgkmcnt(0)
	v_cmp_ne_u64_e32 vcc_lo, 0, v[4:5]
	s_cbranch_vccnz .LBB135_125
; %bb.122:                              ;   in Loop: Header=BB135_12 Depth=1
	s_and_saveexec_b32 s21, s3
; %bb.123:                              ;   in Loop: Header=BB135_12 Depth=1
	v_mov_b32_e32 v4, s12
	v_mov_b32_e32 v5, s13
	ds_write_b64 v3, v[4:5] offset:5128
; %bb.124:                              ;   in Loop: Header=BB135_12 Depth=1
	s_or_b32 exec_lo, exec_lo, s21
	s_waitcnt lgkmcnt(0)
	s_barrier
	buffer_gl0_inv
.LBB135_125:                            ;   in Loop: Header=BB135_12 Depth=1
	s_or_saveexec_b32 s20, s20
	v_mov_b32_e32 v4, v19
	v_mov_b32_e32 v2, 8
	;; [unrolled: 1-line block ×3, first 2 shown]
	s_mov_b32 s21, 0
	s_xor_b32 exec_lo, exec_lo, s20
; %bb.126:                              ;   in Loop: Header=BB135_12 Depth=1
	v_sub_co_u32 v4, vcc_lo, v19, s12
	v_subrev_co_ci_u32_e64 v5, null, s13, v20, vcc_lo
	v_mov_b32_e32 v2, 0
	s_mov_b32 s21, exec_lo
; %bb.127:                              ;   in Loop: Header=BB135_12 Depth=1
	s_or_b32 exec_lo, exec_lo, s20
	s_and_b32 s21, s21, exec_lo
.LBB135_128:                            ;   in Loop: Header=BB135_12 Depth=1
	s_or_b32 exec_lo, exec_lo, s6
	s_mov_b32 s20, -1
                                        ; implicit-def: $sgpr57
                                        ; implicit-def: $sgpr66
	s_and_saveexec_b32 s6, s21
	s_xor_b32 s6, exec_lo, s6
	s_cbranch_execz .LBB135_273
; %bb.129:                              ;   in Loop: Header=BB135_12 Depth=1
	v_cmp_eq_u64_e32 vcc_lo, 1, v[4:5]
	s_cmp_eq_u64 s[14:15], 1
                                        ; implicit-def: $sgpr66
                                        ; implicit-def: $sgpr57
	s_cselect_b32 s20, -1, 0
	s_and_b32 s72, s20, vcc_lo
	s_mov_b32 s20, -1
	s_and_saveexec_b32 s71, s72
	s_cbranch_execz .LBB135_163
; %bb.130:                              ;   in Loop: Header=BB135_12 Depth=1
	ds_read_b64 v[6:7], v3 offset:5120
	s_waitcnt lgkmcnt(0)
	s_barrier
	buffer_gl0_inv
	v_readfirstlane_b32 s20, v6
	v_readfirstlane_b32 s21, v7
	s_and_saveexec_b32 s22, s10
; %bb.131:                              ;   in Loop: Header=BB135_12 Depth=1
	ds_write_b8 v0, v3 offset:3072
; %bb.132:                              ;   in Loop: Header=BB135_12 Depth=1
	s_or_b32 exec_lo, exec_lo, s22
	s_lshl_b32 s22, 1, s93
	v_or_b32_e32 v9, s11, v9
	v_and_or_b32 v8, v8, s26, s22
	s_mov_b32 s57, -1
	s_mov_b32 s66, 0
	s_cmp_eq_u64 s[20:21], 0
	s_mov_b32 s24, 0
	s_mov_b32 s25, -1
	s_waitcnt lgkmcnt(0)
	s_barrier
	buffer_gl0_inv
                                        ; implicit-def: $vgpr10
	s_cbranch_scc1 .LBB135_148
; %bb.133:                              ;   in Loop: Header=BB135_12 Depth=1
	s_add_u32 s62, s20, s82
	s_addc_u32 s23, s21, s83
	s_mov_b32 s22, s61
	s_cmp_lg_u64 s[22:23], 0
	s_cbranch_scc0 .LBB135_189
; %bb.134:                              ;   in Loop: Header=BB135_12 Depth=1
	v_cvt_f32_u32_e32 v6, s33
	s_sub_u32 s25, 0, s33
	s_subb_u32 s40, 0, 0
	v_fmac_f32_e64 v6, 0x4f800000, 0
	v_rcp_f32_e32 v6, v6
	v_mul_f32_e32 v6, 0x5f7ffffc, v6
	v_mul_f32_e32 v7, 0x2f800000, v6
	v_trunc_f32_e32 v7, v7
	v_fmac_f32_e32 v6, 0xcf800000, v7
	v_cvt_u32_f32_e32 v7, v7
	v_cvt_u32_f32_e32 v6, v6
	v_readfirstlane_b32 s22, v7
	v_readfirstlane_b32 s24, v6
	s_mul_i32 s41, s25, s22
	s_mul_hi_u32 s43, s25, s24
	s_mul_i32 s42, s40, s24
	s_add_i32 s41, s43, s41
	s_mul_i32 s58, s25, s24
	s_add_i32 s41, s41, s42
	s_mul_hi_u32 s43, s24, s58
	s_mul_i32 s60, s24, s41
	s_mul_hi_u32 s59, s22, s58
	s_mul_i32 s42, s22, s58
	s_mul_hi_u32 s58, s24, s41
	s_add_u32 s43, s43, s60
	s_addc_u32 s58, 0, s58
	s_mul_hi_u32 s73, s22, s41
	s_add_u32 s42, s43, s42
	s_mul_i32 s41, s22, s41
	s_addc_u32 s42, s58, s59
	s_addc_u32 s43, s73, 0
	s_add_u32 s41, s42, s41
	s_addc_u32 s42, 0, s43
	s_add_u32 s24, s24, s41
	s_cselect_b32 s41, -1, 0
	s_mul_hi_u32 s43, s25, s24
	s_cmp_lg_u32 s41, 0
	s_mul_i32 s41, s25, s24
	s_addc_u32 s22, s22, s42
	s_mul_i32 s40, s40, s24
	s_mul_i32 s25, s25, s22
	s_mul_hi_u32 s42, s24, s41
	s_add_i32 s25, s43, s25
	s_mul_hi_u32 s43, s22, s41
	s_add_i32 s25, s25, s40
	s_mul_i32 s40, s22, s41
	s_mul_i32 s59, s24, s25
	s_mul_hi_u32 s58, s24, s25
	s_add_u32 s42, s42, s59
	s_addc_u32 s58, 0, s58
	s_mul_hi_u32 s41, s22, s25
	s_add_u32 s40, s42, s40
	s_mul_i32 s25, s22, s25
	s_addc_u32 s40, s58, s43
	s_addc_u32 s41, s41, 0
	s_add_u32 s25, s40, s25
	s_addc_u32 s40, 0, s41
	s_add_u32 s24, s24, s25
	s_cselect_b32 s25, -1, 0
	s_mul_hi_u32 s41, s62, s24
	s_cmp_lg_u32 s25, 0
	s_mul_hi_u32 s25, s23, s24
	s_addc_u32 s22, s22, s40
	s_mul_i32 s24, s23, s24
	s_mul_i32 s42, s62, s22
	s_mul_hi_u32 s40, s62, s22
	s_add_u32 s41, s41, s42
	s_addc_u32 s40, 0, s40
	s_mul_hi_u32 s43, s23, s22
	s_add_u32 s24, s41, s24
	s_mul_i32 s22, s23, s22
	s_addc_u32 s24, s40, s25
	s_addc_u32 s25, s43, 0
	s_add_u32 s22, s24, s22
	s_addc_u32 s24, 0, s25
	s_mul_hi_u32 s25, s33, s22
	s_mul_i32 s24, s33, s24
	s_mul_i32 s22, s33, s22
	s_add_i32 s25, s25, s24
	s_sub_u32 s22, s62, s22
	s_cselect_b32 s24, -1, 0
	s_cmp_lg_u32 s24, 0
	s_subb_u32 s24, s23, s25
	s_sub_u32 s25, s22, s33
	s_cselect_b32 s40, -1, 0
	s_cmp_lg_u32 s40, 0
	s_subb_u32 s40, s24, 0
	;; [unrolled: 4-line block ×3, first 2 shown]
	s_cmp_ge_u32 s25, s33
	s_cselect_b32 s43, -1, 0
	s_cmp_eq_u32 s40, 0
	s_cselect_b32 s43, s43, -1
	s_cmp_lg_u32 s43, 0
	s_cselect_b32 s40, s42, s40
	s_cselect_b32 s41, s41, s25
	s_cmp_ge_u32 s22, s33
	s_cselect_b32 s25, -1, 0
	s_cmp_eq_u32 s24, 0
	s_cselect_b32 s25, s25, -1
	s_cmp_lg_u32 s25, 0
	s_cselect_b32 s25, s40, s24
	s_cselect_b32 s24, s41, s22
	s_cbranch_execnz .LBB135_136
.LBB135_135:                            ;   in Loop: Header=BB135_12 Depth=1
	v_cvt_f32_u32_e32 v6, s33
	s_sub_i32 s24, 0, s33
	v_rcp_iflag_f32_e32 v6, v6
	v_mul_f32_e32 v6, 0x4f7ffffe, v6
	v_cvt_u32_f32_e32 v6, v6
	v_readfirstlane_b32 s22, v6
	s_mul_i32 s24, s24, s22
	s_mul_hi_u32 s24, s22, s24
	s_add_i32 s22, s22, s24
	s_mul_hi_u32 s22, s62, s22
	s_mul_i32 s22, s22, s33
	s_sub_i32 s22, s62, s22
	s_sub_i32 s24, s22, s33
	s_cmp_ge_u32 s22, s33
	s_cselect_b32 s22, s24, s22
	s_sub_i32 s24, s22, s33
	s_cmp_ge_u32 s22, s33
	s_cselect_b32 s60, s24, s22
	s_mov_b64 s[24:25], s[60:61]
.LBB135_136:                            ;   in Loop: Header=BB135_12 Depth=1
	s_sub_u32 s22, s62, s24
	s_subb_u32 s23, s23, s25
	s_mov_b32 s25, 0
	s_mov_b32 s24, 0
	s_mov_b32 s58, exec_lo
                                        ; implicit-def: $vgpr10
	v_cmpx_gt_u64_e64 s[22:23], v[0:1]
	s_cbranch_execz .LBB135_147
; %bb.137:                              ;   in Loop: Header=BB135_12 Depth=1
	v_mov_b32_e32 v7, v1
	v_mov_b32_e32 v10, v0
	;; [unrolled: 1-line block ×3, first 2 shown]
                                        ; implicit-def: $sgpr59
	s_inst_prefetch 0x1
	s_branch .LBB135_140
	.p2align	6
.LBB135_138:                            ;   in Loop: Header=BB135_140 Depth=2
	s_or_b32 exec_lo, exec_lo, s60
	s_waitcnt lgkmcnt(0)
	s_barrier
	buffer_gl0_inv
	ds_read_u16 v11, v3 offset:3072
	s_mov_b32 s60, -1
	s_mov_b32 s62, -1
	s_waitcnt lgkmcnt(0)
	s_barrier
	buffer_gl0_inv
	v_cmp_ne_u32_sdwa s40, v11, v3 src0_sel:BYTE_0 src1_sel:DWORD
	s_and_b32 vcc_lo, exec_lo, s40
	s_cbranch_vccz .LBB135_143
.LBB135_139:                            ;   in Loop: Header=BB135_140 Depth=2
	s_and_b32 s8, exec_lo, s60
	s_or_b32 s24, s8, s24
	s_andn2_b32 s8, s59, exec_lo
	s_and_b32 s40, s62, exec_lo
	s_or_b32 s59, s8, s40
	s_andn2_b32 exec_lo, exec_lo, s24
	s_cbranch_execz .LBB135_146
.LBB135_140:                            ;   Parent Loop BB135_12 Depth=1
                                        ; =>  This Inner Loop Header: Depth=2
	s_mov_b32 s60, exec_lo
	v_cmpx_gt_u64_e64 s[20:21], v[6:7]
	s_cbranch_execz .LBB135_138
; %bb.141:                              ;   in Loop: Header=BB135_140 Depth=2
	ds_read_u8 v11, v10
	s_waitcnt lgkmcnt(0)
	v_add_nc_u32_sdwa v21, sext(v11), v28 dst_sel:DWORD dst_unused:UNUSED_PAD src0_sel:BYTE_0 src1_sel:DWORD
	v_and_b32_e32 v21, v21, v9
	v_cmp_eq_u32_e32 vcc_lo, v21, v8
	s_and_b32 exec_lo, exec_lo, vcc_lo
	s_cbranch_execz .LBB135_138
; %bb.142:                              ;   in Loop: Header=BB135_140 Depth=2
	v_lshlrev_b16 v11, 8, v11
	v_or_b32_e32 v11, 1, v11
	ds_write_b16 v3, v11 offset:3072
	s_branch .LBB135_138
.LBB135_143:                            ;   in Loop: Header=BB135_140 Depth=2
	v_add_co_u32 v6, vcc_lo, v6, s33
	v_add_co_ci_u32_e64 v7, null, 0, v7, vcc_lo
	v_add_nc_u32_e32 v10, s33, v10
	s_mov_b32 s62, 0
	v_cmp_le_u64_e32 vcc_lo, s[22:23], v[6:7]
	s_orn2_b32 s60, vcc_lo, exec_lo
	s_branch .LBB135_139
.LBB135_144:                            ;   in Loop: Header=BB135_12 Depth=1
                                        ; implicit-def: $sgpr24_sgpr25
	s_branch .LBB135_89
.LBB135_145:                            ;   in Loop: Header=BB135_12 Depth=1
                                        ; implicit-def: $sgpr20_sgpr21
	s_branch .LBB135_106
.LBB135_146:                            ;   in Loop: Header=BB135_12 Depth=1
	s_inst_prefetch 0x2
	s_or_b32 exec_lo, exec_lo, s24
	v_lshrrev_b32_sdwa v10, v29, v11 dst_sel:DWORD dst_unused:UNUSED_PAD src0_sel:DWORD src1_sel:WORD_0
	s_and_b32 s24, s59, exec_lo
.LBB135_147:                            ;   in Loop: Header=BB135_12 Depth=1
	s_or_b32 exec_lo, exec_lo, s58
.LBB135_148:                            ;   in Loop: Header=BB135_12 Depth=1
	s_and_b32 vcc_lo, exec_lo, s25
	s_cbranch_vccz .LBB135_162
; %bb.149:                              ;   in Loop: Header=BB135_12 Depth=1
	s_mov_b32 s62, s61
	s_cmp_lg_u64 s[62:63], 0
	s_cbranch_scc0 .LBB135_190
; %bb.150:                              ;   in Loop: Header=BB135_12 Depth=1
	v_cvt_f32_u32_e32 v6, s33
	s_sub_u32 s22, 0, s33
	s_subb_u32 s23, 0, 0
	v_fmac_f32_e64 v6, 0x4f800000, 0
	v_rcp_f32_e32 v6, v6
	v_mul_f32_e32 v6, 0x5f7ffffc, v6
	v_mul_f32_e32 v7, 0x2f800000, v6
	v_trunc_f32_e32 v7, v7
	v_fmac_f32_e32 v6, 0xcf800000, v7
	v_cvt_u32_f32_e32 v7, v7
	v_cvt_u32_f32_e32 v6, v6
	v_readfirstlane_b32 s20, v7
	v_readfirstlane_b32 s21, v6
	s_mul_i32 s25, s22, s20
	s_mul_hi_u32 s41, s22, s21
	s_mul_i32 s40, s23, s21
	s_add_i32 s25, s41, s25
	s_mul_i32 s42, s22, s21
	s_add_i32 s25, s25, s40
	s_mul_hi_u32 s41, s21, s42
	s_mul_i32 s57, s21, s25
	s_mul_hi_u32 s43, s20, s42
	s_mul_i32 s40, s20, s42
	s_mul_hi_u32 s42, s21, s25
	s_add_u32 s41, s41, s57
	s_addc_u32 s42, 0, s42
	s_mul_hi_u32 s58, s20, s25
	s_add_u32 s40, s41, s40
	s_mul_i32 s25, s20, s25
	s_addc_u32 s40, s42, s43
	s_addc_u32 s41, s58, 0
	s_add_u32 s25, s40, s25
	s_addc_u32 s40, 0, s41
	s_add_u32 s21, s21, s25
	s_cselect_b32 s25, -1, 0
	s_mul_hi_u32 s41, s22, s21
	s_cmp_lg_u32 s25, 0
	s_mul_i32 s25, s22, s21
	s_addc_u32 s20, s20, s40
	s_mul_i32 s23, s23, s21
	s_mul_i32 s22, s22, s20
	s_mul_hi_u32 s40, s21, s25
	s_add_i32 s22, s41, s22
	s_mul_hi_u32 s41, s20, s25
	s_add_i32 s22, s22, s23
	s_mul_i32 s23, s20, s25
	s_mul_i32 s43, s21, s22
	s_mul_hi_u32 s42, s21, s22
	s_add_u32 s40, s40, s43
	s_addc_u32 s42, 0, s42
	s_mul_hi_u32 s25, s20, s22
	s_add_u32 s23, s40, s23
	s_mul_i32 s22, s20, s22
	s_addc_u32 s23, s42, s41
	s_addc_u32 s25, s25, 0
	s_add_u32 s22, s23, s22
	s_addc_u32 s23, 0, s25
	s_add_u32 s21, s21, s22
	s_cselect_b32 s22, -1, 0
	s_mul_hi_u32 s25, s84, s21
	s_cmp_lg_u32 s22, 0
	s_mul_hi_u32 s22, s63, s21
	s_addc_u32 s20, s20, s23
	s_mul_i32 s21, s63, s21
	s_mul_i32 s40, s84, s20
	s_mul_hi_u32 s23, s84, s20
	s_add_u32 s25, s25, s40
	s_addc_u32 s23, 0, s23
	s_mul_hi_u32 s41, s63, s20
	s_add_u32 s21, s25, s21
	s_mul_i32 s20, s63, s20
	s_addc_u32 s21, s23, s22
	s_addc_u32 s22, s41, 0
	s_add_u32 s20, s21, s20
	s_addc_u32 s21, 0, s22
	s_mul_hi_u32 s22, s33, s20
	s_mul_i32 s21, s33, s21
	s_mul_i32 s20, s33, s20
	s_add_i32 s22, s22, s21
	s_sub_u32 s20, s84, s20
	s_cselect_b32 s21, -1, 0
	s_cmp_lg_u32 s21, 0
	s_subb_u32 s21, s63, s22
	s_sub_u32 s22, s20, s33
	s_cselect_b32 s23, -1, 0
	s_cmp_lg_u32 s23, 0
	s_subb_u32 s23, s21, 0
	;; [unrolled: 4-line block ×3, first 2 shown]
	s_cmp_ge_u32 s22, s33
	s_cselect_b32 s41, -1, 0
	s_cmp_eq_u32 s23, 0
	s_cselect_b32 s41, s41, -1
	s_cmp_lg_u32 s41, 0
	s_cselect_b32 s23, s40, s23
	s_cselect_b32 s22, s25, s22
	s_cmp_ge_u32 s20, s33
	s_cselect_b32 s25, -1, 0
	s_cmp_eq_u32 s21, 0
	s_cselect_b32 s25, s25, -1
	s_cmp_lg_u32 s25, 0
	s_cselect_b32 s21, s23, s21
	s_cselect_b32 s20, s22, s20
	s_cbranch_execnz .LBB135_152
.LBB135_151:                            ;   in Loop: Header=BB135_12 Depth=1
	v_cvt_f32_u32_e32 v6, s33
	s_sub_i32 s21, 0, s33
	v_rcp_iflag_f32_e32 v6, v6
	v_mul_f32_e32 v6, 0x4f7ffffe, v6
	v_cvt_u32_f32_e32 v6, v6
	v_readfirstlane_b32 s20, v6
	s_mul_i32 s21, s21, s20
	s_mul_hi_u32 s21, s20, s21
	s_add_i32 s20, s20, s21
	s_mul_hi_u32 s20, s84, s20
	s_mul_i32 s20, s20, s33
	s_sub_i32 s20, s84, s20
	s_sub_i32 s21, s20, s33
	s_cmp_ge_u32 s20, s33
	s_cselect_b32 s20, s21, s20
	s_sub_i32 s21, s20, s33
	s_cmp_ge_u32 s20, s33
	s_cselect_b32 s60, s21, s20
	s_mov_b64 s[20:21], s[60:61]
.LBB135_152:                            ;   in Loop: Header=BB135_12 Depth=1
	s_sub_u32 s20, s84, s20
	s_subb_u32 s21, s63, s21
	s_mov_b32 s22, exec_lo
                                        ; implicit-def: $vgpr10
	v_cmpx_gt_u64_e64 s[20:21], v[0:1]
	s_cbranch_execz .LBB135_161
; %bb.153:                              ;   in Loop: Header=BB135_12 Depth=1
	v_mov_b32_e32 v7, v1
	v_mov_b32_e32 v6, v0
	s_mov_b32 s23, 0
                                        ; implicit-def: $sgpr25
	s_branch .LBB135_156
.LBB135_154:                            ;   in Loop: Header=BB135_156 Depth=2
	s_or_b32 exec_lo, exec_lo, s57
	s_waitcnt lgkmcnt(0)
	s_barrier
	buffer_gl0_inv
	ds_read_u16 v10, v3 offset:3072
	s_mov_b32 s41, -1
	s_waitcnt lgkmcnt(0)
	s_barrier
	buffer_gl0_inv
	v_cmp_eq_u32_sdwa s40, v10, v3 src0_sel:BYTE_0 src1_sel:DWORD
	s_and_b32 vcc_lo, exec_lo, s40
	s_mov_b32 s40, -1
	s_cbranch_vccnz .LBB135_159
.LBB135_155:                            ;   in Loop: Header=BB135_156 Depth=2
	s_and_b32 s8, exec_lo, s41
	s_or_b32 s23, s8, s23
	s_andn2_b32 s8, s25, exec_lo
	s_and_b32 s25, s40, exec_lo
	s_or_b32 s25, s8, s25
	s_andn2_b32 exec_lo, exec_lo, s23
	s_cbranch_execz .LBB135_160
.LBB135_156:                            ;   Parent Loop BB135_12 Depth=1
                                        ; =>  This Inner Loop Header: Depth=2
	s_mov_b32 s57, exec_lo
	v_cmpx_gt_u64_e64 s[36:37], v[6:7]
	s_cbranch_execz .LBB135_154
; %bb.157:                              ;   in Loop: Header=BB135_156 Depth=2
	v_mad_u64_u32 v[10:11], null, v6, s30, s[28:29]
	v_mul_lo_u32 v21, v6, s31
	v_mul_lo_u32 v22, v7, s30
	v_add3_u32 v11, v22, v11, v21
	global_load_ubyte v10, v[10:11], off
	s_waitcnt vmcnt(0)
	v_add_nc_u32_sdwa v11, sext(v10), v28 dst_sel:DWORD dst_unused:UNUSED_PAD src0_sel:BYTE_0 src1_sel:DWORD
	v_and_b32_e32 v11, v11, v9
	v_cmp_eq_u32_e32 vcc_lo, v11, v8
	s_and_b32 exec_lo, exec_lo, vcc_lo
	s_cbranch_execz .LBB135_154
; %bb.158:                              ;   in Loop: Header=BB135_156 Depth=2
	v_lshlrev_b16 v10, 8, v10
	v_or_b32_e32 v10, 1, v10
	ds_write_b16 v3, v10 offset:3072
	s_branch .LBB135_154
.LBB135_159:                            ;   in Loop: Header=BB135_156 Depth=2
	v_add_co_u32 v6, vcc_lo, v6, s33
	v_add_co_ci_u32_e64 v7, null, 0, v7, vcc_lo
	s_mov_b32 s40, 0
	v_cmp_le_u64_e32 vcc_lo, s[20:21], v[6:7]
	s_orn2_b32 s41, vcc_lo, exec_lo
	s_branch .LBB135_155
.LBB135_160:                            ;   in Loop: Header=BB135_12 Depth=1
	s_or_b32 exec_lo, exec_lo, s23
	v_lshrrev_b32_sdwa v10, v29, v10 dst_sel:DWORD dst_unused:UNUSED_PAD src0_sel:DWORD src1_sel:WORD_0
	s_andn2_b32 s8, s24, exec_lo
	s_and_b32 s20, s25, exec_lo
	s_or_b32 s24, s8, s20
.LBB135_161:                            ;   in Loop: Header=BB135_12 Depth=1
	s_or_b32 exec_lo, exec_lo, s22
	s_mov_b32 s57, 0
	s_mov_b32 s66, -1
.LBB135_162:                            ;   in Loop: Header=BB135_12 Depth=1
	s_orn2_b32 s20, s24, exec_lo
.LBB135_163:                            ;   in Loop: Header=BB135_12 Depth=1
	s_or_b32 exec_lo, exec_lo, s71
	s_mov_b32 s21, 0
	s_and_saveexec_b32 s71, s20
	s_cbranch_execz .LBB135_272
; %bb.164:                              ;   in Loop: Header=BB135_12 Depth=1
	v_mov_b32_e32 v6, 1
	v_mov_b32_e32 v7, 0
	;; [unrolled: 1-line block ×3, first 2 shown]
	s_xor_b32 s22, s72, -1
	s_and_saveexec_b32 s20, s22
	s_cbranch_execz .LBB135_173
; %bb.165:                              ;   in Loop: Header=BB135_12 Depth=1
	s_mov_b32 s21, exec_lo
	v_cmpx_ge_u64_e64 s[14:15], v[4:5]
	s_xor_b32 s21, exec_lo, s21
	s_cbranch_execz .LBB135_170
; %bb.166:                              ;   in Loop: Header=BB135_12 Depth=1
	ds_read_b64 v[6:7], v3 offset:5120
	s_lshl_b32 s22, 1, s93
	v_or_b32_e32 v9, s11, v9
	v_and_or_b32 v8, v8, s26, s22
	s_waitcnt lgkmcnt(0)
	v_cmp_ne_u64_e32 vcc_lo, 0, v[6:7]
	s_cbranch_vccnz .LBB135_170
; %bb.167:                              ;   in Loop: Header=BB135_12 Depth=1
	s_and_saveexec_b32 s22, s3
; %bb.168:                              ;   in Loop: Header=BB135_12 Depth=1
	v_mov_b32_e32 v6, s14
	v_mov_b32_e32 v7, s15
	ds_write_b64 v3, v[6:7] offset:5128
; %bb.169:                              ;   in Loop: Header=BB135_12 Depth=1
	s_or_b32 exec_lo, exec_lo, s22
	s_waitcnt lgkmcnt(0)
	s_barrier
	buffer_gl0_inv
.LBB135_170:                            ;   in Loop: Header=BB135_12 Depth=1
	s_or_saveexec_b32 s21, s21
	v_mov_b32_e32 v2, 8
	s_mov_b32 s22, 0
	s_xor_b32 exec_lo, exec_lo, s21
; %bb.171:                              ;   in Loop: Header=BB135_12 Depth=1
	v_sub_co_u32 v4, vcc_lo, v4, s14
	v_subrev_co_ci_u32_e64 v5, null, s15, v5, vcc_lo
	v_mov_b32_e32 v2, 0
	s_mov_b32 s22, exec_lo
; %bb.172:                              ;   in Loop: Header=BB135_12 Depth=1
	s_or_b32 exec_lo, exec_lo, s21
	v_mov_b32_e32 v7, v5
	v_mov_b32_e32 v6, v4
	s_and_b32 s21, s22, exec_lo
.LBB135_173:                            ;   in Loop: Header=BB135_12 Depth=1
	s_or_b32 exec_lo, exec_lo, s20
	s_mov_b32 s20, -1
                                        ; implicit-def: $sgpr73
                                        ; implicit-def: $sgpr74
	s_and_saveexec_b32 s72, s21
	s_cbranch_execz .LBB135_271
; %bb.174:                              ;   in Loop: Header=BB135_12 Depth=1
	v_cmp_eq_u64_e32 vcc_lo, 1, v[6:7]
	s_cmp_eq_u64 s[16:17], 1
                                        ; implicit-def: $sgpr74
                                        ; implicit-def: $sgpr73
	s_cselect_b32 s20, -1, 0
	s_and_b32 s76, s20, vcc_lo
	s_mov_b32 s20, -1
	s_and_saveexec_b32 s75, s76
	s_cbranch_execz .LBB135_208
; %bb.175:                              ;   in Loop: Header=BB135_12 Depth=1
	ds_read_b64 v[4:5], v3 offset:5120
	s_waitcnt lgkmcnt(0)
	s_barrier
	buffer_gl0_inv
	v_readfirstlane_b32 s20, v4
	v_readfirstlane_b32 s21, v5
	s_and_saveexec_b32 s22, s10
; %bb.176:                              ;   in Loop: Header=BB135_12 Depth=1
	ds_write_b8 v0, v3 offset:3072
; %bb.177:                              ;   in Loop: Header=BB135_12 Depth=1
	s_or_b32 exec_lo, exec_lo, s22
	s_lshl_b32 s22, 2, s93
	v_or_b32_e32 v9, s11, v9
	v_and_or_b32 v8, v8, s26, s22
	s_mov_b32 s73, -1
	s_mov_b32 s74, 0
	s_cmp_eq_u64 s[20:21], 0
	s_mov_b32 s24, 0
	s_mov_b32 s25, -1
	s_waitcnt lgkmcnt(0)
	s_barrier
	buffer_gl0_inv
                                        ; implicit-def: $vgpr10
	s_cbranch_scc1 .LBB135_193
; %bb.178:                              ;   in Loop: Header=BB135_12 Depth=1
	s_add_u32 s62, s20, s82
	s_addc_u32 s23, s21, s83
	s_mov_b32 s22, s61
	s_cmp_lg_u64 s[22:23], 0
	s_cbranch_scc0 .LBB135_225
; %bb.179:                              ;   in Loop: Header=BB135_12 Depth=1
	v_cvt_f32_u32_e32 v4, s33
	s_sub_u32 s25, 0, s33
	s_subb_u32 s40, 0, 0
	v_fmac_f32_e64 v4, 0x4f800000, 0
	v_rcp_f32_e32 v4, v4
	v_mul_f32_e32 v4, 0x5f7ffffc, v4
	v_mul_f32_e32 v5, 0x2f800000, v4
	v_trunc_f32_e32 v5, v5
	v_fmac_f32_e32 v4, 0xcf800000, v5
	v_cvt_u32_f32_e32 v5, v5
	v_cvt_u32_f32_e32 v4, v4
	v_readfirstlane_b32 s22, v5
	v_readfirstlane_b32 s24, v4
	s_mul_i32 s41, s25, s22
	s_mul_hi_u32 s43, s25, s24
	s_mul_i32 s42, s40, s24
	s_add_i32 s41, s43, s41
	s_mul_i32 s58, s25, s24
	s_add_i32 s41, s41, s42
	s_mul_hi_u32 s43, s24, s58
	s_mul_i32 s60, s24, s41
	s_mul_hi_u32 s59, s22, s58
	s_mul_i32 s42, s22, s58
	s_mul_hi_u32 s58, s24, s41
	s_add_u32 s43, s43, s60
	s_addc_u32 s58, 0, s58
	s_mul_hi_u32 s77, s22, s41
	s_add_u32 s42, s43, s42
	s_mul_i32 s41, s22, s41
	s_addc_u32 s42, s58, s59
	s_addc_u32 s43, s77, 0
	s_add_u32 s41, s42, s41
	s_addc_u32 s42, 0, s43
	s_add_u32 s24, s24, s41
	s_cselect_b32 s41, -1, 0
	s_mul_hi_u32 s43, s25, s24
	s_cmp_lg_u32 s41, 0
	s_mul_i32 s41, s25, s24
	s_addc_u32 s22, s22, s42
	s_mul_i32 s40, s40, s24
	s_mul_i32 s25, s25, s22
	s_mul_hi_u32 s42, s24, s41
	s_add_i32 s25, s43, s25
	s_mul_hi_u32 s43, s22, s41
	s_add_i32 s25, s25, s40
	s_mul_i32 s40, s22, s41
	s_mul_i32 s59, s24, s25
	s_mul_hi_u32 s58, s24, s25
	s_add_u32 s42, s42, s59
	s_addc_u32 s58, 0, s58
	s_mul_hi_u32 s41, s22, s25
	s_add_u32 s40, s42, s40
	s_mul_i32 s25, s22, s25
	s_addc_u32 s40, s58, s43
	s_addc_u32 s41, s41, 0
	s_add_u32 s25, s40, s25
	s_addc_u32 s40, 0, s41
	s_add_u32 s24, s24, s25
	s_cselect_b32 s25, -1, 0
	s_mul_hi_u32 s41, s62, s24
	s_cmp_lg_u32 s25, 0
	s_mul_hi_u32 s25, s23, s24
	s_addc_u32 s22, s22, s40
	s_mul_i32 s24, s23, s24
	s_mul_i32 s42, s62, s22
	s_mul_hi_u32 s40, s62, s22
	s_add_u32 s41, s41, s42
	s_addc_u32 s40, 0, s40
	s_mul_hi_u32 s43, s23, s22
	s_add_u32 s24, s41, s24
	s_mul_i32 s22, s23, s22
	s_addc_u32 s24, s40, s25
	s_addc_u32 s25, s43, 0
	s_add_u32 s22, s24, s22
	s_addc_u32 s24, 0, s25
	s_mul_hi_u32 s25, s33, s22
	s_mul_i32 s24, s33, s24
	s_mul_i32 s22, s33, s22
	s_add_i32 s25, s25, s24
	s_sub_u32 s22, s62, s22
	s_cselect_b32 s24, -1, 0
	s_cmp_lg_u32 s24, 0
	s_subb_u32 s24, s23, s25
	s_sub_u32 s25, s22, s33
	s_cselect_b32 s40, -1, 0
	s_cmp_lg_u32 s40, 0
	s_subb_u32 s40, s24, 0
	;; [unrolled: 4-line block ×3, first 2 shown]
	s_cmp_ge_u32 s25, s33
	s_cselect_b32 s43, -1, 0
	s_cmp_eq_u32 s40, 0
	s_cselect_b32 s43, s43, -1
	s_cmp_lg_u32 s43, 0
	s_cselect_b32 s40, s42, s40
	s_cselect_b32 s41, s41, s25
	s_cmp_ge_u32 s22, s33
	s_cselect_b32 s25, -1, 0
	s_cmp_eq_u32 s24, 0
	s_cselect_b32 s25, s25, -1
	s_cmp_lg_u32 s25, 0
	s_cselect_b32 s25, s40, s24
	s_cselect_b32 s24, s41, s22
	s_cbranch_execnz .LBB135_181
.LBB135_180:                            ;   in Loop: Header=BB135_12 Depth=1
	v_cvt_f32_u32_e32 v4, s33
	s_sub_i32 s24, 0, s33
	v_rcp_iflag_f32_e32 v4, v4
	v_mul_f32_e32 v4, 0x4f7ffffe, v4
	v_cvt_u32_f32_e32 v4, v4
	v_readfirstlane_b32 s22, v4
	s_mul_i32 s24, s24, s22
	s_mul_hi_u32 s24, s22, s24
	s_add_i32 s22, s22, s24
	s_mul_hi_u32 s22, s62, s22
	s_mul_i32 s22, s22, s33
	s_sub_i32 s22, s62, s22
	s_sub_i32 s24, s22, s33
	s_cmp_ge_u32 s22, s33
	s_cselect_b32 s22, s24, s22
	s_sub_i32 s24, s22, s33
	s_cmp_ge_u32 s22, s33
	s_cselect_b32 s60, s24, s22
	s_mov_b64 s[24:25], s[60:61]
.LBB135_181:                            ;   in Loop: Header=BB135_12 Depth=1
	s_sub_u32 s22, s62, s24
	s_subb_u32 s23, s23, s25
	s_mov_b32 s25, 0
	s_mov_b32 s24, 0
	s_mov_b32 s58, exec_lo
                                        ; implicit-def: $vgpr10
	v_cmpx_gt_u64_e64 s[22:23], v[0:1]
	s_cbranch_execz .LBB135_192
; %bb.182:                              ;   in Loop: Header=BB135_12 Depth=1
	v_mov_b32_e32 v5, v1
	v_mov_b32_e32 v10, v0
	;; [unrolled: 1-line block ×3, first 2 shown]
                                        ; implicit-def: $sgpr59
	s_inst_prefetch 0x1
	s_branch .LBB135_185
	.p2align	6
.LBB135_183:                            ;   in Loop: Header=BB135_185 Depth=2
	s_or_b32 exec_lo, exec_lo, s60
	s_waitcnt lgkmcnt(0)
	s_barrier
	buffer_gl0_inv
	ds_read_u16 v11, v3 offset:3072
	s_mov_b32 s60, -1
	s_mov_b32 s62, -1
	s_waitcnt lgkmcnt(0)
	s_barrier
	buffer_gl0_inv
	v_cmp_ne_u32_sdwa s40, v11, v3 src0_sel:BYTE_0 src1_sel:DWORD
	s_and_b32 vcc_lo, exec_lo, s40
	s_cbranch_vccz .LBB135_188
.LBB135_184:                            ;   in Loop: Header=BB135_185 Depth=2
	s_and_b32 s8, exec_lo, s60
	s_or_b32 s24, s8, s24
	s_andn2_b32 s8, s59, exec_lo
	s_and_b32 s40, s62, exec_lo
	s_or_b32 s59, s8, s40
	s_andn2_b32 exec_lo, exec_lo, s24
	s_cbranch_execz .LBB135_191
.LBB135_185:                            ;   Parent Loop BB135_12 Depth=1
                                        ; =>  This Inner Loop Header: Depth=2
	s_mov_b32 s60, exec_lo
	v_cmpx_gt_u64_e64 s[20:21], v[4:5]
	s_cbranch_execz .LBB135_183
; %bb.186:                              ;   in Loop: Header=BB135_185 Depth=2
	ds_read_u8 v11, v10
	s_waitcnt lgkmcnt(0)
	v_add_nc_u32_sdwa v21, sext(v11), v28 dst_sel:DWORD dst_unused:UNUSED_PAD src0_sel:BYTE_0 src1_sel:DWORD
	v_and_b32_e32 v21, v21, v9
	v_cmp_eq_u32_e32 vcc_lo, v21, v8
	s_and_b32 exec_lo, exec_lo, vcc_lo
	s_cbranch_execz .LBB135_183
; %bb.187:                              ;   in Loop: Header=BB135_185 Depth=2
	v_lshlrev_b16 v11, 8, v11
	v_or_b32_e32 v11, 1, v11
	ds_write_b16 v3, v11 offset:3072
	s_branch .LBB135_183
.LBB135_188:                            ;   in Loop: Header=BB135_185 Depth=2
	v_add_co_u32 v4, vcc_lo, v4, s33
	v_add_co_ci_u32_e64 v5, null, 0, v5, vcc_lo
	v_add_nc_u32_e32 v10, s33, v10
	s_mov_b32 s62, 0
	v_cmp_le_u64_e32 vcc_lo, s[22:23], v[4:5]
	s_orn2_b32 s60, vcc_lo, exec_lo
	s_branch .LBB135_184
.LBB135_189:                            ;   in Loop: Header=BB135_12 Depth=1
                                        ; implicit-def: $sgpr24_sgpr25
	s_branch .LBB135_135
.LBB135_190:                            ;   in Loop: Header=BB135_12 Depth=1
                                        ; implicit-def: $sgpr20_sgpr21
	s_branch .LBB135_151
.LBB135_191:                            ;   in Loop: Header=BB135_12 Depth=1
	s_inst_prefetch 0x2
	s_or_b32 exec_lo, exec_lo, s24
	v_lshrrev_b32_sdwa v10, v29, v11 dst_sel:DWORD dst_unused:UNUSED_PAD src0_sel:DWORD src1_sel:WORD_0
	s_and_b32 s24, s59, exec_lo
.LBB135_192:                            ;   in Loop: Header=BB135_12 Depth=1
	s_or_b32 exec_lo, exec_lo, s58
.LBB135_193:                            ;   in Loop: Header=BB135_12 Depth=1
	s_and_b32 vcc_lo, exec_lo, s25
	s_cbranch_vccz .LBB135_207
; %bb.194:                              ;   in Loop: Header=BB135_12 Depth=1
	s_mov_b32 s62, s61
	s_cmp_lg_u64 s[62:63], 0
	s_cbranch_scc0 .LBB135_226
; %bb.195:                              ;   in Loop: Header=BB135_12 Depth=1
	v_cvt_f32_u32_e32 v4, s33
	s_sub_u32 s22, 0, s33
	s_subb_u32 s23, 0, 0
	v_fmac_f32_e64 v4, 0x4f800000, 0
	v_rcp_f32_e32 v4, v4
	v_mul_f32_e32 v4, 0x5f7ffffc, v4
	v_mul_f32_e32 v5, 0x2f800000, v4
	v_trunc_f32_e32 v5, v5
	v_fmac_f32_e32 v4, 0xcf800000, v5
	v_cvt_u32_f32_e32 v5, v5
	v_cvt_u32_f32_e32 v4, v4
	v_readfirstlane_b32 s20, v5
	v_readfirstlane_b32 s21, v4
	s_mul_i32 s25, s22, s20
	s_mul_hi_u32 s41, s22, s21
	s_mul_i32 s40, s23, s21
	s_add_i32 s25, s41, s25
	s_mul_i32 s42, s22, s21
	s_add_i32 s25, s25, s40
	s_mul_hi_u32 s41, s21, s42
	s_mul_i32 s58, s21, s25
	s_mul_hi_u32 s43, s20, s42
	s_mul_i32 s40, s20, s42
	s_mul_hi_u32 s42, s21, s25
	s_add_u32 s41, s41, s58
	s_addc_u32 s42, 0, s42
	s_mul_hi_u32 s59, s20, s25
	s_add_u32 s40, s41, s40
	s_mul_i32 s25, s20, s25
	s_addc_u32 s40, s42, s43
	s_addc_u32 s41, s59, 0
	s_add_u32 s25, s40, s25
	s_addc_u32 s40, 0, s41
	s_add_u32 s21, s21, s25
	s_cselect_b32 s25, -1, 0
	s_mul_hi_u32 s41, s22, s21
	s_cmp_lg_u32 s25, 0
	s_mul_i32 s25, s22, s21
	s_addc_u32 s20, s20, s40
	s_mul_i32 s23, s23, s21
	s_mul_i32 s22, s22, s20
	s_mul_hi_u32 s40, s21, s25
	s_add_i32 s22, s41, s22
	s_mul_hi_u32 s41, s20, s25
	s_add_i32 s22, s22, s23
	s_mul_i32 s23, s20, s25
	s_mul_i32 s43, s21, s22
	s_mul_hi_u32 s42, s21, s22
	s_add_u32 s40, s40, s43
	s_addc_u32 s42, 0, s42
	s_mul_hi_u32 s25, s20, s22
	s_add_u32 s23, s40, s23
	s_mul_i32 s22, s20, s22
	s_addc_u32 s23, s42, s41
	s_addc_u32 s25, s25, 0
	s_add_u32 s22, s23, s22
	s_addc_u32 s23, 0, s25
	s_add_u32 s21, s21, s22
	s_cselect_b32 s22, -1, 0
	s_mul_hi_u32 s25, s84, s21
	s_cmp_lg_u32 s22, 0
	s_mul_hi_u32 s22, s63, s21
	s_addc_u32 s20, s20, s23
	s_mul_i32 s21, s63, s21
	s_mul_i32 s40, s84, s20
	s_mul_hi_u32 s23, s84, s20
	s_add_u32 s25, s25, s40
	s_addc_u32 s23, 0, s23
	s_mul_hi_u32 s41, s63, s20
	s_add_u32 s21, s25, s21
	s_mul_i32 s20, s63, s20
	s_addc_u32 s21, s23, s22
	s_addc_u32 s22, s41, 0
	s_add_u32 s20, s21, s20
	s_addc_u32 s21, 0, s22
	s_mul_hi_u32 s22, s33, s20
	s_mul_i32 s21, s33, s21
	s_mul_i32 s20, s33, s20
	s_add_i32 s22, s22, s21
	s_sub_u32 s20, s84, s20
	s_cselect_b32 s21, -1, 0
	s_cmp_lg_u32 s21, 0
	s_subb_u32 s21, s63, s22
	s_sub_u32 s22, s20, s33
	s_cselect_b32 s23, -1, 0
	s_cmp_lg_u32 s23, 0
	s_subb_u32 s23, s21, 0
	;; [unrolled: 4-line block ×3, first 2 shown]
	s_cmp_ge_u32 s22, s33
	s_cselect_b32 s41, -1, 0
	s_cmp_eq_u32 s23, 0
	s_cselect_b32 s41, s41, -1
	s_cmp_lg_u32 s41, 0
	s_cselect_b32 s23, s40, s23
	s_cselect_b32 s22, s25, s22
	s_cmp_ge_u32 s20, s33
	s_cselect_b32 s25, -1, 0
	s_cmp_eq_u32 s21, 0
	s_cselect_b32 s25, s25, -1
	s_cmp_lg_u32 s25, 0
	s_cselect_b32 s21, s23, s21
	s_cselect_b32 s20, s22, s20
	s_cbranch_execnz .LBB135_197
.LBB135_196:                            ;   in Loop: Header=BB135_12 Depth=1
	v_cvt_f32_u32_e32 v4, s33
	s_sub_i32 s21, 0, s33
	v_rcp_iflag_f32_e32 v4, v4
	v_mul_f32_e32 v4, 0x4f7ffffe, v4
	v_cvt_u32_f32_e32 v4, v4
	v_readfirstlane_b32 s20, v4
	s_mul_i32 s21, s21, s20
	s_mul_hi_u32 s21, s20, s21
	s_add_i32 s20, s20, s21
	s_mul_hi_u32 s20, s84, s20
	s_mul_i32 s20, s20, s33
	s_sub_i32 s20, s84, s20
	s_sub_i32 s21, s20, s33
	s_cmp_ge_u32 s20, s33
	s_cselect_b32 s20, s21, s20
	s_sub_i32 s21, s20, s33
	s_cmp_ge_u32 s20, s33
	s_cselect_b32 s60, s21, s20
	s_mov_b64 s[20:21], s[60:61]
.LBB135_197:                            ;   in Loop: Header=BB135_12 Depth=1
	s_sub_u32 s20, s84, s20
	s_subb_u32 s21, s63, s21
	s_mov_b32 s22, exec_lo
                                        ; implicit-def: $vgpr10
	v_cmpx_gt_u64_e64 s[20:21], v[0:1]
	s_cbranch_execz .LBB135_206
; %bb.198:                              ;   in Loop: Header=BB135_12 Depth=1
	v_mov_b32_e32 v5, v1
	v_mov_b32_e32 v4, v0
	s_mov_b32 s23, 0
                                        ; implicit-def: $sgpr25
	s_branch .LBB135_201
.LBB135_199:                            ;   in Loop: Header=BB135_201 Depth=2
	s_or_b32 exec_lo, exec_lo, s58
	s_waitcnt lgkmcnt(0)
	s_barrier
	buffer_gl0_inv
	ds_read_u16 v10, v3 offset:3072
	s_mov_b32 s41, -1
	s_waitcnt lgkmcnt(0)
	s_barrier
	buffer_gl0_inv
	v_cmp_eq_u32_sdwa s40, v10, v3 src0_sel:BYTE_0 src1_sel:DWORD
	s_and_b32 vcc_lo, exec_lo, s40
	s_mov_b32 s40, -1
	s_cbranch_vccnz .LBB135_204
.LBB135_200:                            ;   in Loop: Header=BB135_201 Depth=2
	s_and_b32 s8, exec_lo, s41
	s_or_b32 s23, s8, s23
	s_andn2_b32 s8, s25, exec_lo
	s_and_b32 s25, s40, exec_lo
	s_or_b32 s25, s8, s25
	s_andn2_b32 exec_lo, exec_lo, s23
	s_cbranch_execz .LBB135_205
.LBB135_201:                            ;   Parent Loop BB135_12 Depth=1
                                        ; =>  This Inner Loop Header: Depth=2
	s_mov_b32 s58, exec_lo
	v_cmpx_gt_u64_e64 s[36:37], v[4:5]
	s_cbranch_execz .LBB135_199
; %bb.202:                              ;   in Loop: Header=BB135_201 Depth=2
	v_mad_u64_u32 v[10:11], null, v4, s30, s[28:29]
	v_mul_lo_u32 v21, v4, s31
	v_mul_lo_u32 v22, v5, s30
	v_add3_u32 v11, v22, v11, v21
	global_load_ubyte v10, v[10:11], off
	s_waitcnt vmcnt(0)
	v_add_nc_u32_sdwa v11, sext(v10), v28 dst_sel:DWORD dst_unused:UNUSED_PAD src0_sel:BYTE_0 src1_sel:DWORD
	v_and_b32_e32 v11, v11, v9
	v_cmp_eq_u32_e32 vcc_lo, v11, v8
	s_and_b32 exec_lo, exec_lo, vcc_lo
	s_cbranch_execz .LBB135_199
; %bb.203:                              ;   in Loop: Header=BB135_201 Depth=2
	v_lshlrev_b16 v10, 8, v10
	v_or_b32_e32 v10, 1, v10
	ds_write_b16 v3, v10 offset:3072
	s_branch .LBB135_199
.LBB135_204:                            ;   in Loop: Header=BB135_201 Depth=2
	v_add_co_u32 v4, vcc_lo, v4, s33
	v_add_co_ci_u32_e64 v5, null, 0, v5, vcc_lo
	s_mov_b32 s40, 0
	v_cmp_le_u64_e32 vcc_lo, s[20:21], v[4:5]
	s_orn2_b32 s41, vcc_lo, exec_lo
	s_branch .LBB135_200
.LBB135_205:                            ;   in Loop: Header=BB135_12 Depth=1
	s_or_b32 exec_lo, exec_lo, s23
	v_lshrrev_b32_sdwa v10, v29, v10 dst_sel:DWORD dst_unused:UNUSED_PAD src0_sel:DWORD src1_sel:WORD_0
	s_andn2_b32 s8, s24, exec_lo
	s_and_b32 s20, s25, exec_lo
	s_or_b32 s24, s8, s20
.LBB135_206:                            ;   in Loop: Header=BB135_12 Depth=1
	s_or_b32 exec_lo, exec_lo, s22
	s_mov_b32 s73, 0
	s_mov_b32 s74, -1
.LBB135_207:                            ;   in Loop: Header=BB135_12 Depth=1
	s_orn2_b32 s20, s24, exec_lo
.LBB135_208:                            ;   in Loop: Header=BB135_12 Depth=1
	s_or_b32 exec_lo, exec_lo, s75
	s_mov_b32 s21, 0
	s_and_saveexec_b32 s75, s20
	s_cbranch_execz .LBB135_270
; %bb.209:                              ;   in Loop: Header=BB135_12 Depth=1
	v_mov_b32_e32 v4, 1
	v_mov_b32_e32 v5, 0
	;; [unrolled: 1-line block ×3, first 2 shown]
	s_xor_b32 s22, s76, -1
	s_and_saveexec_b32 s20, s22
	s_cbranch_execz .LBB135_218
; %bb.210:                              ;   in Loop: Header=BB135_12 Depth=1
	s_mov_b32 s21, exec_lo
	v_cmpx_ge_u64_e64 s[16:17], v[6:7]
	s_xor_b32 s21, exec_lo, s21
	s_cbranch_execz .LBB135_215
; %bb.211:                              ;   in Loop: Header=BB135_12 Depth=1
	ds_read_b64 v[4:5], v3 offset:5120
	s_lshl_b32 s22, 2, s93
	v_or_b32_e32 v9, s11, v9
	v_and_or_b32 v8, v8, s26, s22
	s_waitcnt lgkmcnt(0)
	v_cmp_ne_u64_e32 vcc_lo, 0, v[4:5]
	s_cbranch_vccnz .LBB135_215
; %bb.212:                              ;   in Loop: Header=BB135_12 Depth=1
	s_and_saveexec_b32 s22, s3
; %bb.213:                              ;   in Loop: Header=BB135_12 Depth=1
	v_mov_b32_e32 v4, s16
	v_mov_b32_e32 v5, s17
	ds_write_b64 v3, v[4:5] offset:5128
; %bb.214:                              ;   in Loop: Header=BB135_12 Depth=1
	s_or_b32 exec_lo, exec_lo, s22
	s_waitcnt lgkmcnt(0)
	s_barrier
	buffer_gl0_inv
.LBB135_215:                            ;   in Loop: Header=BB135_12 Depth=1
	s_or_saveexec_b32 s21, s21
	v_mov_b32_e32 v2, 8
	s_mov_b32 s22, 0
	s_xor_b32 exec_lo, exec_lo, s21
; %bb.216:                              ;   in Loop: Header=BB135_12 Depth=1
	v_sub_co_u32 v6, vcc_lo, v6, s16
	v_subrev_co_ci_u32_e64 v7, null, s17, v7, vcc_lo
	v_mov_b32_e32 v2, 0
	s_mov_b32 s22, exec_lo
; %bb.217:                              ;   in Loop: Header=BB135_12 Depth=1
	s_or_b32 exec_lo, exec_lo, s21
	v_mov_b32_e32 v4, v6
	v_mov_b32_e32 v5, v7
	s_and_b32 s21, s22, exec_lo
.LBB135_218:                            ;   in Loop: Header=BB135_12 Depth=1
	s_or_b32 exec_lo, exec_lo, s20
	s_mov_b32 s20, -1
                                        ; implicit-def: $sgpr79
                                        ; implicit-def: $sgpr62
	s_and_saveexec_b32 s76, s21
	s_cbranch_execz .LBB135_269
; %bb.219:                              ;   in Loop: Header=BB135_12 Depth=1
	v_cmp_eq_u64_e32 vcc_lo, 1, v[4:5]
	s_cmp_eq_u64 s[18:19], 1
	s_mov_b32 s21, -1
	s_cselect_b32 s20, -1, 0
                                        ; implicit-def: $sgpr79
                                        ; implicit-def: $sgpr62
	s_and_b32 s77, s20, vcc_lo
	s_and_saveexec_b32 s78, s77
	s_cbranch_execz .LBB135_257
; %bb.220:                              ;   in Loop: Header=BB135_12 Depth=1
	ds_read_b64 v[6:7], v3 offset:5120
	s_waitcnt lgkmcnt(0)
	s_barrier
	buffer_gl0_inv
	v_readfirstlane_b32 s20, v6
	v_readfirstlane_b32 s21, v7
	s_and_saveexec_b32 s22, s10
; %bb.221:                              ;   in Loop: Header=BB135_12 Depth=1
	ds_write_b8 v0, v3 offset:3072
; %bb.222:                              ;   in Loop: Header=BB135_12 Depth=1
	s_or_b32 exec_lo, exec_lo, s22
	v_or_b32_e32 v8, s11, v8
	v_or_b32_e32 v9, s11, v9
	s_mov_b32 s62, -1
	s_mov_b32 s79, 0
	s_cmp_eq_u64 s[20:21], 0
	s_mov_b32 s24, 0
	s_mov_b32 s25, -1
	s_waitcnt lgkmcnt(0)
	s_barrier
	buffer_gl0_inv
                                        ; implicit-def: $vgpr10
	s_cbranch_scc1 .LBB135_240
; %bb.223:                              ;   in Loop: Header=BB135_12 Depth=1
	s_add_u32 s58, s20, s82
	s_addc_u32 s23, s21, s83
	s_mov_b32 s22, s61
	s_cmp_lg_u64 s[22:23], 0
	s_cbranch_scc0 .LBB135_227
; %bb.224:                              ;   in Loop: Header=BB135_12 Depth=1
	v_cvt_f32_u32_e32 v6, s33
	s_sub_u32 s25, 0, s33
	s_subb_u32 s40, 0, 0
	v_fmac_f32_e64 v6, 0x4f800000, 0
	v_rcp_f32_e32 v6, v6
	v_mul_f32_e32 v6, 0x5f7ffffc, v6
	v_mul_f32_e32 v7, 0x2f800000, v6
	v_trunc_f32_e32 v7, v7
	v_fmac_f32_e32 v6, 0xcf800000, v7
	v_cvt_u32_f32_e32 v7, v7
	v_cvt_u32_f32_e32 v6, v6
	v_readfirstlane_b32 s22, v7
	v_readfirstlane_b32 s24, v6
	s_mul_i32 s41, s25, s22
	s_mul_hi_u32 s43, s25, s24
	s_mul_i32 s42, s40, s24
	s_add_i32 s41, s43, s41
	s_mul_i32 s59, s25, s24
	s_add_i32 s41, s41, s42
	s_mul_hi_u32 s43, s24, s59
	s_mul_i32 vcc_lo, s24, s41
	s_mul_hi_u32 s60, s22, s59
	s_mul_i32 s42, s22, s59
	s_mul_hi_u32 s59, s24, s41
	s_add_u32 s43, s43, vcc_lo
	s_addc_u32 s59, 0, s59
	s_mul_hi_u32 s8, s22, s41
	s_add_u32 s42, s43, s42
	s_mul_i32 s41, s22, s41
	s_addc_u32 s42, s59, s60
	s_addc_u32 s8, s8, 0
	s_add_u32 s41, s42, s41
	s_addc_u32 s8, 0, s8
	s_add_u32 s24, s24, s41
	s_cselect_b32 s41, -1, 0
	s_mul_hi_u32 s42, s25, s24
	s_cmp_lg_u32 s41, 0
	s_mul_i32 s40, s40, s24
	s_addc_u32 s8, s22, s8
	s_mul_i32 s22, s25, s24
	s_mul_i32 s25, s25, s8
	s_mul_hi_u32 s41, s24, s22
	s_add_i32 s25, s42, s25
	s_mul_hi_u32 s42, s8, s22
	s_add_i32 s25, s25, s40
	s_mul_i32 s22, s8, s22
	s_mul_i32 s59, s24, s25
	s_mul_hi_u32 s43, s24, s25
	s_add_u32 s41, s41, s59
	s_addc_u32 s43, 0, s43
	s_mul_hi_u32 s40, s8, s25
	s_add_u32 s22, s41, s22
	s_mul_i32 s25, s8, s25
	s_addc_u32 s22, s43, s42
	s_addc_u32 s40, s40, 0
	s_add_u32 s22, s22, s25
	s_addc_u32 s25, 0, s40
	s_add_u32 s22, s24, s22
	s_cselect_b32 s24, -1, 0
	s_mul_hi_u32 s40, s58, s22
	s_cmp_lg_u32 s24, 0
	s_mul_hi_u32 s24, s23, s22
	s_addc_u32 s8, s8, s25
	s_mul_i32 s22, s23, s22
	s_mul_i32 s41, s58, s8
	s_mul_hi_u32 s25, s58, s8
	s_add_u32 s40, s40, s41
	s_addc_u32 s25, 0, s25
	s_mul_hi_u32 s42, s23, s8
	s_add_u32 s22, s40, s22
	s_mul_i32 s8, s23, s8
	s_addc_u32 s22, s25, s24
	s_addc_u32 s24, s42, 0
	s_add_u32 s8, s22, s8
	s_addc_u32 s22, 0, s24
	s_mul_hi_u32 s24, s33, s8
	s_mul_i32 s22, s33, s22
	s_mul_i32 s8, s33, s8
	s_add_i32 s24, s24, s22
	s_sub_u32 s8, s58, s8
	s_cselect_b32 s22, -1, 0
	s_cmp_lg_u32 s22, 0
	s_subb_u32 s22, s23, s24
	s_sub_u32 s24, s8, s33
	s_cselect_b32 s25, -1, 0
	s_cmp_lg_u32 s25, 0
	s_subb_u32 s25, s22, 0
	;; [unrolled: 4-line block ×3, first 2 shown]
	s_cmp_ge_u32 s24, s33
	s_cselect_b32 s42, -1, 0
	s_cmp_eq_u32 s25, 0
	s_cselect_b32 s42, s42, -1
	s_cmp_lg_u32 s42, 0
	s_cselect_b32 s25, s41, s25
	s_cselect_b32 s24, s40, s24
	s_cmp_ge_u32 s8, s33
	s_cselect_b32 s40, -1, 0
	s_cmp_eq_u32 s22, 0
	s_cselect_b32 s40, s40, -1
	s_cmp_lg_u32 s40, 0
	s_cselect_b32 s25, s25, s22
	s_cselect_b32 s24, s24, s8
	s_mov_b32 s22, 0
	s_branch .LBB135_228
.LBB135_225:                            ;   in Loop: Header=BB135_12 Depth=1
                                        ; implicit-def: $sgpr24_sgpr25
	s_branch .LBB135_180
.LBB135_226:                            ;   in Loop: Header=BB135_12 Depth=1
                                        ; implicit-def: $sgpr20_sgpr21
	s_branch .LBB135_196
.LBB135_227:                            ;   in Loop: Header=BB135_12 Depth=1
	s_mov_b32 s22, -1
                                        ; implicit-def: $sgpr24_sgpr25
.LBB135_228:                            ;   in Loop: Header=BB135_12 Depth=1
	s_andn2_b32 vcc_lo, exec_lo, s22
	s_cbranch_vccnz .LBB135_230
; %bb.229:                              ;   in Loop: Header=BB135_12 Depth=1
	v_cvt_f32_u32_e32 v6, s33
	s_sub_i32 s24, 0, s33
	v_rcp_iflag_f32_e32 v6, v6
	v_mul_f32_e32 v6, 0x4f7ffffe, v6
	v_cvt_u32_f32_e32 v6, v6
	v_readfirstlane_b32 s22, v6
	s_mul_i32 s24, s24, s22
	s_mul_hi_u32 s24, s22, s24
	s_add_i32 s22, s22, s24
	s_mul_hi_u32 s22, s58, s22
	s_mul_i32 s22, s22, s33
	s_sub_i32 s22, s58, s22
	s_sub_i32 s24, s22, s33
	s_cmp_ge_u32 s22, s33
	s_cselect_b32 s22, s24, s22
	s_sub_i32 s24, s22, s33
	s_cmp_ge_u32 s22, s33
	s_cselect_b32 s60, s24, s22
	s_mov_b64 s[24:25], s[60:61]
.LBB135_230:                            ;   in Loop: Header=BB135_12 Depth=1
	s_sub_u32 s22, s58, s24
	s_subb_u32 s23, s23, s25
	s_mov_b32 s25, 0
	s_mov_b32 s24, 0
	s_mov_b32 s58, exec_lo
                                        ; implicit-def: $vgpr10
	v_cmpx_gt_u64_e64 s[22:23], v[0:1]
	s_cbranch_execz .LBB135_239
; %bb.231:                              ;   in Loop: Header=BB135_12 Depth=1
	v_mov_b32_e32 v7, v1
	v_mov_b32_e32 v10, v0
	;; [unrolled: 1-line block ×3, first 2 shown]
                                        ; implicit-def: $sgpr59
	s_inst_prefetch 0x1
	s_branch .LBB135_234
	.p2align	6
.LBB135_232:                            ;   in Loop: Header=BB135_234 Depth=2
	s_or_b32 exec_lo, exec_lo, s60
	s_waitcnt lgkmcnt(0)
	s_barrier
	buffer_gl0_inv
	ds_read_u16 v11, v3 offset:3072
	s_mov_b32 s60, -1
	s_mov_b32 s40, -1
	s_waitcnt lgkmcnt(0)
	s_barrier
	buffer_gl0_inv
	v_cmp_ne_u32_sdwa s8, v11, v3 src0_sel:BYTE_0 src1_sel:DWORD
	s_and_b32 vcc_lo, exec_lo, s8
	s_cbranch_vccz .LBB135_237
.LBB135_233:                            ;   in Loop: Header=BB135_234 Depth=2
	s_and_b32 s8, exec_lo, s60
	s_or_b32 s24, s8, s24
	s_andn2_b32 s8, s59, exec_lo
	s_and_b32 s40, s40, exec_lo
	s_or_b32 s59, s8, s40
	s_andn2_b32 exec_lo, exec_lo, s24
	s_cbranch_execz .LBB135_238
.LBB135_234:                            ;   Parent Loop BB135_12 Depth=1
                                        ; =>  This Inner Loop Header: Depth=2
	s_mov_b32 s60, exec_lo
	v_cmpx_gt_u64_e64 s[20:21], v[6:7]
	s_cbranch_execz .LBB135_232
; %bb.235:                              ;   in Loop: Header=BB135_234 Depth=2
	ds_read_u8 v11, v10
	s_waitcnt lgkmcnt(0)
	v_add_nc_u32_sdwa v21, sext(v11), v28 dst_sel:DWORD dst_unused:UNUSED_PAD src0_sel:BYTE_0 src1_sel:DWORD
	v_and_b32_e32 v21, v21, v9
	v_cmp_eq_u32_e32 vcc_lo, v21, v8
	s_and_b32 exec_lo, exec_lo, vcc_lo
	s_cbranch_execz .LBB135_232
; %bb.236:                              ;   in Loop: Header=BB135_234 Depth=2
	v_lshlrev_b16 v11, 8, v11
	v_or_b32_e32 v11, 1, v11
	ds_write_b16 v3, v11 offset:3072
	s_branch .LBB135_232
.LBB135_237:                            ;   in Loop: Header=BB135_234 Depth=2
	v_add_co_u32 v6, vcc_lo, v6, s33
	v_add_co_ci_u32_e64 v7, null, 0, v7, vcc_lo
	v_add_nc_u32_e32 v10, s33, v10
	s_mov_b32 s40, 0
	v_cmp_le_u64_e32 vcc_lo, s[22:23], v[6:7]
	s_orn2_b32 s60, vcc_lo, exec_lo
	s_branch .LBB135_233
.LBB135_238:                            ;   in Loop: Header=BB135_12 Depth=1
	s_inst_prefetch 0x2
	s_or_b32 exec_lo, exec_lo, s24
	v_lshrrev_b32_sdwa v10, v29, v11 dst_sel:DWORD dst_unused:UNUSED_PAD src0_sel:DWORD src1_sel:WORD_0
	s_and_b32 s24, s59, exec_lo
.LBB135_239:                            ;   in Loop: Header=BB135_12 Depth=1
	s_or_b32 exec_lo, exec_lo, s58
.LBB135_240:                            ;   in Loop: Header=BB135_12 Depth=1
	s_and_b32 vcc_lo, exec_lo, s25
	s_cbranch_vccz .LBB135_256
; %bb.241:                              ;   in Loop: Header=BB135_12 Depth=1
	s_mov_b32 s62, s61
	s_cmp_lg_u64 s[62:63], 0
	s_cbranch_scc0 .LBB135_243
; %bb.242:                              ;   in Loop: Header=BB135_12 Depth=1
	v_cvt_f32_u32_e32 v6, s33
	s_sub_u32 s21, 0, s33
	s_subb_u32 s22, 0, 0
	v_fmac_f32_e64 v6, 0x4f800000, 0
	v_rcp_f32_e32 v6, v6
	v_mul_f32_e32 v6, 0x5f7ffffc, v6
	v_mul_f32_e32 v7, 0x2f800000, v6
	v_trunc_f32_e32 v7, v7
	v_fmac_f32_e32 v6, 0xcf800000, v7
	v_cvt_u32_f32_e32 v7, v7
	v_cvt_u32_f32_e32 v6, v6
	v_readfirstlane_b32 s8, v7
	v_readfirstlane_b32 s20, v6
	s_mul_i32 s23, s21, s8
	s_mul_hi_u32 s40, s21, s20
	s_mul_i32 s25, s22, s20
	s_add_i32 s23, s40, s23
	s_mul_i32 s41, s21, s20
	s_add_i32 s23, s23, s25
	s_mul_hi_u32 s40, s20, s41
	s_mul_i32 s43, s20, s23
	s_mul_hi_u32 s42, s8, s41
	s_mul_i32 s25, s8, s41
	s_mul_hi_u32 s41, s20, s23
	s_add_u32 s40, s40, s43
	s_addc_u32 s41, 0, s41
	s_mul_hi_u32 s58, s8, s23
	s_add_u32 s25, s40, s25
	s_mul_i32 s23, s8, s23
	s_addc_u32 s25, s41, s42
	s_addc_u32 s40, s58, 0
	s_add_u32 s23, s25, s23
	s_addc_u32 s25, 0, s40
	s_add_u32 s20, s20, s23
	s_cselect_b32 s23, -1, 0
	s_mul_hi_u32 s40, s21, s20
	s_cmp_lg_u32 s23, 0
	s_mul_i32 s23, s21, s20
	s_addc_u32 s8, s8, s25
	s_mul_i32 s22, s22, s20
	s_mul_i32 s21, s21, s8
	s_mul_hi_u32 s25, s20, s23
	s_add_i32 s21, s40, s21
	s_mul_hi_u32 s40, s8, s23
	s_add_i32 s21, s21, s22
	s_mul_i32 s22, s8, s23
	s_mul_i32 s42, s20, s21
	s_mul_hi_u32 s41, s20, s21
	s_add_u32 s25, s25, s42
	s_addc_u32 s41, 0, s41
	s_mul_hi_u32 s23, s8, s21
	s_add_u32 s22, s25, s22
	s_mul_i32 s21, s8, s21
	s_addc_u32 s22, s41, s40
	s_addc_u32 s23, s23, 0
	s_add_u32 s21, s22, s21
	s_addc_u32 s22, 0, s23
	s_add_u32 s20, s20, s21
	s_cselect_b32 s21, -1, 0
	s_mul_hi_u32 s23, s84, s20
	s_cmp_lg_u32 s21, 0
	s_mul_hi_u32 s21, s63, s20
	s_addc_u32 s8, s8, s22
	s_mul_i32 s20, s63, s20
	s_mul_i32 s25, s84, s8
	s_mul_hi_u32 s22, s84, s8
	s_add_u32 s23, s23, s25
	s_addc_u32 s22, 0, s22
	s_mul_hi_u32 s40, s63, s8
	s_add_u32 s20, s23, s20
	s_mul_i32 s8, s63, s8
	s_addc_u32 s20, s22, s21
	s_addc_u32 s21, s40, 0
	s_add_u32 s8, s20, s8
	s_addc_u32 s20, 0, s21
	s_mul_hi_u32 s21, s33, s8
	s_mul_i32 s20, s33, s20
	s_mul_i32 s8, s33, s8
	s_add_i32 s21, s21, s20
	s_sub_u32 s8, s84, s8
	s_cselect_b32 s20, -1, 0
	s_cmp_lg_u32 s20, 0
	s_subb_u32 s20, s63, s21
	s_sub_u32 s21, s8, s33
	s_cselect_b32 s22, -1, 0
	s_cmp_lg_u32 s22, 0
	s_subb_u32 s22, s20, 0
	;; [unrolled: 4-line block ×3, first 2 shown]
	s_cmp_ge_u32 s21, s33
	s_cselect_b32 s40, -1, 0
	s_cmp_eq_u32 s22, 0
	s_cselect_b32 s40, s40, -1
	s_cmp_lg_u32 s40, 0
	s_cselect_b32 s22, s25, s22
	s_cselect_b32 s23, s23, s21
	s_cmp_ge_u32 s8, s33
	s_cselect_b32 s21, -1, 0
	s_cmp_eq_u32 s20, 0
	s_cselect_b32 s21, s21, -1
	s_cmp_lg_u32 s21, 0
	s_cselect_b32 s21, s22, s20
	s_cselect_b32 s20, s23, s8
	s_mov_b32 s22, 0
	s_branch .LBB135_244
.LBB135_243:                            ;   in Loop: Header=BB135_12 Depth=1
	s_mov_b32 s22, -1
                                        ; implicit-def: $sgpr20_sgpr21
.LBB135_244:                            ;   in Loop: Header=BB135_12 Depth=1
	s_andn2_b32 vcc_lo, exec_lo, s22
	s_cbranch_vccnz .LBB135_246
; %bb.245:                              ;   in Loop: Header=BB135_12 Depth=1
	v_cvt_f32_u32_e32 v6, s33
	s_sub_i32 s20, 0, s33
	v_rcp_iflag_f32_e32 v6, v6
	v_mul_f32_e32 v6, 0x4f7ffffe, v6
	v_cvt_u32_f32_e32 v6, v6
	v_readfirstlane_b32 s8, v6
	s_mul_i32 s20, s20, s8
	s_mul_hi_u32 s20, s8, s20
	s_add_i32 s8, s8, s20
	s_mul_hi_u32 s8, s84, s8
	s_mul_i32 s8, s8, s33
	s_sub_i32 s8, s84, s8
	s_sub_i32 s20, s8, s33
	s_cmp_ge_u32 s8, s33
	s_cselect_b32 s8, s20, s8
	s_sub_i32 s20, s8, s33
	s_cmp_ge_u32 s8, s33
	s_cselect_b32 s60, s20, s8
	s_mov_b64 s[20:21], s[60:61]
.LBB135_246:                            ;   in Loop: Header=BB135_12 Depth=1
	s_sub_u32 s20, s84, s20
	s_subb_u32 s21, s63, s21
	s_mov_b32 s22, exec_lo
                                        ; implicit-def: $vgpr10
	v_cmpx_gt_u64_e64 s[20:21], v[0:1]
	s_cbranch_execz .LBB135_255
; %bb.247:                              ;   in Loop: Header=BB135_12 Depth=1
	v_mov_b32_e32 v7, v1
	v_mov_b32_e32 v6, v0
	s_mov_b32 s23, 0
                                        ; implicit-def: $sgpr25
	s_branch .LBB135_250
.LBB135_248:                            ;   in Loop: Header=BB135_250 Depth=2
	s_or_b32 exec_lo, exec_lo, s58
	s_waitcnt lgkmcnt(0)
	s_barrier
	buffer_gl0_inv
	ds_read_u16 v10, v3 offset:3072
	s_mov_b32 s41, -1
	s_mov_b32 s40, -1
	s_waitcnt lgkmcnt(0)
	s_barrier
	buffer_gl0_inv
	v_cmp_eq_u32_sdwa s8, v10, v3 src0_sel:BYTE_0 src1_sel:DWORD
	s_and_b32 vcc_lo, exec_lo, s8
	s_cbranch_vccnz .LBB135_253
.LBB135_249:                            ;   in Loop: Header=BB135_250 Depth=2
	s_and_b32 s8, exec_lo, s41
	s_or_b32 s23, s8, s23
	s_andn2_b32 s8, s25, exec_lo
	s_and_b32 s25, s40, exec_lo
	s_or_b32 s25, s8, s25
	s_andn2_b32 exec_lo, exec_lo, s23
	s_cbranch_execz .LBB135_254
.LBB135_250:                            ;   Parent Loop BB135_12 Depth=1
                                        ; =>  This Inner Loop Header: Depth=2
	s_mov_b32 s58, exec_lo
	v_cmpx_gt_u64_e64 s[36:37], v[6:7]
	s_cbranch_execz .LBB135_248
; %bb.251:                              ;   in Loop: Header=BB135_250 Depth=2
	v_mad_u64_u32 v[10:11], null, v6, s30, s[28:29]
	v_mul_lo_u32 v21, v6, s31
	v_mul_lo_u32 v22, v7, s30
	v_add3_u32 v11, v22, v11, v21
	global_load_ubyte v10, v[10:11], off
	s_waitcnt vmcnt(0)
	v_add_nc_u32_sdwa v11, sext(v10), v28 dst_sel:DWORD dst_unused:UNUSED_PAD src0_sel:BYTE_0 src1_sel:DWORD
	v_and_b32_e32 v11, v11, v9
	v_cmp_eq_u32_e32 vcc_lo, v11, v8
	s_and_b32 exec_lo, exec_lo, vcc_lo
	s_cbranch_execz .LBB135_248
; %bb.252:                              ;   in Loop: Header=BB135_250 Depth=2
	v_lshlrev_b16 v10, 8, v10
	v_or_b32_e32 v10, 1, v10
	ds_write_b16 v3, v10 offset:3072
	s_branch .LBB135_248
.LBB135_253:                            ;   in Loop: Header=BB135_250 Depth=2
	v_add_co_u32 v6, vcc_lo, v6, s33
	v_add_co_ci_u32_e64 v7, null, 0, v7, vcc_lo
	s_mov_b32 s40, 0
	v_cmp_le_u64_e32 vcc_lo, s[20:21], v[6:7]
	s_orn2_b32 s41, vcc_lo, exec_lo
	s_branch .LBB135_249
.LBB135_254:                            ;   in Loop: Header=BB135_12 Depth=1
	s_or_b32 exec_lo, exec_lo, s23
	v_lshrrev_b32_sdwa v10, v29, v10 dst_sel:DWORD dst_unused:UNUSED_PAD src0_sel:DWORD src1_sel:WORD_0
	s_andn2_b32 s8, s24, exec_lo
	s_and_b32 s20, s25, exec_lo
	s_or_b32 s24, s8, s20
.LBB135_255:                            ;   in Loop: Header=BB135_12 Depth=1
	s_or_b32 exec_lo, exec_lo, s22
	s_mov_b32 s62, 0
	s_mov_b32 s79, -1
.LBB135_256:                            ;   in Loop: Header=BB135_12 Depth=1
	s_orn2_b32 s21, s24, exec_lo
.LBB135_257:                            ;   in Loop: Header=BB135_12 Depth=1
	s_or_b32 exec_lo, exec_lo, s78
	s_mov_b32 s22, 0
	s_and_saveexec_b32 s20, s21
	s_cbranch_execz .LBB135_268
; %bb.258:                              ;   in Loop: Header=BB135_12 Depth=1
	v_mov_b32_e32 v6, 1
	v_mov_b32_e32 v7, 0
	;; [unrolled: 1-line block ×3, first 2 shown]
	s_xor_b32 s8, s77, -1
	s_and_saveexec_b32 s21, s8
	s_cbranch_execz .LBB135_267
; %bb.259:                              ;   in Loop: Header=BB135_12 Depth=1
	s_mov_b32 s8, exec_lo
	v_cmpx_ge_u64_e64 s[18:19], v[4:5]
	s_xor_b32 s22, exec_lo, s8
	s_cbranch_execz .LBB135_264
; %bb.260:                              ;   in Loop: Header=BB135_12 Depth=1
	ds_read_b64 v[6:7], v3 offset:5120
	v_or_b32_e32 v8, s11, v8
	v_or_b32_e32 v9, s11, v9
	s_waitcnt lgkmcnt(0)
	v_cmp_ne_u64_e32 vcc_lo, 0, v[6:7]
	s_cbranch_vccnz .LBB135_264
; %bb.261:                              ;   in Loop: Header=BB135_12 Depth=1
	s_and_saveexec_b32 s23, s3
; %bb.262:                              ;   in Loop: Header=BB135_12 Depth=1
	v_mov_b32_e32 v6, s18
	v_mov_b32_e32 v7, s19
	ds_write_b64 v3, v[6:7] offset:5128
; %bb.263:                              ;   in Loop: Header=BB135_12 Depth=1
	s_or_b32 exec_lo, exec_lo, s23
	s_waitcnt lgkmcnt(0)
	s_barrier
	buffer_gl0_inv
.LBB135_264:                            ;   in Loop: Header=BB135_12 Depth=1
	s_andn2_saveexec_b32 s22, s22
; %bb.265:                              ;   in Loop: Header=BB135_12 Depth=1
	v_sub_co_u32 v4, vcc_lo, v4, s18
	v_subrev_co_ci_u32_e64 v5, null, s19, v5, vcc_lo
; %bb.266:                              ;   in Loop: Header=BB135_12 Depth=1
	s_or_b32 exec_lo, exec_lo, s22
	v_mov_b32_e32 v7, v5
	v_mov_b32_e32 v2, 8
	;; [unrolled: 1-line block ×3, first 2 shown]
.LBB135_267:                            ;   in Loop: Header=BB135_12 Depth=1
	s_or_b32 exec_lo, exec_lo, s21
	v_mov_b32_e32 v4, v6
	v_mov_b32_e32 v5, v7
	s_mov_b32 s22, exec_lo
.LBB135_268:                            ;   in Loop: Header=BB135_12 Depth=1
	s_or_b32 exec_lo, exec_lo, s20
	s_orn2_b32 s20, s22, exec_lo
.LBB135_269:                            ;   in Loop: Header=BB135_12 Depth=1
	s_or_b32 exec_lo, exec_lo, s76
	v_mov_b32_e32 v7, v5
	v_mov_b32_e32 v6, v4
	s_andn2_b32 s21, s74, exec_lo
	s_and_b32 s22, s79, exec_lo
	s_andn2_b32 s23, s73, exec_lo
	s_and_b32 s24, s62, exec_lo
	s_or_b32 s74, s21, s22
	s_or_b32 s73, s23, s24
	s_and_b32 s21, s20, exec_lo
.LBB135_270:                            ;   in Loop: Header=BB135_12 Depth=1
	s_or_b32 exec_lo, exec_lo, s75
	s_orn2_b32 s20, s21, exec_lo
.LBB135_271:                            ;   in Loop: Header=BB135_12 Depth=1
	s_or_b32 exec_lo, exec_lo, s72
	v_mov_b32_e32 v4, v6
	v_mov_b32_e32 v5, v7
	s_andn2_b32 s21, s66, exec_lo
	s_and_b32 s22, s74, exec_lo
	s_andn2_b32 s23, s57, exec_lo
	s_and_b32 s24, s73, exec_lo
	s_or_b32 s66, s21, s22
	s_or_b32 s57, s23, s24
	s_and_b32 s21, s20, exec_lo
.LBB135_272:                            ;   in Loop: Header=BB135_12 Depth=1
	s_or_b32 exec_lo, exec_lo, s71
	s_orn2_b32 s20, s21, exec_lo
.LBB135_273:                            ;   in Loop: Header=BB135_12 Depth=1
	s_or_b32 exec_lo, exec_lo, s6
	s_mov_b32 s6, 0
	s_mov_b32 s21, 0
	s_and_saveexec_b32 s22, s20
	s_xor_b32 s20, exec_lo, s22
; %bb.274:                              ;   in Loop: Header=BB135_12 Depth=1
	v_cmp_ne_u32_e32 vcc_lo, 8, v2
	v_cmp_eq_u32_e64 s6, 8, v2
	s_and_b32 s21, vcc_lo, exec_lo
	s_and_b32 s6, s6, exec_lo
; %bb.275:                              ;   in Loop: Header=BB135_12 Depth=1
	s_or_b32 exec_lo, exec_lo, s20
	s_andn2_b32 s20, s68, exec_lo
	s_and_b32 s22, s66, exec_lo
	s_andn2_b32 s23, s67, exec_lo
	s_and_b32 s24, s57, exec_lo
	s_or_b32 s68, s20, s22
	s_or_b32 s67, s23, s24
	s_and_b32 s57, s21, exec_lo
	s_and_b32 s66, s6, exec_lo
.LBB135_276:                            ;   in Loop: Header=BB135_12 Depth=1
	s_or_b32 exec_lo, exec_lo, s70
.LBB135_277:                            ;   in Loop: Header=BB135_12 Depth=1
	s_and_b32 vcc_lo, exec_lo, s69
	s_cbranch_vccz .LBB135_293
; %bb.278:                              ;   in Loop: Header=BB135_12 Depth=1
	s_cmp_eq_u64 s[18:19], 1
	s_mov_b32 s20, -1
	s_cselect_b32 s6, -1, 0
                                        ; implicit-def: $sgpr27
	s_and_b32 s6, s6, s9
                                        ; implicit-def: $sgpr9
	s_and_saveexec_b32 s67, s6
	s_cbranch_execz .LBB135_311
; %bb.279:                              ;   in Loop: Header=BB135_12 Depth=1
	ds_read_b64 v[4:5], v3 offset:5120
	s_waitcnt lgkmcnt(0)
	s_barrier
	buffer_gl0_inv
	v_readfirstlane_b32 s20, v4
	v_readfirstlane_b32 s21, v5
	s_and_saveexec_b32 s9, s10
; %bb.280:                              ;   in Loop: Header=BB135_12 Depth=1
	ds_write_b8 v0, v3 offset:3072
; %bb.281:                              ;   in Loop: Header=BB135_12 Depth=1
	s_or_b32 exec_lo, exec_lo, s9
	v_or_b32_e32 v26, s11, v26
	v_or_b32_e32 v30, s11, v30
	s_mov_b32 s27, -1
	s_mov_b32 s9, 0
	s_cmp_eq_u64 s[20:21], 0
	s_mov_b32 s24, 0
	s_mov_b32 s25, -1
	s_waitcnt lgkmcnt(0)
	s_barrier
	buffer_gl0_inv
                                        ; implicit-def: $vgpr31
	s_cbranch_scc1 .LBB135_296
; %bb.282:                              ;   in Loop: Header=BB135_12 Depth=1
	s_add_u32 s62, s20, s82
	s_addc_u32 s23, s21, s83
	s_mov_b32 s22, s61
	s_cmp_lg_u64 s[22:23], 0
	s_cbranch_scc0 .LBB135_337
; %bb.283:                              ;   in Loop: Header=BB135_12 Depth=1
	v_cvt_f32_u32_e32 v2, s33
	s_sub_u32 s25, 0, s33
	s_subb_u32 s40, 0, 0
	v_fmac_f32_e64 v2, 0x4f800000, 0
	v_rcp_f32_e32 v2, v2
	v_mul_f32_e32 v2, 0x5f7ffffc, v2
	v_mul_f32_e32 v4, 0x2f800000, v2
	v_trunc_f32_e32 v4, v4
	v_fmac_f32_e32 v2, 0xcf800000, v4
	v_cvt_u32_f32_e32 v4, v4
	v_cvt_u32_f32_e32 v2, v2
	v_readfirstlane_b32 s22, v4
	v_readfirstlane_b32 s24, v2
	s_mul_i32 s41, s25, s22
	s_mul_hi_u32 s43, s25, s24
	s_mul_i32 s42, s40, s24
	s_add_i32 s41, s43, s41
	s_mul_i32 s58, s25, s24
	s_add_i32 s41, s41, s42
	s_mul_hi_u32 s43, s24, s58
	s_mul_i32 s60, s24, s41
	s_mul_hi_u32 s59, s22, s58
	s_mul_i32 s42, s22, s58
	s_mul_hi_u32 s58, s24, s41
	s_add_u32 s43, s43, s60
	s_addc_u32 s58, 0, s58
	s_mul_hi_u32 s68, s22, s41
	s_add_u32 s42, s43, s42
	s_mul_i32 s41, s22, s41
	s_addc_u32 s42, s58, s59
	s_addc_u32 s43, s68, 0
	s_add_u32 s41, s42, s41
	s_addc_u32 s42, 0, s43
	s_add_u32 s24, s24, s41
	s_cselect_b32 s41, -1, 0
	s_mul_hi_u32 s43, s25, s24
	s_cmp_lg_u32 s41, 0
	s_mul_i32 s41, s25, s24
	s_addc_u32 s22, s22, s42
	s_mul_i32 s40, s40, s24
	s_mul_i32 s25, s25, s22
	s_mul_hi_u32 s42, s24, s41
	s_add_i32 s25, s43, s25
	s_mul_hi_u32 s43, s22, s41
	s_add_i32 s25, s25, s40
	s_mul_i32 s40, s22, s41
	s_mul_i32 s59, s24, s25
	s_mul_hi_u32 s58, s24, s25
	s_add_u32 s42, s42, s59
	s_addc_u32 s58, 0, s58
	s_mul_hi_u32 s41, s22, s25
	s_add_u32 s40, s42, s40
	s_mul_i32 s25, s22, s25
	s_addc_u32 s40, s58, s43
	s_addc_u32 s41, s41, 0
	s_add_u32 s25, s40, s25
	s_addc_u32 s40, 0, s41
	s_add_u32 s24, s24, s25
	s_cselect_b32 s25, -1, 0
	s_mul_hi_u32 s41, s62, s24
	s_cmp_lg_u32 s25, 0
	s_mul_hi_u32 s25, s23, s24
	s_addc_u32 s22, s22, s40
	s_mul_i32 s24, s23, s24
	s_mul_i32 s42, s62, s22
	s_mul_hi_u32 s40, s62, s22
	s_add_u32 s41, s41, s42
	s_addc_u32 s40, 0, s40
	s_mul_hi_u32 s43, s23, s22
	s_add_u32 s24, s41, s24
	s_mul_i32 s22, s23, s22
	s_addc_u32 s24, s40, s25
	s_addc_u32 s25, s43, 0
	s_add_u32 s22, s24, s22
	s_addc_u32 s24, 0, s25
	s_mul_hi_u32 s25, s33, s22
	s_mul_i32 s24, s33, s24
	s_mul_i32 s22, s33, s22
	s_add_i32 s25, s25, s24
	s_sub_u32 s22, s62, s22
	s_cselect_b32 s24, -1, 0
	s_cmp_lg_u32 s24, 0
	s_subb_u32 s24, s23, s25
	s_sub_u32 s25, s22, s33
	s_cselect_b32 s40, -1, 0
	s_cmp_lg_u32 s40, 0
	s_subb_u32 s40, s24, 0
	;; [unrolled: 4-line block ×3, first 2 shown]
	s_cmp_ge_u32 s25, s33
	s_cselect_b32 s43, -1, 0
	s_cmp_eq_u32 s40, 0
	s_cselect_b32 s43, s43, -1
	s_cmp_lg_u32 s43, 0
	s_cselect_b32 s40, s42, s40
	s_cselect_b32 s41, s41, s25
	s_cmp_ge_u32 s22, s33
	s_cselect_b32 s25, -1, 0
	s_cmp_eq_u32 s24, 0
	s_cselect_b32 s25, s25, -1
	s_cmp_lg_u32 s25, 0
	s_cselect_b32 s25, s40, s24
	s_cselect_b32 s24, s41, s22
	s_cbranch_execnz .LBB135_285
.LBB135_284:                            ;   in Loop: Header=BB135_12 Depth=1
	v_cvt_f32_u32_e32 v2, s33
	s_sub_i32 s24, 0, s33
	v_rcp_iflag_f32_e32 v2, v2
	v_mul_f32_e32 v2, 0x4f7ffffe, v2
	v_cvt_u32_f32_e32 v2, v2
	v_readfirstlane_b32 s22, v2
	s_mul_i32 s24, s24, s22
	s_mul_hi_u32 s24, s22, s24
	s_add_i32 s22, s22, s24
	s_mul_hi_u32 s22, s62, s22
	s_mul_i32 s22, s22, s33
	s_sub_i32 s22, s62, s22
	s_sub_i32 s24, s22, s33
	s_cmp_ge_u32 s22, s33
	s_cselect_b32 s22, s24, s22
	s_sub_i32 s24, s22, s33
	s_cmp_ge_u32 s22, s33
	s_cselect_b32 s60, s24, s22
	s_mov_b64 s[24:25], s[60:61]
.LBB135_285:                            ;   in Loop: Header=BB135_12 Depth=1
	s_sub_u32 s22, s62, s24
	s_subb_u32 s23, s23, s25
	s_mov_b32 s25, 0
	s_mov_b32 s24, 0
	s_mov_b32 s58, exec_lo
                                        ; implicit-def: $vgpr31
	v_cmpx_gt_u64_e64 s[22:23], v[0:1]
	s_cbranch_execz .LBB135_295
; %bb.286:                              ;   in Loop: Header=BB135_12 Depth=1
	v_mov_b32_e32 v5, v1
	v_mov_b32_e32 v2, v0
	;; [unrolled: 1-line block ×3, first 2 shown]
                                        ; implicit-def: $sgpr59
	s_inst_prefetch 0x1
	s_branch .LBB135_289
	.p2align	6
.LBB135_287:                            ;   in Loop: Header=BB135_289 Depth=2
	s_or_b32 exec_lo, exec_lo, s60
	s_waitcnt lgkmcnt(0)
	s_barrier
	buffer_gl0_inv
	ds_read_u16 v6, v3 offset:3072
	s_mov_b32 s40, -1
	s_waitcnt lgkmcnt(0)
	s_barrier
	buffer_gl0_inv
	v_cmp_ne_u32_sdwa s41, v6, v3 src0_sel:BYTE_0 src1_sel:DWORD
	s_and_b32 vcc_lo, exec_lo, s41
	s_mov_b32 s41, -1
	s_cbranch_vccz .LBB135_292
.LBB135_288:                            ;   in Loop: Header=BB135_289 Depth=2
	s_and_b32 s8, exec_lo, s40
	s_or_b32 s24, s8, s24
	s_andn2_b32 s8, s59, exec_lo
	s_and_b32 s40, s41, exec_lo
	s_or_b32 s59, s8, s40
	s_andn2_b32 exec_lo, exec_lo, s24
	s_cbranch_execz .LBB135_294
.LBB135_289:                            ;   Parent Loop BB135_12 Depth=1
                                        ; =>  This Inner Loop Header: Depth=2
	s_mov_b32 s60, exec_lo
	v_cmpx_gt_u64_e64 s[20:21], v[4:5]
	s_cbranch_execz .LBB135_287
; %bb.290:                              ;   in Loop: Header=BB135_289 Depth=2
	ds_read_u8 v6, v2
	s_waitcnt lgkmcnt(0)
	v_add_nc_u32_sdwa v7, sext(v6), v28 dst_sel:DWORD dst_unused:UNUSED_PAD src0_sel:BYTE_0 src1_sel:DWORD
	v_and_b32_e32 v7, v7, v30
	v_cmp_eq_u32_e32 vcc_lo, v7, v26
	s_and_b32 exec_lo, exec_lo, vcc_lo
	s_cbranch_execz .LBB135_287
; %bb.291:                              ;   in Loop: Header=BB135_289 Depth=2
	v_lshlrev_b16 v6, 8, v6
	v_or_b32_e32 v6, 1, v6
	ds_write_b16 v3, v6 offset:3072
	s_branch .LBB135_287
.LBB135_292:                            ;   in Loop: Header=BB135_289 Depth=2
	v_add_co_u32 v4, vcc_lo, v4, s33
	v_add_co_ci_u32_e64 v5, null, 0, v5, vcc_lo
	v_add_nc_u32_e32 v2, s33, v2
	s_mov_b32 s41, 0
	v_cmp_le_u64_e32 vcc_lo, s[22:23], v[4:5]
	s_orn2_b32 s40, vcc_lo, exec_lo
	s_branch .LBB135_288
.LBB135_293:                            ;   in Loop: Header=BB135_12 Depth=1
	v_mov_b32_e32 v26, v8
	v_mov_b32_e32 v30, v9
	;; [unrolled: 1-line block ×3, first 2 shown]
	s_mov_b32 s9, 0
	s_and_saveexec_b32 s6, s66
	s_cbranch_execnz .LBB135_470
	s_branch .LBB135_471
.LBB135_294:                            ;   in Loop: Header=BB135_12 Depth=1
	s_inst_prefetch 0x2
	s_or_b32 exec_lo, exec_lo, s24
	v_lshrrev_b32_sdwa v31, v29, v6 dst_sel:DWORD dst_unused:UNUSED_PAD src0_sel:DWORD src1_sel:WORD_0
	s_and_b32 s24, s59, exec_lo
.LBB135_295:                            ;   in Loop: Header=BB135_12 Depth=1
	s_or_b32 exec_lo, exec_lo, s58
.LBB135_296:                            ;   in Loop: Header=BB135_12 Depth=1
	s_and_b32 vcc_lo, exec_lo, s25
	s_cbranch_vccz .LBB135_310
; %bb.297:                              ;   in Loop: Header=BB135_12 Depth=1
	s_mov_b32 s62, s61
	s_cmp_lg_u64 s[62:63], 0
	s_cbranch_scc0 .LBB135_338
; %bb.298:                              ;   in Loop: Header=BB135_12 Depth=1
	v_cvt_f32_u32_e32 v2, s33
	s_sub_u32 s21, 0, s33
	s_subb_u32 s22, 0, 0
	v_fmac_f32_e64 v2, 0x4f800000, 0
	v_rcp_f32_e32 v2, v2
	v_mul_f32_e32 v2, 0x5f7ffffc, v2
	v_mul_f32_e32 v4, 0x2f800000, v2
	v_trunc_f32_e32 v4, v4
	v_fmac_f32_e32 v2, 0xcf800000, v4
	v_cvt_u32_f32_e32 v4, v4
	v_cvt_u32_f32_e32 v2, v2
	v_readfirstlane_b32 s9, v4
	v_readfirstlane_b32 s20, v2
	s_mul_i32 s23, s21, s9
	s_mul_hi_u32 s27, s21, s20
	s_mul_i32 s25, s22, s20
	s_add_i32 s23, s27, s23
	s_mul_i32 s40, s21, s20
	s_add_i32 s23, s23, s25
	s_mul_hi_u32 s27, s20, s40
	s_mul_i32 s42, s20, s23
	s_mul_hi_u32 s41, s9, s40
	s_mul_i32 s25, s9, s40
	s_mul_hi_u32 s40, s20, s23
	s_add_u32 s27, s27, s42
	s_addc_u32 s40, 0, s40
	s_mul_hi_u32 s43, s9, s23
	s_add_u32 s25, s27, s25
	s_mul_i32 s23, s9, s23
	s_addc_u32 s25, s40, s41
	s_addc_u32 s27, s43, 0
	s_add_u32 s23, s25, s23
	s_addc_u32 s25, 0, s27
	s_add_u32 s20, s20, s23
	s_cselect_b32 s23, -1, 0
	s_mul_hi_u32 s27, s21, s20
	s_cmp_lg_u32 s23, 0
	s_mul_i32 s23, s21, s20
	s_addc_u32 s9, s9, s25
	s_mul_i32 s22, s22, s20
	s_mul_i32 s21, s21, s9
	s_mul_hi_u32 s25, s20, s23
	s_add_i32 s21, s27, s21
	s_mul_hi_u32 s27, s9, s23
	s_add_i32 s21, s21, s22
	s_mul_i32 s22, s9, s23
	s_mul_i32 s41, s20, s21
	s_mul_hi_u32 s40, s20, s21
	s_add_u32 s25, s25, s41
	s_addc_u32 s40, 0, s40
	s_mul_hi_u32 s23, s9, s21
	s_add_u32 s22, s25, s22
	s_mul_i32 s21, s9, s21
	s_addc_u32 s22, s40, s27
	s_addc_u32 s23, s23, 0
	s_add_u32 s21, s22, s21
	s_addc_u32 s22, 0, s23
	s_add_u32 s20, s20, s21
	s_cselect_b32 s21, -1, 0
	s_mul_hi_u32 s23, s84, s20
	s_cmp_lg_u32 s21, 0
	s_mul_hi_u32 s21, s63, s20
	s_addc_u32 s9, s9, s22
	s_mul_i32 s20, s63, s20
	s_mul_i32 s25, s84, s9
	s_mul_hi_u32 s22, s84, s9
	s_add_u32 s23, s23, s25
	s_addc_u32 s22, 0, s22
	s_mul_hi_u32 s27, s63, s9
	s_add_u32 s20, s23, s20
	s_mul_i32 s9, s63, s9
	s_addc_u32 s20, s22, s21
	s_addc_u32 s21, s27, 0
	s_add_u32 s9, s20, s9
	s_addc_u32 s20, 0, s21
	s_mul_hi_u32 s21, s33, s9
	s_mul_i32 s20, s33, s20
	s_mul_i32 s9, s33, s9
	s_add_i32 s21, s21, s20
	s_sub_u32 s9, s84, s9
	s_cselect_b32 s20, -1, 0
	s_cmp_lg_u32 s20, 0
	s_subb_u32 s20, s63, s21
	s_sub_u32 s21, s9, s33
	s_cselect_b32 s22, -1, 0
	s_cmp_lg_u32 s22, 0
	s_subb_u32 s22, s20, 0
	s_sub_u32 s23, s21, s33
	s_cselect_b32 s25, -1, 0
	s_cmp_lg_u32 s25, 0
	s_subb_u32 s25, s22, 0
	s_cmp_ge_u32 s21, s33
	s_cselect_b32 s27, -1, 0
	s_cmp_eq_u32 s22, 0
	s_cselect_b32 s27, s27, -1
	s_cmp_lg_u32 s27, 0
	s_cselect_b32 s22, s25, s22
	s_cselect_b32 s23, s23, s21
	s_cmp_ge_u32 s9, s33
	s_cselect_b32 s21, -1, 0
	s_cmp_eq_u32 s20, 0
	s_cselect_b32 s21, s21, -1
	s_cmp_lg_u32 s21, 0
	s_cselect_b32 s21, s22, s20
	s_cselect_b32 s20, s23, s9
	s_cbranch_execnz .LBB135_300
.LBB135_299:                            ;   in Loop: Header=BB135_12 Depth=1
	v_cvt_f32_u32_e32 v2, s33
	s_sub_i32 s20, 0, s33
	v_rcp_iflag_f32_e32 v2, v2
	v_mul_f32_e32 v2, 0x4f7ffffe, v2
	v_cvt_u32_f32_e32 v2, v2
	v_readfirstlane_b32 s9, v2
	s_mul_i32 s20, s20, s9
	s_mul_hi_u32 s20, s9, s20
	s_add_i32 s9, s9, s20
	s_mul_hi_u32 s9, s84, s9
	s_mul_i32 s9, s9, s33
	s_sub_i32 s9, s84, s9
	s_sub_i32 s20, s9, s33
	s_cmp_ge_u32 s9, s33
	s_cselect_b32 s9, s20, s9
	s_sub_i32 s20, s9, s33
	s_cmp_ge_u32 s9, s33
	s_cselect_b32 s60, s20, s9
	s_mov_b64 s[20:21], s[60:61]
.LBB135_300:                            ;   in Loop: Header=BB135_12 Depth=1
	s_sub_u32 s20, s84, s20
	s_subb_u32 s21, s63, s21
	s_mov_b32 s9, exec_lo
                                        ; implicit-def: $vgpr31
	v_cmpx_gt_u64_e64 s[20:21], v[0:1]
	s_cbranch_execz .LBB135_309
; %bb.301:                              ;   in Loop: Header=BB135_12 Depth=1
	v_mov_b32_e32 v5, v1
	v_mov_b32_e32 v4, v0
	s_mov_b32 s22, 0
                                        ; implicit-def: $sgpr23
	s_branch .LBB135_304
.LBB135_302:                            ;   in Loop: Header=BB135_304 Depth=2
	s_or_b32 exec_lo, exec_lo, s25
	s_waitcnt lgkmcnt(0)
	s_barrier
	buffer_gl0_inv
	ds_read_u16 v2, v3 offset:3072
	s_mov_b32 s27, -1
	s_waitcnt lgkmcnt(0)
	s_barrier
	buffer_gl0_inv
	v_cmp_ne_u32_sdwa s25, v2, v3 src0_sel:BYTE_0 src1_sel:DWORD
	s_and_b32 vcc_lo, exec_lo, s25
	s_mov_b32 s25, -1
	s_cbranch_vccz .LBB135_307
.LBB135_303:                            ;   in Loop: Header=BB135_304 Depth=2
	s_and_b32 s8, exec_lo, s27
	s_or_b32 s22, s8, s22
	s_andn2_b32 s8, s23, exec_lo
	s_and_b32 s23, s25, exec_lo
	s_or_b32 s23, s8, s23
	s_andn2_b32 exec_lo, exec_lo, s22
	s_cbranch_execz .LBB135_308
.LBB135_304:                            ;   Parent Loop BB135_12 Depth=1
                                        ; =>  This Inner Loop Header: Depth=2
	s_mov_b32 s25, exec_lo
	v_cmpx_gt_u64_e64 s[36:37], v[4:5]
	s_cbranch_execz .LBB135_302
; %bb.305:                              ;   in Loop: Header=BB135_304 Depth=2
	v_mad_u64_u32 v[6:7], null, v4, s30, s[28:29]
	v_mul_lo_u32 v2, v4, s31
	v_mul_lo_u32 v8, v5, s30
	v_add3_u32 v7, v8, v7, v2
	global_load_ubyte v2, v[6:7], off
	s_waitcnt vmcnt(0)
	v_add_nc_u32_sdwa v6, sext(v2), v28 dst_sel:DWORD dst_unused:UNUSED_PAD src0_sel:BYTE_0 src1_sel:DWORD
	v_and_b32_e32 v6, v6, v30
	v_cmp_eq_u32_e32 vcc_lo, v6, v26
	s_and_b32 exec_lo, exec_lo, vcc_lo
	s_cbranch_execz .LBB135_302
; %bb.306:                              ;   in Loop: Header=BB135_304 Depth=2
	v_lshlrev_b16 v2, 8, v2
	v_or_b32_e32 v2, 1, v2
	ds_write_b16 v3, v2 offset:3072
	s_branch .LBB135_302
.LBB135_307:                            ;   in Loop: Header=BB135_304 Depth=2
	v_add_co_u32 v4, vcc_lo, v4, s33
	v_add_co_ci_u32_e64 v5, null, 0, v5, vcc_lo
	s_mov_b32 s25, 0
	v_cmp_le_u64_e32 vcc_lo, s[20:21], v[4:5]
	s_orn2_b32 s27, vcc_lo, exec_lo
	s_branch .LBB135_303
.LBB135_308:                            ;   in Loop: Header=BB135_12 Depth=1
	s_or_b32 exec_lo, exec_lo, s22
	v_lshrrev_b32_sdwa v31, v29, v2 dst_sel:DWORD dst_unused:UNUSED_PAD src0_sel:DWORD src1_sel:WORD_0
	s_andn2_b32 s8, s24, exec_lo
	s_and_b32 s20, s23, exec_lo
	s_or_b32 s24, s8, s20
.LBB135_309:                            ;   in Loop: Header=BB135_12 Depth=1
	s_or_b32 exec_lo, exec_lo, s9
	s_mov_b32 s27, 0
	s_mov_b32 s9, -1
.LBB135_310:                            ;   in Loop: Header=BB135_12 Depth=1
	s_orn2_b32 s20, s24, exec_lo
.LBB135_311:                            ;   in Loop: Header=BB135_12 Depth=1
	s_or_b32 exec_lo, exec_lo, s67
                                        ; implicit-def: $vgpr4_vgpr5
                                        ; implicit-def: $vgpr2
	s_and_saveexec_b32 s24, s20
	s_cbranch_execz .LBB135_469
; %bb.312:                              ;   in Loop: Header=BB135_12 Depth=1
	v_mov_b32_e32 v4, 1
	v_mov_b32_e32 v5, 0
	;; [unrolled: 1-line block ×3, first 2 shown]
	s_xor_b32 s21, s6, -1
	s_mov_b32 s20, 0
	s_and_saveexec_b32 s6, s21
	s_cbranch_execz .LBB135_321
; %bb.313:                              ;   in Loop: Header=BB135_12 Depth=1
	s_mov_b32 s20, exec_lo
	v_cmpx_ge_u64_e64 s[18:19], v[19:20]
	s_xor_b32 s20, exec_lo, s20
	s_cbranch_execz .LBB135_318
; %bb.314:                              ;   in Loop: Header=BB135_12 Depth=1
	ds_read_b64 v[4:5], v3 offset:5120
	v_or_b32_e32 v26, s11, v26
	v_or_b32_e32 v30, s11, v30
	s_waitcnt lgkmcnt(0)
	v_cmp_ne_u64_e32 vcc_lo, 0, v[4:5]
	s_cbranch_vccnz .LBB135_318
; %bb.315:                              ;   in Loop: Header=BB135_12 Depth=1
	s_and_saveexec_b32 s21, s3
; %bb.316:                              ;   in Loop: Header=BB135_12 Depth=1
	v_mov_b32_e32 v4, s18
	v_mov_b32_e32 v5, s19
	ds_write_b64 v3, v[4:5] offset:5128
; %bb.317:                              ;   in Loop: Header=BB135_12 Depth=1
	s_or_b32 exec_lo, exec_lo, s21
	s_waitcnt lgkmcnt(0)
	s_barrier
	buffer_gl0_inv
.LBB135_318:                            ;   in Loop: Header=BB135_12 Depth=1
	s_or_saveexec_b32 s20, s20
	v_mov_b32_e32 v2, 5
	s_mov_b32 s21, 0
	s_xor_b32 exec_lo, exec_lo, s20
; %bb.319:                              ;   in Loop: Header=BB135_12 Depth=1
	v_sub_co_u32 v19, vcc_lo, v19, s18
	v_subrev_co_ci_u32_e64 v20, null, s19, v20, vcc_lo
	v_mov_b32_e32 v2, 0
	s_mov_b32 s21, exec_lo
; %bb.320:                              ;   in Loop: Header=BB135_12 Depth=1
	s_or_b32 exec_lo, exec_lo, s20
	v_mov_b32_e32 v4, v19
	v_mov_b32_e32 v5, v20
	s_and_b32 s20, s21, exec_lo
.LBB135_321:                            ;   in Loop: Header=BB135_12 Depth=1
	s_or_b32 exec_lo, exec_lo, s6
	s_mov_b32 s18, -1
                                        ; implicit-def: $sgpr25
                                        ; implicit-def: $sgpr67
	s_and_saveexec_b32 s6, s20
	s_xor_b32 s6, exec_lo, s6
	s_cbranch_execz .LBB135_466
; %bb.322:                              ;   in Loop: Header=BB135_12 Depth=1
	v_cmp_eq_u64_e32 vcc_lo, 1, v[4:5]
	s_cmp_eq_u64 s[16:17], 1
                                        ; implicit-def: $sgpr67
                                        ; implicit-def: $sgpr25
	s_cselect_b32 s18, -1, 0
	s_and_b32 s68, s18, vcc_lo
	s_mov_b32 s18, -1
	s_and_saveexec_b32 s69, s68
	s_cbranch_execz .LBB135_356
; %bb.323:                              ;   in Loop: Header=BB135_12 Depth=1
	ds_read_b64 v[6:7], v3 offset:5120
	s_waitcnt lgkmcnt(0)
	s_barrier
	buffer_gl0_inv
	v_readfirstlane_b32 s18, v6
	v_readfirstlane_b32 s19, v7
	s_and_saveexec_b32 s20, s10
; %bb.324:                              ;   in Loop: Header=BB135_12 Depth=1
	ds_write_b8 v0, v3 offset:3072
; %bb.325:                              ;   in Loop: Header=BB135_12 Depth=1
	s_or_b32 exec_lo, exec_lo, s20
	s_lshl_b32 s20, 2, s93
	v_or_b32_e32 v30, s11, v30
	v_and_or_b32 v26, v26, s26, s20
	s_mov_b32 s25, -1
	s_mov_b32 s67, 0
	s_cmp_eq_u64 s[18:19], 0
	s_mov_b32 s22, 0
	s_mov_b32 s23, -1
	s_waitcnt lgkmcnt(0)
	s_barrier
	buffer_gl0_inv
                                        ; implicit-def: $vgpr31
	s_cbranch_scc1 .LBB135_341
; %bb.326:                              ;   in Loop: Header=BB135_12 Depth=1
	s_add_u32 s62, s18, s82
	s_addc_u32 s21, s19, s83
	s_mov_b32 s20, s61
	s_cmp_lg_u64 s[20:21], 0
	s_cbranch_scc0 .LBB135_382
; %bb.327:                              ;   in Loop: Header=BB135_12 Depth=1
	v_cvt_f32_u32_e32 v6, s33
	s_sub_u32 s23, 0, s33
	s_subb_u32 s40, 0, 0
	v_fmac_f32_e64 v6, 0x4f800000, 0
	v_rcp_f32_e32 v6, v6
	v_mul_f32_e32 v6, 0x5f7ffffc, v6
	v_mul_f32_e32 v7, 0x2f800000, v6
	v_trunc_f32_e32 v7, v7
	v_fmac_f32_e32 v6, 0xcf800000, v7
	v_cvt_u32_f32_e32 v7, v7
	v_cvt_u32_f32_e32 v6, v6
	v_readfirstlane_b32 s20, v7
	v_readfirstlane_b32 s22, v6
	s_mul_i32 s41, s23, s20
	s_mul_hi_u32 s43, s23, s22
	s_mul_i32 s42, s40, s22
	s_add_i32 s41, s43, s41
	s_mul_i32 s58, s23, s22
	s_add_i32 s41, s41, s42
	s_mul_hi_u32 s43, s22, s58
	s_mul_i32 s60, s22, s41
	s_mul_hi_u32 s59, s20, s58
	s_mul_i32 s42, s20, s58
	s_mul_hi_u32 s58, s22, s41
	s_add_u32 s43, s43, s60
	s_addc_u32 s58, 0, s58
	s_mul_hi_u32 s70, s20, s41
	s_add_u32 s42, s43, s42
	s_mul_i32 s41, s20, s41
	s_addc_u32 s42, s58, s59
	s_addc_u32 s43, s70, 0
	s_add_u32 s41, s42, s41
	s_addc_u32 s42, 0, s43
	s_add_u32 s22, s22, s41
	s_cselect_b32 s41, -1, 0
	s_mul_hi_u32 s43, s23, s22
	s_cmp_lg_u32 s41, 0
	s_mul_i32 s41, s23, s22
	s_addc_u32 s20, s20, s42
	s_mul_i32 s40, s40, s22
	s_mul_i32 s23, s23, s20
	s_mul_hi_u32 s42, s22, s41
	s_add_i32 s23, s43, s23
	s_mul_hi_u32 s43, s20, s41
	s_add_i32 s23, s23, s40
	s_mul_i32 s40, s20, s41
	s_mul_i32 s59, s22, s23
	s_mul_hi_u32 s58, s22, s23
	s_add_u32 s42, s42, s59
	s_addc_u32 s58, 0, s58
	s_mul_hi_u32 s41, s20, s23
	s_add_u32 s40, s42, s40
	s_mul_i32 s23, s20, s23
	s_addc_u32 s40, s58, s43
	s_addc_u32 s41, s41, 0
	s_add_u32 s23, s40, s23
	s_addc_u32 s40, 0, s41
	s_add_u32 s22, s22, s23
	s_cselect_b32 s23, -1, 0
	s_mul_hi_u32 s41, s62, s22
	s_cmp_lg_u32 s23, 0
	s_mul_hi_u32 s23, s21, s22
	s_addc_u32 s20, s20, s40
	s_mul_i32 s22, s21, s22
	s_mul_i32 s42, s62, s20
	s_mul_hi_u32 s40, s62, s20
	s_add_u32 s41, s41, s42
	s_addc_u32 s40, 0, s40
	s_mul_hi_u32 s43, s21, s20
	s_add_u32 s22, s41, s22
	s_mul_i32 s20, s21, s20
	s_addc_u32 s22, s40, s23
	s_addc_u32 s23, s43, 0
	s_add_u32 s20, s22, s20
	s_addc_u32 s22, 0, s23
	s_mul_hi_u32 s23, s33, s20
	s_mul_i32 s22, s33, s22
	s_mul_i32 s20, s33, s20
	s_add_i32 s23, s23, s22
	s_sub_u32 s20, s62, s20
	s_cselect_b32 s22, -1, 0
	s_cmp_lg_u32 s22, 0
	s_subb_u32 s22, s21, s23
	s_sub_u32 s23, s20, s33
	s_cselect_b32 s40, -1, 0
	s_cmp_lg_u32 s40, 0
	s_subb_u32 s40, s22, 0
	;; [unrolled: 4-line block ×3, first 2 shown]
	s_cmp_ge_u32 s23, s33
	s_cselect_b32 s43, -1, 0
	s_cmp_eq_u32 s40, 0
	s_cselect_b32 s43, s43, -1
	s_cmp_lg_u32 s43, 0
	s_cselect_b32 s40, s42, s40
	s_cselect_b32 s41, s41, s23
	s_cmp_ge_u32 s20, s33
	s_cselect_b32 s23, -1, 0
	s_cmp_eq_u32 s22, 0
	s_cselect_b32 s23, s23, -1
	s_cmp_lg_u32 s23, 0
	s_cselect_b32 s23, s40, s22
	s_cselect_b32 s22, s41, s20
	s_cbranch_execnz .LBB135_329
.LBB135_328:                            ;   in Loop: Header=BB135_12 Depth=1
	v_cvt_f32_u32_e32 v6, s33
	s_sub_i32 s22, 0, s33
	v_rcp_iflag_f32_e32 v6, v6
	v_mul_f32_e32 v6, 0x4f7ffffe, v6
	v_cvt_u32_f32_e32 v6, v6
	v_readfirstlane_b32 s20, v6
	s_mul_i32 s22, s22, s20
	s_mul_hi_u32 s22, s20, s22
	s_add_i32 s20, s20, s22
	s_mul_hi_u32 s20, s62, s20
	s_mul_i32 s20, s20, s33
	s_sub_i32 s20, s62, s20
	s_sub_i32 s22, s20, s33
	s_cmp_ge_u32 s20, s33
	s_cselect_b32 s20, s22, s20
	s_sub_i32 s22, s20, s33
	s_cmp_ge_u32 s20, s33
	s_cselect_b32 s60, s22, s20
	s_mov_b64 s[22:23], s[60:61]
.LBB135_329:                            ;   in Loop: Header=BB135_12 Depth=1
	s_sub_u32 s20, s62, s22
	s_subb_u32 s21, s21, s23
	s_mov_b32 s23, 0
	s_mov_b32 s22, 0
	s_mov_b32 s58, exec_lo
                                        ; implicit-def: $vgpr31
	v_cmpx_gt_u64_e64 s[20:21], v[0:1]
	s_cbranch_execz .LBB135_340
; %bb.330:                              ;   in Loop: Header=BB135_12 Depth=1
	v_mov_b32_e32 v7, v1
	v_mov_b32_e32 v8, v0
	;; [unrolled: 1-line block ×3, first 2 shown]
                                        ; implicit-def: $sgpr59
	s_inst_prefetch 0x1
	s_branch .LBB135_333
	.p2align	6
.LBB135_331:                            ;   in Loop: Header=BB135_333 Depth=2
	s_or_b32 exec_lo, exec_lo, s60
	s_waitcnt lgkmcnt(0)
	s_barrier
	buffer_gl0_inv
	ds_read_u16 v9, v3 offset:3072
	s_mov_b32 s40, -1
	s_waitcnt lgkmcnt(0)
	s_barrier
	buffer_gl0_inv
	v_cmp_ne_u32_sdwa s41, v9, v3 src0_sel:BYTE_0 src1_sel:DWORD
	s_and_b32 vcc_lo, exec_lo, s41
	s_mov_b32 s41, -1
	s_cbranch_vccz .LBB135_336
.LBB135_332:                            ;   in Loop: Header=BB135_333 Depth=2
	s_and_b32 s8, exec_lo, s40
	s_or_b32 s22, s8, s22
	s_andn2_b32 s8, s59, exec_lo
	s_and_b32 s40, s41, exec_lo
	s_or_b32 s59, s8, s40
	s_andn2_b32 exec_lo, exec_lo, s22
	s_cbranch_execz .LBB135_339
.LBB135_333:                            ;   Parent Loop BB135_12 Depth=1
                                        ; =>  This Inner Loop Header: Depth=2
	s_mov_b32 s60, exec_lo
	v_cmpx_gt_u64_e64 s[18:19], v[6:7]
	s_cbranch_execz .LBB135_331
; %bb.334:                              ;   in Loop: Header=BB135_333 Depth=2
	ds_read_u8 v9, v8
	s_waitcnt lgkmcnt(0)
	v_add_nc_u32_sdwa v10, sext(v9), v28 dst_sel:DWORD dst_unused:UNUSED_PAD src0_sel:BYTE_0 src1_sel:DWORD
	v_and_b32_e32 v10, v10, v30
	v_cmp_eq_u32_e32 vcc_lo, v10, v26
	s_and_b32 exec_lo, exec_lo, vcc_lo
	s_cbranch_execz .LBB135_331
; %bb.335:                              ;   in Loop: Header=BB135_333 Depth=2
	v_lshlrev_b16 v9, 8, v9
	v_or_b32_e32 v9, 1, v9
	ds_write_b16 v3, v9 offset:3072
	s_branch .LBB135_331
.LBB135_336:                            ;   in Loop: Header=BB135_333 Depth=2
	v_add_co_u32 v6, vcc_lo, v6, s33
	v_add_co_ci_u32_e64 v7, null, 0, v7, vcc_lo
	v_add_nc_u32_e32 v8, s33, v8
	s_mov_b32 s41, 0
	v_cmp_le_u64_e32 vcc_lo, s[20:21], v[6:7]
	s_orn2_b32 s40, vcc_lo, exec_lo
	s_branch .LBB135_332
.LBB135_337:                            ;   in Loop: Header=BB135_12 Depth=1
                                        ; implicit-def: $sgpr24_sgpr25
	s_branch .LBB135_284
.LBB135_338:                            ;   in Loop: Header=BB135_12 Depth=1
                                        ; implicit-def: $sgpr20_sgpr21
	s_branch .LBB135_299
.LBB135_339:                            ;   in Loop: Header=BB135_12 Depth=1
	s_inst_prefetch 0x2
	s_or_b32 exec_lo, exec_lo, s22
	v_lshrrev_b32_sdwa v31, v29, v9 dst_sel:DWORD dst_unused:UNUSED_PAD src0_sel:DWORD src1_sel:WORD_0
	s_and_b32 s22, s59, exec_lo
.LBB135_340:                            ;   in Loop: Header=BB135_12 Depth=1
	s_or_b32 exec_lo, exec_lo, s58
.LBB135_341:                            ;   in Loop: Header=BB135_12 Depth=1
	s_and_b32 vcc_lo, exec_lo, s23
	s_cbranch_vccz .LBB135_355
; %bb.342:                              ;   in Loop: Header=BB135_12 Depth=1
	s_mov_b32 s62, s61
	s_cmp_lg_u64 s[62:63], 0
	s_cbranch_scc0 .LBB135_383
; %bb.343:                              ;   in Loop: Header=BB135_12 Depth=1
	v_cvt_f32_u32_e32 v6, s33
	s_sub_u32 s20, 0, s33
	s_subb_u32 s21, 0, 0
	v_fmac_f32_e64 v6, 0x4f800000, 0
	v_rcp_f32_e32 v6, v6
	v_mul_f32_e32 v6, 0x5f7ffffc, v6
	v_mul_f32_e32 v7, 0x2f800000, v6
	v_trunc_f32_e32 v7, v7
	v_fmac_f32_e32 v6, 0xcf800000, v7
	v_cvt_u32_f32_e32 v7, v7
	v_cvt_u32_f32_e32 v6, v6
	v_readfirstlane_b32 s18, v7
	v_readfirstlane_b32 s19, v6
	s_mul_i32 s23, s20, s18
	s_mul_hi_u32 s40, s20, s19
	s_mul_i32 s25, s21, s19
	s_add_i32 s23, s40, s23
	s_mul_i32 s41, s20, s19
	s_add_i32 s23, s23, s25
	s_mul_hi_u32 s40, s19, s41
	s_mul_i32 s43, s19, s23
	s_mul_hi_u32 s42, s18, s41
	s_mul_i32 s25, s18, s41
	s_mul_hi_u32 s41, s19, s23
	s_add_u32 s40, s40, s43
	s_addc_u32 s41, 0, s41
	s_mul_hi_u32 s58, s18, s23
	s_add_u32 s25, s40, s25
	s_mul_i32 s23, s18, s23
	s_addc_u32 s25, s41, s42
	s_addc_u32 s40, s58, 0
	s_add_u32 s23, s25, s23
	s_addc_u32 s25, 0, s40
	s_add_u32 s19, s19, s23
	s_cselect_b32 s23, -1, 0
	s_mul_hi_u32 s40, s20, s19
	s_cmp_lg_u32 s23, 0
	s_mul_i32 s23, s20, s19
	s_addc_u32 s18, s18, s25
	s_mul_i32 s21, s21, s19
	s_mul_i32 s20, s20, s18
	s_mul_hi_u32 s25, s19, s23
	s_add_i32 s20, s40, s20
	s_mul_hi_u32 s40, s18, s23
	s_add_i32 s20, s20, s21
	s_mul_i32 s21, s18, s23
	s_mul_i32 s42, s19, s20
	s_mul_hi_u32 s41, s19, s20
	s_add_u32 s25, s25, s42
	s_addc_u32 s41, 0, s41
	s_mul_hi_u32 s23, s18, s20
	s_add_u32 s21, s25, s21
	s_mul_i32 s20, s18, s20
	s_addc_u32 s21, s41, s40
	s_addc_u32 s23, s23, 0
	s_add_u32 s20, s21, s20
	s_addc_u32 s21, 0, s23
	s_add_u32 s19, s19, s20
	s_cselect_b32 s20, -1, 0
	s_mul_hi_u32 s23, s84, s19
	s_cmp_lg_u32 s20, 0
	s_mul_hi_u32 s20, s63, s19
	s_addc_u32 s18, s18, s21
	s_mul_i32 s19, s63, s19
	s_mul_i32 s25, s84, s18
	s_mul_hi_u32 s21, s84, s18
	s_add_u32 s23, s23, s25
	s_addc_u32 s21, 0, s21
	s_mul_hi_u32 s40, s63, s18
	s_add_u32 s19, s23, s19
	s_mul_i32 s18, s63, s18
	s_addc_u32 s19, s21, s20
	s_addc_u32 s20, s40, 0
	s_add_u32 s18, s19, s18
	s_addc_u32 s19, 0, s20
	s_mul_hi_u32 s20, s33, s18
	s_mul_i32 s19, s33, s19
	s_mul_i32 s18, s33, s18
	s_add_i32 s20, s20, s19
	s_sub_u32 s18, s84, s18
	s_cselect_b32 s19, -1, 0
	s_cmp_lg_u32 s19, 0
	s_subb_u32 s19, s63, s20
	s_sub_u32 s20, s18, s33
	s_cselect_b32 s21, -1, 0
	s_cmp_lg_u32 s21, 0
	s_subb_u32 s21, s19, 0
	;; [unrolled: 4-line block ×3, first 2 shown]
	s_cmp_ge_u32 s20, s33
	s_cselect_b32 s40, -1, 0
	s_cmp_eq_u32 s21, 0
	s_cselect_b32 s40, s40, -1
	s_cmp_lg_u32 s40, 0
	s_cselect_b32 s21, s25, s21
	s_cselect_b32 s20, s23, s20
	s_cmp_ge_u32 s18, s33
	s_cselect_b32 s23, -1, 0
	s_cmp_eq_u32 s19, 0
	s_cselect_b32 s23, s23, -1
	s_cmp_lg_u32 s23, 0
	s_cselect_b32 s19, s21, s19
	s_cselect_b32 s18, s20, s18
	s_cbranch_execnz .LBB135_345
.LBB135_344:                            ;   in Loop: Header=BB135_12 Depth=1
	v_cvt_f32_u32_e32 v6, s33
	s_sub_i32 s19, 0, s33
	v_rcp_iflag_f32_e32 v6, v6
	v_mul_f32_e32 v6, 0x4f7ffffe, v6
	v_cvt_u32_f32_e32 v6, v6
	v_readfirstlane_b32 s18, v6
	s_mul_i32 s19, s19, s18
	s_mul_hi_u32 s19, s18, s19
	s_add_i32 s18, s18, s19
	s_mul_hi_u32 s18, s84, s18
	s_mul_i32 s18, s18, s33
	s_sub_i32 s18, s84, s18
	s_sub_i32 s19, s18, s33
	s_cmp_ge_u32 s18, s33
	s_cselect_b32 s18, s19, s18
	s_sub_i32 s19, s18, s33
	s_cmp_ge_u32 s18, s33
	s_cselect_b32 s60, s19, s18
	s_mov_b64 s[18:19], s[60:61]
.LBB135_345:                            ;   in Loop: Header=BB135_12 Depth=1
	s_sub_u32 s18, s84, s18
	s_subb_u32 s19, s63, s19
	s_mov_b32 s20, exec_lo
                                        ; implicit-def: $vgpr31
	v_cmpx_gt_u64_e64 s[18:19], v[0:1]
	s_cbranch_execz .LBB135_354
; %bb.346:                              ;   in Loop: Header=BB135_12 Depth=1
	v_mov_b32_e32 v7, v1
	v_mov_b32_e32 v6, v0
	s_mov_b32 s21, 0
                                        ; implicit-def: $sgpr23
	s_branch .LBB135_349
.LBB135_347:                            ;   in Loop: Header=BB135_349 Depth=2
	s_or_b32 exec_lo, exec_lo, s25
	s_waitcnt lgkmcnt(0)
	s_barrier
	buffer_gl0_inv
	ds_read_u16 v8, v3 offset:3072
	s_mov_b32 s40, -1
	s_waitcnt lgkmcnt(0)
	s_barrier
	buffer_gl0_inv
	v_cmp_eq_u32_sdwa s25, v8, v3 src0_sel:BYTE_0 src1_sel:DWORD
	s_and_b32 vcc_lo, exec_lo, s25
	s_mov_b32 s25, -1
	s_cbranch_vccnz .LBB135_352
.LBB135_348:                            ;   in Loop: Header=BB135_349 Depth=2
	s_and_b32 s8, exec_lo, s40
	s_or_b32 s21, s8, s21
	s_andn2_b32 s8, s23, exec_lo
	s_and_b32 s23, s25, exec_lo
	s_or_b32 s23, s8, s23
	s_andn2_b32 exec_lo, exec_lo, s21
	s_cbranch_execz .LBB135_353
.LBB135_349:                            ;   Parent Loop BB135_12 Depth=1
                                        ; =>  This Inner Loop Header: Depth=2
	s_mov_b32 s25, exec_lo
	v_cmpx_gt_u64_e64 s[36:37], v[6:7]
	s_cbranch_execz .LBB135_347
; %bb.350:                              ;   in Loop: Header=BB135_349 Depth=2
	v_mad_u64_u32 v[8:9], null, v6, s30, s[28:29]
	v_mul_lo_u32 v10, v6, s31
	v_mul_lo_u32 v11, v7, s30
	v_add3_u32 v9, v11, v9, v10
	global_load_ubyte v8, v[8:9], off
	s_waitcnt vmcnt(0)
	v_add_nc_u32_sdwa v9, sext(v8), v28 dst_sel:DWORD dst_unused:UNUSED_PAD src0_sel:BYTE_0 src1_sel:DWORD
	v_and_b32_e32 v9, v9, v30
	v_cmp_eq_u32_e32 vcc_lo, v9, v26
	s_and_b32 exec_lo, exec_lo, vcc_lo
	s_cbranch_execz .LBB135_347
; %bb.351:                              ;   in Loop: Header=BB135_349 Depth=2
	v_lshlrev_b16 v8, 8, v8
	v_or_b32_e32 v8, 1, v8
	ds_write_b16 v3, v8 offset:3072
	s_branch .LBB135_347
.LBB135_352:                            ;   in Loop: Header=BB135_349 Depth=2
	v_add_co_u32 v6, vcc_lo, v6, s33
	v_add_co_ci_u32_e64 v7, null, 0, v7, vcc_lo
	s_mov_b32 s25, 0
	v_cmp_le_u64_e32 vcc_lo, s[18:19], v[6:7]
	s_orn2_b32 s40, vcc_lo, exec_lo
	s_branch .LBB135_348
.LBB135_353:                            ;   in Loop: Header=BB135_12 Depth=1
	s_or_b32 exec_lo, exec_lo, s21
	v_lshrrev_b32_sdwa v31, v29, v8 dst_sel:DWORD dst_unused:UNUSED_PAD src0_sel:DWORD src1_sel:WORD_0
	s_andn2_b32 s8, s22, exec_lo
	s_and_b32 s18, s23, exec_lo
	s_or_b32 s22, s8, s18
.LBB135_354:                            ;   in Loop: Header=BB135_12 Depth=1
	s_or_b32 exec_lo, exec_lo, s20
	s_mov_b32 s25, 0
	s_mov_b32 s67, -1
.LBB135_355:                            ;   in Loop: Header=BB135_12 Depth=1
	s_orn2_b32 s18, s22, exec_lo
.LBB135_356:                            ;   in Loop: Header=BB135_12 Depth=1
	s_or_b32 exec_lo, exec_lo, s69
	s_mov_b32 s19, 0
	s_and_saveexec_b32 s22, s18
	s_cbranch_execz .LBB135_465
; %bb.357:                              ;   in Loop: Header=BB135_12 Depth=1
	v_mov_b32_e32 v6, 1
	v_mov_b32_e32 v7, 0
	v_mov_b32_e32 v2, 1
	s_xor_b32 s20, s68, -1
	s_and_saveexec_b32 s18, s20
	s_cbranch_execz .LBB135_366
; %bb.358:                              ;   in Loop: Header=BB135_12 Depth=1
	s_mov_b32 s19, exec_lo
	v_cmpx_ge_u64_e64 s[16:17], v[4:5]
	s_xor_b32 s19, exec_lo, s19
	s_cbranch_execz .LBB135_363
; %bb.359:                              ;   in Loop: Header=BB135_12 Depth=1
	ds_read_b64 v[6:7], v3 offset:5120
	s_lshl_b32 s20, 2, s93
	v_or_b32_e32 v30, s11, v30
	v_and_or_b32 v26, v26, s26, s20
	s_waitcnt lgkmcnt(0)
	v_cmp_ne_u64_e32 vcc_lo, 0, v[6:7]
	s_cbranch_vccnz .LBB135_363
; %bb.360:                              ;   in Loop: Header=BB135_12 Depth=1
	s_and_saveexec_b32 s20, s3
; %bb.361:                              ;   in Loop: Header=BB135_12 Depth=1
	v_mov_b32_e32 v6, s16
	v_mov_b32_e32 v7, s17
	ds_write_b64 v3, v[6:7] offset:5128
; %bb.362:                              ;   in Loop: Header=BB135_12 Depth=1
	s_or_b32 exec_lo, exec_lo, s20
	s_waitcnt lgkmcnt(0)
	s_barrier
	buffer_gl0_inv
.LBB135_363:                            ;   in Loop: Header=BB135_12 Depth=1
	s_or_saveexec_b32 s19, s19
	v_mov_b32_e32 v2, 5
	s_mov_b32 s20, 0
	s_xor_b32 exec_lo, exec_lo, s19
; %bb.364:                              ;   in Loop: Header=BB135_12 Depth=1
	v_sub_co_u32 v4, vcc_lo, v4, s16
	v_subrev_co_ci_u32_e64 v5, null, s17, v5, vcc_lo
	v_mov_b32_e32 v2, 0
	s_mov_b32 s20, exec_lo
; %bb.365:                              ;   in Loop: Header=BB135_12 Depth=1
	s_or_b32 exec_lo, exec_lo, s19
	v_mov_b32_e32 v7, v5
	v_mov_b32_e32 v6, v4
	s_and_b32 s19, s20, exec_lo
.LBB135_366:                            ;   in Loop: Header=BB135_12 Depth=1
	s_or_b32 exec_lo, exec_lo, s18
	s_mov_b32 s16, -1
                                        ; implicit-def: $sgpr68
                                        ; implicit-def: $sgpr69
	s_and_saveexec_b32 s23, s19
	s_cbranch_execz .LBB135_464
; %bb.367:                              ;   in Loop: Header=BB135_12 Depth=1
	v_cmp_eq_u64_e32 vcc_lo, 1, v[6:7]
	s_cmp_eq_u64 s[14:15], 1
                                        ; implicit-def: $sgpr69
                                        ; implicit-def: $sgpr68
	s_cselect_b32 s16, -1, 0
	s_and_b32 s70, s16, vcc_lo
	s_mov_b32 s16, -1
	s_and_saveexec_b32 s71, s70
	s_cbranch_execz .LBB135_401
; %bb.368:                              ;   in Loop: Header=BB135_12 Depth=1
	ds_read_b64 v[4:5], v3 offset:5120
	s_waitcnt lgkmcnt(0)
	s_barrier
	buffer_gl0_inv
	v_readfirstlane_b32 s16, v4
	v_readfirstlane_b32 s17, v5
	s_and_saveexec_b32 s18, s10
; %bb.369:                              ;   in Loop: Header=BB135_12 Depth=1
	ds_write_b8 v0, v3 offset:3072
; %bb.370:                              ;   in Loop: Header=BB135_12 Depth=1
	s_or_b32 exec_lo, exec_lo, s18
	s_lshl_b32 s18, 1, s93
	v_or_b32_e32 v30, s11, v30
	v_and_or_b32 v26, v26, s26, s18
	s_mov_b32 s68, -1
	s_mov_b32 s69, 0
	s_cmp_eq_u64 s[16:17], 0
	s_mov_b32 s20, 0
	s_mov_b32 s21, -1
	s_waitcnt lgkmcnt(0)
	s_barrier
	buffer_gl0_inv
                                        ; implicit-def: $vgpr31
	s_cbranch_scc1 .LBB135_386
; %bb.371:                              ;   in Loop: Header=BB135_12 Depth=1
	s_add_u32 s62, s16, s82
	s_addc_u32 s19, s17, s83
	s_mov_b32 s18, s61
	s_cmp_lg_u64 s[18:19], 0
	s_cbranch_scc0 .LBB135_418
; %bb.372:                              ;   in Loop: Header=BB135_12 Depth=1
	v_cvt_f32_u32_e32 v4, s33
	s_sub_u32 s21, 0, s33
	s_subb_u32 s40, 0, 0
	v_fmac_f32_e64 v4, 0x4f800000, 0
	v_rcp_f32_e32 v4, v4
	v_mul_f32_e32 v4, 0x5f7ffffc, v4
	v_mul_f32_e32 v5, 0x2f800000, v4
	v_trunc_f32_e32 v5, v5
	v_fmac_f32_e32 v4, 0xcf800000, v5
	v_cvt_u32_f32_e32 v5, v5
	v_cvt_u32_f32_e32 v4, v4
	v_readfirstlane_b32 s18, v5
	v_readfirstlane_b32 s20, v4
	s_mul_i32 s41, s21, s18
	s_mul_hi_u32 s43, s21, s20
	s_mul_i32 s42, s40, s20
	s_add_i32 s41, s43, s41
	s_mul_i32 s58, s21, s20
	s_add_i32 s41, s41, s42
	s_mul_hi_u32 s43, s20, s58
	s_mul_i32 s60, s20, s41
	s_mul_hi_u32 s59, s18, s58
	s_mul_i32 s42, s18, s58
	s_mul_hi_u32 s58, s20, s41
	s_add_u32 s43, s43, s60
	s_addc_u32 s58, 0, s58
	s_mul_hi_u32 s72, s18, s41
	s_add_u32 s42, s43, s42
	s_mul_i32 s41, s18, s41
	s_addc_u32 s42, s58, s59
	s_addc_u32 s43, s72, 0
	s_add_u32 s41, s42, s41
	s_addc_u32 s42, 0, s43
	s_add_u32 s20, s20, s41
	s_cselect_b32 s41, -1, 0
	s_mul_hi_u32 s43, s21, s20
	s_cmp_lg_u32 s41, 0
	s_mul_i32 s41, s21, s20
	s_addc_u32 s18, s18, s42
	s_mul_i32 s40, s40, s20
	s_mul_i32 s21, s21, s18
	s_mul_hi_u32 s42, s20, s41
	s_add_i32 s21, s43, s21
	s_mul_hi_u32 s43, s18, s41
	s_add_i32 s21, s21, s40
	s_mul_i32 s40, s18, s41
	s_mul_i32 s59, s20, s21
	s_mul_hi_u32 s58, s20, s21
	s_add_u32 s42, s42, s59
	s_addc_u32 s58, 0, s58
	s_mul_hi_u32 s41, s18, s21
	s_add_u32 s40, s42, s40
	s_mul_i32 s21, s18, s21
	s_addc_u32 s40, s58, s43
	s_addc_u32 s41, s41, 0
	s_add_u32 s21, s40, s21
	s_addc_u32 s40, 0, s41
	s_add_u32 s20, s20, s21
	s_cselect_b32 s21, -1, 0
	s_mul_hi_u32 s41, s62, s20
	s_cmp_lg_u32 s21, 0
	s_mul_hi_u32 s21, s19, s20
	s_addc_u32 s18, s18, s40
	s_mul_i32 s20, s19, s20
	s_mul_i32 s42, s62, s18
	s_mul_hi_u32 s40, s62, s18
	s_add_u32 s41, s41, s42
	s_addc_u32 s40, 0, s40
	s_mul_hi_u32 s43, s19, s18
	s_add_u32 s20, s41, s20
	s_mul_i32 s18, s19, s18
	s_addc_u32 s20, s40, s21
	s_addc_u32 s21, s43, 0
	s_add_u32 s18, s20, s18
	s_addc_u32 s20, 0, s21
	s_mul_hi_u32 s21, s33, s18
	s_mul_i32 s20, s33, s20
	s_mul_i32 s18, s33, s18
	s_add_i32 s21, s21, s20
	s_sub_u32 s18, s62, s18
	s_cselect_b32 s20, -1, 0
	s_cmp_lg_u32 s20, 0
	s_subb_u32 s20, s19, s21
	s_sub_u32 s21, s18, s33
	s_cselect_b32 s40, -1, 0
	s_cmp_lg_u32 s40, 0
	s_subb_u32 s40, s20, 0
	;; [unrolled: 4-line block ×3, first 2 shown]
	s_cmp_ge_u32 s21, s33
	s_cselect_b32 s43, -1, 0
	s_cmp_eq_u32 s40, 0
	s_cselect_b32 s43, s43, -1
	s_cmp_lg_u32 s43, 0
	s_cselect_b32 s40, s42, s40
	s_cselect_b32 s41, s41, s21
	s_cmp_ge_u32 s18, s33
	s_cselect_b32 s21, -1, 0
	s_cmp_eq_u32 s20, 0
	s_cselect_b32 s21, s21, -1
	s_cmp_lg_u32 s21, 0
	s_cselect_b32 s21, s40, s20
	s_cselect_b32 s20, s41, s18
	s_cbranch_execnz .LBB135_374
.LBB135_373:                            ;   in Loop: Header=BB135_12 Depth=1
	v_cvt_f32_u32_e32 v4, s33
	s_sub_i32 s20, 0, s33
	v_rcp_iflag_f32_e32 v4, v4
	v_mul_f32_e32 v4, 0x4f7ffffe, v4
	v_cvt_u32_f32_e32 v4, v4
	v_readfirstlane_b32 s18, v4
	s_mul_i32 s20, s20, s18
	s_mul_hi_u32 s20, s18, s20
	s_add_i32 s18, s18, s20
	s_mul_hi_u32 s18, s62, s18
	s_mul_i32 s18, s18, s33
	s_sub_i32 s18, s62, s18
	s_sub_i32 s20, s18, s33
	s_cmp_ge_u32 s18, s33
	s_cselect_b32 s18, s20, s18
	s_sub_i32 s20, s18, s33
	s_cmp_ge_u32 s18, s33
	s_cselect_b32 s60, s20, s18
	s_mov_b64 s[20:21], s[60:61]
.LBB135_374:                            ;   in Loop: Header=BB135_12 Depth=1
	s_sub_u32 s18, s62, s20
	s_subb_u32 s19, s19, s21
	s_mov_b32 s21, 0
	s_mov_b32 s20, 0
	s_mov_b32 s58, exec_lo
                                        ; implicit-def: $vgpr31
	v_cmpx_gt_u64_e64 s[18:19], v[0:1]
	s_cbranch_execz .LBB135_385
; %bb.375:                              ;   in Loop: Header=BB135_12 Depth=1
	v_mov_b32_e32 v5, v1
	v_mov_b32_e32 v8, v0
	;; [unrolled: 1-line block ×3, first 2 shown]
                                        ; implicit-def: $sgpr59
	s_inst_prefetch 0x1
	s_branch .LBB135_378
	.p2align	6
.LBB135_376:                            ;   in Loop: Header=BB135_378 Depth=2
	s_or_b32 exec_lo, exec_lo, s60
	s_waitcnt lgkmcnt(0)
	s_barrier
	buffer_gl0_inv
	ds_read_u16 v9, v3 offset:3072
	s_mov_b32 s40, -1
	s_waitcnt lgkmcnt(0)
	s_barrier
	buffer_gl0_inv
	v_cmp_ne_u32_sdwa s41, v9, v3 src0_sel:BYTE_0 src1_sel:DWORD
	s_and_b32 vcc_lo, exec_lo, s41
	s_mov_b32 s41, -1
	s_cbranch_vccz .LBB135_381
.LBB135_377:                            ;   in Loop: Header=BB135_378 Depth=2
	s_and_b32 s8, exec_lo, s40
	s_or_b32 s20, s8, s20
	s_andn2_b32 s8, s59, exec_lo
	s_and_b32 s40, s41, exec_lo
	s_or_b32 s59, s8, s40
	s_andn2_b32 exec_lo, exec_lo, s20
	s_cbranch_execz .LBB135_384
.LBB135_378:                            ;   Parent Loop BB135_12 Depth=1
                                        ; =>  This Inner Loop Header: Depth=2
	s_mov_b32 s60, exec_lo
	v_cmpx_gt_u64_e64 s[16:17], v[4:5]
	s_cbranch_execz .LBB135_376
; %bb.379:                              ;   in Loop: Header=BB135_378 Depth=2
	ds_read_u8 v9, v8
	s_waitcnt lgkmcnt(0)
	v_add_nc_u32_sdwa v10, sext(v9), v28 dst_sel:DWORD dst_unused:UNUSED_PAD src0_sel:BYTE_0 src1_sel:DWORD
	v_and_b32_e32 v10, v10, v30
	v_cmp_eq_u32_e32 vcc_lo, v10, v26
	s_and_b32 exec_lo, exec_lo, vcc_lo
	s_cbranch_execz .LBB135_376
; %bb.380:                              ;   in Loop: Header=BB135_378 Depth=2
	v_lshlrev_b16 v9, 8, v9
	v_or_b32_e32 v9, 1, v9
	ds_write_b16 v3, v9 offset:3072
	s_branch .LBB135_376
.LBB135_381:                            ;   in Loop: Header=BB135_378 Depth=2
	v_add_co_u32 v4, vcc_lo, v4, s33
	v_add_co_ci_u32_e64 v5, null, 0, v5, vcc_lo
	v_add_nc_u32_e32 v8, s33, v8
	s_mov_b32 s41, 0
	v_cmp_le_u64_e32 vcc_lo, s[18:19], v[4:5]
	s_orn2_b32 s40, vcc_lo, exec_lo
	s_branch .LBB135_377
.LBB135_382:                            ;   in Loop: Header=BB135_12 Depth=1
                                        ; implicit-def: $sgpr22_sgpr23
	s_branch .LBB135_328
.LBB135_383:                            ;   in Loop: Header=BB135_12 Depth=1
                                        ; implicit-def: $sgpr18_sgpr19
	s_branch .LBB135_344
.LBB135_384:                            ;   in Loop: Header=BB135_12 Depth=1
	s_inst_prefetch 0x2
	s_or_b32 exec_lo, exec_lo, s20
	v_lshrrev_b32_sdwa v31, v29, v9 dst_sel:DWORD dst_unused:UNUSED_PAD src0_sel:DWORD src1_sel:WORD_0
	s_and_b32 s20, s59, exec_lo
.LBB135_385:                            ;   in Loop: Header=BB135_12 Depth=1
	s_or_b32 exec_lo, exec_lo, s58
.LBB135_386:                            ;   in Loop: Header=BB135_12 Depth=1
	s_and_b32 vcc_lo, exec_lo, s21
	s_cbranch_vccz .LBB135_400
; %bb.387:                              ;   in Loop: Header=BB135_12 Depth=1
	s_mov_b32 s62, s61
	s_cmp_lg_u64 s[62:63], 0
	s_cbranch_scc0 .LBB135_419
; %bb.388:                              ;   in Loop: Header=BB135_12 Depth=1
	v_cvt_f32_u32_e32 v4, s33
	s_sub_u32 s18, 0, s33
	s_subb_u32 s19, 0, 0
	v_fmac_f32_e64 v4, 0x4f800000, 0
	v_rcp_f32_e32 v4, v4
	v_mul_f32_e32 v4, 0x5f7ffffc, v4
	v_mul_f32_e32 v5, 0x2f800000, v4
	v_trunc_f32_e32 v5, v5
	v_fmac_f32_e32 v4, 0xcf800000, v5
	v_cvt_u32_f32_e32 v5, v5
	v_cvt_u32_f32_e32 v4, v4
	v_readfirstlane_b32 s16, v5
	v_readfirstlane_b32 s17, v4
	s_mul_i32 s21, s18, s16
	s_mul_hi_u32 s41, s18, s17
	s_mul_i32 s40, s19, s17
	s_add_i32 s21, s41, s21
	s_mul_i32 s42, s18, s17
	s_add_i32 s21, s21, s40
	s_mul_hi_u32 s41, s17, s42
	s_mul_i32 s58, s17, s21
	s_mul_hi_u32 s43, s16, s42
	s_mul_i32 s40, s16, s42
	s_mul_hi_u32 s42, s17, s21
	s_add_u32 s41, s41, s58
	s_addc_u32 s42, 0, s42
	s_mul_hi_u32 s59, s16, s21
	s_add_u32 s40, s41, s40
	s_mul_i32 s21, s16, s21
	s_addc_u32 s40, s42, s43
	s_addc_u32 s41, s59, 0
	s_add_u32 s21, s40, s21
	s_addc_u32 s40, 0, s41
	s_add_u32 s17, s17, s21
	s_cselect_b32 s21, -1, 0
	s_mul_hi_u32 s41, s18, s17
	s_cmp_lg_u32 s21, 0
	s_mul_i32 s21, s18, s17
	s_addc_u32 s16, s16, s40
	s_mul_i32 s19, s19, s17
	s_mul_i32 s18, s18, s16
	s_mul_hi_u32 s40, s17, s21
	s_add_i32 s18, s41, s18
	s_mul_hi_u32 s41, s16, s21
	s_add_i32 s18, s18, s19
	s_mul_i32 s19, s16, s21
	s_mul_i32 s43, s17, s18
	s_mul_hi_u32 s42, s17, s18
	s_add_u32 s40, s40, s43
	s_addc_u32 s42, 0, s42
	s_mul_hi_u32 s21, s16, s18
	s_add_u32 s19, s40, s19
	s_mul_i32 s18, s16, s18
	s_addc_u32 s19, s42, s41
	s_addc_u32 s21, s21, 0
	s_add_u32 s18, s19, s18
	s_addc_u32 s19, 0, s21
	s_add_u32 s17, s17, s18
	s_cselect_b32 s18, -1, 0
	s_mul_hi_u32 s21, s84, s17
	s_cmp_lg_u32 s18, 0
	s_mul_hi_u32 s18, s63, s17
	s_addc_u32 s16, s16, s19
	s_mul_i32 s17, s63, s17
	s_mul_i32 s40, s84, s16
	s_mul_hi_u32 s19, s84, s16
	s_add_u32 s21, s21, s40
	s_addc_u32 s19, 0, s19
	s_mul_hi_u32 s41, s63, s16
	s_add_u32 s17, s21, s17
	s_mul_i32 s16, s63, s16
	s_addc_u32 s17, s19, s18
	s_addc_u32 s18, s41, 0
	s_add_u32 s16, s17, s16
	s_addc_u32 s17, 0, s18
	s_mul_hi_u32 s18, s33, s16
	s_mul_i32 s17, s33, s17
	s_mul_i32 s16, s33, s16
	s_add_i32 s18, s18, s17
	s_sub_u32 s16, s84, s16
	s_cselect_b32 s17, -1, 0
	s_cmp_lg_u32 s17, 0
	s_subb_u32 s17, s63, s18
	s_sub_u32 s18, s16, s33
	s_cselect_b32 s19, -1, 0
	s_cmp_lg_u32 s19, 0
	s_subb_u32 s19, s17, 0
	;; [unrolled: 4-line block ×3, first 2 shown]
	s_cmp_ge_u32 s18, s33
	s_cselect_b32 s41, -1, 0
	s_cmp_eq_u32 s19, 0
	s_cselect_b32 s41, s41, -1
	s_cmp_lg_u32 s41, 0
	s_cselect_b32 s19, s40, s19
	s_cselect_b32 s18, s21, s18
	s_cmp_ge_u32 s16, s33
	s_cselect_b32 s21, -1, 0
	s_cmp_eq_u32 s17, 0
	s_cselect_b32 s21, s21, -1
	s_cmp_lg_u32 s21, 0
	s_cselect_b32 s17, s19, s17
	s_cselect_b32 s16, s18, s16
	s_cbranch_execnz .LBB135_390
.LBB135_389:                            ;   in Loop: Header=BB135_12 Depth=1
	v_cvt_f32_u32_e32 v4, s33
	s_sub_i32 s17, 0, s33
	v_rcp_iflag_f32_e32 v4, v4
	v_mul_f32_e32 v4, 0x4f7ffffe, v4
	v_cvt_u32_f32_e32 v4, v4
	v_readfirstlane_b32 s16, v4
	s_mul_i32 s17, s17, s16
	s_mul_hi_u32 s17, s16, s17
	s_add_i32 s16, s16, s17
	s_mul_hi_u32 s16, s84, s16
	s_mul_i32 s16, s16, s33
	s_sub_i32 s16, s84, s16
	s_sub_i32 s17, s16, s33
	s_cmp_ge_u32 s16, s33
	s_cselect_b32 s16, s17, s16
	s_sub_i32 s17, s16, s33
	s_cmp_ge_u32 s16, s33
	s_cselect_b32 s60, s17, s16
	s_mov_b64 s[16:17], s[60:61]
.LBB135_390:                            ;   in Loop: Header=BB135_12 Depth=1
	s_sub_u32 s16, s84, s16
	s_subb_u32 s17, s63, s17
	s_mov_b32 s18, exec_lo
                                        ; implicit-def: $vgpr31
	v_cmpx_gt_u64_e64 s[16:17], v[0:1]
	s_cbranch_execz .LBB135_399
; %bb.391:                              ;   in Loop: Header=BB135_12 Depth=1
	v_mov_b32_e32 v5, v1
	v_mov_b32_e32 v4, v0
	s_mov_b32 s19, 0
                                        ; implicit-def: $sgpr21
	s_branch .LBB135_394
.LBB135_392:                            ;   in Loop: Header=BB135_394 Depth=2
	s_or_b32 exec_lo, exec_lo, s58
	s_waitcnt lgkmcnt(0)
	s_barrier
	buffer_gl0_inv
	ds_read_u16 v8, v3 offset:3072
	s_mov_b32 s41, -1
	s_waitcnt lgkmcnt(0)
	s_barrier
	buffer_gl0_inv
	v_cmp_eq_u32_sdwa s40, v8, v3 src0_sel:BYTE_0 src1_sel:DWORD
	s_and_b32 vcc_lo, exec_lo, s40
	s_mov_b32 s40, -1
	s_cbranch_vccnz .LBB135_397
.LBB135_393:                            ;   in Loop: Header=BB135_394 Depth=2
	s_and_b32 s8, exec_lo, s41
	s_or_b32 s19, s8, s19
	s_andn2_b32 s8, s21, exec_lo
	s_and_b32 s21, s40, exec_lo
	s_or_b32 s21, s8, s21
	s_andn2_b32 exec_lo, exec_lo, s19
	s_cbranch_execz .LBB135_398
.LBB135_394:                            ;   Parent Loop BB135_12 Depth=1
                                        ; =>  This Inner Loop Header: Depth=2
	s_mov_b32 s58, exec_lo
	v_cmpx_gt_u64_e64 s[36:37], v[4:5]
	s_cbranch_execz .LBB135_392
; %bb.395:                              ;   in Loop: Header=BB135_394 Depth=2
	v_mad_u64_u32 v[8:9], null, v4, s30, s[28:29]
	v_mul_lo_u32 v10, v4, s31
	v_mul_lo_u32 v11, v5, s30
	v_add3_u32 v9, v11, v9, v10
	global_load_ubyte v8, v[8:9], off
	s_waitcnt vmcnt(0)
	v_add_nc_u32_sdwa v9, sext(v8), v28 dst_sel:DWORD dst_unused:UNUSED_PAD src0_sel:BYTE_0 src1_sel:DWORD
	v_and_b32_e32 v9, v9, v30
	v_cmp_eq_u32_e32 vcc_lo, v9, v26
	s_and_b32 exec_lo, exec_lo, vcc_lo
	s_cbranch_execz .LBB135_392
; %bb.396:                              ;   in Loop: Header=BB135_394 Depth=2
	v_lshlrev_b16 v8, 8, v8
	v_or_b32_e32 v8, 1, v8
	ds_write_b16 v3, v8 offset:3072
	s_branch .LBB135_392
.LBB135_397:                            ;   in Loop: Header=BB135_394 Depth=2
	v_add_co_u32 v4, vcc_lo, v4, s33
	v_add_co_ci_u32_e64 v5, null, 0, v5, vcc_lo
	s_mov_b32 s40, 0
	v_cmp_le_u64_e32 vcc_lo, s[16:17], v[4:5]
	s_orn2_b32 s41, vcc_lo, exec_lo
	s_branch .LBB135_393
.LBB135_398:                            ;   in Loop: Header=BB135_12 Depth=1
	s_or_b32 exec_lo, exec_lo, s19
	v_lshrrev_b32_sdwa v31, v29, v8 dst_sel:DWORD dst_unused:UNUSED_PAD src0_sel:DWORD src1_sel:WORD_0
	s_andn2_b32 s8, s20, exec_lo
	s_and_b32 s16, s21, exec_lo
	s_or_b32 s20, s8, s16
.LBB135_399:                            ;   in Loop: Header=BB135_12 Depth=1
	s_or_b32 exec_lo, exec_lo, s18
	s_mov_b32 s68, 0
	s_mov_b32 s69, -1
.LBB135_400:                            ;   in Loop: Header=BB135_12 Depth=1
	s_orn2_b32 s16, s20, exec_lo
.LBB135_401:                            ;   in Loop: Header=BB135_12 Depth=1
	s_or_b32 exec_lo, exec_lo, s71
	s_mov_b32 s17, 0
	s_and_saveexec_b32 s20, s16
	s_cbranch_execz .LBB135_463
; %bb.402:                              ;   in Loop: Header=BB135_12 Depth=1
	v_mov_b32_e32 v4, 1
	v_mov_b32_e32 v5, 0
	v_mov_b32_e32 v2, 1
	s_xor_b32 s18, s70, -1
	s_and_saveexec_b32 s16, s18
	s_cbranch_execz .LBB135_411
; %bb.403:                              ;   in Loop: Header=BB135_12 Depth=1
	s_mov_b32 s17, exec_lo
	v_cmpx_ge_u64_e64 s[14:15], v[6:7]
	s_xor_b32 s17, exec_lo, s17
	s_cbranch_execz .LBB135_408
; %bb.404:                              ;   in Loop: Header=BB135_12 Depth=1
	ds_read_b64 v[4:5], v3 offset:5120
	s_lshl_b32 s18, 1, s93
	v_or_b32_e32 v30, s11, v30
	v_and_or_b32 v26, v26, s26, s18
	s_waitcnt lgkmcnt(0)
	v_cmp_ne_u64_e32 vcc_lo, 0, v[4:5]
	s_cbranch_vccnz .LBB135_408
; %bb.405:                              ;   in Loop: Header=BB135_12 Depth=1
	s_and_saveexec_b32 s18, s3
; %bb.406:                              ;   in Loop: Header=BB135_12 Depth=1
	v_mov_b32_e32 v4, s14
	v_mov_b32_e32 v5, s15
	ds_write_b64 v3, v[4:5] offset:5128
; %bb.407:                              ;   in Loop: Header=BB135_12 Depth=1
	s_or_b32 exec_lo, exec_lo, s18
	s_waitcnt lgkmcnt(0)
	s_barrier
	buffer_gl0_inv
.LBB135_408:                            ;   in Loop: Header=BB135_12 Depth=1
	s_or_saveexec_b32 s17, s17
	v_mov_b32_e32 v2, 5
	s_mov_b32 s18, 0
	s_xor_b32 exec_lo, exec_lo, s17
; %bb.409:                              ;   in Loop: Header=BB135_12 Depth=1
	v_sub_co_u32 v6, vcc_lo, v6, s14
	v_subrev_co_ci_u32_e64 v7, null, s15, v7, vcc_lo
	v_mov_b32_e32 v2, 0
	s_mov_b32 s18, exec_lo
; %bb.410:                              ;   in Loop: Header=BB135_12 Depth=1
	s_or_b32 exec_lo, exec_lo, s17
	v_mov_b32_e32 v4, v6
	v_mov_b32_e32 v5, v7
	s_and_b32 s17, s18, exec_lo
.LBB135_411:                            ;   in Loop: Header=BB135_12 Depth=1
	s_or_b32 exec_lo, exec_lo, s16
	s_mov_b32 s14, -1
                                        ; implicit-def: $sgpr72
                                        ; implicit-def: $sgpr62
	s_and_saveexec_b32 s21, s17
	s_cbranch_execz .LBB135_462
; %bb.412:                              ;   in Loop: Header=BB135_12 Depth=1
	v_cmp_eq_u64_e32 vcc_lo, 1, v[4:5]
	s_cmp_eq_u64 s[12:13], 1
	s_mov_b32 s15, -1
	s_cselect_b32 s14, -1, 0
                                        ; implicit-def: $sgpr72
                                        ; implicit-def: $sgpr62
	s_and_b32 s70, s14, vcc_lo
	s_and_saveexec_b32 s71, s70
	s_cbranch_execz .LBB135_450
; %bb.413:                              ;   in Loop: Header=BB135_12 Depth=1
	ds_read_b64 v[6:7], v3 offset:5120
	s_waitcnt lgkmcnt(0)
	s_barrier
	buffer_gl0_inv
	v_readfirstlane_b32 s14, v6
	v_readfirstlane_b32 s15, v7
	s_and_saveexec_b32 s16, s10
; %bb.414:                              ;   in Loop: Header=BB135_12 Depth=1
	ds_write_b8 v0, v3 offset:3072
; %bb.415:                              ;   in Loop: Header=BB135_12 Depth=1
	s_or_b32 exec_lo, exec_lo, s16
	v_and_b32_e32 v26, s26, v26
	v_or_b32_e32 v30, s11, v30
	s_mov_b32 s62, -1
	s_mov_b32 s72, 0
	s_cmp_eq_u64 s[14:15], 0
	s_mov_b32 s18, 0
	s_mov_b32 s19, -1
	s_waitcnt lgkmcnt(0)
	s_barrier
	buffer_gl0_inv
                                        ; implicit-def: $vgpr31
	s_cbranch_scc1 .LBB135_433
; %bb.416:                              ;   in Loop: Header=BB135_12 Depth=1
	s_add_u32 s73, s14, s82
	s_addc_u32 s17, s15, s83
	s_mov_b32 s16, s61
	s_cmp_lg_u64 s[16:17], 0
	s_cbranch_scc0 .LBB135_420
; %bb.417:                              ;   in Loop: Header=BB135_12 Depth=1
	v_cvt_f32_u32_e32 v6, s33
	s_sub_u32 s19, 0, s33
	s_subb_u32 s40, 0, 0
	v_fmac_f32_e64 v6, 0x4f800000, 0
	v_rcp_f32_e32 v6, v6
	v_mul_f32_e32 v6, 0x5f7ffffc, v6
	v_mul_f32_e32 v7, 0x2f800000, v6
	v_trunc_f32_e32 v7, v7
	v_fmac_f32_e32 v6, 0xcf800000, v7
	v_cvt_u32_f32_e32 v7, v7
	v_cvt_u32_f32_e32 v6, v6
	v_readfirstlane_b32 s16, v7
	v_readfirstlane_b32 s18, v6
	s_mul_i32 s41, s19, s16
	s_mul_hi_u32 s43, s19, s18
	s_mul_i32 s42, s40, s18
	s_add_i32 s41, s43, s41
	s_mul_i32 s58, s19, s18
	s_add_i32 s41, s41, s42
	s_mul_hi_u32 s43, s18, s58
	s_mul_i32 s60, s18, s41
	s_mul_hi_u32 s59, s16, s58
	s_mul_i32 s42, s16, s58
	s_mul_hi_u32 s58, s18, s41
	s_add_u32 s43, s43, s60
	s_addc_u32 s58, 0, s58
	s_mul_hi_u32 s74, s16, s41
	s_add_u32 s42, s43, s42
	s_mul_i32 s41, s16, s41
	s_addc_u32 s42, s58, s59
	s_addc_u32 s43, s74, 0
	s_add_u32 s41, s42, s41
	s_addc_u32 s42, 0, s43
	s_add_u32 s18, s18, s41
	s_cselect_b32 s41, -1, 0
	s_mul_hi_u32 s43, s19, s18
	s_cmp_lg_u32 s41, 0
	s_mul_i32 s41, s19, s18
	s_addc_u32 s16, s16, s42
	s_mul_i32 s40, s40, s18
	s_mul_i32 s19, s19, s16
	s_mul_hi_u32 s42, s18, s41
	s_add_i32 s19, s43, s19
	s_mul_hi_u32 s43, s16, s41
	s_add_i32 s19, s19, s40
	s_mul_i32 s40, s16, s41
	s_mul_i32 s59, s18, s19
	s_mul_hi_u32 s58, s18, s19
	s_add_u32 s42, s42, s59
	s_addc_u32 s58, 0, s58
	s_mul_hi_u32 s41, s16, s19
	s_add_u32 s40, s42, s40
	s_mul_i32 s19, s16, s19
	s_addc_u32 s40, s58, s43
	s_addc_u32 s41, s41, 0
	s_add_u32 s19, s40, s19
	s_addc_u32 s40, 0, s41
	s_add_u32 s18, s18, s19
	s_cselect_b32 s19, -1, 0
	s_mul_hi_u32 s41, s73, s18
	s_cmp_lg_u32 s19, 0
	s_mul_hi_u32 s19, s17, s18
	s_addc_u32 s16, s16, s40
	s_mul_i32 s18, s17, s18
	s_mul_i32 s42, s73, s16
	s_mul_hi_u32 s40, s73, s16
	s_add_u32 s41, s41, s42
	s_addc_u32 s40, 0, s40
	s_mul_hi_u32 s43, s17, s16
	s_add_u32 s18, s41, s18
	s_mul_i32 s16, s17, s16
	s_addc_u32 s18, s40, s19
	s_addc_u32 s19, s43, 0
	s_add_u32 s16, s18, s16
	s_addc_u32 s18, 0, s19
	s_mul_hi_u32 s19, s33, s16
	s_mul_i32 s18, s33, s18
	s_mul_i32 s16, s33, s16
	s_add_i32 s19, s19, s18
	s_sub_u32 s16, s73, s16
	s_cselect_b32 s18, -1, 0
	s_cmp_lg_u32 s18, 0
	s_subb_u32 s18, s17, s19
	s_sub_u32 s19, s16, s33
	s_cselect_b32 s40, -1, 0
	s_cmp_lg_u32 s40, 0
	s_subb_u32 s40, s18, 0
	;; [unrolled: 4-line block ×3, first 2 shown]
	s_cmp_ge_u32 s19, s33
	s_cselect_b32 s43, -1, 0
	s_cmp_eq_u32 s40, 0
	s_cselect_b32 s43, s43, -1
	s_cmp_lg_u32 s43, 0
	s_cselect_b32 s40, s42, s40
	s_cselect_b32 s41, s41, s19
	s_cmp_ge_u32 s16, s33
	s_cselect_b32 s19, -1, 0
	s_cmp_eq_u32 s18, 0
	s_cselect_b32 s19, s19, -1
	s_cmp_lg_u32 s19, 0
	s_cselect_b32 s19, s40, s18
	s_cselect_b32 s18, s41, s16
	s_mov_b32 s16, 0
	s_branch .LBB135_421
.LBB135_418:                            ;   in Loop: Header=BB135_12 Depth=1
                                        ; implicit-def: $sgpr20_sgpr21
	s_branch .LBB135_373
.LBB135_419:                            ;   in Loop: Header=BB135_12 Depth=1
                                        ; implicit-def: $sgpr16_sgpr17
	s_branch .LBB135_389
.LBB135_420:                            ;   in Loop: Header=BB135_12 Depth=1
	s_mov_b32 s16, -1
                                        ; implicit-def: $sgpr18_sgpr19
.LBB135_421:                            ;   in Loop: Header=BB135_12 Depth=1
	s_andn2_b32 vcc_lo, exec_lo, s16
	s_cbranch_vccnz .LBB135_423
; %bb.422:                              ;   in Loop: Header=BB135_12 Depth=1
	v_cvt_f32_u32_e32 v6, s33
	s_sub_i32 s18, 0, s33
	v_rcp_iflag_f32_e32 v6, v6
	v_mul_f32_e32 v6, 0x4f7ffffe, v6
	v_cvt_u32_f32_e32 v6, v6
	v_readfirstlane_b32 s16, v6
	s_mul_i32 s18, s18, s16
	s_mul_hi_u32 s18, s16, s18
	s_add_i32 s16, s16, s18
	s_mul_hi_u32 s16, s73, s16
	s_mul_i32 s16, s16, s33
	s_sub_i32 s16, s73, s16
	s_sub_i32 s18, s16, s33
	s_cmp_ge_u32 s16, s33
	s_cselect_b32 s16, s18, s16
	s_sub_i32 s18, s16, s33
	s_cmp_ge_u32 s16, s33
	s_cselect_b32 s60, s18, s16
	s_mov_b64 s[18:19], s[60:61]
.LBB135_423:                            ;   in Loop: Header=BB135_12 Depth=1
	s_sub_u32 s16, s73, s18
	s_subb_u32 s17, s17, s19
	s_mov_b32 s19, 0
	s_mov_b32 s18, 0
	s_mov_b32 s58, exec_lo
                                        ; implicit-def: $vgpr31
	v_cmpx_gt_u64_e64 s[16:17], v[0:1]
	s_cbranch_execz .LBB135_432
; %bb.424:                              ;   in Loop: Header=BB135_12 Depth=1
	v_mov_b32_e32 v7, v1
	v_mov_b32_e32 v8, v0
	;; [unrolled: 1-line block ×3, first 2 shown]
                                        ; implicit-def: $sgpr59
	s_inst_prefetch 0x1
	s_branch .LBB135_427
	.p2align	6
.LBB135_425:                            ;   in Loop: Header=BB135_427 Depth=2
	s_or_b32 exec_lo, exec_lo, s60
	s_waitcnt lgkmcnt(0)
	s_barrier
	buffer_gl0_inv
	ds_read_u16 v9, v3 offset:3072
	s_mov_b32 s40, -1
	s_waitcnt lgkmcnt(0)
	s_barrier
	buffer_gl0_inv
	v_cmp_ne_u32_sdwa s41, v9, v3 src0_sel:BYTE_0 src1_sel:DWORD
	s_and_b32 vcc_lo, exec_lo, s41
	s_mov_b32 s41, -1
	s_cbranch_vccz .LBB135_430
.LBB135_426:                            ;   in Loop: Header=BB135_427 Depth=2
	s_and_b32 s8, exec_lo, s40
	s_or_b32 s18, s8, s18
	s_andn2_b32 s8, s59, exec_lo
	s_and_b32 s40, s41, exec_lo
	s_or_b32 s59, s8, s40
	s_andn2_b32 exec_lo, exec_lo, s18
	s_cbranch_execz .LBB135_431
.LBB135_427:                            ;   Parent Loop BB135_12 Depth=1
                                        ; =>  This Inner Loop Header: Depth=2
	s_mov_b32 s60, exec_lo
	v_cmpx_gt_u64_e64 s[14:15], v[6:7]
	s_cbranch_execz .LBB135_425
; %bb.428:                              ;   in Loop: Header=BB135_427 Depth=2
	ds_read_u8 v9, v8
	s_waitcnt lgkmcnt(0)
	v_add_nc_u32_sdwa v10, sext(v9), v28 dst_sel:DWORD dst_unused:UNUSED_PAD src0_sel:BYTE_0 src1_sel:DWORD
	v_and_b32_e32 v10, v10, v30
	v_cmp_eq_u32_e32 vcc_lo, v10, v26
	s_and_b32 exec_lo, exec_lo, vcc_lo
	s_cbranch_execz .LBB135_425
; %bb.429:                              ;   in Loop: Header=BB135_427 Depth=2
	v_lshlrev_b16 v9, 8, v9
	v_or_b32_e32 v9, 1, v9
	ds_write_b16 v3, v9 offset:3072
	s_branch .LBB135_425
.LBB135_430:                            ;   in Loop: Header=BB135_427 Depth=2
	v_add_co_u32 v6, vcc_lo, v6, s33
	v_add_co_ci_u32_e64 v7, null, 0, v7, vcc_lo
	v_add_nc_u32_e32 v8, s33, v8
	s_mov_b32 s41, 0
	v_cmp_le_u64_e32 vcc_lo, s[16:17], v[6:7]
	s_orn2_b32 s40, vcc_lo, exec_lo
	s_branch .LBB135_426
.LBB135_431:                            ;   in Loop: Header=BB135_12 Depth=1
	s_inst_prefetch 0x2
	s_or_b32 exec_lo, exec_lo, s18
	v_lshrrev_b32_sdwa v31, v29, v9 dst_sel:DWORD dst_unused:UNUSED_PAD src0_sel:DWORD src1_sel:WORD_0
	s_and_b32 s18, s59, exec_lo
.LBB135_432:                            ;   in Loop: Header=BB135_12 Depth=1
	s_or_b32 exec_lo, exec_lo, s58
.LBB135_433:                            ;   in Loop: Header=BB135_12 Depth=1
	s_and_b32 vcc_lo, exec_lo, s19
	s_cbranch_vccz .LBB135_449
; %bb.434:                              ;   in Loop: Header=BB135_12 Depth=1
	s_mov_b32 s62, s61
	s_cmp_lg_u64 s[62:63], 0
	s_cbranch_scc0 .LBB135_436
; %bb.435:                              ;   in Loop: Header=BB135_12 Depth=1
	v_cvt_f32_u32_e32 v6, s33
	s_sub_u32 s16, 0, s33
	s_subb_u32 s17, 0, 0
	v_fmac_f32_e64 v6, 0x4f800000, 0
	v_rcp_f32_e32 v6, v6
	v_mul_f32_e32 v6, 0x5f7ffffc, v6
	v_mul_f32_e32 v7, 0x2f800000, v6
	v_trunc_f32_e32 v7, v7
	v_fmac_f32_e32 v6, 0xcf800000, v7
	v_cvt_u32_f32_e32 v7, v7
	v_cvt_u32_f32_e32 v6, v6
	v_readfirstlane_b32 s14, v7
	v_readfirstlane_b32 s15, v6
	s_mul_i32 s19, s16, s14
	s_mul_hi_u32 s41, s16, s15
	s_mul_i32 s40, s17, s15
	s_add_i32 s19, s41, s19
	s_mul_i32 s42, s16, s15
	s_add_i32 s19, s19, s40
	s_mul_hi_u32 s41, s15, s42
	s_mul_i32 s58, s15, s19
	s_mul_hi_u32 s43, s14, s42
	s_mul_i32 s40, s14, s42
	s_mul_hi_u32 s42, s15, s19
	s_add_u32 s41, s41, s58
	s_addc_u32 s42, 0, s42
	s_mul_hi_u32 s59, s14, s19
	s_add_u32 s40, s41, s40
	s_mul_i32 s19, s14, s19
	s_addc_u32 s40, s42, s43
	s_addc_u32 s41, s59, 0
	s_add_u32 s19, s40, s19
	s_addc_u32 s40, 0, s41
	s_add_u32 s15, s15, s19
	s_cselect_b32 s19, -1, 0
	s_mul_hi_u32 s41, s16, s15
	s_cmp_lg_u32 s19, 0
	s_mul_i32 s19, s16, s15
	s_addc_u32 s14, s14, s40
	s_mul_i32 s17, s17, s15
	s_mul_i32 s16, s16, s14
	s_mul_hi_u32 s40, s15, s19
	s_add_i32 s16, s41, s16
	s_mul_hi_u32 s41, s14, s19
	s_add_i32 s16, s16, s17
	s_mul_i32 s17, s14, s19
	s_mul_i32 s43, s15, s16
	s_mul_hi_u32 s42, s15, s16
	s_add_u32 s40, s40, s43
	s_addc_u32 s42, 0, s42
	s_mul_hi_u32 s19, s14, s16
	s_add_u32 s17, s40, s17
	s_mul_i32 s16, s14, s16
	s_addc_u32 s17, s42, s41
	s_addc_u32 s19, s19, 0
	s_add_u32 s16, s17, s16
	s_addc_u32 s17, 0, s19
	s_add_u32 s15, s15, s16
	s_cselect_b32 s16, -1, 0
	s_mul_hi_u32 s19, s84, s15
	s_cmp_lg_u32 s16, 0
	s_mul_hi_u32 s16, s63, s15
	s_addc_u32 s14, s14, s17
	s_mul_i32 s15, s63, s15
	s_mul_i32 s40, s84, s14
	s_mul_hi_u32 s17, s84, s14
	s_add_u32 s19, s19, s40
	s_addc_u32 s17, 0, s17
	s_mul_hi_u32 s41, s63, s14
	s_add_u32 s15, s19, s15
	s_mul_i32 s14, s63, s14
	s_addc_u32 s15, s17, s16
	s_addc_u32 s16, s41, 0
	s_add_u32 s14, s15, s14
	s_addc_u32 s15, 0, s16
	s_mul_hi_u32 s16, s33, s14
	s_mul_i32 s15, s33, s15
	s_mul_i32 s14, s33, s14
	s_add_i32 s16, s16, s15
	s_sub_u32 s14, s84, s14
	s_cselect_b32 s15, -1, 0
	s_cmp_lg_u32 s15, 0
	s_subb_u32 s15, s63, s16
	s_sub_u32 s16, s14, s33
	s_cselect_b32 s17, -1, 0
	s_cmp_lg_u32 s17, 0
	s_subb_u32 s17, s15, 0
	;; [unrolled: 4-line block ×3, first 2 shown]
	s_cmp_ge_u32 s16, s33
	s_cselect_b32 s41, -1, 0
	s_cmp_eq_u32 s17, 0
	s_cselect_b32 s41, s41, -1
	s_cmp_lg_u32 s41, 0
	s_cselect_b32 s17, s40, s17
	s_cselect_b32 s16, s19, s16
	s_cmp_ge_u32 s14, s33
	s_cselect_b32 s19, -1, 0
	s_cmp_eq_u32 s15, 0
	s_cselect_b32 s19, s19, -1
	s_cmp_lg_u32 s19, 0
	s_cselect_b32 s15, s17, s15
	s_cselect_b32 s14, s16, s14
	s_mov_b32 s16, 0
	s_branch .LBB135_437
.LBB135_436:                            ;   in Loop: Header=BB135_12 Depth=1
	s_mov_b32 s16, -1
                                        ; implicit-def: $sgpr14_sgpr15
.LBB135_437:                            ;   in Loop: Header=BB135_12 Depth=1
	s_andn2_b32 vcc_lo, exec_lo, s16
	s_cbranch_vccnz .LBB135_439
; %bb.438:                              ;   in Loop: Header=BB135_12 Depth=1
	v_cvt_f32_u32_e32 v6, s33
	s_sub_i32 s15, 0, s33
	v_rcp_iflag_f32_e32 v6, v6
	v_mul_f32_e32 v6, 0x4f7ffffe, v6
	v_cvt_u32_f32_e32 v6, v6
	v_readfirstlane_b32 s14, v6
	s_mul_i32 s15, s15, s14
	s_mul_hi_u32 s15, s14, s15
	s_add_i32 s14, s14, s15
	s_mul_hi_u32 s14, s84, s14
	s_mul_i32 s14, s14, s33
	s_sub_i32 s14, s84, s14
	s_sub_i32 s15, s14, s33
	s_cmp_ge_u32 s14, s33
	s_cselect_b32 s14, s15, s14
	s_sub_i32 s15, s14, s33
	s_cmp_ge_u32 s14, s33
	s_cselect_b32 s60, s15, s14
	s_mov_b64 s[14:15], s[60:61]
.LBB135_439:                            ;   in Loop: Header=BB135_12 Depth=1
	s_sub_u32 s14, s84, s14
	s_subb_u32 s15, s63, s15
	s_mov_b32 s16, exec_lo
                                        ; implicit-def: $vgpr31
	v_cmpx_gt_u64_e64 s[14:15], v[0:1]
	s_cbranch_execz .LBB135_448
; %bb.440:                              ;   in Loop: Header=BB135_12 Depth=1
	v_mov_b32_e32 v7, v1
	v_mov_b32_e32 v6, v0
	s_mov_b32 s17, 0
                                        ; implicit-def: $sgpr19
	s_branch .LBB135_443
.LBB135_441:                            ;   in Loop: Header=BB135_443 Depth=2
	s_or_b32 exec_lo, exec_lo, s58
	s_waitcnt lgkmcnt(0)
	s_barrier
	buffer_gl0_inv
	ds_read_u16 v8, v3 offset:3072
	s_mov_b32 s41, -1
	s_waitcnt lgkmcnt(0)
	s_barrier
	buffer_gl0_inv
	v_cmp_eq_u32_sdwa s40, v8, v3 src0_sel:BYTE_0 src1_sel:DWORD
	s_and_b32 vcc_lo, exec_lo, s40
	s_mov_b32 s40, -1
	s_cbranch_vccnz .LBB135_446
.LBB135_442:                            ;   in Loop: Header=BB135_443 Depth=2
	s_and_b32 s8, exec_lo, s41
	s_or_b32 s17, s8, s17
	s_andn2_b32 s8, s19, exec_lo
	s_and_b32 s19, s40, exec_lo
	s_or_b32 s19, s8, s19
	s_andn2_b32 exec_lo, exec_lo, s17
	s_cbranch_execz .LBB135_447
.LBB135_443:                            ;   Parent Loop BB135_12 Depth=1
                                        ; =>  This Inner Loop Header: Depth=2
	s_mov_b32 s58, exec_lo
	v_cmpx_gt_u64_e64 s[36:37], v[6:7]
	s_cbranch_execz .LBB135_441
; %bb.444:                              ;   in Loop: Header=BB135_443 Depth=2
	v_mad_u64_u32 v[8:9], null, v6, s30, s[28:29]
	v_mul_lo_u32 v10, v6, s31
	v_mul_lo_u32 v11, v7, s30
	v_add3_u32 v9, v11, v9, v10
	global_load_ubyte v8, v[8:9], off
	s_waitcnt vmcnt(0)
	v_add_nc_u32_sdwa v9, sext(v8), v28 dst_sel:DWORD dst_unused:UNUSED_PAD src0_sel:BYTE_0 src1_sel:DWORD
	v_and_b32_e32 v9, v9, v30
	v_cmp_eq_u32_e32 vcc_lo, v9, v26
	s_and_b32 exec_lo, exec_lo, vcc_lo
	s_cbranch_execz .LBB135_441
; %bb.445:                              ;   in Loop: Header=BB135_443 Depth=2
	v_lshlrev_b16 v8, 8, v8
	v_or_b32_e32 v8, 1, v8
	ds_write_b16 v3, v8 offset:3072
	s_branch .LBB135_441
.LBB135_446:                            ;   in Loop: Header=BB135_443 Depth=2
	v_add_co_u32 v6, vcc_lo, v6, s33
	v_add_co_ci_u32_e64 v7, null, 0, v7, vcc_lo
	s_mov_b32 s40, 0
	v_cmp_le_u64_e32 vcc_lo, s[14:15], v[6:7]
	s_orn2_b32 s41, vcc_lo, exec_lo
	s_branch .LBB135_442
.LBB135_447:                            ;   in Loop: Header=BB135_12 Depth=1
	s_or_b32 exec_lo, exec_lo, s17
	v_lshrrev_b32_sdwa v31, v29, v8 dst_sel:DWORD dst_unused:UNUSED_PAD src0_sel:DWORD src1_sel:WORD_0
	s_andn2_b32 s8, s18, exec_lo
	s_and_b32 s14, s19, exec_lo
	s_or_b32 s18, s8, s14
.LBB135_448:                            ;   in Loop: Header=BB135_12 Depth=1
	s_or_b32 exec_lo, exec_lo, s16
	s_mov_b32 s62, 0
	s_mov_b32 s72, -1
.LBB135_449:                            ;   in Loop: Header=BB135_12 Depth=1
	s_orn2_b32 s15, s18, exec_lo
.LBB135_450:                            ;   in Loop: Header=BB135_12 Depth=1
	s_or_b32 exec_lo, exec_lo, s71
	s_mov_b32 s16, 0
	s_and_saveexec_b32 s14, s15
	s_cbranch_execz .LBB135_461
; %bb.451:                              ;   in Loop: Header=BB135_12 Depth=1
	v_mov_b32_e32 v6, 1
	v_mov_b32_e32 v7, 0
	;; [unrolled: 1-line block ×3, first 2 shown]
	s_xor_b32 s16, s70, -1
	s_and_saveexec_b32 s15, s16
	s_cbranch_execz .LBB135_460
; %bb.452:                              ;   in Loop: Header=BB135_12 Depth=1
	s_mov_b32 s16, exec_lo
	v_cmpx_ge_u64_e64 s[12:13], v[4:5]
	s_xor_b32 s16, exec_lo, s16
	s_cbranch_execz .LBB135_457
; %bb.453:                              ;   in Loop: Header=BB135_12 Depth=1
	ds_read_b64 v[6:7], v3 offset:5120
	v_and_b32_e32 v26, s26, v26
	v_or_b32_e32 v30, s11, v30
	s_waitcnt lgkmcnt(0)
	v_cmp_ne_u64_e32 vcc_lo, 0, v[6:7]
	s_cbranch_vccnz .LBB135_457
; %bb.454:                              ;   in Loop: Header=BB135_12 Depth=1
	s_and_saveexec_b32 s11, s3
; %bb.455:                              ;   in Loop: Header=BB135_12 Depth=1
	v_mov_b32_e32 v6, s12
	v_mov_b32_e32 v7, s13
	ds_write_b64 v3, v[6:7] offset:5128
; %bb.456:                              ;   in Loop: Header=BB135_12 Depth=1
	s_or_b32 exec_lo, exec_lo, s11
	s_waitcnt lgkmcnt(0)
	s_barrier
	buffer_gl0_inv
.LBB135_457:                            ;   in Loop: Header=BB135_12 Depth=1
	s_andn2_saveexec_b32 s11, s16
; %bb.458:                              ;   in Loop: Header=BB135_12 Depth=1
	v_sub_co_u32 v4, vcc_lo, v4, s12
	v_subrev_co_ci_u32_e64 v5, null, s13, v5, vcc_lo
; %bb.459:                              ;   in Loop: Header=BB135_12 Depth=1
	s_or_b32 exec_lo, exec_lo, s11
	v_mov_b32_e32 v7, v5
	v_mov_b32_e32 v2, 5
	;; [unrolled: 1-line block ×3, first 2 shown]
.LBB135_460:                            ;   in Loop: Header=BB135_12 Depth=1
	s_or_b32 exec_lo, exec_lo, s15
	v_mov_b32_e32 v4, v6
	v_mov_b32_e32 v5, v7
	s_mov_b32 s16, exec_lo
.LBB135_461:                            ;   in Loop: Header=BB135_12 Depth=1
	s_or_b32 exec_lo, exec_lo, s14
	s_orn2_b32 s14, s16, exec_lo
.LBB135_462:                            ;   in Loop: Header=BB135_12 Depth=1
	s_or_b32 exec_lo, exec_lo, s21
	v_mov_b32_e32 v7, v5
	v_mov_b32_e32 v6, v4
	s_andn2_b32 s11, s69, exec_lo
	s_and_b32 s12, s72, exec_lo
	s_andn2_b32 s13, s68, exec_lo
	s_and_b32 s15, s62, exec_lo
	s_or_b32 s69, s11, s12
	s_or_b32 s68, s13, s15
	s_and_b32 s17, s14, exec_lo
.LBB135_463:                            ;   in Loop: Header=BB135_12 Depth=1
	s_or_b32 exec_lo, exec_lo, s20
	s_orn2_b32 s16, s17, exec_lo
.LBB135_464:                            ;   in Loop: Header=BB135_12 Depth=1
	s_or_b32 exec_lo, exec_lo, s23
	v_mov_b32_e32 v4, v6
	v_mov_b32_e32 v5, v7
	s_andn2_b32 s11, s67, exec_lo
	s_and_b32 s12, s69, exec_lo
	s_andn2_b32 s13, s25, exec_lo
	s_and_b32 s14, s68, exec_lo
	s_or_b32 s67, s11, s12
	s_or_b32 s25, s13, s14
	s_and_b32 s19, s16, exec_lo
.LBB135_465:                            ;   in Loop: Header=BB135_12 Depth=1
	s_or_b32 exec_lo, exec_lo, s22
	s_orn2_b32 s18, s19, exec_lo
.LBB135_466:                            ;   in Loop: Header=BB135_12 Depth=1
	s_or_b32 exec_lo, exec_lo, s6
	s_mov_b32 s6, s66
	s_mov_b32 s11, s57
	s_and_saveexec_b32 s12, s18
; %bb.467:                              ;   in Loop: Header=BB135_12 Depth=1
	v_cmp_ne_u32_e32 vcc_lo, 5, v2
	v_cmp_eq_u32_e64 s6, 5, v2
	s_andn2_b32 s11, s57, exec_lo
	s_andn2_b32 s13, s66, exec_lo
	s_and_b32 s14, vcc_lo, exec_lo
	s_and_b32 s6, s6, exec_lo
	s_or_b32 s11, s11, s14
	s_or_b32 s6, s13, s6
; %bb.468:                              ;   in Loop: Header=BB135_12 Depth=1
	s_or_b32 exec_lo, exec_lo, s12
	s_andn2_b32 s8, s9, exec_lo
	s_and_b32 s9, s67, exec_lo
	s_andn2_b32 s12, s27, exec_lo
	s_and_b32 s13, s25, exec_lo
	s_or_b32 s9, s8, s9
	s_or_b32 s27, s12, s13
	s_andn2_b32 s8, s57, exec_lo
	s_and_b32 s11, s11, exec_lo
	s_andn2_b32 s12, s66, exec_lo
	s_and_b32 s6, s6, exec_lo
	s_or_b32 s57, s8, s11
	s_or_b32 s66, s12, s6
.LBB135_469:                            ;   in Loop: Header=BB135_12 Depth=1
	s_or_b32 exec_lo, exec_lo, s24
	s_mov_b32 s67, 0
	s_mov_b32 s68, 0
	s_and_saveexec_b32 s6, s66
.LBB135_470:                            ;   in Loop: Header=BB135_12 Depth=1
	v_mov_b32_e32 v2, 0
	s_or_b32 s57, s57, exec_lo
.LBB135_471:                            ;   in Loop: Header=BB135_12 Depth=1
	s_or_b32 exec_lo, exec_lo, s6
	s_andn2_b32 s6, s46, exec_lo
	s_and_b32 s8, s9, exec_lo
	s_andn2_b32 s9, s44, exec_lo
	s_and_b32 s12, s27, exec_lo
	v_mov_b32_e32 v20, v5
	v_mov_b32_e32 v19, v4
	s_or_b32 s46, s6, s8
	s_or_b32 s44, s9, s12
	s_andn2_b32 s6, s56, exec_lo
	s_and_b32 s8, s68, exec_lo
	s_andn2_b32 s9, s47, exec_lo
	s_and_b32 s12, s67, exec_lo
	s_mov_b32 s11, -1
	s_andn2_b32 s45, s45, exec_lo
	s_or_b32 s56, s6, s8
	s_or_b32 s47, s9, s12
	s_and_saveexec_b32 s6, s57
	s_xor_b32 s6, exec_lo, s6
	s_cbranch_execz .LBB135_11
; %bb.472:                              ;   in Loop: Header=BB135_12 Depth=1
	s_mov_b32 s9, -1
	s_mov_b32 s12, exec_lo
	v_cmpx_eq_u32_e32 0, v2
	s_cbranch_execz .LBB135_10
; %bb.473:                              ;   in Loop: Header=BB135_12 Depth=1
	s_xor_b32 s97, s97, 1
	s_add_i32 s13, s93, -2
	s_cmp_eq_u32 s93, 0
	s_mov_b32 s93, s13
	s_cselect_b32 s9, -1, 0
	s_xor_b32 s11, exec_lo, -1
	s_orn2_b32 s9, s9, exec_lo
	s_branch .LBB135_10
.LBB135_474:
	s_or_b32 exec_lo, exec_lo, s94
	s_xor_b32 s7, vcc_hi, -1
	s_xor_b32 s9, s99, -1
	s_xor_b32 s10, s104, -1
	;; [unrolled: 1-line block ×4, first 2 shown]
	s_mov_b32 s8, 0
	s_and_saveexec_b32 s12, s11
	s_xor_b32 s14, exec_lo, s12
	s_cbranch_execnz .LBB135_479
; %bb.475:
	s_andn2_saveexec_b32 s0, s14
	s_cbranch_execnz .LBB135_498
.LBB135_476:
	s_or_b32 exec_lo, exec_lo, s0
	s_and_saveexec_b32 s0, s8
.LBB135_477:
	; divergent unreachable
.LBB135_478:
	s_endpgm
.LBB135_479:
	s_and_saveexec_b32 s11, s10
	s_xor_b32 s15, exec_lo, s11
	s_cbranch_execz .LBB135_496
; %bb.480:
	s_and_saveexec_b32 s10, s9
	s_xor_b32 s16, exec_lo, s10
	s_cbranch_execz .LBB135_494
; %bb.481:
	;; [unrolled: 4-line block ×3, first 2 shown]
	s_and_saveexec_b32 s7, s6
	s_xor_b32 s6, exec_lo, s7
; %bb.483:
	v_xor_b32_e32 v31, 0xffffff80, v26
; %bb.484:
	s_or_b32 exec_lo, exec_lo, s6
	s_and_saveexec_b32 s6, s3
; %bb.485:
	v_mov_b32_e32 v2, 0
	v_mov_b32_e32 v3, v2
	ds_write_b64 v2, v[2:3] offset:5136
; %bb.486:
	s_or_b32 exec_lo, exec_lo, s6
	v_mov_b32_e32 v14, 0
	s_waitcnt lgkmcnt(0)
	s_barrier
	buffer_gl0_inv
	s_and_saveexec_b32 s3, s1
	s_cbranch_execz .LBB135_488
; %bb.487:
	global_load_ubyte v14, v[12:13], off
.LBB135_488:
	s_or_b32 exec_lo, exec_lo, s3
	s_clause 0x1
	s_load_dwordx4 s[40:43], s[4:5], 0x298
	s_load_dwordx4 s[24:27], s[4:5], 0x440
	s_add_u32 s3, s36, 31
	s_addc_u32 s7, s37, 0
	s_and_b32 s6, s3, 0xffffffe0
	s_mul_i32 s3, s50, s53
	s_mul_hi_u32 s8, s50, s52
	s_mul_i32 s9, s50, s52
	s_add_i32 s8, s8, s3
	s_sub_u32 s3, s34, s9
	s_subb_u32 s8, 0, s8
	v_cmp_gt_u64_e32 vcc_lo, s[6:7], v[0:1]
	s_waitcnt lgkmcnt(0)
	s_mul_i32 s9, s3, s43
	s_mul_hi_u32 s10, s3, s42
	s_mul_i32 s8, s8, s42
	s_add_i32 s9, s10, s9
	s_mul_i32 s10, s50, s41
	s_mul_hi_u32 s11, s50, s40
	s_add_i32 s13, s9, s8
	s_mul_i32 s8, s54, s49
	s_mul_hi_u32 s9, s54, s48
	s_add_i32 s12, s11, s10
	s_mul_i32 s10, s54, s48
	s_add_i32 s9, s9, s8
	s_sub_u32 s18, s34, s10
	s_subb_u32 s9, 0, s9
	s_mul_i32 s8, s18, s27
	s_mul_hi_u32 s10, s18, s26
	s_mul_i32 s9, s9, s26
	s_add_i32 s8, s10, s8
	s_mul_i32 s21, s54, s25
	s_mul_hi_u32 s22, s54, s24
	s_add_i32 s19, s8, s9
	s_clause 0x1
	s_load_dwordx2 s[8:9], s[4:5], 0x368
	s_load_dwordx2 s[10:11], s[4:5], 0x510
	s_add_i32 s5, s22, s21
	v_readlane_b32 s22, v50, 2
	v_readlane_b32 s23, v50, 3
	s_mul_i32 s20, s50, s40
	s_mul_i32 s3, s3, s42
	;; [unrolled: 1-line block ×3, first 2 shown]
	s_add_u32 s20, s22, s20
	s_addc_u32 s21, s23, s12
	s_add_u32 s12, s20, s3
	s_addc_u32 s13, s21, s13
	v_readlane_b32 s20, v50, 0
	v_readlane_b32 s21, v50, 1
	s_lshl_b64 s[4:5], s[4:5], 3
	s_mul_i32 s18, s18, s26
	s_add_u32 s3, s20, s4
	s_addc_u32 s4, s21, s5
	s_lshl_b64 s[18:19], s[18:19], 3
	s_add_u32 s5, s3, s18
	s_addc_u32 s18, s4, s19
	s_mov_b32 s4, -1
	s_mov_b32 s19, 0
	s_mov_b32 s3, 0
	s_and_saveexec_b32 s20, vcc_lo
	s_cbranch_execnz .LBB135_499
; %bb.489:
	s_or_b32 exec_lo, exec_lo, s20
	s_and_saveexec_b32 s2, s4
	s_cbranch_execnz .LBB135_514
.LBB135_490:
	s_or_b32 exec_lo, exec_lo, s2
	s_and_saveexec_b32 s0, s3
	s_xor_b32 s0, exec_lo, s0
	s_cbranch_execnz .LBB135_537
.LBB135_491:
	s_or_b32 exec_lo, exec_lo, s0
	s_waitcnt lgkmcnt(0)
	s_and_b32 s8, s19, exec_lo
.LBB135_492:
	s_andn2_saveexec_b32 s0, s17
	s_cbranch_execnz .LBB135_539
.LBB135_493:
	s_or_b32 exec_lo, exec_lo, s0
	s_and_b32 s8, s8, exec_lo
.LBB135_494:
	s_andn2_saveexec_b32 s0, s16
	s_cbranch_execnz .LBB135_538
.LBB135_495:
	s_or_b32 exec_lo, exec_lo, s0
	s_and_b32 s8, s8, exec_lo
.LBB135_496:
	s_andn2_saveexec_b32 s0, s15
	s_cbranch_execnz .LBB135_533
.LBB135_497:
	s_or_b32 exec_lo, exec_lo, s0
	s_and_b32 s8, s8, exec_lo
	s_andn2_saveexec_b32 s0, s14
	s_cbranch_execz .LBB135_476
.LBB135_498:
	s_or_b32 s8, s8, exec_lo
	s_trap 2
	s_or_b32 exec_lo, exec_lo, s0
	s_and_saveexec_b32 s0, s8
	s_cbranch_execnz .LBB135_477
	s_branch .LBB135_478
.LBB135_499:
	v_mov_b32_e32 v15, 0x80
	v_mov_b32_e32 v9, v1
	;; [unrolled: 1-line block ×4, first 2 shown]
	s_mov_b32 s21, 0
	v_add_nc_u32_sdwa v16, sext(v31), v15 dst_sel:DWORD dst_unused:UNUSED_PAD src0_sel:BYTE_0 src1_sel:DWORD
                                        ; implicit-def: $sgpr22
                                        ; implicit-def: $vgpr6_vgpr7
	s_branch .LBB135_501
.LBB135_500:                            ;   in Loop: Header=BB135_501 Depth=1
	s_or_b32 exec_lo, exec_lo, s24
	s_xor_b32 s3, s23, -1
	s_and_b32 s4, exec_lo, s4
	v_mov_b32_e32 v9, v5
	v_mov_b32_e32 v14, v17
	s_or_b32 s21, s4, s21
	v_mov_b32_e32 v8, v4
	s_andn2_b32 s4, s22, exec_lo
	s_and_b32 s3, s3, exec_lo
	s_or_b32 s22, s4, s3
	s_andn2_b32 exec_lo, exec_lo, s21
	s_cbranch_execz .LBB135_513
.LBB135_501:                            ; =>This Inner Loop Header: Depth=1
	v_add_co_u32 v4, s3, v8, s33
	v_add_co_ci_u32_e64 v5, null, 0, v9, s3
	v_mov_b32_e32 v17, 0
	s_mov_b32 s4, exec_lo
	v_cmpx_gt_u64_e64 s[36:37], v[4:5]
	s_cbranch_execz .LBB135_503
; %bb.502:                              ;   in Loop: Header=BB135_501 Depth=1
	v_mad_u64_u32 v[10:11], null, v4, s30, s[28:29]
	v_mul_lo_u32 v2, v4, s31
	v_mul_lo_u32 v17, v5, s30
	v_add3_u32 v11, v17, v11, v2
	global_load_ubyte v17, v[10:11], off
.LBB135_503:                            ;   in Loop: Header=BB135_501 Depth=1
	s_or_b32 exec_lo, exec_lo, s4
	s_waitcnt vmcnt(0)
	v_add_nc_u32_sdwa v2, sext(v14), v15 dst_sel:DWORD dst_unused:UNUSED_PAD src0_sel:BYTE_0 src1_sel:DWORD
	v_cmp_gt_u32_e64 s3, v2, v16
	v_cndmask_b32_e64 v10, 0, 1, s3
	v_cmp_lt_u32_e64 s3, v2, v16
	v_cndmask_b32_e64 v2, 0, 1, s3
	v_cmp_gt_u64_e64 s3, s[36:37], v[8:9]
	v_cndmask_b32_e64 v2, v2, v10, s2
	v_and_b32_e32 v2, 1, v2
	v_cmp_eq_u32_e64 s4, 1, v2
	s_and_b32 s23, s3, s4
	v_cndmask_b32_e64 v2, 0, 1, s23
	v_cmp_ne_u32_e64 s3, 0, v2
	s_cmp_lg_u32 s3, 0
	s_cselect_b32 s4, -1, 0
	s_and_b32 s4, s0, s4
	s_and_saveexec_b32 s24, s4
	s_cbranch_execz .LBB135_507
; %bb.504:                              ;   in Loop: Header=BB135_501 Depth=1
	s_mov_b32 s27, exec_lo
	s_bcnt1_i32_b32 s25, s3
	v_mbcnt_lo_u32_b32 v10, s27, 0
	s_mov_b32 s26, exec_lo
                                        ; implicit-def: $vgpr6_vgpr7
	v_cmpx_eq_u32_e32 0, v10
	s_cbranch_execz .LBB135_506
; %bb.505:                              ;   in Loop: Header=BB135_501 Depth=1
	s_bcnt1_i32_b32 s4, s27
	s_mul_i32 s4, s25, s4
	v_mov_b32_e32 v2, s4
	s_waitcnt lgkmcnt(0)
	ds_add_rtn_u64 v[6:7], v3, v[2:3] offset:5136
.LBB135_506:                            ;   in Loop: Header=BB135_501 Depth=1
	s_or_b32 exec_lo, exec_lo, s26
	s_waitcnt lgkmcnt(0)
	v_readfirstlane_b32 s27, v7
	v_readfirstlane_b32 s26, v6
	v_mad_u64_u32 v[6:7], null, s25, v10, s[26:27]
.LBB135_507:                            ;   in Loop: Header=BB135_501 Depth=1
	s_or_b32 exec_lo, exec_lo, s24
	s_waitcnt lgkmcnt(0)
	ds_bpermute_b32 v6, v3, v6
	ds_bpermute_b32 v7, v3, v7
	s_mov_b32 s4, -1
	s_mov_b32 s25, -1
	s_and_saveexec_b32 s24, s23
	s_cbranch_execz .LBB135_511
; %bb.508:                              ;   in Loop: Header=BB135_501 Depth=1
	v_and_b32_e32 v2, s3, v23
	s_mov_b32 s23, 0
	s_mov_b32 s25, exec_lo
	v_bcnt_u32_b32 v2, v2, 0
	s_waitcnt lgkmcnt(0)
	v_add_co_u32 v10, s3, v6, v2
	v_add_co_ci_u32_e64 v11, null, 0, v7, s3
	v_cmpx_gt_u64_e64 s[38:39], v[10:11]
; %bb.509:                              ;   in Loop: Header=BB135_501 Depth=1
	v_mul_lo_u32 v2, v11, s10
	v_mul_lo_u32 v22, v10, s11
	v_mad_u64_u32 v[18:19], null, v10, s10, 0
	v_mad_u64_u32 v[20:21], null, v10, s8, s[12:13]
	v_mul_lo_u32 v24, v10, s9
	s_mov_b32 s23, exec_lo
	v_add3_u32 v19, v19, v22, v2
	v_mul_lo_u32 v2, v11, s8
	v_lshlrev_b64 v[10:11], 3, v[18:19]
	v_add3_u32 v21, v2, v21, v24
	v_add_co_u32 v10, s3, s5, v10
	v_add_co_ci_u32_e64 v11, null, s18, v11, s3
	global_store_byte v[20:21], v14, off
	global_store_dwordx2 v[10:11], v[8:9], off
; %bb.510:                              ;   in Loop: Header=BB135_501 Depth=1
	s_or_b32 exec_lo, exec_lo, s25
	s_orn2_b32 s25, s23, exec_lo
.LBB135_511:                            ;   in Loop: Header=BB135_501 Depth=1
	s_or_b32 exec_lo, exec_lo, s24
	s_mov_b32 s23, -1
	s_and_saveexec_b32 s24, s25
	s_cbranch_execz .LBB135_500
; %bb.512:                              ;   in Loop: Header=BB135_501 Depth=1
	v_cmp_le_u64_e64 s3, s[6:7], v[4:5]
	s_xor_b32 s23, exec_lo, -1
	s_orn2_b32 s4, s3, exec_lo
	s_branch .LBB135_500
.LBB135_513:
	s_or_b32 exec_lo, exec_lo, s21
	s_mov_b32 s3, exec_lo
	s_orn2_b32 s4, s22, exec_lo
	s_or_b32 exec_lo, exec_lo, s20
	s_and_saveexec_b32 s2, s4
	s_cbranch_execz .LBB135_490
.LBB135_514:
	v_mov_b32_e32 v2, 0
	s_waitcnt vmcnt(0) lgkmcnt(0)
	s_waitcnt_vscnt null, 0x0
	s_barrier
	buffer_gl0_inv
	s_and_saveexec_b32 s4, s1
	s_cbranch_execz .LBB135_516
; %bb.515:
	global_load_ubyte v2, v[12:13], off
.LBB135_516:
	s_or_b32 exec_lo, exec_lo, s4
	s_mov_b32 s1, 0
	s_and_saveexec_b32 s4, vcc_lo
	s_cbranch_execz .LBB135_536
; %bb.517:
	v_mov_b32_e32 v3, 0
	s_mov_b32 s19, 0
                                        ; implicit-def: $sgpr20
                                        ; implicit-def: $vgpr6_vgpr7
	s_branch .LBB135_520
.LBB135_518:                            ;   in Loop: Header=BB135_520 Depth=1
	s_or_b32 exec_lo, exec_lo, s21
	s_orn2_b32 s23, s24, exec_lo
	s_orn2_b32 s22, s22, exec_lo
.LBB135_519:                            ;   in Loop: Header=BB135_520 Depth=1
	s_or_b32 exec_lo, exec_lo, s1
	s_xor_b32 s1, s23, -1
	s_and_b32 s21, exec_lo, s22
	v_mov_b32_e32 v0, v4
	v_mov_b32_e32 v1, v5
	s_or_b32 s19, s21, s19
	v_mov_b32_e32 v2, v10
	s_andn2_b32 s20, s20, exec_lo
	s_and_b32 s1, s1, exec_lo
	s_or_b32 s20, s20, s1
	s_andn2_b32 exec_lo, exec_lo, s19
	s_cbranch_execz .LBB135_534
.LBB135_520:                            ; =>This Inner Loop Header: Depth=1
	v_add_co_u32 v4, vcc_lo, v0, s33
	v_add_co_ci_u32_e64 v5, null, 0, v1, vcc_lo
	v_mov_b32_e32 v10, 0
	s_mov_b32 s1, exec_lo
	v_cmpx_gt_u64_e64 s[36:37], v[4:5]
	s_cbranch_execz .LBB135_522
; %bb.521:                              ;   in Loop: Header=BB135_520 Depth=1
	v_mad_u64_u32 v[8:9], null, v4, s30, s[28:29]
	v_mul_lo_u32 v10, v4, s31
	v_mul_lo_u32 v11, v5, s30
	v_add3_u32 v9, v11, v9, v10
	global_load_ubyte v10, v[8:9], off
.LBB135_522:                            ;   in Loop: Header=BB135_520 Depth=1
	s_or_b32 exec_lo, exec_lo, s1
	v_cmp_gt_u64_e32 vcc_lo, s[36:37], v[0:1]
	s_waitcnt vmcnt(0)
	v_cmp_eq_u16_sdwa s1, v2, v31 src0_sel:BYTE_0 src1_sel:BYTE_0
	s_and_b32 s21, vcc_lo, s1
	v_cndmask_b32_e64 v2, 0, 1, s21
	v_cmp_ne_u32_e32 vcc_lo, 0, v2
	s_cmp_lg_u32 vcc_lo, 0
	s_cselect_b32 s1, -1, 0
	s_and_b32 s1, s0, s1
	s_and_saveexec_b32 s22, s1
	s_cbranch_execz .LBB135_526
; %bb.523:                              ;   in Loop: Header=BB135_520 Depth=1
	s_mov_b32 s25, exec_lo
	s_bcnt1_i32_b32 s23, vcc_lo
	v_mbcnt_lo_u32_b32 v8, s25, 0
	s_mov_b32 s24, exec_lo
                                        ; implicit-def: $vgpr6_vgpr7
	v_cmpx_eq_u32_e32 0, v8
; %bb.524:                              ;   in Loop: Header=BB135_520 Depth=1
	s_bcnt1_i32_b32 s1, s25
	s_mul_i32 s1, s23, s1
	v_mov_b32_e32 v2, s1
	ds_add_rtn_u64 v[6:7], v3, v[2:3] offset:5136
; %bb.525:                              ;   in Loop: Header=BB135_520 Depth=1
	s_or_b32 exec_lo, exec_lo, s24
	s_waitcnt lgkmcnt(0)
	v_readfirstlane_b32 s25, v7
	v_readfirstlane_b32 s24, v6
	v_mad_u64_u32 v[6:7], null, s23, v8, s[24:25]
.LBB135_526:                            ;   in Loop: Header=BB135_520 Depth=1
	s_or_b32 exec_lo, exec_lo, s22
	ds_bpermute_b32 v6, v3, v6
	ds_bpermute_b32 v7, v3, v7
	s_cmp_eq_u32 vcc_lo, 0
	s_mov_b32 s22, -1
	s_cselect_b32 s23, -1, 0
	s_waitcnt lgkmcnt(0)
	v_cmp_gt_u64_e64 s1, s[38:39], v[6:7]
	s_or_b32 s24, s23, s1
	s_mov_b32 s23, -1
	s_and_saveexec_b32 s1, s24
	s_cbranch_execz .LBB135_519
; %bb.527:                              ;   in Loop: Header=BB135_520 Depth=1
	v_and_b32_e32 v2, vcc_lo, v23
	v_sub_co_u32 v8, vcc_lo, s38, v6
	v_sub_co_ci_u32_e64 v9, null, s39, v7, vcc_lo
	v_bcnt_u32_b32 v2, v2, 0
	s_mov_b32 s24, -1
	v_bcnt_u32_b32 v2, 0, v2
	v_cmp_gt_u64_e32 vcc_lo, v[8:9], v[2:3]
	s_and_b32 s25, s21, vcc_lo
	s_and_saveexec_b32 s21, s25
	s_cbranch_execz .LBB135_531
; %bb.528:                              ;   in Loop: Header=BB135_520 Depth=1
	v_add_co_u32 v8, vcc_lo, v6, v2
	v_add_co_ci_u32_e64 v9, null, 0, v7, vcc_lo
	s_mov_b32 s23, 0
	s_mov_b32 s24, exec_lo
	v_cmpx_gt_u64_e64 s[38:39], v[8:9]
; %bb.529:                              ;   in Loop: Header=BB135_520 Depth=1
	v_mul_lo_u32 v2, v9, s10
	v_mul_lo_u32 v15, v8, s11
	v_mad_u64_u32 v[11:12], null, v8, s10, 0
	v_mad_u64_u32 v[13:14], null, v8, s8, s[12:13]
	v_mul_lo_u32 v16, v8, s9
	s_mov_b32 s23, exec_lo
	v_add3_u32 v12, v12, v15, v2
	v_mul_lo_u32 v2, v9, s8
	v_lshlrev_b64 v[8:9], 3, v[11:12]
	v_add3_u32 v14, v2, v14, v16
	v_add_co_u32 v8, vcc_lo, s5, v8
	v_add_co_ci_u32_e64 v9, null, s18, v9, vcc_lo
	global_store_byte v[13:14], v31, off
	global_store_dwordx2 v[8:9], v[0:1], off
; %bb.530:                              ;   in Loop: Header=BB135_520 Depth=1
	s_or_b32 exec_lo, exec_lo, s24
	s_xor_b32 s24, exec_lo, -1
	s_orn2_b32 s23, s23, exec_lo
.LBB135_531:                            ;   in Loop: Header=BB135_520 Depth=1
	s_or_b32 exec_lo, exec_lo, s21
	s_and_saveexec_b32 s21, s23
	s_cbranch_execz .LBB135_518
; %bb.532:                              ;   in Loop: Header=BB135_520 Depth=1
	v_cmp_le_u64_e32 vcc_lo, s[6:7], v[4:5]
	s_or_b32 s24, s24, exec_lo
	s_orn2_b32 s22, vcc_lo, exec_lo
	s_branch .LBB135_518
.LBB135_533:
	s_or_b32 s8, s8, exec_lo
	s_trap 2
	s_branch .LBB135_497
.LBB135_534:
	s_or_b32 exec_lo, exec_lo, s19
	s_mov_b32 s0, 0
	s_and_saveexec_b32 s1, s20
	s_xor_b32 s1, exec_lo, s1
	s_cbranch_execnz .LBB135_540
.LBB135_535:
	s_or_b32 exec_lo, exec_lo, s1
	s_and_b32 s1, s0, exec_lo
.LBB135_536:
	s_or_b32 exec_lo, exec_lo, s4
	s_and_b32 s19, s1, exec_lo
	s_andn2_b32 s3, s3, exec_lo
	s_or_b32 exec_lo, exec_lo, s2
	s_and_saveexec_b32 s0, s3
	s_xor_b32 s0, exec_lo, s0
	s_cbranch_execz .LBB135_491
.LBB135_537:
	s_or_b32 s19, s19, exec_lo
	s_trap 2
	s_branch .LBB135_491
.LBB135_538:
	s_or_b32 s8, s8, exec_lo
	s_trap 2
	s_branch .LBB135_495
.LBB135_539:
	s_or_b32 s8, s8, exec_lo
	s_trap 2
	s_branch .LBB135_493
.LBB135_540:
	s_mov_b32 s0, exec_lo
	s_trap 2
	s_branch .LBB135_535
	.section	.rodata,"a",@progbits
	.p2align	6, 0x0
	.amdhsa_kernel _ZN2at6native6sbtopk10gatherTopKIamLi2ELb0EEEvNS_4cuda6detail10TensorInfoIKT_T0_EES8_S8_bS8_S8_NS5_IS6_S8_EES8_NS5_IlS8_EES8_PS6_
		.amdhsa_group_segment_fixed_size 5152
		.amdhsa_private_segment_fixed_size 0
		.amdhsa_kernarg_size 1568
		.amdhsa_user_sgpr_count 6
		.amdhsa_user_sgpr_private_segment_buffer 1
		.amdhsa_user_sgpr_dispatch_ptr 0
		.amdhsa_user_sgpr_queue_ptr 0
		.amdhsa_user_sgpr_kernarg_segment_ptr 1
		.amdhsa_user_sgpr_dispatch_id 0
		.amdhsa_user_sgpr_flat_scratch_init 0
		.amdhsa_user_sgpr_private_segment_size 0
		.amdhsa_wavefront_size32 1
		.amdhsa_uses_dynamic_stack 0
		.amdhsa_system_sgpr_private_segment_wavefront_offset 0
		.amdhsa_system_sgpr_workgroup_id_x 1
		.amdhsa_system_sgpr_workgroup_id_y 1
		.amdhsa_system_sgpr_workgroup_id_z 1
		.amdhsa_system_sgpr_workgroup_info 0
		.amdhsa_system_vgpr_workitem_id 0
		.amdhsa_next_free_vgpr 51
		.amdhsa_next_free_sgpr 105
		.amdhsa_reserve_vcc 1
		.amdhsa_reserve_flat_scratch 0
		.amdhsa_float_round_mode_32 0
		.amdhsa_float_round_mode_16_64 0
		.amdhsa_float_denorm_mode_32 3
		.amdhsa_float_denorm_mode_16_64 3
		.amdhsa_dx10_clamp 1
		.amdhsa_ieee_mode 1
		.amdhsa_fp16_overflow 0
		.amdhsa_workgroup_processor_mode 1
		.amdhsa_memory_ordered 1
		.amdhsa_forward_progress 1
		.amdhsa_shared_vgpr_count 0
		.amdhsa_exception_fp_ieee_invalid_op 0
		.amdhsa_exception_fp_denorm_src 0
		.amdhsa_exception_fp_ieee_div_zero 0
		.amdhsa_exception_fp_ieee_overflow 0
		.amdhsa_exception_fp_ieee_underflow 0
		.amdhsa_exception_fp_ieee_inexact 0
		.amdhsa_exception_int_div_zero 0
	.end_amdhsa_kernel
	.section	.text._ZN2at6native6sbtopk10gatherTopKIamLi2ELb0EEEvNS_4cuda6detail10TensorInfoIKT_T0_EES8_S8_bS8_S8_NS5_IS6_S8_EES8_NS5_IlS8_EES8_PS6_,"axG",@progbits,_ZN2at6native6sbtopk10gatherTopKIamLi2ELb0EEEvNS_4cuda6detail10TensorInfoIKT_T0_EES8_S8_bS8_S8_NS5_IS6_S8_EES8_NS5_IlS8_EES8_PS6_,comdat
.Lfunc_end135:
	.size	_ZN2at6native6sbtopk10gatherTopKIamLi2ELb0EEEvNS_4cuda6detail10TensorInfoIKT_T0_EES8_S8_bS8_S8_NS5_IS6_S8_EES8_NS5_IlS8_EES8_PS6_, .Lfunc_end135-_ZN2at6native6sbtopk10gatherTopKIamLi2ELb0EEEvNS_4cuda6detail10TensorInfoIKT_T0_EES8_S8_bS8_S8_NS5_IS6_S8_EES8_NS5_IlS8_EES8_PS6_
                                        ; -- End function
	.set _ZN2at6native6sbtopk10gatherTopKIamLi2ELb0EEEvNS_4cuda6detail10TensorInfoIKT_T0_EES8_S8_bS8_S8_NS5_IS6_S8_EES8_NS5_IlS8_EES8_PS6_.num_vgpr, 51
	.set _ZN2at6native6sbtopk10gatherTopKIamLi2ELb0EEEvNS_4cuda6detail10TensorInfoIKT_T0_EES8_S8_bS8_S8_NS5_IS6_S8_EES8_NS5_IlS8_EES8_PS6_.num_agpr, 0
	.set _ZN2at6native6sbtopk10gatherTopKIamLi2ELb0EEEvNS_4cuda6detail10TensorInfoIKT_T0_EES8_S8_bS8_S8_NS5_IS6_S8_EES8_NS5_IlS8_EES8_PS6_.numbered_sgpr, 105
	.set _ZN2at6native6sbtopk10gatherTopKIamLi2ELb0EEEvNS_4cuda6detail10TensorInfoIKT_T0_EES8_S8_bS8_S8_NS5_IS6_S8_EES8_NS5_IlS8_EES8_PS6_.num_named_barrier, 0
	.set _ZN2at6native6sbtopk10gatherTopKIamLi2ELb0EEEvNS_4cuda6detail10TensorInfoIKT_T0_EES8_S8_bS8_S8_NS5_IS6_S8_EES8_NS5_IlS8_EES8_PS6_.private_seg_size, 0
	.set _ZN2at6native6sbtopk10gatherTopKIamLi2ELb0EEEvNS_4cuda6detail10TensorInfoIKT_T0_EES8_S8_bS8_S8_NS5_IS6_S8_EES8_NS5_IlS8_EES8_PS6_.uses_vcc, 1
	.set _ZN2at6native6sbtopk10gatherTopKIamLi2ELb0EEEvNS_4cuda6detail10TensorInfoIKT_T0_EES8_S8_bS8_S8_NS5_IS6_S8_EES8_NS5_IlS8_EES8_PS6_.uses_flat_scratch, 0
	.set _ZN2at6native6sbtopk10gatherTopKIamLi2ELb0EEEvNS_4cuda6detail10TensorInfoIKT_T0_EES8_S8_bS8_S8_NS5_IS6_S8_EES8_NS5_IlS8_EES8_PS6_.has_dyn_sized_stack, 0
	.set _ZN2at6native6sbtopk10gatherTopKIamLi2ELb0EEEvNS_4cuda6detail10TensorInfoIKT_T0_EES8_S8_bS8_S8_NS5_IS6_S8_EES8_NS5_IlS8_EES8_PS6_.has_recursion, 0
	.set _ZN2at6native6sbtopk10gatherTopKIamLi2ELb0EEEvNS_4cuda6detail10TensorInfoIKT_T0_EES8_S8_bS8_S8_NS5_IS6_S8_EES8_NS5_IlS8_EES8_PS6_.has_indirect_call, 0
	.section	.AMDGPU.csdata,"",@progbits
; Kernel info:
; codeLenInByte = 25668
; TotalNumSgprs: 107
; NumVgprs: 51
; ScratchSize: 0
; MemoryBound: 0
; FloatMode: 240
; IeeeMode: 1
; LDSByteSize: 5152 bytes/workgroup (compile time only)
; SGPRBlocks: 0
; VGPRBlocks: 6
; NumSGPRsForWavesPerEU: 107
; NumVGPRsForWavesPerEU: 51
; Occupancy: 16
; WaveLimiterHint : 1
; COMPUTE_PGM_RSRC2:SCRATCH_EN: 0
; COMPUTE_PGM_RSRC2:USER_SGPR: 6
; COMPUTE_PGM_RSRC2:TRAP_HANDLER: 0
; COMPUTE_PGM_RSRC2:TGID_X_EN: 1
; COMPUTE_PGM_RSRC2:TGID_Y_EN: 1
; COMPUTE_PGM_RSRC2:TGID_Z_EN: 1
; COMPUTE_PGM_RSRC2:TIDIG_COMP_CNT: 0
	.section	.text._ZN2at6native6mbtopk23computeBlockDigitCountsIamjLi3EEEvNS_4cuda6detail10TensorInfoIKT_T0_EEjPjjS8_iijT1_PSB_Ps,"axG",@progbits,_ZN2at6native6mbtopk23computeBlockDigitCountsIamjLi3EEEvNS_4cuda6detail10TensorInfoIKT_T0_EEjPjjS8_iijT1_PSB_Ps,comdat
	.protected	_ZN2at6native6mbtopk23computeBlockDigitCountsIamjLi3EEEvNS_4cuda6detail10TensorInfoIKT_T0_EEjPjjS8_iijT1_PSB_Ps ; -- Begin function _ZN2at6native6mbtopk23computeBlockDigitCountsIamjLi3EEEvNS_4cuda6detail10TensorInfoIKT_T0_EEjPjjS8_iijT1_PSB_Ps
	.globl	_ZN2at6native6mbtopk23computeBlockDigitCountsIamjLi3EEEvNS_4cuda6detail10TensorInfoIKT_T0_EEjPjjS8_iijT1_PSB_Ps
	.p2align	8
	.type	_ZN2at6native6mbtopk23computeBlockDigitCountsIamjLi3EEEvNS_4cuda6detail10TensorInfoIKT_T0_EEjPjjS8_iijT1_PSB_Ps,@function
_ZN2at6native6mbtopk23computeBlockDigitCountsIamjLi3EEEvNS_4cuda6detail10TensorInfoIKT_T0_EEjPjjS8_iijT1_PSB_Ps: ; @_ZN2at6native6mbtopk23computeBlockDigitCountsIamjLi3EEEvNS_4cuda6detail10TensorInfoIKT_T0_EEjPjjS8_iijT1_PSB_Ps
; %bb.0:
	s_clause 0x2
	s_load_dwordx4 s[0:3], s[4:5], 0x1c0
	s_load_dword s12, s[4:5], 0x1b0
	s_load_dwordx2 s[10:11], s[4:5], 0x1e0
	s_waitcnt lgkmcnt(0)
	v_cvt_f32_u32_e32 v1, s2
	s_mul_i32 s8, s11, s8
	s_sub_i32 s11, 0, s2
	s_add_i32 s7, s8, s7
	v_rcp_iflag_f32_e32 v1, v1
	s_mul_i32 s24, s7, s10
	s_add_i32 s24, s24, s6
	v_mul_f32_e32 v1, 0x4f7ffffe, v1
	v_cvt_u32_f32_e32 v1, v1
	v_readfirstlane_b32 s9, v1
	s_mul_i32 s11, s11, s9
	s_mul_hi_u32 s7, s9, s11
	s_add_i32 s9, s9, s7
	s_mul_hi_u32 s6, s24, s9
	s_mul_i32 s7, s6, s2
	s_add_i32 s8, s6, 1
	s_sub_i32 s7, s24, s7
	s_sub_i32 s9, s7, s2
	s_cmp_ge_u32 s7, s2
	s_cselect_b32 s6, s8, s6
	s_cselect_b32 s7, s9, s7
	s_add_i32 s8, s6, 1
	s_cmp_ge_u32 s7, s2
	s_mov_b32 s7, 0
	s_cselect_b32 s6, s8, s6
	s_cmp_ge_u32 s6, s12
	s_cbranch_scc1 .LBB136_25
; %bb.1:
	s_clause 0x1
	s_load_dwordx4 s[12:15], s[4:5], 0x10
	s_load_dwordx4 s[8:11], s[4:5], 0x1d0
	s_lshl_b64 s[16:17], s[6:7], 2
	s_mov_b64 s[20:21], 0
	s_waitcnt lgkmcnt(0)
	v_cmp_lt_u64_e64 s18, s[6:7], s[14:15]
	s_add_u32 s22, s8, s16
	s_addc_u32 s23, s9, s17
	s_mov_b64 s[8:9], 0
	s_and_b32 vcc_lo, exec_lo, s18
	s_cbranch_vccz .LBB136_15
; %bb.2:
	v_cmp_lt_u64_e64 s7, s[20:21], s[12:13]
	s_and_b32 vcc_lo, exec_lo, s7
	s_cbranch_vccz .LBB136_16
.LBB136_3:
	v_cmp_gt_u32_e32 vcc_lo, 0x100, v0
	v_lshlrev_b32_e32 v1, 2, v0
	s_and_saveexec_b32 s7, vcc_lo
.LBB136_4:
	v_mov_b32_e32 v2, 0
	ds_write_b32 v1, v2
.LBB136_5:
	s_or_b32 exec_lo, exec_lo, s7
	s_load_dword s9, s[4:5], 0x1a0
	s_mul_i32 s7, s6, s2
	s_mov_b32 s25, 0
	s_sub_i32 s7, s24, s7
	s_waitcnt lgkmcnt(0)
	s_mul_i32 s16, s1, s7
	s_add_i32 s7, s7, 1
	s_lshl_b32 s26, s16, 8
	s_barrier
	buffer_gl0_inv
	s_sub_i32 s16, s9, s26
	s_add_u32 s16, s16, 0xff
	s_addc_u32 s17, 0, 0
	s_lshr_b64 s[16:17], s[16:17], 8
	s_cmp_lt_u32 s7, s2
	s_cselect_b32 s2, s1, s16
	s_cmp_lt_i32 s2, 1
	s_cbranch_scc1 .LBB136_23
; %bb.6:
	s_clause 0x2
	s_load_dwordx2 s[28:29], s[4:5], 0xe0
	s_load_dwordx4 s[16:19], s[4:5], 0xd0
	s_load_dwordx2 s[30:31], s[4:5], 0x0
	s_load_dword s1, s[22:23], 0x0
	s_mul_i32 s7, s20, s15
	s_mul_hi_u32 s15, s20, s14
	s_mul_i32 s14, s20, s14
	s_add_i32 s15, s15, s7
	s_mul_i32 s13, s8, s13
	s_mul_hi_u32 s22, s8, s12
	s_sub_u32 s6, s6, s14
	s_load_dwordx2 s[4:5], s[4:5], 0x1b8
	s_subb_u32 s7, 0, s15
	s_add_i32 s22, s22, s13
	s_mul_i32 s12, s8, s12
	v_add_nc_u32_e32 v2, s26, v0
	s_waitcnt lgkmcnt(0)
	s_mul_i32 s13, s6, s29
	s_mul_hi_u32 s14, s6, s28
	s_mul_i32 s7, s7, s28
	s_add_i32 s13, s14, s13
	s_mul_i32 s15, s8, s17
	s_add_i32 s13, s13, s7
	s_sub_u32 s7, s20, s12
	s_mul_hi_u32 s17, s8, s16
	s_mul_i32 s8, s8, s16
	s_subb_u32 s12, s21, s22
	s_mul_i32 s14, s7, s19
	s_mul_hi_u32 s16, s7, s18
	s_mul_i32 s12, s12, s18
	s_add_i32 s14, s16, s14
	s_add_i32 s17, s17, s15
	;; [unrolled: 1-line block ×3, first 2 shown]
	s_mul_i32 s7, s7, s18
	s_add_u32 s8, s30, s8
	s_addc_u32 s12, s31, s17
	s_mul_i32 s6, s6, s28
	s_add_u32 s7, s8, s7
	s_addc_u32 s8, s12, s14
	s_add_u32 s6, s7, s6
	s_addc_u32 s7, s8, s13
	s_and_b32 s8, s0, 0xff
	s_cmp_eq_u32 s2, 1
	s_cbranch_scc1 .LBB136_18
; %bb.7:
	v_mov_b32_e32 v3, 1
	v_mov_b32_e32 v4, v2
	s_and_b32 s12, s2, 0x7ffffffe
	s_mov_b32 s13, 0
	s_branch .LBB136_9
.LBB136_8:                              ;   in Loop: Header=BB136_9 Depth=1
	s_or_b32 exec_lo, exec_lo, s14
	v_add_nc_u32_e32 v4, 0x200, v4
	s_add_i32 s13, s13, 2
	s_cmp_eq_u32 s12, s13
	s_cbranch_scc1 .LBB136_17
.LBB136_9:                              ; =>This Inner Loop Header: Depth=1
	s_mov_b32 s14, exec_lo
	v_cmpx_gt_u32_e64 s9, v4
	s_cbranch_execz .LBB136_12
; %bb.10:                               ;   in Loop: Header=BB136_9 Depth=1
	v_mad_u64_u32 v[5:6], null, s4, v4, s[6:7]
	v_mad_u64_u32 v[6:7], null, s5, v4, v[6:7]
	global_load_sbyte v5, v[5:6], off
	s_waitcnt vmcnt(0)
	v_add_nc_u32_e32 v5, 0x80, v5
	v_xor_b32_e32 v6, s1, v5
	v_and_b32_e32 v6, s3, v6
	v_cmp_eq_u32_e64 s0, 0, v6
	s_and_b32 exec_lo, exec_lo, s0
; %bb.11:                               ;   in Loop: Header=BB136_9 Depth=1
	v_lshrrev_b32_e32 v5, s8, v5
	v_lshlrev_b32_e32 v5, 2, v5
	ds_add_u32 v5, v3
.LBB136_12:                             ;   in Loop: Header=BB136_9 Depth=1
	s_or_b32 exec_lo, exec_lo, s14
	v_add_nc_u32_e32 v5, 0x100, v4
	s_mov_b32 s14, exec_lo
	v_cmpx_gt_u32_e64 s9, v5
	s_cbranch_execz .LBB136_8
; %bb.13:                               ;   in Loop: Header=BB136_9 Depth=1
	v_mad_u64_u32 v[6:7], null, s4, v5, s[6:7]
	v_mad_u64_u32 v[7:8], null, s5, v5, v[7:8]
	global_load_sbyte v5, v[6:7], off
	s_waitcnt vmcnt(0)
	v_add_nc_u32_e32 v5, 0x80, v5
	v_xor_b32_e32 v6, s1, v5
	v_and_b32_e32 v6, s3, v6
	v_cmp_eq_u32_e64 s0, 0, v6
	s_and_b32 exec_lo, exec_lo, s0
	s_cbranch_execz .LBB136_8
; %bb.14:                               ;   in Loop: Header=BB136_9 Depth=1
	v_lshrrev_b32_e32 v5, s8, v5
	v_lshlrev_b32_e32 v5, 2, v5
	ds_add_u32 v5, v3
	s_branch .LBB136_8
.LBB136_15:
	v_cvt_f32_u32_e32 v1, s14
	s_sub_i32 s9, 0, s14
	s_mov_b32 s21, 0
	v_rcp_iflag_f32_e32 v1, v1
	v_mul_f32_e32 v1, 0x4f7ffffe, v1
	v_cvt_u32_f32_e32 v1, v1
	v_readfirstlane_b32 s7, v1
	s_mul_i32 s9, s9, s7
	s_mul_hi_u32 s9, s7, s9
	s_add_i32 s7, s7, s9
	s_mul_hi_u32 s7, s6, s7
	s_mul_i32 s9, s7, s14
	s_add_i32 s16, s7, 1
	s_sub_i32 s9, s6, s9
	s_sub_i32 s17, s9, s14
	s_cmp_ge_u32 s9, s14
	s_cselect_b32 s7, s16, s7
	s_cselect_b32 s9, s17, s9
	s_add_i32 s16, s7, 1
	s_cmp_ge_u32 s9, s14
	s_cselect_b32 s20, s16, s7
	v_cmp_lt_u64_e64 s7, s[20:21], s[12:13]
	s_and_b32 vcc_lo, exec_lo, s7
	s_cbranch_vccnz .LBB136_3
.LBB136_16:
	v_cvt_f32_u32_e32 v1, s12
	s_sub_i32 s8, 0, s12
	v_rcp_iflag_f32_e32 v1, v1
	v_mul_f32_e32 v1, 0x4f7ffffe, v1
	v_cvt_u32_f32_e32 v1, v1
	v_readfirstlane_b32 s7, v1
	s_mul_i32 s8, s8, s7
	s_mul_hi_u32 s8, s7, s8
	s_add_i32 s7, s7, s8
	s_mul_hi_u32 s7, s20, s7
	s_mul_i32 s8, s7, s12
	s_add_i32 s9, s7, 1
	s_sub_i32 s8, s20, s8
	s_sub_i32 s16, s8, s12
	s_cmp_ge_u32 s8, s12
	s_cselect_b32 s7, s9, s7
	s_cselect_b32 s8, s16, s8
	s_add_i32 s9, s7, 1
	s_cmp_ge_u32 s8, s12
	s_cselect_b32 s8, s9, s7
	v_cmp_gt_u32_e32 vcc_lo, 0x100, v0
	v_lshlrev_b32_e32 v1, 2, v0
	s_and_saveexec_b32 s7, vcc_lo
	s_cbranch_execnz .LBB136_4
	s_branch .LBB136_5
.LBB136_17:
	s_lshl_b32 s25, s12, 8
.LBB136_18:
	s_bitcmp0_b32 s2, 0
	s_cbranch_scc1 .LBB136_23
; %bb.19:
	v_add_nc_u32_e32 v2, s25, v2
	s_mov_b32 s2, exec_lo
	v_cmpx_gt_u32_e64 s9, v2
	s_cbranch_execz .LBB136_22
; %bb.20:
	v_mad_u64_u32 v[3:4], null, s4, v2, s[6:7]
	v_mad_u64_u32 v[4:5], null, s5, v2, v[4:5]
	global_load_sbyte v2, v[3:4], off
	s_waitcnt vmcnt(0)
	v_add_nc_u32_e32 v2, 0x80, v2
	v_xor_b32_e32 v3, s1, v2
	v_and_b32_e32 v3, s3, v3
	v_cmp_eq_u32_e64 s0, 0, v3
	s_and_b32 exec_lo, exec_lo, s0
	s_cbranch_execz .LBB136_22
; %bb.21:
	v_lshrrev_b32_e32 v2, s8, v2
	v_mov_b32_e32 v3, 1
	v_lshlrev_b32_e32 v2, 2, v2
	ds_add_u32 v2, v3
.LBB136_22:
	s_or_b32 exec_lo, exec_lo, s2
.LBB136_23:
	s_waitcnt lgkmcnt(0)
	s_barrier
	buffer_gl0_inv
	s_and_saveexec_b32 s0, vcc_lo
	s_cbranch_execz .LBB136_25
; %bb.24:
	ds_read_b32 v2, v1
	v_lshl_or_b32 v0, s24, 8, v0
	v_mov_b32_e32 v1, 0
	v_lshlrev_b64 v[0:1], 1, v[0:1]
	v_add_co_u32 v0, vcc_lo, s10, v0
	v_add_co_ci_u32_e64 v1, null, s11, v1, vcc_lo
	s_waitcnt lgkmcnt(0)
	global_store_short v[0:1], v2, off
.LBB136_25:
	s_endpgm
	.section	.rodata,"a",@progbits
	.p2align	6, 0x0
	.amdhsa_kernel _ZN2at6native6mbtopk23computeBlockDigitCountsIamjLi3EEEvNS_4cuda6detail10TensorInfoIKT_T0_EEjPjjS8_iijT1_PSB_Ps
		.amdhsa_group_segment_fixed_size 1024
		.amdhsa_private_segment_fixed_size 0
		.amdhsa_kernarg_size 736
		.amdhsa_user_sgpr_count 6
		.amdhsa_user_sgpr_private_segment_buffer 1
		.amdhsa_user_sgpr_dispatch_ptr 0
		.amdhsa_user_sgpr_queue_ptr 0
		.amdhsa_user_sgpr_kernarg_segment_ptr 1
		.amdhsa_user_sgpr_dispatch_id 0
		.amdhsa_user_sgpr_flat_scratch_init 0
		.amdhsa_user_sgpr_private_segment_size 0
		.amdhsa_wavefront_size32 1
		.amdhsa_uses_dynamic_stack 0
		.amdhsa_system_sgpr_private_segment_wavefront_offset 0
		.amdhsa_system_sgpr_workgroup_id_x 1
		.amdhsa_system_sgpr_workgroup_id_y 1
		.amdhsa_system_sgpr_workgroup_id_z 1
		.amdhsa_system_sgpr_workgroup_info 0
		.amdhsa_system_vgpr_workitem_id 0
		.amdhsa_next_free_vgpr 9
		.amdhsa_next_free_sgpr 32
		.amdhsa_reserve_vcc 1
		.amdhsa_reserve_flat_scratch 0
		.amdhsa_float_round_mode_32 0
		.amdhsa_float_round_mode_16_64 0
		.amdhsa_float_denorm_mode_32 3
		.amdhsa_float_denorm_mode_16_64 3
		.amdhsa_dx10_clamp 1
		.amdhsa_ieee_mode 1
		.amdhsa_fp16_overflow 0
		.amdhsa_workgroup_processor_mode 1
		.amdhsa_memory_ordered 1
		.amdhsa_forward_progress 1
		.amdhsa_shared_vgpr_count 0
		.amdhsa_exception_fp_ieee_invalid_op 0
		.amdhsa_exception_fp_denorm_src 0
		.amdhsa_exception_fp_ieee_div_zero 0
		.amdhsa_exception_fp_ieee_overflow 0
		.amdhsa_exception_fp_ieee_underflow 0
		.amdhsa_exception_fp_ieee_inexact 0
		.amdhsa_exception_int_div_zero 0
	.end_amdhsa_kernel
	.section	.text._ZN2at6native6mbtopk23computeBlockDigitCountsIamjLi3EEEvNS_4cuda6detail10TensorInfoIKT_T0_EEjPjjS8_iijT1_PSB_Ps,"axG",@progbits,_ZN2at6native6mbtopk23computeBlockDigitCountsIamjLi3EEEvNS_4cuda6detail10TensorInfoIKT_T0_EEjPjjS8_iijT1_PSB_Ps,comdat
.Lfunc_end136:
	.size	_ZN2at6native6mbtopk23computeBlockDigitCountsIamjLi3EEEvNS_4cuda6detail10TensorInfoIKT_T0_EEjPjjS8_iijT1_PSB_Ps, .Lfunc_end136-_ZN2at6native6mbtopk23computeBlockDigitCountsIamjLi3EEEvNS_4cuda6detail10TensorInfoIKT_T0_EEjPjjS8_iijT1_PSB_Ps
                                        ; -- End function
	.set _ZN2at6native6mbtopk23computeBlockDigitCountsIamjLi3EEEvNS_4cuda6detail10TensorInfoIKT_T0_EEjPjjS8_iijT1_PSB_Ps.num_vgpr, 9
	.set _ZN2at6native6mbtopk23computeBlockDigitCountsIamjLi3EEEvNS_4cuda6detail10TensorInfoIKT_T0_EEjPjjS8_iijT1_PSB_Ps.num_agpr, 0
	.set _ZN2at6native6mbtopk23computeBlockDigitCountsIamjLi3EEEvNS_4cuda6detail10TensorInfoIKT_T0_EEjPjjS8_iijT1_PSB_Ps.numbered_sgpr, 32
	.set _ZN2at6native6mbtopk23computeBlockDigitCountsIamjLi3EEEvNS_4cuda6detail10TensorInfoIKT_T0_EEjPjjS8_iijT1_PSB_Ps.num_named_barrier, 0
	.set _ZN2at6native6mbtopk23computeBlockDigitCountsIamjLi3EEEvNS_4cuda6detail10TensorInfoIKT_T0_EEjPjjS8_iijT1_PSB_Ps.private_seg_size, 0
	.set _ZN2at6native6mbtopk23computeBlockDigitCountsIamjLi3EEEvNS_4cuda6detail10TensorInfoIKT_T0_EEjPjjS8_iijT1_PSB_Ps.uses_vcc, 1
	.set _ZN2at6native6mbtopk23computeBlockDigitCountsIamjLi3EEEvNS_4cuda6detail10TensorInfoIKT_T0_EEjPjjS8_iijT1_PSB_Ps.uses_flat_scratch, 0
	.set _ZN2at6native6mbtopk23computeBlockDigitCountsIamjLi3EEEvNS_4cuda6detail10TensorInfoIKT_T0_EEjPjjS8_iijT1_PSB_Ps.has_dyn_sized_stack, 0
	.set _ZN2at6native6mbtopk23computeBlockDigitCountsIamjLi3EEEvNS_4cuda6detail10TensorInfoIKT_T0_EEjPjjS8_iijT1_PSB_Ps.has_recursion, 0
	.set _ZN2at6native6mbtopk23computeBlockDigitCountsIamjLi3EEEvNS_4cuda6detail10TensorInfoIKT_T0_EEjPjjS8_iijT1_PSB_Ps.has_indirect_call, 0
	.section	.AMDGPU.csdata,"",@progbits
; Kernel info:
; codeLenInByte = 1196
; TotalNumSgprs: 34
; NumVgprs: 9
; ScratchSize: 0
; MemoryBound: 0
; FloatMode: 240
; IeeeMode: 1
; LDSByteSize: 1024 bytes/workgroup (compile time only)
; SGPRBlocks: 0
; VGPRBlocks: 1
; NumSGPRsForWavesPerEU: 34
; NumVGPRsForWavesPerEU: 9
; Occupancy: 16
; WaveLimiterHint : 1
; COMPUTE_PGM_RSRC2:SCRATCH_EN: 0
; COMPUTE_PGM_RSRC2:USER_SGPR: 6
; COMPUTE_PGM_RSRC2:TRAP_HANDLER: 0
; COMPUTE_PGM_RSRC2:TGID_X_EN: 1
; COMPUTE_PGM_RSRC2:TGID_Y_EN: 1
; COMPUTE_PGM_RSRC2:TGID_Z_EN: 1
; COMPUTE_PGM_RSRC2:TIDIG_COMP_CNT: 0
	.section	.text._ZN2at6native6mbtopk10gatherTopKIamLi3EEEvNS_4cuda6detail10TensorInfoIKT_T0_EES8_S8_bjS8_NS5_IS6_S8_EES8_NS5_IlS8_EES8_jjPS6_PjSD_j,"axG",@progbits,_ZN2at6native6mbtopk10gatherTopKIamLi3EEEvNS_4cuda6detail10TensorInfoIKT_T0_EES8_S8_bjS8_NS5_IS6_S8_EES8_NS5_IlS8_EES8_jjPS6_PjSD_j,comdat
	.protected	_ZN2at6native6mbtopk10gatherTopKIamLi3EEEvNS_4cuda6detail10TensorInfoIKT_T0_EES8_S8_bjS8_NS5_IS6_S8_EES8_NS5_IlS8_EES8_jjPS6_PjSD_j ; -- Begin function _ZN2at6native6mbtopk10gatherTopKIamLi3EEEvNS_4cuda6detail10TensorInfoIKT_T0_EES8_S8_bjS8_NS5_IS6_S8_EES8_NS5_IlS8_EES8_jjPS6_PjSD_j
	.globl	_ZN2at6native6mbtopk10gatherTopKIamLi3EEEvNS_4cuda6detail10TensorInfoIKT_T0_EES8_S8_bjS8_NS5_IS6_S8_EES8_NS5_IlS8_EES8_jjPS6_PjSD_j
	.p2align	8
	.type	_ZN2at6native6mbtopk10gatherTopKIamLi3EEEvNS_4cuda6detail10TensorInfoIKT_T0_EES8_S8_bjS8_NS5_IS6_S8_EES8_NS5_IlS8_EES8_jjPS6_PjSD_j,@function
_ZN2at6native6mbtopk10gatherTopKIamLi3EEEvNS_4cuda6detail10TensorInfoIKT_T0_EES8_S8_bjS8_NS5_IS6_S8_EES8_NS5_IlS8_EES8_jjPS6_PjSD_j: ; @_ZN2at6native6mbtopk10gatherTopKIamLi3EEEvNS_4cuda6detail10TensorInfoIKT_T0_EES8_S8_bjS8_NS5_IS6_S8_EES8_NS5_IlS8_EES8_jjPS6_PjSD_j
; %bb.0:
	s_clause 0x1
	s_load_dwordx2 s[0:1], s[4:5], 0x538
	s_load_dword s2, s[4:5], 0x530
	s_waitcnt lgkmcnt(0)
	s_mul_i32 s1, s1, s8
	s_add_i32 s1, s1, s7
	s_mul_i32 s0, s1, s0
	s_add_i32 s0, s0, s6
	s_cmp_ge_u32 s0, s2
	s_cbranch_scc1 .LBB137_54
; %bb.1:
	s_clause 0x2
	s_load_dwordx2 s[6:7], s[4:5], 0x510
	s_load_dwordx4 s[8:11], s[4:5], 0x1a0
	s_load_dwordx4 s[12:15], s[4:5], 0x10
	s_mov_b32 s35, 0
	s_waitcnt lgkmcnt(0)
	v_cvt_f32_u32_e32 v1, s7
	s_sub_i32 s2, 0, s7
	s_lshl_b32 s33, s6, 8
	v_rcp_iflag_f32_e32 v1, v1
	v_mul_f32_e32 v1, 0x4f7ffffe, v1
	v_cvt_u32_f32_e32 v1, v1
	v_readfirstlane_b32 s1, v1
	s_mul_i32 s2, s2, s1
	s_mul_hi_u32 s2, s1, s2
	s_add_i32 s1, s1, s2
	s_mul_hi_u32 s1, s0, s1
	s_mul_i32 s2, s1, s7
	s_add_i32 s3, s1, 1
	s_sub_i32 s2, s0, s2
	s_sub_i32 s16, s2, s7
	s_cmp_ge_u32 s2, s7
	s_cselect_b32 s1, s3, s1
	s_cselect_b32 s2, s16, s2
	s_add_i32 s3, s1, 1
	s_cmp_ge_u32 s2, s7
	s_cselect_b32 s34, s3, s1
	s_mul_i32 s20, s34, s7
	s_sub_i32 s72, s0, s20
	s_add_i32 s0, s72, 1
	s_cmp_lt_u32 s0, s7
	s_cbranch_scc1 .LBB137_3
; %bb.2:
	s_mul_i32 s0, s72, s33
	s_sub_u32 s0, s8, s0
	s_subb_u32 s1, s9, 0
	s_add_u32 s0, s0, 0xff
	s_addc_u32 s1, s1, 0
	s_ashr_i32 s2, s1, 31
	s_lshr_b32 s2, s2, 24
	s_add_u32 s0, s0, s2
	s_addc_u32 s1, s1, 0
	s_lshr_b64 s[0:1], s[0:1], 8
	s_mov_b32 s6, s0
.LBB137_3:
	v_cmp_lt_u64_e64 s0, s[34:35], s[14:15]
	s_mov_b64 s[48:49], 0
	s_mov_b64 s[50:51], 0
	s_and_b32 vcc_lo, exec_lo, s0
	s_cbranch_vccnz .LBB137_5
; %bb.4:
	v_cvt_f32_u32_e32 v1, s14
	s_sub_i32 s1, 0, s14
	s_mov_b32 s51, 0
	v_rcp_iflag_f32_e32 v1, v1
	v_mul_f32_e32 v1, 0x4f7ffffe, v1
	v_cvt_u32_f32_e32 v1, v1
	v_readfirstlane_b32 s0, v1
	s_mul_i32 s1, s1, s0
	s_mul_hi_u32 s1, s0, s1
	s_add_i32 s0, s0, s1
	s_mul_hi_u32 s0, s34, s0
	s_mul_i32 s1, s0, s14
	s_add_i32 s2, s0, 1
	s_sub_i32 s1, s34, s1
	s_sub_i32 s3, s1, s14
	s_cmp_ge_u32 s1, s14
	s_cselect_b32 s0, s2, s0
	s_cselect_b32 s1, s3, s1
	s_add_i32 s2, s0, 1
	s_cmp_ge_u32 s1, s14
	s_cselect_b32 s50, s2, s0
.LBB137_5:
	s_load_dwordx4 s[24:27], s[4:5], 0x1d0
	v_cmp_lt_u64_e64 s0, s[50:51], s[12:13]
	s_and_b32 vcc_lo, exec_lo, s0
	s_cbranch_vccnz .LBB137_7
; %bb.6:
	v_cvt_f32_u32_e32 v1, s12
	s_sub_i32 s1, 0, s12
	v_rcp_iflag_f32_e32 v1, v1
	v_mul_f32_e32 v1, 0x4f7ffffe, v1
	v_cvt_u32_f32_e32 v1, v1
	v_readfirstlane_b32 s0, v1
	s_mul_i32 s1, s1, s0
	s_mul_hi_u32 s1, s0, s1
	s_add_i32 s0, s0, s1
	s_mul_hi_u32 s0, s50, s0
	s_mul_i32 s1, s0, s12
	s_add_i32 s2, s0, 1
	s_sub_i32 s1, s50, s1
	s_sub_i32 s3, s1, s12
	s_cmp_ge_u32 s1, s12
	s_cselect_b32 s0, s2, s0
	s_cselect_b32 s1, s3, s1
	s_add_i32 s2, s0, 1
	s_cmp_ge_u32 s1, s12
	s_cselect_b32 s48, s2, s0
.LBB137_7:
	s_waitcnt lgkmcnt(0)
	v_cmp_lt_u64_e64 s0, s[34:35], s[26:27]
	s_mov_b64 s[54:55], 0
	s_mov_b64 s[56:57], 0
	s_and_b32 vcc_lo, exec_lo, s0
	s_cbranch_vccnz .LBB137_9
; %bb.8:
	v_cvt_f32_u32_e32 v1, s26
	s_sub_i32 s1, 0, s26
	s_mov_b32 s57, 0
	v_rcp_iflag_f32_e32 v1, v1
	v_mul_f32_e32 v1, 0x4f7ffffe, v1
	v_cvt_u32_f32_e32 v1, v1
	v_readfirstlane_b32 s0, v1
	s_mul_i32 s1, s1, s0
	s_mul_hi_u32 s1, s0, s1
	s_add_i32 s0, s0, s1
	s_mul_hi_u32 s0, s34, s0
	s_mul_i32 s1, s0, s26
	s_add_i32 s2, s0, 1
	s_sub_i32 s1, s34, s1
	s_sub_i32 s3, s1, s26
	s_cmp_ge_u32 s1, s26
	s_cselect_b32 s0, s2, s0
	s_cselect_b32 s1, s3, s1
	s_add_i32 s2, s0, 1
	s_cmp_ge_u32 s1, s26
	s_cselect_b32 s56, s2, s0
.LBB137_9:
	s_load_dwordx4 s[28:31], s[4:5], 0x378
	v_cmp_lt_u64_e64 s0, s[56:57], s[24:25]
	s_and_b32 vcc_lo, exec_lo, s0
	s_cbranch_vccnz .LBB137_11
; %bb.10:
	v_cvt_f32_u32_e32 v1, s24
	s_sub_i32 s1, 0, s24
	v_rcp_iflag_f32_e32 v1, v1
	v_mul_f32_e32 v1, 0x4f7ffffe, v1
	v_cvt_u32_f32_e32 v1, v1
	v_readfirstlane_b32 s0, v1
	s_mul_i32 s1, s1, s0
	s_mul_hi_u32 s1, s0, s1
	s_add_i32 s0, s0, s1
	s_mul_hi_u32 s0, s56, s0
	s_mul_i32 s1, s0, s24
	s_add_i32 s2, s0, 1
	s_sub_i32 s1, s56, s1
	s_sub_i32 s3, s1, s24
	s_cmp_ge_u32 s1, s24
	s_cselect_b32 s0, s2, s0
	s_cselect_b32 s1, s3, s1
	s_add_i32 s2, s0, 1
	s_cmp_ge_u32 s1, s24
	s_cselect_b32 s54, s2, s0
.LBB137_11:
	s_waitcnt lgkmcnt(0)
	v_cmp_lt_u64_e64 s0, s[34:35], s[30:31]
	s_mov_b64 s[58:59], 0
	s_mov_b64 s[60:61], 0
	s_and_b32 vcc_lo, exec_lo, s0
	s_cbranch_vccnz .LBB137_13
; %bb.12:
	v_cvt_f32_u32_e32 v1, s30
	s_sub_i32 s1, 0, s30
	s_mov_b32 s61, 0
	v_rcp_iflag_f32_e32 v1, v1
	v_mul_f32_e32 v1, 0x4f7ffffe, v1
	v_cvt_u32_f32_e32 v1, v1
	v_readfirstlane_b32 s0, v1
	s_mul_i32 s1, s1, s0
	s_mul_hi_u32 s1, s0, s1
	s_add_i32 s0, s0, s1
	s_mul_hi_u32 s0, s34, s0
	s_mul_i32 s1, s0, s30
	s_add_i32 s2, s0, 1
	s_sub_i32 s1, s34, s1
	s_sub_i32 s3, s1, s30
	s_cmp_ge_u32 s1, s30
	s_cselect_b32 s0, s2, s0
	s_cselect_b32 s1, s3, s1
	s_add_i32 s2, s0, 1
	s_cmp_ge_u32 s1, s30
	s_cselect_b32 s60, s2, s0
.LBB137_13:
	s_clause 0x5
	s_load_dwordx2 s[62:63], s[4:5], 0xe0
	s_load_dwordx4 s[40:43], s[4:5], 0xd0
	s_load_dwordx2 s[66:67], s[4:5], 0x2a0
	s_load_dwordx4 s[44:47], s[4:5], 0x290
	;; [unrolled: 2-line block ×3, first 2 shown]
	v_cmp_lt_u64_e64 s0, s[60:61], s[28:29]
	s_and_b32 vcc_lo, exec_lo, s0
	s_cbranch_vccnz .LBB137_15
; %bb.14:
	v_cvt_f32_u32_e32 v1, s28
	s_sub_i32 s1, 0, s28
	v_rcp_iflag_f32_e32 v1, v1
	v_mul_f32_e32 v1, 0x4f7ffffe, v1
	v_cvt_u32_f32_e32 v1, v1
	v_readfirstlane_b32 s0, v1
	s_mul_i32 s1, s1, s0
	s_mul_hi_u32 s1, s0, s1
	s_add_i32 s0, s0, s1
	s_mul_hi_u32 s0, s60, s0
	s_mul_i32 s1, s0, s28
	s_add_i32 s2, s0, 1
	s_sub_i32 s1, s60, s1
	s_sub_i32 s3, s1, s28
	s_cmp_ge_u32 s1, s28
	s_cselect_b32 s0, s2, s0
	s_cselect_b32 s1, s3, s1
	s_add_i32 s2, s0, 1
	s_cmp_ge_u32 s1, s28
	s_cselect_b32 s58, s2, s0
.LBB137_15:
	s_clause 0x1
	s_load_dwordx4 s[0:3], s[4:5], 0x518
	s_load_dwordx2 s[64:65], s[4:5], 0x0
	v_mov_b32_e32 v1, 0
	s_mov_b32 s21, 0
	s_waitcnt lgkmcnt(0)
	s_add_u32 s0, s0, s34
	s_addc_u32 s1, s1, 0
	global_load_ubyte v8, v1, s[0:1]
	v_cmp_ne_u32_e64 s0, 0, v0
	v_cmp_eq_u32_e64 s1, 0, v0
	s_and_saveexec_b32 s35, s1
	s_cbranch_execz .LBB137_31
; %bb.16:
	s_load_dwordx2 s[22:23], s[4:5], 0x528
	s_lshl_b64 s[68:69], s[20:21], 2
	s_mov_b32 s20, 0
	s_add_u32 s16, s2, s68
	s_addc_u32 s17, s3, s69
	s_mov_b32 s49, 0
	s_waitcnt lgkmcnt(0)
	s_add_u32 s18, s22, s68
	s_addc_u32 s19, s23, s69
	s_cmp_lt_u32 s7, 4
	s_cbranch_scc1 .LBB137_28
; %bb.17:
	s_mov_b32 s55, 0
.LBB137_18:                             ; =>This Inner Loop Header: Depth=1
	s_add_u32 s16, s2, s68
	s_addc_u32 s17, s3, s69
	s_add_u32 s70, s22, s68
	s_load_dwordx4 s[16:19], s[16:17], 0x0
	s_addc_u32 s71, s23, s69
	s_cmp_ge_u32 s55, s72
	s_cbranch_scc0 .LBB137_25
; %bb.19:                               ;   in Loop: Header=BB137_18 Depth=1
	s_add_i32 s59, s55, 1
	s_cmp_ge_u32 s59, s72
	s_cbranch_scc0 .LBB137_26
.LBB137_20:                             ;   in Loop: Header=BB137_18 Depth=1
	s_add_i32 s59, s59, 1
	s_cmp_ge_u32 s59, s72
	s_cbranch_scc0 .LBB137_27
.LBB137_21:                             ;   in Loop: Header=BB137_18 Depth=1
	s_add_i32 s59, s59, 1
	s_cmp_ge_u32 s59, s72
	s_cbranch_scc1 .LBB137_23
.LBB137_22:                             ;   in Loop: Header=BB137_18 Depth=1
	s_load_dword s70, s[70:71], 0xc
	s_waitcnt lgkmcnt(0)
	s_add_i32 s21, s21, s19
	s_add_i32 s20, s70, s20
.LBB137_23:                             ;   in Loop: Header=BB137_18 Depth=1
	s_waitcnt lgkmcnt(0)
	s_add_i32 s16, s16, s49
	s_add_i32 s16, s16, s17
	;; [unrolled: 1-line block ×4, first 2 shown]
	s_add_u32 s2, s2, 16
	s_addc_u32 s3, s3, 0
	s_add_u32 s22, s22, 16
	s_addc_u32 s23, s23, 0
	s_add_i32 s70, s59, 4
	s_add_u32 s18, s22, s68
	s_addc_u32 s19, s23, s69
	s_add_u32 s16, s2, s68
	s_addc_u32 s17, s3, s69
	s_add_i32 s59, s59, 1
	s_cmp_ge_u32 s70, s7
	s_cbranch_scc1 .LBB137_29
; %bb.24:                               ;   in Loop: Header=BB137_18 Depth=1
	s_mov_b32 s55, s59
	s_branch .LBB137_18
.LBB137_25:                             ;   in Loop: Header=BB137_18 Depth=1
	s_load_dword s59, s[70:71], 0x0
	s_waitcnt lgkmcnt(0)
	s_add_i32 s21, s16, s21
	s_add_i32 s20, s59, s20
	;; [unrolled: 1-line block ×3, first 2 shown]
	s_cmp_ge_u32 s59, s72
	s_cbranch_scc1 .LBB137_20
.LBB137_26:                             ;   in Loop: Header=BB137_18 Depth=1
	s_load_dword s73, s[70:71], 0x4
	s_waitcnt lgkmcnt(0)
	s_add_i32 s21, s21, s17
	s_add_i32 s20, s73, s20
	;; [unrolled: 1-line block ×3, first 2 shown]
	s_cmp_ge_u32 s59, s72
	s_cbranch_scc1 .LBB137_21
.LBB137_27:                             ;   in Loop: Header=BB137_18 Depth=1
	s_load_dword s73, s[70:71], 0x8
	s_waitcnt lgkmcnt(0)
	s_add_i32 s21, s21, s18
	s_add_i32 s20, s73, s20
	;; [unrolled: 1-line block ×3, first 2 shown]
	s_cmp_ge_u32 s59, s72
	s_cbranch_scc0 .LBB137_22
	s_branch .LBB137_23
.LBB137_28:
	s_mov_b32 s2, 0
	s_cmp_ge_u32 s2, s7
	s_cbranch_scc0 .LBB137_52
	s_branch .LBB137_30
.LBB137_29:
	s_add_i32 s2, s55, 4
	s_cmp_ge_u32 s2, s7
	s_cbranch_scc0 .LBB137_52
.LBB137_30:
	v_mov_b32_e32 v1, s20
	v_mov_b32_e32 v2, s49
	;; [unrolled: 1-line block ×4, first 2 shown]
	ds_write_b96 v4, v[1:3] offset:1056
.LBB137_31:
	s_or_b32 exec_lo, exec_lo, s35
	s_clause 0x1
	s_load_dwordx4 s[16:19], s[4:5], 0x1b8
	s_load_dwordx4 s[20:23], s[4:5], 0x360
	s_cmp_eq_u32 s6, 0
	s_waitcnt vmcnt(0) lgkmcnt(0)
	s_barrier
	buffer_gl0_inv
	s_cbranch_scc1 .LBB137_54
; %bb.32:
	s_mul_i32 s2, s60, s31
	s_mul_hi_u32 s3, s60, s30
	s_mul_i32 s7, s60, s30
	s_add_i32 s3, s3, s2
	s_sub_u32 s2, s34, s7
	s_subb_u32 s3, 0, s3
	s_mul_i32 s7, s2, s53
	s_mul_hi_u32 s30, s2, s52
	s_mul_i32 s3, s3, s52
	s_add_i32 s7, s30, s7
	s_mul_hi_u32 s31, s54, s44
	s_add_i32 s3, s7, s3
	s_mul_i32 s7, s54, s25
	s_mul_hi_u32 s25, s54, s24
	s_mul_i32 s24, s54, s24
	s_add_i32 s25, s25, s7
	s_sub_u32 s7, s56, s24
	s_subb_u32 s25, s57, s25
	s_mul_i32 s24, s7, s47
	s_mul_hi_u32 s30, s7, s46
	s_mul_i32 s25, s25, s46
	s_add_i32 s24, s30, s24
	s_mul_i32 s30, s54, s45
	s_add_i32 s24, s24, s25
	s_mul_i32 s25, s56, s27
	s_mul_hi_u32 s27, s56, s26
	s_mul_i32 s26, s56, s26
	s_add_i32 s31, s31, s30
	s_add_i32 s27, s27, s25
	s_sub_u32 s25, s34, s26
	s_subb_u32 s27, 0, s27
	s_mul_i32 s26, s25, s67
	s_mul_hi_u32 s30, s25, s66
	s_mul_i32 s27, s27, s66
	s_add_i32 s26, s30, s26
	s_mul_i32 s13, s48, s13
	s_add_i32 s35, s26, s27
	s_mul_hi_u32 s26, s48, s12
	s_mul_i32 s12, s48, s12
	s_add_i32 s26, s26, s13
	s_sub_u32 s12, s50, s12
	s_mul_i32 s30, s54, s44
	s_mul_i32 s44, s25, s66
	s_mul_i32 s13, s12, s43
	s_mul_hi_u32 s25, s12, s42
	s_subb_u32 s26, s51, s26
	s_add_i32 s13, s25, s13
	s_mul_i32 s25, s48, s41
	s_mul_hi_u32 s27, s48, s40
	s_mul_i32 s26, s26, s42
	s_add_i32 s41, s27, s25
	s_mul_i32 s15, s50, s15
	s_mul_hi_u32 s25, s50, s14
	s_mul_i32 s14, s50, s14
	s_add_i32 s13, s13, s26
	s_add_i32 s25, s25, s15
	s_sub_u32 s14, s34, s14
	s_subb_u32 s25, 0, s25
	s_mul_i32 s15, s14, s63
	s_mul_hi_u32 s26, s14, s62
	s_mul_i32 s25, s25, s62
	s_add_i32 s15, s26, s15
	s_mul_hi_u32 s26, s58, s28
	s_add_i32 s15, s15, s25
	s_mul_i32 s25, s58, s29
	s_mul_i32 s27, s58, s28
	s_add_i32 s26, s26, s25
	s_sub_u32 s28, s60, s27
	s_subb_u32 s26, s61, s26
	s_mul_i32 s25, s28, s39
	s_mul_hi_u32 s27, s28, s38
	s_mul_i32 s26, s26, s38
	s_add_i32 s25, s27, s25
	s_mul_i32 s27, s58, s37
	s_mul_hi_u32 s29, s58, s36
	s_mul_i32 s34, s48, s40
	s_add_i32 s25, s25, s26
	s_add_i32 s27, s29, s27
	s_mul_i32 s12, s12, s42
	s_add_u32 s29, s64, s34
	s_addc_u32 s34, s65, s41
	v_mov_b32_e32 v5, 0
	s_mul_i32 s14, s14, s62
	s_add_u32 s12, s29, s12
	s_addc_u32 s13, s34, s13
	s_add_u32 s12, s12, s14
	s_addc_u32 s13, s13, s15
	s_mul_i32 s7, s7, s46
	s_add_u32 s14, s18, s30
	ds_read_b96 v[1:3], v5 offset:1056
	s_addc_u32 s15, s19, s31
	s_add_u32 s7, s14, s7
	s_mul_i32 s26, s58, s36
	s_addc_u32 s15, s15, s24
	s_add_u32 s14, s7, s44
	s_addc_u32 s15, s15, s35
	s_lshl_b64 s[18:19], s[26:27], 3
	s_mul_i32 s24, s28, s38
	s_add_u32 s7, s22, s18
	s_addc_u32 s22, s23, s19
	s_lshl_b64 s[18:19], s[24:25], 3
	s_mul_i32 s2, s2, s52
	s_add_u32 s7, s7, s18
	s_addc_u32 s18, s22, s19
	s_lshl_b64 s[2:3], s[2:3], 3
	v_add_nc_u32_e32 v4, -1, v0
	s_add_u32 s7, s7, s2
	s_addc_u32 s18, s18, s3
	s_clause 0x1
	s_load_dword s3, s[4:5], 0x1b0
	s_load_dwordx2 s[4:5], s[4:5], 0x508
	v_lshrrev_b32_e32 v6, 3, v0
	v_lshrrev_b32_e32 v7, 3, v4
	s_waitcnt lgkmcnt(0)
	v_add_nc_u32_e32 v1, v1, v2
	v_mov_b32_e32 v9, 0x80
	v_and_b32_e32 v13, 0xfc, v0
	v_and_b32_e32 v2, 28, v6
	;; [unrolled: 1-line block ×3, first 2 shown]
	v_mad_u64_u32 v[6:7], null, s72, s33, v[0:1]
	v_lshlrev_b32_e32 v14, 5, v0
	v_mbcnt_lo_u32_b32 v11, -1, 0
	v_add_nc_u32_sdwa v10, sext(v8), v9 dst_sel:DWORD dst_unused:UNUSED_PAD src0_sel:BYTE_0 src1_sel:DWORD
	v_lshl_add_u32 v12, v0, 2, v2
	v_cmp_gt_u32_e64 s2, 32, v0
	v_lshl_add_u32 v0, v4, 2, v15
	v_add_nc_u32_e32 v13, v13, v14
	v_and_b32_e32 v14, 15, v11
	v_bfe_i32 v15, v11, 4, 1
	v_add_nc_u32_e32 v16, -1, v11
	v_mov_b32_e32 v4, v6
	s_bitcmp1_b32 s3, 0
                                        ; implicit-def: $vgpr17
	s_cselect_b32 s3, -1, 0
	s_branch .LBB137_35
.LBB137_33:                             ;   in Loop: Header=BB137_35 Depth=1
	s_or_b32 exec_lo, exec_lo, s19
	v_add_nc_u32_e32 v1, v2, v1
.LBB137_34:                             ;   in Loop: Header=BB137_35 Depth=1
	v_add_nc_u32_e32 v3, v18, v3
	v_add_nc_u32_e32 v4, 0x100, v4
	s_add_i32 s6, s6, -1
	s_cmp_lg_u32 s6, 0
	s_cbranch_scc0 .LBB137_54
.LBB137_35:                             ; =>This Inner Loop Header: Depth=1
	v_mov_b32_e32 v2, v5
	v_mov_b32_e32 v6, v5
	s_mov_b32 s19, exec_lo
	v_cmpx_gt_u64_e64 s[8:9], v[4:5]
	s_cbranch_execz .LBB137_37
; %bb.36:                               ;   in Loop: Header=BB137_35 Depth=1
	v_mad_u64_u32 v[6:7], null, s16, v4, s[12:13]
	v_mov_b32_e32 v2, v7
	v_mad_u64_u32 v[17:18], null, s17, v4, v[2:3]
	v_mov_b32_e32 v7, v17
	global_load_ubyte v17, v[6:7], off
	s_waitcnt vmcnt(0)
	v_add_nc_u32_sdwa v2, sext(v17), v9 dst_sel:DWORD dst_unused:UNUSED_PAD src0_sel:BYTE_0 src1_sel:DWORD
	v_cmp_eq_u16_sdwa s22, v17, v8 src0_sel:DWORD src1_sel:BYTE_0
	v_cmp_gt_u32_e32 vcc_lo, v2, v10
	v_cndmask_b32_e64 v6, 0, 1, vcc_lo
	v_cmp_lt_u32_e32 vcc_lo, v2, v10
	v_cndmask_b32_e64 v2, 0, 1, vcc_lo
	v_cndmask_b32_e64 v2, v2, v6, s3
	v_cndmask_b32_e64 v6, 0, 1, s22
	v_and_b32_e32 v2, 1, v2
.LBB137_37:                             ;   in Loop: Header=BB137_35 Depth=1
	s_or_b32 exec_lo, exec_lo, s19
	ds_write_b32 v12, v2
	s_waitcnt lgkmcnt(0)
	s_barrier
	buffer_gl0_inv
	s_and_saveexec_b32 s19, s2
	s_cbranch_execz .LBB137_39
; %bb.38:                               ;   in Loop: Header=BB137_35 Depth=1
	ds_read2_b32 v[18:19], v13 offset1:1
	ds_read2_b32 v[20:21], v13 offset0:2 offset1:3
	ds_read2_b32 v[22:23], v13 offset0:4 offset1:5
	;; [unrolled: 1-line block ×3, first 2 shown]
	v_cmp_ne_u32_e32 vcc_lo, 0, v14
	; wave barrier
	s_waitcnt lgkmcnt(3)
	v_add_nc_u32_e32 v7, v19, v18
	s_waitcnt lgkmcnt(2)
	v_add3_u32 v7, v7, v20, v21
	s_waitcnt lgkmcnt(1)
	v_add3_u32 v7, v7, v22, v23
	;; [unrolled: 2-line block ×3, first 2 shown]
	v_mov_b32_dpp v19, v7 row_shr:1 row_mask:0xf bank_mask:0xf
	v_cndmask_b32_e32 v19, 0, v19, vcc_lo
	v_cmp_lt_u32_e32 vcc_lo, 1, v14
	v_add_nc_u32_e32 v7, v19, v7
	v_mov_b32_dpp v19, v7 row_shr:2 row_mask:0xf bank_mask:0xf
	v_cndmask_b32_e32 v19, 0, v19, vcc_lo
	v_cmp_lt_u32_e32 vcc_lo, 3, v14
	v_add_nc_u32_e32 v7, v7, v19
	v_mov_b32_dpp v19, v7 row_shr:4 row_mask:0xf bank_mask:0xf
	v_cndmask_b32_e32 v19, 0, v19, vcc_lo
	v_cmp_lt_u32_e32 vcc_lo, 7, v14
	v_add_nc_u32_e32 v7, v7, v19
	v_mov_b32_dpp v19, v7 row_shr:8 row_mask:0xf bank_mask:0xf
	v_cndmask_b32_e32 v19, 0, v19, vcc_lo
	v_cmp_gt_i32_e32 vcc_lo, 0, v16
	v_add_nc_u32_e32 v7, v7, v19
	v_cndmask_b32_e32 v20, v16, v11, vcc_lo
	ds_swizzle_b32 v19, v7 offset:swizzle(BROADCAST,32,15)
	v_lshlrev_b32_e32 v20, 2, v20
	s_waitcnt lgkmcnt(0)
	v_and_b32_e32 v19, v15, v19
	v_add_nc_u32_e32 v7, v7, v19
	ds_bpermute_b32 v7, v20, v7
	s_waitcnt lgkmcnt(0)
	v_add_nc_u32_e32 v7, v7, v18
	v_cndmask_b32_e64 v7, v7, v2, s1
	ds_write_b32 v13, v7
	; wave barrier
	ds_read2_b32 v[18:19], v13 offset0:1 offset1:2
	ds_read2_b32 v[20:21], v13 offset0:3 offset1:4
	;; [unrolled: 1-line block ×3, first 2 shown]
	ds_read_b32 v24, v13 offset:28
	s_waitcnt lgkmcnt(3)
	v_add_nc_u32_e32 v7, v18, v7
	v_add_nc_u32_e32 v18, v19, v7
	s_waitcnt lgkmcnt(2)
	v_add_nc_u32_e32 v19, v20, v18
	v_add_nc_u32_e32 v20, v21, v19
	;; [unrolled: 3-line block ×3, first 2 shown]
	s_waitcnt lgkmcnt(0)
	v_add_nc_u32_e32 v23, v24, v22
	ds_write2_b32 v13, v7, v18 offset0:1 offset1:2
	ds_write2_b32 v13, v19, v20 offset0:3 offset1:4
	;; [unrolled: 1-line block ×3, first 2 shown]
	ds_write_b32 v13, v23 offset:28
.LBB137_39:                             ;   in Loop: Header=BB137_35 Depth=1
	s_or_b32 exec_lo, exec_lo, s19
	v_mov_b32_e32 v7, 0
	s_waitcnt lgkmcnt(0)
	s_barrier
	buffer_gl0_inv
	s_and_saveexec_b32 s19, s0
; %bb.40:                               ;   in Loop: Header=BB137_35 Depth=1
	ds_read_b32 v7, v0
; %bb.41:                               ;   in Loop: Header=BB137_35 Depth=1
	s_or_b32 exec_lo, exec_lo, s19
	ds_read_b32 v18, v5 offset:1048
	s_mov_b32 s19, exec_lo
	s_waitcnt lgkmcnt(0)
	s_barrier
	buffer_gl0_inv
	v_cmpx_ne_u32_e32 0, v2
	s_cbranch_execz .LBB137_43
; %bb.42:                               ;   in Loop: Header=BB137_35 Depth=1
	v_add_nc_u32_e32 v7, v7, v3
	v_mad_u64_u32 v[19:20], null, s4, v7, 0
	v_mad_u64_u32 v[21:22], null, s20, v7, s[14:15]
	v_mov_b32_e32 v2, v20
	v_mad_u64_u32 v[23:24], null, s5, v7, v[2:3]
	v_mov_b32_e32 v2, v22
	v_mov_b32_e32 v20, v23
	v_mad_u64_u32 v[22:23], null, s21, v7, v[2:3]
	v_lshlrev_b64 v[19:20], 3, v[19:20]
	v_add_co_u32 v19, vcc_lo, s7, v19
	v_add_co_ci_u32_e64 v20, null, s18, v20, vcc_lo
	global_store_byte v[21:22], v17, off
	global_store_dwordx2 v[19:20], v[4:5], off
.LBB137_43:                             ;   in Loop: Header=BB137_35 Depth=1
	s_or_b32 exec_lo, exec_lo, s19
	v_mov_b32_e32 v2, v5
	v_cmp_le_u64_e32 vcc_lo, s[10:11], v[1:2]
	s_cbranch_vccnz .LBB137_34
; %bb.44:                               ;   in Loop: Header=BB137_35 Depth=1
	ds_write_b32 v12, v6
	s_waitcnt lgkmcnt(0)
	s_waitcnt_vscnt null, 0x0
	s_barrier
	buffer_gl0_inv
	s_and_saveexec_b32 s19, s2
	s_cbranch_execz .LBB137_46
; %bb.45:                               ;   in Loop: Header=BB137_35 Depth=1
	ds_read2_b32 v[19:20], v13 offset1:1
	ds_read2_b32 v[21:22], v13 offset0:2 offset1:3
	ds_read2_b32 v[23:24], v13 offset0:4 offset1:5
	;; [unrolled: 1-line block ×3, first 2 shown]
	v_cmp_ne_u32_e32 vcc_lo, 0, v14
	; wave barrier
	s_waitcnt lgkmcnt(3)
	v_add_nc_u32_e32 v2, v20, v19
	s_waitcnt lgkmcnt(2)
	v_add3_u32 v2, v2, v21, v22
	s_waitcnt lgkmcnt(1)
	v_add3_u32 v2, v2, v23, v24
	;; [unrolled: 2-line block ×3, first 2 shown]
	v_mov_b32_dpp v7, v2 row_shr:1 row_mask:0xf bank_mask:0xf
	v_cndmask_b32_e32 v7, 0, v7, vcc_lo
	v_cmp_lt_u32_e32 vcc_lo, 1, v14
	v_add_nc_u32_e32 v2, v7, v2
	v_mov_b32_dpp v7, v2 row_shr:2 row_mask:0xf bank_mask:0xf
	v_cndmask_b32_e32 v7, 0, v7, vcc_lo
	v_cmp_lt_u32_e32 vcc_lo, 3, v14
	v_add_nc_u32_e32 v2, v2, v7
	;; [unrolled: 4-line block ×3, first 2 shown]
	v_mov_b32_dpp v7, v2 row_shr:8 row_mask:0xf bank_mask:0xf
	v_cndmask_b32_e32 v7, 0, v7, vcc_lo
	v_cmp_gt_i32_e32 vcc_lo, 0, v16
	v_add_nc_u32_e32 v2, v2, v7
	v_cndmask_b32_e32 v20, v16, v11, vcc_lo
	ds_swizzle_b32 v7, v2 offset:swizzle(BROADCAST,32,15)
	v_lshlrev_b32_e32 v20, 2, v20
	s_waitcnt lgkmcnt(0)
	v_and_b32_e32 v7, v15, v7
	v_add_nc_u32_e32 v2, v2, v7
	ds_bpermute_b32 v2, v20, v2
	s_waitcnt lgkmcnt(0)
	v_add_nc_u32_e32 v2, v2, v19
	v_cndmask_b32_e64 v2, v2, v6, s1
	ds_write_b32 v13, v2
	; wave barrier
	ds_read2_b32 v[19:20], v13 offset0:1 offset1:2
	ds_read2_b32 v[21:22], v13 offset0:3 offset1:4
	;; [unrolled: 1-line block ×3, first 2 shown]
	ds_read_b32 v7, v13 offset:28
	s_waitcnt lgkmcnt(3)
	v_add_nc_u32_e32 v2, v19, v2
	v_add_nc_u32_e32 v19, v20, v2
	s_waitcnt lgkmcnt(2)
	v_add_nc_u32_e32 v20, v21, v19
	v_add_nc_u32_e32 v21, v22, v20
	;; [unrolled: 3-line block ×3, first 2 shown]
	s_waitcnt lgkmcnt(0)
	v_add_nc_u32_e32 v7, v7, v23
	ds_write2_b32 v13, v2, v19 offset0:1 offset1:2
	ds_write2_b32 v13, v20, v21 offset0:3 offset1:4
	;; [unrolled: 1-line block ×3, first 2 shown]
	ds_write_b32 v13, v7 offset:28
.LBB137_46:                             ;   in Loop: Header=BB137_35 Depth=1
	s_or_b32 exec_lo, exec_lo, s19
	v_mov_b32_e32 v7, 0
	s_waitcnt lgkmcnt(0)
	s_barrier
	buffer_gl0_inv
	s_and_saveexec_b32 s19, s0
; %bb.47:                               ;   in Loop: Header=BB137_35 Depth=1
	ds_read_b32 v7, v0
; %bb.48:                               ;   in Loop: Header=BB137_35 Depth=1
	s_or_b32 exec_lo, exec_lo, s19
	ds_read_b32 v2, v5 offset:1048
	s_mov_b32 s19, exec_lo
	s_waitcnt lgkmcnt(0)
	s_barrier
	buffer_gl0_inv
	v_cmpx_ne_u32_e32 0, v6
	s_cbranch_execz .LBB137_33
; %bb.49:                               ;   in Loop: Header=BB137_35 Depth=1
	v_add_nc_u32_e32 v6, v7, v1
	v_mov_b32_e32 v7, v5
	v_cmp_gt_u64_e32 vcc_lo, s[10:11], v[6:7]
	s_and_b32 exec_lo, exec_lo, vcc_lo
	s_cbranch_execz .LBB137_33
; %bb.50:                               ;   in Loop: Header=BB137_35 Depth=1
	v_mad_u64_u32 v[19:20], null, s4, v6, 0
	v_mad_u64_u32 v[21:22], null, s20, v6, s[14:15]
	v_mov_b32_e32 v7, v20
	v_mad_u64_u32 v[23:24], null, s5, v6, v[7:8]
	v_mov_b32_e32 v7, v22
	;; [unrolled: 2-line block ×3, first 2 shown]
	v_lshlrev_b64 v[19:20], 3, v[19:20]
	v_mov_b32_e32 v22, v6
	v_add_co_u32 v6, vcc_lo, s7, v19
	v_add_co_ci_u32_e64 v7, null, s18, v20, vcc_lo
	global_store_byte v[21:22], v17, off
	global_store_dwordx2 v[6:7], v[4:5], off
	s_branch .LBB137_33
	.p2align	6
.LBB137_51:                             ;   in Loop: Header=BB137_52 Depth=1
	s_add_u32 s16, s16, 4
	s_addc_u32 s17, s17, 0
	s_waitcnt lgkmcnt(0)
	s_add_i32 s49, s3, s49
	s_add_u32 s18, s18, 4
	s_addc_u32 s19, s19, 0
	s_add_i32 s2, s2, 1
	s_cmp_lt_u32 s2, s7
	s_cbranch_scc0 .LBB137_30
.LBB137_52:                             ; =>This Inner Loop Header: Depth=1
	s_load_dword s3, s[16:17], 0x0
	s_cmp_ge_u32 s2, s72
	s_cbranch_scc1 .LBB137_51
; %bb.53:                               ;   in Loop: Header=BB137_52 Depth=1
	s_load_dword s22, s[18:19], 0x0
	s_waitcnt lgkmcnt(0)
	s_add_i32 s21, s3, s21
	s_add_i32 s20, s22, s20
	s_branch .LBB137_51
.LBB137_54:
	s_endpgm
	.section	.rodata,"a",@progbits
	.p2align	6, 0x0
	.amdhsa_kernel _ZN2at6native6mbtopk10gatherTopKIamLi3EEEvNS_4cuda6detail10TensorInfoIKT_T0_EES8_S8_bjS8_NS5_IS6_S8_EES8_NS5_IlS8_EES8_jjPS6_PjSD_j
		.amdhsa_group_segment_fixed_size 1068
		.amdhsa_private_segment_fixed_size 0
		.amdhsa_kernarg_size 1592
		.amdhsa_user_sgpr_count 6
		.amdhsa_user_sgpr_private_segment_buffer 1
		.amdhsa_user_sgpr_dispatch_ptr 0
		.amdhsa_user_sgpr_queue_ptr 0
		.amdhsa_user_sgpr_kernarg_segment_ptr 1
		.amdhsa_user_sgpr_dispatch_id 0
		.amdhsa_user_sgpr_flat_scratch_init 0
		.amdhsa_user_sgpr_private_segment_size 0
		.amdhsa_wavefront_size32 1
		.amdhsa_uses_dynamic_stack 0
		.amdhsa_system_sgpr_private_segment_wavefront_offset 0
		.amdhsa_system_sgpr_workgroup_id_x 1
		.amdhsa_system_sgpr_workgroup_id_y 1
		.amdhsa_system_sgpr_workgroup_id_z 1
		.amdhsa_system_sgpr_workgroup_info 0
		.amdhsa_system_vgpr_workitem_id 0
		.amdhsa_next_free_vgpr 27
		.amdhsa_next_free_sgpr 74
		.amdhsa_reserve_vcc 1
		.amdhsa_reserve_flat_scratch 0
		.amdhsa_float_round_mode_32 0
		.amdhsa_float_round_mode_16_64 0
		.amdhsa_float_denorm_mode_32 3
		.amdhsa_float_denorm_mode_16_64 3
		.amdhsa_dx10_clamp 1
		.amdhsa_ieee_mode 1
		.amdhsa_fp16_overflow 0
		.amdhsa_workgroup_processor_mode 1
		.amdhsa_memory_ordered 1
		.amdhsa_forward_progress 1
		.amdhsa_shared_vgpr_count 0
		.amdhsa_exception_fp_ieee_invalid_op 0
		.amdhsa_exception_fp_denorm_src 0
		.amdhsa_exception_fp_ieee_div_zero 0
		.amdhsa_exception_fp_ieee_overflow 0
		.amdhsa_exception_fp_ieee_underflow 0
		.amdhsa_exception_fp_ieee_inexact 0
		.amdhsa_exception_int_div_zero 0
	.end_amdhsa_kernel
	.section	.text._ZN2at6native6mbtopk10gatherTopKIamLi3EEEvNS_4cuda6detail10TensorInfoIKT_T0_EES8_S8_bjS8_NS5_IS6_S8_EES8_NS5_IlS8_EES8_jjPS6_PjSD_j,"axG",@progbits,_ZN2at6native6mbtopk10gatherTopKIamLi3EEEvNS_4cuda6detail10TensorInfoIKT_T0_EES8_S8_bjS8_NS5_IS6_S8_EES8_NS5_IlS8_EES8_jjPS6_PjSD_j,comdat
.Lfunc_end137:
	.size	_ZN2at6native6mbtopk10gatherTopKIamLi3EEEvNS_4cuda6detail10TensorInfoIKT_T0_EES8_S8_bjS8_NS5_IS6_S8_EES8_NS5_IlS8_EES8_jjPS6_PjSD_j, .Lfunc_end137-_ZN2at6native6mbtopk10gatherTopKIamLi3EEEvNS_4cuda6detail10TensorInfoIKT_T0_EES8_S8_bjS8_NS5_IS6_S8_EES8_NS5_IlS8_EES8_jjPS6_PjSD_j
                                        ; -- End function
	.set _ZN2at6native6mbtopk10gatherTopKIamLi3EEEvNS_4cuda6detail10TensorInfoIKT_T0_EES8_S8_bjS8_NS5_IS6_S8_EES8_NS5_IlS8_EES8_jjPS6_PjSD_j.num_vgpr, 27
	.set _ZN2at6native6mbtopk10gatherTopKIamLi3EEEvNS_4cuda6detail10TensorInfoIKT_T0_EES8_S8_bjS8_NS5_IS6_S8_EES8_NS5_IlS8_EES8_jjPS6_PjSD_j.num_agpr, 0
	.set _ZN2at6native6mbtopk10gatherTopKIamLi3EEEvNS_4cuda6detail10TensorInfoIKT_T0_EES8_S8_bjS8_NS5_IS6_S8_EES8_NS5_IlS8_EES8_jjPS6_PjSD_j.numbered_sgpr, 74
	.set _ZN2at6native6mbtopk10gatherTopKIamLi3EEEvNS_4cuda6detail10TensorInfoIKT_T0_EES8_S8_bjS8_NS5_IS6_S8_EES8_NS5_IlS8_EES8_jjPS6_PjSD_j.num_named_barrier, 0
	.set _ZN2at6native6mbtopk10gatherTopKIamLi3EEEvNS_4cuda6detail10TensorInfoIKT_T0_EES8_S8_bjS8_NS5_IS6_S8_EES8_NS5_IlS8_EES8_jjPS6_PjSD_j.private_seg_size, 0
	.set _ZN2at6native6mbtopk10gatherTopKIamLi3EEEvNS_4cuda6detail10TensorInfoIKT_T0_EES8_S8_bjS8_NS5_IS6_S8_EES8_NS5_IlS8_EES8_jjPS6_PjSD_j.uses_vcc, 1
	.set _ZN2at6native6mbtopk10gatherTopKIamLi3EEEvNS_4cuda6detail10TensorInfoIKT_T0_EES8_S8_bjS8_NS5_IS6_S8_EES8_NS5_IlS8_EES8_jjPS6_PjSD_j.uses_flat_scratch, 0
	.set _ZN2at6native6mbtopk10gatherTopKIamLi3EEEvNS_4cuda6detail10TensorInfoIKT_T0_EES8_S8_bjS8_NS5_IS6_S8_EES8_NS5_IlS8_EES8_jjPS6_PjSD_j.has_dyn_sized_stack, 0
	.set _ZN2at6native6mbtopk10gatherTopKIamLi3EEEvNS_4cuda6detail10TensorInfoIKT_T0_EES8_S8_bjS8_NS5_IS6_S8_EES8_NS5_IlS8_EES8_jjPS6_PjSD_j.has_recursion, 0
	.set _ZN2at6native6mbtopk10gatherTopKIamLi3EEEvNS_4cuda6detail10TensorInfoIKT_T0_EES8_S8_bjS8_NS5_IS6_S8_EES8_NS5_IlS8_EES8_jjPS6_PjSD_j.has_indirect_call, 0
	.section	.AMDGPU.csdata,"",@progbits
; Kernel info:
; codeLenInByte = 3408
; TotalNumSgprs: 76
; NumVgprs: 27
; ScratchSize: 0
; MemoryBound: 0
; FloatMode: 240
; IeeeMode: 1
; LDSByteSize: 1068 bytes/workgroup (compile time only)
; SGPRBlocks: 0
; VGPRBlocks: 3
; NumSGPRsForWavesPerEU: 76
; NumVGPRsForWavesPerEU: 27
; Occupancy: 16
; WaveLimiterHint : 1
; COMPUTE_PGM_RSRC2:SCRATCH_EN: 0
; COMPUTE_PGM_RSRC2:USER_SGPR: 6
; COMPUTE_PGM_RSRC2:TRAP_HANDLER: 0
; COMPUTE_PGM_RSRC2:TGID_X_EN: 1
; COMPUTE_PGM_RSRC2:TGID_Y_EN: 1
; COMPUTE_PGM_RSRC2:TGID_Z_EN: 1
; COMPUTE_PGM_RSRC2:TIDIG_COMP_CNT: 0
	.section	.text._ZN2at6native6sbtopk10gatherTopKIamLi3ELb0EEEvNS_4cuda6detail10TensorInfoIKT_T0_EES8_S8_bS8_S8_NS5_IS6_S8_EES8_NS5_IlS8_EES8_PS6_,"axG",@progbits,_ZN2at6native6sbtopk10gatherTopKIamLi3ELb0EEEvNS_4cuda6detail10TensorInfoIKT_T0_EES8_S8_bS8_S8_NS5_IS6_S8_EES8_NS5_IlS8_EES8_PS6_,comdat
	.protected	_ZN2at6native6sbtopk10gatherTopKIamLi3ELb0EEEvNS_4cuda6detail10TensorInfoIKT_T0_EES8_S8_bS8_S8_NS5_IS6_S8_EES8_NS5_IlS8_EES8_PS6_ ; -- Begin function _ZN2at6native6sbtopk10gatherTopKIamLi3ELb0EEEvNS_4cuda6detail10TensorInfoIKT_T0_EES8_S8_bS8_S8_NS5_IS6_S8_EES8_NS5_IlS8_EES8_PS6_
	.globl	_ZN2at6native6sbtopk10gatherTopKIamLi3ELb0EEEvNS_4cuda6detail10TensorInfoIKT_T0_EES8_S8_bS8_S8_NS5_IS6_S8_EES8_NS5_IlS8_EES8_PS6_
	.p2align	8
	.type	_ZN2at6native6sbtopk10gatherTopKIamLi3ELb0EEEvNS_4cuda6detail10TensorInfoIKT_T0_EES8_S8_bS8_S8_NS5_IS6_S8_EES8_NS5_IlS8_EES8_PS6_,@function
_ZN2at6native6sbtopk10gatherTopKIamLi3ELb0EEEvNS_4cuda6detail10TensorInfoIKT_T0_EES8_S8_bS8_S8_NS5_IS6_S8_EES8_NS5_IlS8_EES8_PS6_: ; @_ZN2at6native6sbtopk10gatherTopKIamLi3ELb0EEEvNS_4cuda6detail10TensorInfoIKT_T0_EES8_S8_bS8_S8_NS5_IS6_S8_EES8_NS5_IlS8_EES8_PS6_
; %bb.0:
	s_clause 0x1
	s_load_dwordx2 s[18:19], s[4:5], 0x520
	s_load_dwordx4 s[28:31], s[4:5], 0x1b8
	s_add_u32 s16, s4, 0x520
	s_addc_u32 s17, s5, 0
	s_mov_b32 s35, 0
	s_waitcnt lgkmcnt(0)
	s_mul_i32 s0, s19, s8
	s_add_i32 s0, s0, s7
	s_mul_i32 s0, s0, s18
	s_add_i32 s34, s0, s6
	v_cmp_le_u64_e64 s0, s[28:29], s[34:35]
	s_and_b32 vcc_lo, exec_lo, s0
	s_cbranch_vccnz .LBB138_484
; %bb.1:
	s_load_dwordx4 s[8:11], s[4:5], 0x10
	s_mov_b64 s[0:1], 0
	s_mov_b64 s[20:21], 0
	s_waitcnt lgkmcnt(0)
	v_cmp_lt_u64_e64 s2, s[34:35], s[10:11]
	s_and_b32 vcc_lo, exec_lo, s2
	s_cbranch_vccnz .LBB138_3
; %bb.2:
	v_cvt_f32_u32_e32 v1, s10
	s_sub_i32 s2, 0, s10
	s_mov_b32 s21, 0
	v_rcp_iflag_f32_e32 v1, v1
	v_mul_f32_e32 v1, 0x4f7ffffe, v1
	v_cvt_u32_f32_e32 v1, v1
	v_readfirstlane_b32 s1, v1
	s_mul_i32 s2, s2, s1
	s_mul_hi_u32 s2, s1, s2
	s_add_i32 s1, s1, s2
	s_mul_hi_u32 s1, s34, s1
	s_mul_i32 s2, s1, s10
	s_add_i32 s3, s1, 1
	s_sub_i32 s2, s34, s2
	s_sub_i32 s7, s2, s10
	s_cmp_ge_u32 s2, s10
	s_cselect_b32 s1, s3, s1
	s_cselect_b32 s2, s7, s2
	s_add_i32 s3, s1, 1
	s_cmp_ge_u32 s2, s10
	s_cselect_b32 s20, s3, s1
.LBB138_3:
	s_load_dwordx4 s[12:15], s[4:5], 0x1d8
	v_cmp_lt_u64_e64 s1, s[20:21], s[8:9]
	s_and_b32 vcc_lo, exec_lo, s1
	s_cbranch_vccnz .LBB138_5
; %bb.4:
	v_cvt_f32_u32_e32 v1, s8
	s_sub_i32 s1, 0, s8
	v_rcp_iflag_f32_e32 v1, v1
	v_mul_f32_e32 v1, 0x4f7ffffe, v1
	v_cvt_u32_f32_e32 v1, v1
	v_readfirstlane_b32 s0, v1
	s_mul_i32 s1, s1, s0
	s_mul_hi_u32 s1, s0, s1
	s_add_i32 s0, s0, s1
	s_mul_hi_u32 s0, s20, s0
	s_mul_i32 s1, s0, s8
	s_add_i32 s2, s0, 1
	s_sub_i32 s1, s20, s1
	s_sub_i32 s3, s1, s8
	s_cmp_ge_u32 s1, s8
	s_cselect_b32 s0, s2, s0
	s_cselect_b32 s1, s3, s1
	s_add_i32 s2, s0, 1
	s_cmp_ge_u32 s1, s8
	s_cselect_b32 s0, s2, s0
.LBB138_5:
	s_waitcnt lgkmcnt(0)
	v_cmp_lt_u64_e64 s1, s[34:35], s[14:15]
	s_mov_b64 s[22:23], 0
	s_mov_b64 s[58:59], 0
	s_and_b32 vcc_lo, exec_lo, s1
	s_cbranch_vccnz .LBB138_7
; %bb.6:
	v_cvt_f32_u32_e32 v1, s14
	s_sub_i32 s2, 0, s14
	s_mov_b32 s59, 0
	v_rcp_iflag_f32_e32 v1, v1
	v_mul_f32_e32 v1, 0x4f7ffffe, v1
	v_cvt_u32_f32_e32 v1, v1
	v_readfirstlane_b32 s1, v1
	s_mul_i32 s2, s2, s1
	s_mul_hi_u32 s2, s1, s2
	s_add_i32 s1, s1, s2
	s_mul_hi_u32 s1, s34, s1
	s_mul_i32 s2, s1, s14
	s_add_i32 s3, s1, 1
	s_sub_i32 s2, s34, s2
	s_sub_i32 s7, s2, s14
	s_cmp_ge_u32 s2, s14
	s_cselect_b32 s1, s3, s1
	s_cselect_b32 s2, s7, s2
	s_add_i32 s3, s1, 1
	s_cmp_ge_u32 s2, s14
	s_cselect_b32 s58, s3, s1
.LBB138_7:
	s_load_dwordx4 s[44:47], s[4:5], 0x380
	v_cmp_lt_u64_e64 s1, s[58:59], s[12:13]
	s_and_b32 vcc_lo, exec_lo, s1
	s_cbranch_vccnz .LBB138_9
; %bb.8:
	v_cvt_f32_u32_e32 v1, s12
	s_sub_i32 s2, 0, s12
	v_rcp_iflag_f32_e32 v1, v1
	v_mul_f32_e32 v1, 0x4f7ffffe, v1
	v_cvt_u32_f32_e32 v1, v1
	v_readfirstlane_b32 s1, v1
	s_mul_i32 s2, s2, s1
	s_mul_hi_u32 s2, s1, s2
	s_add_i32 s1, s1, s2
	s_mul_hi_u32 s1, s58, s1
	s_mul_i32 s2, s1, s12
	s_add_i32 s3, s1, 1
	s_sub_i32 s2, s58, s2
	s_sub_i32 s7, s2, s12
	s_cmp_ge_u32 s2, s12
	s_cselect_b32 s1, s3, s1
	s_cselect_b32 s2, s7, s2
	s_add_i32 s3, s1, 1
	s_cmp_ge_u32 s2, s12
	s_cselect_b32 s22, s3, s1
.LBB138_9:
                                        ; implicit-def: $vgpr50 : SGPR spill to VGPR lane
	s_waitcnt lgkmcnt(0)
	v_cmp_lt_u64_e64 s1, s[34:35], s[46:47]
	v_writelane_b32 v50, s22, 0
	s_mov_b64 s[26:27], 0
	s_mov_b64 s[64:65], 0
	v_writelane_b32 v50, s23, 1
	s_clause 0x1
	s_load_dwordx2 s[22:23], s[4:5], 0xe0
	s_load_dwordx4 s[12:15], s[4:5], 0xd0
	s_and_b32 vcc_lo, exec_lo, s1
	s_cbranch_vccnz .LBB138_11
; %bb.10:
	v_cvt_f32_u32_e32 v1, s46
	s_sub_i32 s2, 0, s46
	s_mov_b32 s65, 0
	v_rcp_iflag_f32_e32 v1, v1
	v_mul_f32_e32 v1, 0x4f7ffffe, v1
	v_cvt_u32_f32_e32 v1, v1
	v_readfirstlane_b32 s1, v1
	s_mul_i32 s2, s2, s1
	s_mul_hi_u32 s2, s1, s2
	s_add_i32 s1, s1, s2
	s_mul_hi_u32 s1, s34, s1
	s_mul_i32 s2, s1, s46
	s_add_i32 s3, s1, 1
	s_sub_i32 s2, s34, s2
	s_sub_i32 s7, s2, s46
	s_cmp_ge_u32 s2, s46
	s_cselect_b32 s1, s3, s1
	s_cselect_b32 s2, s7, s2
	s_add_i32 s3, s1, 1
	s_cmp_ge_u32 s2, s46
	s_cselect_b32 s64, s3, s1
.LBB138_11:
	s_load_dwordx2 s[24:25], s[4:5], 0x0
	v_cmp_lt_u64_e64 s1, s[64:65], s[44:45]
	s_and_b32 vcc_lo, exec_lo, s1
	s_cbranch_vccnz .LBB138_13
; %bb.12:
	v_cvt_f32_u32_e32 v1, s44
	s_sub_i32 s2, 0, s44
	v_rcp_iflag_f32_e32 v1, v1
	v_mul_f32_e32 v1, 0x4f7ffffe, v1
	v_cvt_u32_f32_e32 v1, v1
	v_readfirstlane_b32 s1, v1
	s_mul_i32 s2, s2, s1
	s_mul_hi_u32 s2, s1, s2
	s_add_i32 s1, s1, s2
	s_mul_hi_u32 s1, s64, s1
	s_mul_i32 s2, s1, s44
	s_add_i32 s3, s1, 1
	s_sub_i32 s2, s64, s2
	s_sub_i32 s7, s2, s44
	s_cmp_ge_u32 s2, s44
	s_cselect_b32 s1, s3, s1
	s_cselect_b32 s2, s7, s2
	s_add_i32 s3, s1, 1
	s_cmp_ge_u32 s2, s44
	s_cselect_b32 s26, s3, s1
.LBB138_13:
	s_clause 0x1
	s_load_dwordx2 s[2:3], s[4:5], 0x370
	s_load_dwordx4 s[36:39], s[4:5], 0x1a0
	v_writelane_b32 v50, s26, 2
	s_mov_b32 s73, 0
	v_writelane_b32 v50, s27, 3
	s_waitcnt lgkmcnt(0)
	v_writelane_b32 v50, s2, 4
	v_writelane_b32 v50, s3, 5
	v_cmp_eq_u32_e64 s3, 0, v0
	s_and_saveexec_b32 s1, s3
	s_cbranch_execz .LBB138_15
; %bb.14:
	v_mov_b32_e32 v1, 0
	v_mov_b32_e32 v3, s36
	;; [unrolled: 1-line block ×4, first 2 shown]
	ds_write_b32 v1, v1 offset:5144
	ds_write_b128 v1, v[1:4] offset:5120
.LBB138_15:
	s_or_b32 exec_lo, exec_lo, s1
	s_mul_i32 s1, s0, s9
	s_mul_hi_u32 s2, s0, s8
	s_mul_i32 s7, s0, s8
	s_add_i32 s2, s2, s1
	s_sub_u32 s1, s20, s7
	s_subb_u32 s2, s21, s2
	s_mul_i32 s7, s1, s15
	s_mul_hi_u32 s8, s1, s14
	s_mul_i32 s2, s2, s14
	s_add_i32 s7, s8, s7
	s_mul_i32 s8, s0, s13
	s_mul_hi_u32 s9, s0, s12
	s_add_i32 s7, s7, s2
	s_add_i32 s9, s9, s8
	s_mul_i32 s2, s20, s11
	s_mul_hi_u32 s8, s20, s10
	s_mul_i32 s10, s20, s10
	s_add_i32 s8, s8, s2
	s_sub_u32 s2, s34, s10
	s_subb_u32 s8, 0, s8
	s_mul_i32 s10, s2, s23
	s_mul_hi_u32 s13, s2, s22
	s_mul_i32 s8, s8, s22
	s_add_i32 s10, s13, s10
	s_mul_i32 s0, s0, s12
	s_add_i32 s10, s10, s8
	s_mul_i32 s1, s1, s14
	s_add_u32 s0, s24, s0
	s_addc_u32 s8, s25, s9
	s_mul_i32 s2, s2, s22
	s_add_u32 s0, s0, s1
	s_addc_u32 s1, s8, s7
	s_add_u32 s28, s0, s2
	s_addc_u32 s29, s1, s10
	s_load_dword s11, s[4:5], 0x1b0
	v_mad_u64_u32 v[12:13], null, s30, v0, s[28:29]
	s_waitcnt lgkmcnt(0)
	s_barrier
	buffer_gl0_inv
	s_load_dword s2, s[16:17], 0xc
	v_mbcnt_lo_u32_b32 v24, -1, 0
	v_cmp_gt_u32_e32 vcc_lo, 32, v0
	v_mov_b32_e32 v1, v13
	v_mov_b32_e32 v3, 0
	v_cmp_lt_u64_e64 s63, 0xc00, s[36:37]
	v_cmp_gt_i32_e64 s1, 4, v24
	v_mov_b32_e32 v19, s38
	v_mad_u64_u32 v[4:5], null, s31, v0, v[1:2]
	v_add_nc_u32_e32 v2, 2, v0
	v_mov_b32_e32 v1, v3
	v_lshlrev_b32_e32 v14, 2, v0
	v_mov_b32_e32 v15, v3
	s_bitcmp1_b32 s11, 0
	v_cmp_gt_u32_e64 s10, 2, v0
	s_cselect_b32 s0, -1, 0
	s_and_b32 s57, vcc_lo, s1
	v_mov_b32_e32 v13, v4
	v_lshlrev_b64 v[4:5], v24, -1
	v_cmp_gt_u64_e32 vcc_lo, s[36:37], v[2:3]
	s_waitcnt lgkmcnt(0)
	s_and_b32 s33, s2, 0xffff
	s_xor_b32 s35, s0, -1
	s_bfe_u32 s7, s33, 0x80008
	s_bfe_u32 s2, s2, 0xb0005
	v_not_b32_e32 v23, v4
	v_cndmask_b32_e64 v2, v2, s36, vcc_lo
	v_not_b32_e32 v4, v0
	s_lshl_b32 s92, s7, 3
	v_cndmask_b32_e64 v5, 0, s37, vcc_lo
	s_cmp_gt_u32 s33, 31
	v_writelane_b32 v50, s0, 6
	s_cselect_b32 s93, -1, 0
	s_add_u32 s94, s33, -1
	v_add_co_u32 v4, vcc_lo, v2, v4
	s_addc_u32 s95, 0, -1
	s_add_u32 s96, s94, s36
	v_add_co_ci_u32_e64 v5, null, -1, v5, vcc_lo
	s_addc_u32 s75, s95, s37
	s_cmp_lt_u32 s6, s18
	s_movk_i32 s6, 0x3e0
	s_cselect_b32 s7, 12, 18
	v_and_or_b32 v25, v0, s6, 0xc00
	v_cmp_lt_u64_e64 s6, 3, v[4:5]
	s_add_u32 s76, s16, s7
	v_and_b32_e32 v16, -4, v4
	v_mov_b32_e32 v17, v5
	s_addc_u32 s77, s17, 0
	s_add_i32 s2, s2, -1
	s_bfe_u32 vcc_hi, s33, 0x30005
	s_and_b32 s2, s2, 0xffff
	v_cmp_gt_u64_e64 s1, s[36:37], v[0:1]
	v_writelane_b32 v50, s6, 7
	v_cmp_ne_u64_e64 s6, v[4:5], v[16:17]
	s_cmp_gt_u32 s2, 6
	v_cmp_eq_u32_e64 s0, 0, v24
	v_add_co_u32 v18, vcc_lo, v16, v0
	v_lshl_or_b32 v27, v24, 3, 0xc00
	v_mov_b32_e32 v20, s39
	v_mov_b32_e32 v28, 0x80
	;; [unrolled: 1-line block ×6, first 2 shown]
	s_cselect_b32 s68, -1, 0
	s_cmp_lg_u32 vcc_hi, 0
	s_mov_b32 s97, s30
	s_mov_b32 s98, s31
	;; [unrolled: 1-line block ×7, first 2 shown]
	s_cselect_b32 s53, -1, 0
	s_mov_b32 s52, 0
	s_mov_b32 s55, 0
	v_add_co_ci_u32_e64 v2, null, 0, v5, vcc_lo
	v_writelane_b32 v50, s6, 8
                                        ; implicit-def: $sgpr54
                                        ; implicit-def: $sgpr60
                                        ; implicit-def: $sgpr67
                                        ; implicit-def: $sgpr61
                                        ; implicit-def: $sgpr66
                                        ; implicit-def: $sgpr51
                                        ; implicit-def: $sgpr8
                                        ; implicit-def: $sgpr48
                                        ; implicit-def: $sgpr50
                                        ; implicit-def: $sgpr49
	s_branch .LBB138_18
.LBB138_16:                             ;   in Loop: Header=BB138_18 Depth=1
	s_or_b32 exec_lo, exec_lo, s2
	v_mov_b32_e32 v20, v5
	v_mov_b32_e32 v19, v4
	s_andn2_b32 s2, s49, exec_lo
	s_and_b32 s7, s11, exec_lo
	s_andn2_b32 s50, s50, exec_lo
	s_or_b32 s49, s2, s7
	s_andn2_b32 s48, s48, exec_lo
	s_andn2_b32 s8, s8, exec_lo
	;; [unrolled: 1-line block ×3, first 2 shown]
	s_orn2_b32 s11, s9, exec_lo
.LBB138_17:                             ;   in Loop: Header=BB138_18 Depth=1
	s_or_b32 exec_lo, exec_lo, s6
	s_and_b32 s2, exec_lo, s11
	s_or_b32 s52, s2, s52
	s_andn2_b32 s2, s66, exec_lo
	s_and_b32 s6, s49, exec_lo
	s_andn2_b32 s7, s61, exec_lo
	s_or_b32 s66, s2, s6
	s_and_b32 s2, s50, exec_lo
	s_andn2_b32 s6, s67, exec_lo
	s_and_b32 s9, s48, exec_lo
	s_or_b32 s61, s7, s2
	s_or_b32 s67, s6, s9
	s_andn2_b32 s2, s60, exec_lo
	s_and_b32 s6, s8, exec_lo
	s_andn2_b32 s7, s54, exec_lo
	s_and_b32 s9, s51, exec_lo
	s_or_b32 s60, s2, s6
	s_or_b32 s54, s7, s9
	s_andn2_b32 exec_lo, exec_lo, s52
	s_cbranch_execz .LBB138_480
.LBB138_18:                             ; =>This Loop Header: Depth=1
                                        ;     Child Loop BB138_23 Depth 2
                                        ;     Child Loop BB138_37 Depth 2
	;; [unrolled: 1-line block ×25, first 2 shown]
	ds_read_b128 v[4:7], v3 offset:5120
	s_waitcnt lgkmcnt(0)
	v_readfirstlane_b32 s79, v5
	v_readfirstlane_b32 s78, v4
	s_cmp_lg_u64 s[78:79], 0
	s_cbranch_scc1 .LBB138_50
; %bb.19:                               ;   in Loop: Header=BB138_18 Depth=1
	s_and_b32 vcc_lo, exec_lo, s63
	s_cbranch_vccz .LBB138_31
; %bb.20:                               ;   in Loop: Header=BB138_18 Depth=1
	v_cmp_gt_u64_e32 vcc_lo, 0xc01, v[6:7]
	s_mov_b32 s11, 0
	s_mov_b32 s6, 0
	s_cbranch_vccz .LBB138_32
; %bb.21:                               ;   in Loop: Header=BB138_18 Depth=1
	global_load_ushort v2, v3, s[76:77]
	global_load_ubyte v6, v[12:13], off
	v_mov_b32_e32 v5, v1
	v_mov_b32_e32 v4, v0
	s_mov_b32 s12, 0
	s_waitcnt vmcnt(1)
	v_and_b32_e32 v2, 0xffff, v2
	s_branch .LBB138_23
.LBB138_22:                             ;   in Loop: Header=BB138_23 Depth=2
	s_or_b32 exec_lo, exec_lo, s2
	v_mov_b32_e32 v6, v7
	s_andn2_b32 exec_lo, exec_lo, s12
	s_cbranch_execz .LBB138_104
.LBB138_23:                             ;   Parent Loop BB138_18 Depth=1
                                        ; =>  This Inner Loop Header: Depth=2
	v_add_co_u32 v4, vcc_lo, v4, v2
	v_add_co_ci_u32_e64 v5, null, 0, v5, vcc_lo
	s_waitcnt lgkmcnt(0)
	v_mov_b32_e32 v8, 0
	v_mov_b32_e32 v7, 0
	s_mov_b32 s2, exec_lo
	v_cmp_le_u64_e32 vcc_lo, s[36:37], v[4:5]
	v_cmpx_gt_u64_e64 s[36:37], v[4:5]
	s_cbranch_execz .LBB138_25
; %bb.24:                               ;   in Loop: Header=BB138_23 Depth=2
	v_mad_u64_u32 v[9:10], null, v4, s30, s[28:29]
	v_mul_lo_u32 v7, v4, s31
	v_mul_lo_u32 v11, v5, s30
	v_add3_u32 v10, v11, v10, v7
	global_load_ubyte v7, v[9:10], off
.LBB138_25:                             ;   in Loop: Header=BB138_23 Depth=2
	s_or_b32 exec_lo, exec_lo, s2
	s_waitcnt vmcnt(0)
	v_add_nc_u32_sdwa v9, sext(v6), v28 dst_sel:DWORD dst_unused:UNUSED_PAD src0_sel:BYTE_0 src1_sel:DWORD
	v_and_b32_e32 v9, v9, v30
	v_cmp_eq_u32_e64 s6, v9, v26
	s_cmp_lg_u32 s6, 0
	s_cselect_b32 s2, -1, 0
	s_and_b32 s2, s0, s2
	s_and_saveexec_b32 s13, s2
	s_cbranch_execz .LBB138_29
; %bb.26:                               ;   in Loop: Header=BB138_23 Depth=2
	s_mov_b32 s14, exec_lo
	s_bcnt1_i32_b32 s2, s6
	v_mbcnt_lo_u32_b32 v8, s14, 0
	s_mov_b32 s7, exec_lo
                                        ; implicit-def: $vgpr9
	v_cmpx_eq_u32_e32 0, v8
; %bb.27:                               ;   in Loop: Header=BB138_23 Depth=2
	s_bcnt1_i32_b32 s9, s14
	s_mul_i32 s9, s2, s9
	v_mov_b32_e32 v9, s9
	ds_add_rtn_u32 v9, v3, v9 offset:5144
; %bb.28:                               ;   in Loop: Header=BB138_23 Depth=2
	s_or_b32 exec_lo, exec_lo, s7
	s_waitcnt lgkmcnt(0)
	v_readfirstlane_b32 s7, v9
	v_mad_u32_u24 v8, s2, v8, s7
.LBB138_29:                             ;   in Loop: Header=BB138_23 Depth=2
	s_or_b32 exec_lo, exec_lo, s13
	ds_bpermute_b32 v8, v3, v8
	s_and_b32 s2, exec_lo, vcc_lo
	s_or_b32 s12, s2, s12
	s_and_saveexec_b32 s2, s6
	s_cbranch_execz .LBB138_22
; %bb.30:                               ;   in Loop: Header=BB138_23 Depth=2
	v_and_b32_e32 v9, s6, v23
	s_waitcnt lgkmcnt(0)
	v_bcnt_u32_b32 v8, v9, v8
	ds_write_b8 v8, v6
	s_branch .LBB138_22
.LBB138_31:                             ;   in Loop: Header=BB138_18 Depth=1
	s_mov_b32 s11, -1
	s_mov_b32 s6, 0
.LBB138_32:                             ;   in Loop: Header=BB138_18 Depth=1
	s_and_b32 vcc_lo, exec_lo, s11
	s_cbranch_vccz .LBB138_48
.LBB138_33:                             ;   in Loop: Header=BB138_18 Depth=1
	s_and_saveexec_b32 s11, s1
	s_cbranch_execz .LBB138_45
; %bb.34:                               ;   in Loop: Header=BB138_18 Depth=1
	global_load_ushort v4, v3, s[76:77]
	global_load_ubyte v32, v[12:13], off
	v_mov_b32_e32 v6, v0
	s_mov_b32 s12, exec_lo
	s_waitcnt vmcnt(1)
	v_add_nc_u32_sdwa v2, v4, v0 dst_sel:DWORD dst_unused:UNUSED_PAD src0_sel:WORD_0 src1_sel:DWORD
	v_readfirstlane_b32 s2, v4
	v_cmpx_gt_u64_e64 s[36:37], v[2:3]
	s_cbranch_execz .LBB138_44
; %bb.35:                               ;   in Loop: Header=BB138_18 Depth=1
	s_and_b32 s13, s2, 0xffff
	v_readlane_b32 s6, v50, 7
	v_mov_b32_e32 v9, v1
	s_cmp_eq_u32 s13, 1
	v_mov_b32_e32 v5, v3
	v_mov_b32_e32 v8, v0
	;; [unrolled: 1-line block ×3, first 2 shown]
	s_cselect_b32 s2, -1, 0
                                        ; implicit-def: $vgpr6_vgpr7
	s_and_b32 s2, s6, s2
	s_mov_b32 s6, -1
	s_and_saveexec_b32 s14, s2
	s_cbranch_execz .LBB138_39
; %bb.36:                               ;   in Loop: Header=BB138_18 Depth=1
	v_add_co_u32 v8, s2, v2, 3
	v_add_co_ci_u32_e64 v9, null, 0, 0, s2
	v_add_co_u32 v6, s2, v2, 2
	v_add_co_ci_u32_e64 v7, null, 0, 0, s2
	;; [unrolled: 2-line block ×3, first 2 shown]
	v_mov_b32_e32 v22, v17
	v_mov_b32_e32 v11, v9
	s_waitcnt vmcnt(0)
	v_lshlrev_b32_e32 v34, 24, v32
	v_mov_b32_e32 v21, v16
	v_mov_b32_e32 v33, v0
	v_mov_b32_e32 v10, v8
	v_mov_b32_e32 v9, v7
	v_mov_b32_e32 v8, v6
	v_mov_b32_e32 v7, v5
	v_mov_b32_e32 v6, v4
	v_mov_b32_e32 v5, v3
	v_mov_b32_e32 v4, v2
	s_mov_b32 s15, 0
.LBB138_37:                             ;   Parent Loop BB138_18 Depth=1
                                        ; =>  This Inner Loop Header: Depth=2
	v_mul_lo_u32 v44, v7, s30
	v_mul_lo_u32 v45, v6, s31
	v_mad_u64_u32 v[37:38], null, v6, s30, 0
	v_mul_lo_u32 v32, v9, s99
	v_mul_lo_u32 v43, v8, s104
	v_mad_u64_u32 v[35:36], null, v8, s99, 0
	v_mul_lo_u32 v46, v5, s97
	v_mul_lo_u32 v47, v4, s98
	v_mad_u64_u32 v[39:40], null, v4, s97, 0
	v_mad_u64_u32 v[41:42], null, v10, s70, s[28:29]
	v_mul_lo_u32 v48, v10, s71
	v_mul_lo_u32 v49, v11, s70
	v_add3_u32 v44, v38, v45, v44
	v_add3_u32 v32, v36, v43, v32
	;; [unrolled: 1-line block ×3, first 2 shown]
	v_add_co_u32 v43, s9, s28, v37
	v_add_co_u32 v38, s6, s28, v35
	v_add3_u32 v42, v49, v42, v48
	v_add_co_u32 v36, vcc_lo, s28, v39
	v_add_co_ci_u32_e64 v44, null, s29, v44, s9
	v_add_co_ci_u32_e64 v39, null, s29, v32, s6
	v_add_co_ci_u32_e64 v37, null, s29, v40, vcc_lo
	s_clause 0x3
	global_load_ubyte v32, v[41:42], off
	global_load_ubyte v35, v[43:44], off
	;; [unrolled: 1-line block ×4, first 2 shown]
	v_add_co_u32 v10, vcc_lo, v10, 4
	v_add_co_ci_u32_e64 v11, null, 0, v11, vcc_lo
	v_add_co_u32 v8, vcc_lo, v8, 4
	v_add_co_ci_u32_e64 v9, null, 0, v9, vcc_lo
	;; [unrolled: 2-line block ×3, first 2 shown]
	v_add_co_u32 v21, vcc_lo, v21, -4
	v_add_co_ci_u32_e64 v22, null, -1, v22, vcc_lo
	v_add_co_u32 v4, vcc_lo, v4, 4
	v_add_co_ci_u32_e64 v5, null, 0, v5, vcc_lo
	v_cmp_eq_u64_e64 s6, 0, v[21:22]
	s_or_b32 s15, s6, s15
	s_waitcnt vmcnt(0)
	v_perm_b32 v37, v36, v35, 0xc0c0004
	v_perm_b32 v35, v35, v38, 0xc0c0004
	;; [unrolled: 1-line block ×4, first 2 shown]
	v_lshl_or_b32 v34, v35, 16, v34
	v_lshl_or_b32 v35, v36, 16, v37
	ds_write_b32 v33, v34
	v_add_nc_u32_e32 v33, 4, v33
	v_mov_b32_e32 v34, v35
	s_andn2_b32 exec_lo, exec_lo, s15
	s_cbranch_execnz .LBB138_37
; %bb.38:                               ;   in Loop: Header=BB138_18 Depth=1
	s_or_b32 exec_lo, exec_lo, s15
	v_add_co_u32 v4, vcc_lo, v2, v16
	v_readlane_b32 s2, v50, 8
	v_add_co_ci_u32_e64 v5, null, 0, v17, vcc_lo
	v_add_co_u32 v6, vcc_lo, v4, -1
	v_mov_b32_e32 v8, v18
	s_orn2_b32 s6, s2, exec_lo
	v_add_co_ci_u32_e64 v2, null, -1, v5, vcc_lo
	v_mov_b32_e32 v9, v19
.LBB138_39:                             ;   in Loop: Header=BB138_18 Depth=1
	s_or_b32 exec_lo, exec_lo, s14
	s_and_saveexec_b32 s9, s6
	s_cbranch_execz .LBB138_43
; %bb.40:                               ;   in Loop: Header=BB138_18 Depth=1
	s_sub_u32 s14, 0, s13
	s_subb_u32 s16, 0, 0
	s_mov_b32 s15, 0
	.p2align	6
.LBB138_41:                             ;   Parent Loop BB138_18 Depth=1
                                        ; =>  This Inner Loop Header: Depth=2
	v_mov_b32_e32 v7, v5
	v_mov_b32_e32 v6, v4
	s_waitcnt vmcnt(0)
	ds_write_b8 v8, v32
	v_mul_lo_u32 v9, v7, s30
	v_mad_u64_u32 v[4:5], null, v6, s30, s[28:29]
	v_mul_lo_u32 v2, v6, s31
	v_add3_u32 v5, v9, v5, v2
	v_mov_b32_e32 v9, v7
	v_mov_b32_e32 v8, v6
	global_load_ubyte v2, v[4:5], off
	v_add_co_u32 v4, vcc_lo, v6, s13
	v_add_co_ci_u32_e64 v5, null, 0, v7, vcc_lo
	v_add_co_u32 v6, s6, s14, v4
	v_cmp_le_u64_e32 vcc_lo, s[36:37], v[4:5]
	v_add_co_ci_u32_e64 v7, null, s16, v5, s6
	s_or_b32 s15, vcc_lo, s15
	s_waitcnt vmcnt(0)
	v_mov_b32_e32 v32, v2
	s_andn2_b32 exec_lo, exec_lo, s15
	s_cbranch_execnz .LBB138_41
; %bb.42:                               ;   in Loop: Header=BB138_18 Depth=1
	s_or_b32 exec_lo, exec_lo, s15
	v_mov_b32_e32 v32, v2
.LBB138_43:                             ;   in Loop: Header=BB138_18 Depth=1
	s_or_b32 exec_lo, exec_lo, s9
.LBB138_44:                             ;   in Loop: Header=BB138_18 Depth=1
	s_or_b32 exec_lo, exec_lo, s12
	s_waitcnt vmcnt(0)
	ds_write_b8 v6, v32
.LBB138_45:                             ;   in Loop: Header=BB138_18 Depth=1
	s_or_b32 exec_lo, exec_lo, s11
	s_waitcnt lgkmcnt(0)
	s_barrier
	buffer_gl0_inv
	s_and_saveexec_b32 s2, s3
; %bb.46:                               ;   in Loop: Header=BB138_18 Depth=1
	v_mov_b32_e32 v4, s36
	v_mov_b32_e32 v5, s37
	ds_write_b64 v3, v[4:5] offset:5120
; %bb.47:                               ;   in Loop: Header=BB138_18 Depth=1
	s_or_b32 exec_lo, exec_lo, s2
	s_mov_b32 s6, -1
	s_waitcnt lgkmcnt(0)
	s_barrier
.LBB138_48:                             ;   in Loop: Header=BB138_18 Depth=1
	s_and_b32 vcc_lo, exec_lo, s6
	s_mov_b64 s[78:79], 0
	s_cbranch_vccz .LBB138_50
; %bb.49:                               ;   in Loop: Header=BB138_18 Depth=1
	buffer_gl0_inv
	ds_read_b64 v[4:5], v3 offset:5120
	s_waitcnt lgkmcnt(0)
	v_readfirstlane_b32 s78, v4
.LBB138_50:                             ;   in Loop: Header=BB138_18 Depth=1
	s_cmp_lt_i32 s78, 1
	s_mov_b32 s6, -1
                                        ; implicit-def: $vgpr10_vgpr11
                                        ; implicit-def: $vgpr6_vgpr7
	s_cbranch_scc1 .LBB138_60
; %bb.51:                               ;   in Loop: Header=BB138_18 Depth=1
	s_and_b32 vcc_lo, exec_lo, s6
	s_cbranch_vccnz .LBB138_74
.LBB138_52:                             ;   in Loop: Header=BB138_18 Depth=1
	s_lshl_b32 s6, s55, 7
	s_and_saveexec_b32 s2, s0
	s_cbranch_execz .LBB138_54
.LBB138_53:                             ;   in Loop: Header=BB138_18 Depth=1
	v_lshl_add_u32 v2, s6, 3, v25
	ds_write_b128 v2, v[4:7]
	ds_write_b128 v2, v[8:11] offset:16
.LBB138_54:                             ;   in Loop: Header=BB138_18 Depth=1
	s_or_b32 exec_lo, exec_lo, s2
	s_waitcnt lgkmcnt(0)
	s_barrier
	buffer_gl0_inv
	s_and_saveexec_b32 s9, s57
	s_cbranch_execz .LBB138_88
; %bb.55:                               ;   in Loop: Header=BB138_18 Depth=1
	v_mov_b32_e32 v4, 0
	v_mov_b32_e32 v5, 0
	s_andn2_b32 vcc_lo, exec_lo, s93
	s_cbranch_vccnz .LBB138_87
; %bb.56:                               ;   in Loop: Header=BB138_18 Depth=1
	v_mov_b32_e32 v4, 0
	v_mov_b32_e32 v5, 0
	s_andn2_b32 vcc_lo, exec_lo, s68
	s_cbranch_vccnz .LBB138_84
; %bb.57:                               ;   in Loop: Header=BB138_18 Depth=1
	v_lshl_add_u32 v2, s55, 10, v27
	s_mov_b32 s11, 0
	s_inst_prefetch 0x1
	.p2align	6
.LBB138_58:                             ;   Parent Loop BB138_18 Depth=1
                                        ; =>  This Inner Loop Header: Depth=2
	ds_read2_b64 v[6:9], v2 offset1:4
	ds_read2_b64 v[32:35], v2 offset0:8 offset1:12
	ds_read2_b64 v[36:39], v2 offset0:16 offset1:20
	s_add_i32 s11, s11, 8
	s_cmp_eq_u32 s92, s11
	s_waitcnt lgkmcnt(2)
	v_add_co_u32 v4, vcc_lo, v6, v4
	v_add_co_ci_u32_e64 v5, null, v7, v5, vcc_lo
	v_add_co_u32 v8, vcc_lo, v8, v4
	v_add_co_ci_u32_e64 v9, null, v9, v5, vcc_lo
	ds_read2_b64 v[4:7], v2 offset0:24 offset1:28
	s_waitcnt lgkmcnt(2)
	v_add_co_u32 v8, vcc_lo, v32, v8
	v_add_co_ci_u32_e64 v9, null, v33, v9, vcc_lo
	v_add_nc_u32_e32 v2, 0x100, v2
	v_add_co_u32 v8, vcc_lo, v34, v8
	v_add_co_ci_u32_e64 v9, null, v35, v9, vcc_lo
	s_waitcnt lgkmcnt(1)
	v_add_co_u32 v8, vcc_lo, v36, v8
	v_add_co_ci_u32_e64 v9, null, v37, v9, vcc_lo
	v_add_co_u32 v8, vcc_lo, v38, v8
	v_add_co_ci_u32_e64 v9, null, v39, v9, vcc_lo
	s_waitcnt lgkmcnt(0)
	v_add_co_u32 v4, vcc_lo, v4, v8
	v_add_co_ci_u32_e64 v5, null, v5, v9, vcc_lo
	v_add_co_u32 v4, vcc_lo, v6, v4
	v_add_co_ci_u32_e64 v5, null, v7, v5, vcc_lo
	s_cbranch_scc0 .LBB138_58
; %bb.59:                               ;   in Loop: Header=BB138_18 Depth=1
	s_inst_prefetch 0x2
	s_mov_b32 s11, s92
	s_andn2_b32 vcc_lo, exec_lo, s53
	s_cbranch_vccz .LBB138_85
	s_branch .LBB138_87
.LBB138_60:                             ;   in Loop: Header=BB138_18 Depth=1
	global_load_ushort v2, v3, s[76:77]
	s_mov_b32 s6, s73
	s_mov_b32 s7, s37
	s_waitcnt vmcnt(0)
	v_readfirstlane_b32 s2, v2
	s_and_b32 s2, 0xffff, s2
	s_lshl_b32 s74, s2, 2
	s_cmp_lg_u64 s[6:7], 0
	s_cbranch_scc0 .LBB138_83
; %bb.61:                               ;   in Loop: Header=BB138_18 Depth=1
	v_cvt_f32_u32_e32 v4, s74
	s_sub_u32 s7, 0, s74
	s_subb_u32 s9, 0, 0
	v_fmac_f32_e64 v4, 0x4f800000, 0
	v_rcp_f32_e32 v4, v4
	v_mul_f32_e32 v4, 0x5f7ffffc, v4
	v_mul_f32_e32 v5, 0x2f800000, v4
	v_trunc_f32_e32 v5, v5
	v_fmac_f32_e32 v4, 0xcf800000, v5
	v_cvt_u32_f32_e32 v5, v5
	v_cvt_u32_f32_e32 v4, v4
	v_readfirstlane_b32 s2, v5
	v_readfirstlane_b32 s6, v4
	s_mul_i32 s11, s7, s2
	s_mul_hi_u32 s13, s7, s6
	s_mul_i32 s12, s9, s6
	s_add_i32 s11, s13, s11
	s_mul_i32 s14, s7, s6
	s_add_i32 s11, s11, s12
	s_mul_hi_u32 s13, s6, s14
	s_mul_i32 s16, s6, s11
	s_mul_hi_u32 s15, s2, s14
	s_mul_i32 s12, s2, s14
	s_mul_hi_u32 s14, s6, s11
	s_add_u32 s13, s13, s16
	s_addc_u32 s14, 0, s14
	s_mul_hi_u32 s17, s2, s11
	s_add_u32 s12, s13, s12
	s_mul_i32 s11, s2, s11
	s_addc_u32 s12, s14, s15
	s_addc_u32 s13, s17, 0
	s_add_u32 s11, s12, s11
	s_addc_u32 s12, 0, s13
	s_add_u32 s6, s6, s11
	s_cselect_b32 s11, -1, 0
	s_mul_hi_u32 s13, s7, s6
	s_cmp_lg_u32 s11, 0
	s_mul_i32 s11, s7, s6
	s_addc_u32 s2, s2, s12
	s_mul_i32 s9, s9, s6
	s_mul_i32 s7, s7, s2
	s_mul_hi_u32 s12, s6, s11
	s_add_i32 s7, s13, s7
	s_mul_hi_u32 s13, s2, s11
	s_add_i32 s7, s7, s9
	s_mul_i32 s9, s2, s11
	s_mul_i32 s15, s6, s7
	s_mul_hi_u32 s14, s6, s7
	s_add_u32 s12, s12, s15
	s_addc_u32 s14, 0, s14
	s_mul_hi_u32 s11, s2, s7
	s_add_u32 s9, s12, s9
	s_mul_i32 s7, s2, s7
	s_addc_u32 s9, s14, s13
	s_addc_u32 s11, s11, 0
	s_add_u32 s7, s9, s7
	s_addc_u32 s9, 0, s11
	s_add_u32 s6, s6, s7
	s_cselect_b32 s7, -1, 0
	s_mul_hi_u32 s11, s36, s6
	s_cmp_lg_u32 s7, 0
	s_mul_hi_u32 s7, s37, s6
	s_addc_u32 s2, s2, s9
	s_mul_i32 s6, s37, s6
	s_mul_i32 s12, s36, s2
	s_mul_hi_u32 s9, s36, s2
	s_add_u32 s11, s11, s12
	s_addc_u32 s9, 0, s9
	s_mul_hi_u32 s13, s37, s2
	s_add_u32 s6, s11, s6
	s_mul_i32 s2, s37, s2
	s_addc_u32 s6, s9, s7
	s_addc_u32 s7, s13, 0
	s_add_u32 s2, s6, s2
	s_addc_u32 s6, 0, s7
	s_mul_hi_u32 s7, s74, s2
	s_mul_i32 s6, s74, s6
	s_mul_i32 s2, s74, s2
	s_add_i32 s7, s7, s6
	s_sub_u32 s2, s36, s2
	s_cselect_b32 s6, -1, 0
	s_cmp_lg_u32 s6, 0
	s_subb_u32 s6, s37, s7
	s_sub_u32 s7, s2, s74
	s_cselect_b32 s9, -1, 0
	s_cmp_lg_u32 s9, 0
	s_subb_u32 s9, s6, 0
	;; [unrolled: 4-line block ×3, first 2 shown]
	s_cmp_ge_u32 s7, s74
	s_cselect_b32 s13, -1, 0
	s_cmp_eq_u32 s9, 0
	s_cselect_b32 s13, s13, -1
	s_cmp_lg_u32 s13, 0
	s_cselect_b32 s9, s12, s9
	s_cselect_b32 s7, s11, s7
	s_cmp_ge_u32 s2, s74
	s_cselect_b32 s11, -1, 0
	s_cmp_eq_u32 s6, 0
	s_cselect_b32 s11, s11, -1
	s_cmp_lg_u32 s11, 0
	s_cselect_b32 s13, s9, s6
	s_cselect_b32 s12, s7, s2
	s_cbranch_execnz .LBB138_63
.LBB138_62:                             ;   in Loop: Header=BB138_18 Depth=1
	v_cvt_f32_u32_e32 v4, s74
	s_sub_i32 s6, 0, s74
	v_rcp_iflag_f32_e32 v4, v4
	v_mul_f32_e32 v4, 0x4f7ffffe, v4
	v_cvt_u32_f32_e32 v4, v4
	v_readfirstlane_b32 s2, v4
	s_mul_i32 s6, s6, s2
	s_mul_hi_u32 s6, s2, s6
	s_add_i32 s2, s2, s6
	s_mul_hi_u32 s2, s36, s2
	s_mul_i32 s2, s2, s74
	s_sub_i32 s2, s36, s2
	s_sub_i32 s6, s2, s74
	s_cmp_ge_u32 s2, s74
	s_cselect_b32 s2, s6, s2
	s_sub_i32 s6, s2, s74
	s_cmp_ge_u32 s2, s74
	s_cselect_b32 s72, s6, s2
	s_mov_b64 s[12:13], s[72:73]
.LBB138_63:                             ;   in Loop: Header=BB138_18 Depth=1
	v_mov_b32_e32 v4, 0
	v_mov_b32_e32 v6, 0
	;; [unrolled: 1-line block ×8, first 2 shown]
	s_sub_u32 s80, s36, s12
	s_subb_u32 s81, s37, s13
	s_mov_b32 s56, exec_lo
	v_cmpx_gt_u64_e64 s[80:81], v[14:15]
	s_cbranch_execz .LBB138_67
; %bb.64:                               ;   in Loop: Header=BB138_18 Depth=1
	v_mov_b32_e32 v22, v15
	v_mov_b32_e32 v21, v14
	s_mov_b64 s[82:83], 0
	s_mov_b32 s72, 0
	s_mov_b64 s[84:85], 0
	s_mov_b64 s[86:87], 0
	;; [unrolled: 1-line block ×3, first 2 shown]
.LBB138_65:                             ;   Parent Loop BB138_18 Depth=1
                                        ; =>  This Inner Loop Header: Depth=2
	v_mul_lo_u32 v6, v21, s31
	v_mul_lo_u32 v7, v22, s30
	v_mad_u64_u32 v[4:5], null, v21, s30, s[28:29]
	v_add_co_u32 v21, s24, v21, s74
	v_add_co_ci_u32_e64 v22, null, 0, v22, s24
	v_add3_u32 v5, v7, v5, v6
	v_add_co_u32 v6, vcc_lo, v4, s30
	v_cmp_le_u64_e64 s24, s[80:81], v[21:22]
	v_add_co_ci_u32_e64 v7, null, s31, v5, vcc_lo
	s_clause 0x1
	global_load_sbyte v8, v[4:5], off
	global_load_sbyte v9, v[6:7], off
	v_add_co_u32 v4, vcc_lo, v6, s30
	v_add_co_ci_u32_e64 v5, null, s31, v7, vcc_lo
	v_add_co_u32 v6, vcc_lo, v4, s30
	v_add_co_ci_u32_e64 v7, null, s31, v5, vcc_lo
	s_clause 0x1
	global_load_sbyte v4, v[4:5], off
	global_load_sbyte v5, v[6:7], off
	s_waitcnt vmcnt(3)
	v_add_nc_u32_e32 v6, 0x80, v8
	v_and_b32_e32 v7, v6, v30
	v_bfe_u32 v6, v6, s69, 2
	v_cmp_eq_u32_e32 vcc_lo, v7, v26
	v_cmp_eq_u32_e64 s6, 0, v6
	v_cmp_eq_u32_e64 s9, 1, v6
	;; [unrolled: 1-line block ×4, first 2 shown]
	s_waitcnt vmcnt(2)
	v_add_nc_u32_e32 v6, 0x80, v9
	s_waitcnt vmcnt(1)
	v_add_nc_u32_e32 v4, 0x80, v4
	s_and_b32 s2, vcc_lo, s6
	v_and_b32_e32 v7, v6, v30
	v_bfe_u32 v6, v6, s69, 2
	v_cmp_eq_u32_e64 s13, v7, v26
	v_cmp_eq_u32_e64 s14, 0, v6
	;; [unrolled: 1-line block ×5, first 2 shown]
	v_and_b32_e32 v6, v4, v30
	v_bfe_u32 v4, v4, s69, 2
	v_cmp_eq_u32_e64 s18, v6, v26
	v_cmp_eq_u32_e64 s19, 0, v4
	v_cmp_eq_u32_e64 s20, 1, v4
	v_cmp_eq_u32_e64 s21, 2, v4
	v_cmp_eq_u32_e64 s22, 3, v4
	v_cndmask_b32_e64 v4, 0, 1, s2
	s_and_b32 s2, s13, s14
	v_cmp_ne_u32_e64 s6, 0, v4
	s_waitcnt vmcnt(0)
	v_add_nc_u32_e32 v4, 0x80, v5
	v_and_b32_e32 v5, v4, v30
	v_bfe_u32 v4, v4, s69, 2
	v_cmp_eq_u32_e64 s23, v5, v26
	v_cmp_eq_u32_e64 s14, 0, v4
	;; [unrolled: 1-line block ×5, first 2 shown]
	v_cndmask_b32_e64 v4, 0, 1, s2
	s_and_b32 s2, s18, s19
	s_and_b32 s7, s23, s14
	v_cmp_ne_u32_e64 s19, 0, v4
	v_cndmask_b32_e64 v4, 0, 1, s2
	s_bcnt1_i32_b32 s2, s6
	v_cmp_ne_u32_e64 s6, 0, v4
	v_cndmask_b32_e64 v4, 0, 1, s7
	s_bcnt1_i32_b32 s7, s19
	s_add_i32 s2, s7, s2
	s_bcnt1_i32_b32 s6, s6
	v_cmp_ne_u32_e64 s14, 0, v4
	s_add_i32 s2, s2, s6
	s_bcnt1_i32_b32 s6, s14
	s_add_i32 s2, s2, s6
	s_add_u32 s88, s88, s2
	s_addc_u32 s89, s89, 0
	s_and_b32 s2, vcc_lo, s9
	s_and_b32 s7, s13, s15
	v_cndmask_b32_e64 v4, 0, 1, s2
	s_and_b32 s14, s18, s20
	s_and_b32 s15, s23, s25
	v_cmp_ne_u32_e64 s6, 0, v4
	v_cndmask_b32_e64 v4, 0, 1, s7
	s_bcnt1_i32_b32 s2, s6
	v_cmp_ne_u32_e64 s9, 0, v4
	v_cndmask_b32_e64 v4, 0, 1, s14
	s_bcnt1_i32_b32 s6, s9
	v_cmp_ne_u32_e64 s14, 0, v4
	v_cndmask_b32_e64 v4, 0, 1, s15
	s_add_i32 s2, s6, s2
	s_bcnt1_i32_b32 s7, s14
	v_cmp_ne_u32_e64 s15, 0, v4
	s_add_i32 s2, s2, s7
	s_bcnt1_i32_b32 s9, s15
	s_add_i32 s2, s2, s9
	s_add_u32 s86, s86, s2
	s_addc_u32 s87, s87, 0
	s_and_b32 s2, vcc_lo, s11
	s_and_b32 s7, s13, s16
	v_cndmask_b32_e64 v4, 0, 1, s2
	s_and_b32 s11, s18, s21
	s_and_b32 s14, s23, s26
	v_mov_b32_e32 v6, s86
	v_mov_b32_e32 v7, s87
	v_cmp_ne_u32_e64 s6, 0, v4
	v_cndmask_b32_e64 v4, 0, 1, s7
	s_bcnt1_i32_b32 s2, s6
	v_cmp_ne_u32_e64 s9, 0, v4
	v_cndmask_b32_e64 v4, 0, 1, s11
	s_bcnt1_i32_b32 s6, s9
	v_cmp_ne_u32_e64 s11, 0, v4
	v_cndmask_b32_e64 v4, 0, 1, s14
	s_add_i32 s2, s6, s2
	s_bcnt1_i32_b32 s7, s11
	v_cmp_ne_u32_e64 s14, 0, v4
	s_add_i32 s2, s2, s7
	s_bcnt1_i32_b32 s9, s14
	s_add_i32 s2, s2, s9
	s_add_u32 s84, s84, s2
	s_addc_u32 s85, s85, 0
	s_and_b32 s2, vcc_lo, s12
	s_and_b32 s6, s13, s17
	v_cndmask_b32_e64 v4, 0, 1, s2
	s_and_b32 s7, s18, s22
	s_and_b32 s11, s23, s27
	v_mov_b32_e32 v8, s84
	v_mov_b32_e32 v9, s85
	v_cmp_ne_u32_e32 vcc_lo, 0, v4
	v_cndmask_b32_e64 v4, 0, 1, s6
	s_bcnt1_i32_b32 s2, vcc_lo
	v_cmp_ne_u32_e64 s6, 0, v4
	v_cndmask_b32_e64 v4, 0, 1, s7
	s_bcnt1_i32_b32 s6, s6
	v_cmp_ne_u32_e64 s9, 0, v4
	v_cndmask_b32_e64 v4, 0, 1, s11
	s_add_i32 s2, s6, s2
	s_bcnt1_i32_b32 s7, s9
	v_cmp_ne_u32_e64 s11, 0, v4
	s_add_i32 s2, s2, s7
	v_mov_b32_e32 v4, s88
	v_mov_b32_e32 v5, s89
	s_bcnt1_i32_b32 s9, s11
	s_add_i32 s2, s2, s9
	s_add_u32 s82, s82, s2
	s_addc_u32 s83, s83, 0
	v_mov_b32_e32 v10, s82
	v_mov_b32_e32 v11, s83
	s_or_b32 s72, s24, s72
	s_andn2_b32 exec_lo, exec_lo, s72
	s_cbranch_execnz .LBB138_65
; %bb.66:                               ;   in Loop: Header=BB138_18 Depth=1
	s_or_b32 exec_lo, exec_lo, s72
.LBB138_67:                             ;   in Loop: Header=BB138_18 Depth=1
	s_or_b32 exec_lo, exec_lo, s56
	v_add_co_u32 v21, s2, s80, v0
	v_and_b32_e32 v2, 0xffff, v2
	v_add_co_ci_u32_e64 v22, null, s81, 0, s2
	s_mov_b32 s12, exec_lo
	v_cmpx_gt_u64_e64 s[36:37], v[21:22]
	s_cbranch_execz .LBB138_73
; %bb.68:                               ;   in Loop: Header=BB138_18 Depth=1
	v_mad_u64_u32 v[32:33], null, v21, s30, s[28:29]
	v_mul_lo_u32 v34, v21, s31
	v_mul_lo_u32 v35, v22, s30
	s_mov_b32 s13, 0
	v_add3_u32 v33, v35, v33, v34
	global_load_ubyte v33, v[32:33], off
	s_branch .LBB138_70
.LBB138_69:                             ;   in Loop: Header=BB138_70 Depth=2
	s_or_b32 exec_lo, exec_lo, s2
	s_waitcnt vmcnt(0)
	v_add_nc_u32_sdwa v33, sext(v33), v28 dst_sel:DWORD dst_unused:UNUSED_PAD src0_sel:BYTE_0 src1_sel:DWORD
	s_and_b32 s2, exec_lo, vcc_lo
	s_or_b32 s13, s2, s13
	v_and_b32_e32 v34, v33, v30
	v_bfe_u32 v33, v33, s69, 2
	v_cmp_eq_u32_e64 s6, v34, v26
	v_cmp_eq_u32_e64 s9, 0, v33
	v_cmp_eq_u32_e32 vcc_lo, 1, v33
	v_cmp_eq_u32_e64 s11, 2, v33
	s_and_b32 s2, s6, s9
	v_cndmask_b32_e64 v34, 0, 1, s2
	s_and_b32 s2, s6, vcc_lo
	v_cmp_eq_u32_e32 vcc_lo, 3, v33
	v_cndmask_b32_e64 v35, 0, 1, s2
	s_and_b32 s2, s6, s11
	v_cmp_ne_u32_e64 s9, 0, v34
	v_cndmask_b32_e64 v33, 0, 1, s2
	s_and_b32 s2, s6, vcc_lo
	v_cmp_ne_u32_e64 s11, 0, v35
	v_cndmask_b32_e64 v34, 0, 1, s2
	s_bcnt1_i32_b32 s2, s9
	v_cmp_ne_u32_e32 vcc_lo, 0, v33
	v_add_co_u32 v4, s6, v4, s2
	s_bcnt1_i32_b32 s7, s11
	v_add_co_ci_u32_e64 v5, null, 0, v5, s6
	s_bcnt1_i32_b32 s2, vcc_lo
	v_cmp_ne_u32_e32 vcc_lo, 0, v34
	v_add_co_u32 v6, s6, v6, s7
	v_add_co_ci_u32_e64 v7, null, 0, v7, s6
	v_add_co_u32 v8, s6, v8, s2
	s_bcnt1_i32_b32 s2, vcc_lo
	v_add_co_ci_u32_e64 v9, null, 0, v9, s6
	v_add_co_u32 v10, vcc_lo, v10, s2
	v_add_co_ci_u32_e64 v11, null, 0, v11, vcc_lo
	v_mov_b32_e32 v33, v32
	s_andn2_b32 exec_lo, exec_lo, s13
	s_cbranch_execz .LBB138_72
.LBB138_70:                             ;   Parent Loop BB138_18 Depth=1
                                        ; =>  This Inner Loop Header: Depth=2
	v_add_co_u32 v21, vcc_lo, v21, v2
	v_add_co_ci_u32_e64 v22, null, 0, v22, vcc_lo
	v_mov_b32_e32 v32, 0
	s_mov_b32 s2, exec_lo
	v_cmp_le_u64_e32 vcc_lo, s[36:37], v[21:22]
	v_cmpx_gt_u64_e64 s[36:37], v[21:22]
	s_cbranch_execz .LBB138_69
; %bb.71:                               ;   in Loop: Header=BB138_70 Depth=2
	v_mad_u64_u32 v[34:35], null, v21, s30, s[28:29]
	v_mul_lo_u32 v32, v21, s31
	v_mul_lo_u32 v36, v22, s30
	v_add3_u32 v35, v36, v35, v32
	global_load_ubyte v32, v[34:35], off
	s_branch .LBB138_69
.LBB138_72:                             ;   in Loop: Header=BB138_18 Depth=1
	s_or_b32 exec_lo, exec_lo, s13
.LBB138_73:                             ;   in Loop: Header=BB138_18 Depth=1
	s_or_b32 exec_lo, exec_lo, s12
	s_branch .LBB138_52
.LBB138_74:                             ;   in Loop: Header=BB138_18 Depth=1
	global_load_ushort v2, v3, s[76:77]
	v_mov_b32_e32 v6, 0
	v_mov_b32_e32 v8, 0
	;; [unrolled: 1-line block ×6, first 2 shown]
	s_mov_b32 s74, exec_lo
	s_waitcnt vmcnt(0)
	v_readfirstlane_b32 s2, v2
	s_and_b32 s56, 0xffff, s2
	s_lshl_b32 s72, s56, 2
	v_cvt_f32_u32_e32 v4, s72
	s_sub_i32 s6, 0, s72
	v_rcp_iflag_f32_e32 v4, v4
	v_mul_f32_e32 v4, 0x4f7ffffe, v4
	v_cvt_u32_f32_e32 v4, v4
	v_readfirstlane_b32 s2, v4
	v_mov_b32_e32 v4, 0
	v_mov_b32_e32 v5, 0
	s_mul_i32 s6, s6, s2
	s_mul_hi_u32 s6, s2, s6
	s_add_i32 s2, s2, s6
	s_mul_hi_u32 s2, s78, s2
	s_mul_i32 s6, s2, s72
	s_add_i32 s7, s2, 1
	s_sub_i32 s6, s78, s6
	s_sub_i32 s9, s6, s72
	s_cmp_ge_u32 s6, s72
	s_cselect_b32 s2, s7, s2
	s_cselect_b32 s6, s9, s6
	s_add_i32 s7, s2, 1
	s_cmp_ge_u32 s6, s72
	s_cselect_b32 s2, s7, s2
	s_mul_hi_u32 s81, s56, s2
	s_mul_i32 s80, s56, s2
	s_lshl_b64 s[82:83], s[80:81], 2
	v_cmpx_gt_u64_e64 s[82:83], v[14:15]
	s_cbranch_execz .LBB138_78
; %bb.75:                               ;   in Loop: Header=BB138_18 Depth=1
	v_mov_b32_e32 v22, v15
	v_mov_b32_e32 v32, v14
	;; [unrolled: 1-line block ×3, first 2 shown]
	s_mov_b64 s[84:85], 0
	s_mov_b32 s79, 0
	s_mov_b64 s[86:87], 0
	s_mov_b64 s[88:89], 0
	;; [unrolled: 1-line block ×3, first 2 shown]
.LBB138_76:                             ;   Parent Loop BB138_18 Depth=1
                                        ; =>  This Inner Loop Header: Depth=2
	ds_read_b32 v4, v32
	v_add_nc_u32_e32 v32, s72, v32
	s_waitcnt lgkmcnt(0)
	v_add_nc_u32_sdwa v5, sext(v4), v28 dst_sel:DWORD dst_unused:UNUSED_PAD src0_sel:BYTE_0 src1_sel:DWORD
	v_and_b32_e32 v6, v5, v30
	v_bfe_u32 v5, v5, s69, 2
	v_cmp_eq_u32_e32 vcc_lo, v6, v26
	v_add_nc_u32_sdwa v6, sext(v4), v28 dst_sel:DWORD dst_unused:UNUSED_PAD src0_sel:BYTE_1 src1_sel:DWORD
	v_cmp_eq_u32_e64 s12, 0, v5
	v_cmp_eq_u32_e64 s13, 1, v5
	;; [unrolled: 1-line block ×4, first 2 shown]
	v_and_b32_e32 v7, v6, v30
	v_bfe_u32 v5, v6, s69, 2
	s_and_b32 s2, vcc_lo, s12
	v_cmp_eq_u32_e64 s6, v7, v26
	v_add_nc_u32_sdwa v7, sext(v4), v28 dst_sel:DWORD dst_unused:UNUSED_PAD src0_sel:BYTE_2 src1_sel:DWORD
	v_add_nc_u32_sdwa v4, sext(v4), v28 dst_sel:DWORD dst_unused:UNUSED_PAD src0_sel:BYTE_3 src1_sel:DWORD
	v_cmp_eq_u32_e64 s16, 0, v5
	v_cmp_eq_u32_e64 s17, 1, v5
	;; [unrolled: 1-line block ×3, first 2 shown]
	v_and_b32_e32 v8, v7, v30
	v_cmp_eq_u32_e64 s19, 3, v5
	v_bfe_u32 v5, v7, s69, 2
	v_cmp_eq_u32_e64 s9, v8, v26
	v_and_b32_e32 v8, v4, v30
	v_bfe_u32 v4, v4, s69, 2
	v_cmp_eq_u32_e64 s20, 0, v5
	v_cmp_eq_u32_e64 s21, 1, v5
	;; [unrolled: 1-line block ×8, first 2 shown]
	v_cndmask_b32_e64 v4, 0, 1, s2
	s_and_b32 s2, s6, s16
	v_cmp_eq_u32_e64 s23, 3, v5
	v_cmp_ne_u32_e64 s12, 0, v4
	v_cndmask_b32_e64 v4, 0, 1, s2
	s_and_b32 s2, s9, s20
	v_cmp_ne_u32_e64 s16, 0, v4
	v_cndmask_b32_e64 v4, 0, 1, s2
	s_and_b32 s2, s11, s24
	s_bcnt1_i32_b32 s7, s16
	v_cmp_ne_u32_e64 s20, 0, v4
	v_cndmask_b32_e64 v4, 0, 1, s2
	s_bcnt1_i32_b32 s2, s12
	s_add_i32 s2, s7, s2
	s_bcnt1_i32_b32 s12, s20
	v_cmp_ne_u32_e64 s24, 0, v4
	s_add_i32 s2, s2, s12
	s_bcnt1_i32_b32 s16, s24
	s_add_i32 s2, s2, s16
	s_add_u32 s90, s90, s2
	s_addc_u32 s91, s91, 0
	s_and_b32 s2, vcc_lo, s13
	v_cndmask_b32_e64 v4, 0, 1, s2
	s_and_b32 s2, s6, s17
	v_cmp_ne_u32_e64 s12, 0, v4
	v_cndmask_b32_e64 v4, 0, 1, s2
	s_and_b32 s2, s9, s21
	v_cmp_ne_u32_e64 s13, 0, v4
	v_cndmask_b32_e64 v4, 0, 1, s2
	s_and_b32 s2, s11, s25
	s_bcnt1_i32_b32 s7, s13
	v_cmp_ne_u32_e64 s16, 0, v4
	v_cndmask_b32_e64 v4, 0, 1, s2
	s_bcnt1_i32_b32 s2, s12
	s_add_i32 s2, s7, s2
	s_bcnt1_i32_b32 s12, s16
	v_cmp_ne_u32_e64 s17, 0, v4
	s_add_i32 s2, s2, s12
	s_bcnt1_i32_b32 s13, s17
	s_add_i32 s2, s2, s13
	s_add_u32 s88, s88, s2
	s_addc_u32 s89, s89, 0
	s_and_b32 s2, vcc_lo, s14
	v_mov_b32_e32 v6, s88
	v_cndmask_b32_e64 v4, 0, 1, s2
	s_and_b32 s2, s6, s18
	v_mov_b32_e32 v7, s89
	v_cmp_ne_u32_e64 s12, 0, v4
	v_cndmask_b32_e64 v4, 0, 1, s2
	s_and_b32 s2, s9, s22
	v_cmp_ne_u32_e64 s13, 0, v4
	v_cndmask_b32_e64 v4, 0, 1, s2
	s_and_b32 s2, s11, s26
	s_bcnt1_i32_b32 s7, s13
	v_cmp_ne_u32_e64 s14, 0, v4
	v_cndmask_b32_e64 v4, 0, 1, s2
	s_bcnt1_i32_b32 s2, s12
	s_add_i32 s2, s7, s2
	s_bcnt1_i32_b32 s12, s14
	v_cmp_ne_u32_e64 s16, 0, v4
	s_add_i32 s2, s2, s12
	v_add_co_u32 v21, s12, v21, s72
	v_add_co_ci_u32_e64 v22, null, 0, v22, s12
	s_bcnt1_i32_b32 s13, s16
	s_add_i32 s2, s2, s13
	v_cmp_le_u64_e64 s12, s[82:83], v[21:22]
	s_add_u32 s86, s86, s2
	s_addc_u32 s87, s87, 0
	s_and_b32 s2, vcc_lo, s15
	v_mov_b32_e32 v8, s86
	v_cndmask_b32_e64 v4, 0, 1, s2
	s_and_b32 s2, s6, s19
	v_mov_b32_e32 v9, s87
	v_cmp_ne_u32_e32 vcc_lo, 0, v4
	v_cndmask_b32_e64 v4, 0, 1, s2
	s_and_b32 s2, s9, s23
	v_cmp_ne_u32_e64 s6, 0, v4
	v_cndmask_b32_e64 v4, 0, 1, s2
	s_and_b32 s2, s11, s27
	s_bcnt1_i32_b32 s6, s6
	v_cmp_ne_u32_e64 s9, 0, v4
	v_cndmask_b32_e64 v4, 0, 1, s2
	s_bcnt1_i32_b32 s2, vcc_lo
	s_add_i32 s2, s6, s2
	s_bcnt1_i32_b32 s7, s9
	v_cmp_ne_u32_e64 s11, 0, v4
	s_add_i32 s2, s2, s7
	v_mov_b32_e32 v4, s90
	v_mov_b32_e32 v5, s91
	s_bcnt1_i32_b32 s9, s11
	s_add_i32 s2, s2, s9
	s_add_u32 s84, s84, s2
	s_addc_u32 s85, s85, 0
	v_mov_b32_e32 v10, s84
	v_mov_b32_e32 v11, s85
	s_or_b32 s79, s12, s79
	s_andn2_b32 exec_lo, exec_lo, s79
	s_cbranch_execnz .LBB138_76
; %bb.77:                               ;   in Loop: Header=BB138_18 Depth=1
	s_or_b32 exec_lo, exec_lo, s79
.LBB138_78:                             ;   in Loop: Header=BB138_18 Depth=1
	s_or_b32 exec_lo, exec_lo, s74
	v_add_co_u32 v21, s2, s82, v0
	v_and_b32_e32 v2, 0xffff, v2
	v_add_co_ci_u32_e64 v22, null, s83, 0, s2
	s_and_b32 s72, s78, 0x7fffffff
	s_mov_b32 s14, exec_lo
	v_cmpx_gt_u64_e64 s[72:73], v[21:22]
	s_cbranch_execz .LBB138_82
; %bb.79:                               ;   in Loop: Header=BB138_18 Depth=1
	v_lshl_add_u32 v32, s80, 2, v0
	s_mov_b32 s15, 0
.LBB138_80:                             ;   Parent Loop BB138_18 Depth=1
                                        ; =>  This Inner Loop Header: Depth=2
	ds_read_i8 v33, v32
	v_add_co_u32 v21, vcc_lo, v21, v2
	v_add_co_ci_u32_e64 v22, null, 0, v22, vcc_lo
	v_add_nc_u32_e32 v32, s56, v32
	v_cmp_le_u64_e32 vcc_lo, s[72:73], v[21:22]
	s_waitcnt lgkmcnt(0)
	v_add_nc_u32_e32 v33, 0x80, v33
	v_and_b32_e32 v34, v33, v30
	v_bfe_u32 v33, v33, s69, 2
	v_cmp_eq_u32_e64 s6, v34, v26
	v_cmp_eq_u32_e64 s9, 0, v33
	v_cmp_eq_u32_e64 s11, 1, v33
	v_cmp_eq_u32_e64 s12, 2, v33
	v_cmp_eq_u32_e64 s13, 3, v33
	s_and_b32 s2, s6, s9
	v_cndmask_b32_e64 v33, 0, 1, s2
	s_and_b32 s2, s6, s11
	v_cndmask_b32_e64 v34, 0, 1, s2
	;; [unrolled: 2-line block ×3, first 2 shown]
	s_and_b32 s2, s6, s13
	v_cmp_ne_u32_e64 s6, 0, v33
	v_cndmask_b32_e64 v36, 0, 1, s2
	v_cmp_ne_u32_e64 s9, 0, v34
	v_cmp_ne_u32_e64 s11, 0, v35
	s_bcnt1_i32_b32 s2, s6
	v_cmp_ne_u32_e64 s12, 0, v36
	s_bcnt1_i32_b32 s7, s9
	v_add_co_u32 v4, s6, v4, s2
	s_bcnt1_i32_b32 s9, s11
	v_add_co_ci_u32_e64 v5, null, 0, v5, s6
	v_add_co_u32 v6, s6, v6, s7
	s_bcnt1_i32_b32 s11, s12
	v_add_co_ci_u32_e64 v7, null, 0, v7, s6
	v_add_co_u32 v8, s6, v8, s9
	v_add_co_ci_u32_e64 v9, null, 0, v9, s6
	v_add_co_u32 v10, s6, v10, s11
	v_add_co_ci_u32_e64 v11, null, 0, v11, s6
	s_or_b32 s15, vcc_lo, s15
	s_andn2_b32 exec_lo, exec_lo, s15
	s_cbranch_execnz .LBB138_80
; %bb.81:                               ;   in Loop: Header=BB138_18 Depth=1
	s_or_b32 exec_lo, exec_lo, s15
.LBB138_82:                             ;   in Loop: Header=BB138_18 Depth=1
	s_or_b32 exec_lo, exec_lo, s14
	s_lshl_b32 s6, s55, 7
	s_and_saveexec_b32 s2, s0
	s_cbranch_execnz .LBB138_53
	s_branch .LBB138_54
.LBB138_83:                             ;   in Loop: Header=BB138_18 Depth=1
                                        ; implicit-def: $sgpr12_sgpr13
	s_branch .LBB138_62
.LBB138_84:                             ;   in Loop: Header=BB138_18 Depth=1
	s_mov_b32 s11, 0
	s_andn2_b32 vcc_lo, exec_lo, s53
	s_cbranch_vccnz .LBB138_87
.LBB138_85:                             ;   in Loop: Header=BB138_18 Depth=1
	s_lshl_b32 s2, s55, 10
	s_lshl_b32 s7, s11, 5
	s_mov_b32 s11, vcc_hi
	v_add3_u32 v2, s2, s7, v27
.LBB138_86:                             ;   Parent Loop BB138_18 Depth=1
                                        ; =>  This Inner Loop Header: Depth=2
	ds_read_b64 v[6:7], v2
	v_add_nc_u32_e32 v2, 32, v2
	s_add_i32 s11, s11, -1
	s_cmp_lg_u32 s11, 0
	s_waitcnt lgkmcnt(0)
	v_add_co_u32 v4, vcc_lo, v6, v4
	v_add_co_ci_u32_e64 v5, null, v7, v5, vcc_lo
	s_cbranch_scc1 .LBB138_86
.LBB138_87:                             ;   in Loop: Header=BB138_18 Depth=1
	v_add_lshl_u32 v2, s6, v24, 3
	ds_write_b64 v2, v[4:5] offset:3072
.LBB138_88:                             ;   in Loop: Header=BB138_18 Depth=1
	s_or_b32 exec_lo, exec_lo, s9
	s_lshl_b32 s2, s6, 3
	s_waitcnt lgkmcnt(0)
	v_mov_b32_e32 v2, s2
	s_barrier
	buffer_gl0_inv
	v_cmp_eq_u64_e64 s9, 1, v[19:20]
	s_lshl_b32 s11, 3, s69
	ds_read_b128 v[4:7], v2 offset:3072
	ds_read_b128 v[8:11], v2 offset:3088
	s_mov_b32 s82, -1
	s_not_b32 s26, s11
	s_mov_b32 s27, 0
	s_andn2_b32 vcc_lo, exec_lo, s35
	s_mov_b32 s79, 0
	s_mov_b32 s78, 0
                                        ; implicit-def: $sgpr80
                                        ; implicit-def: $sgpr81
                                        ; implicit-def: $vgpr2
	s_waitcnt lgkmcnt(1)
	v_readfirstlane_b32 s13, v5
	v_readfirstlane_b32 s12, v4
	;; [unrolled: 1-line block ×4, first 2 shown]
	s_waitcnt lgkmcnt(0)
	v_readfirstlane_b32 s17, v9
	v_readfirstlane_b32 s16, v8
	;; [unrolled: 1-line block ×4, first 2 shown]
                                        ; implicit-def: $vgpr4_vgpr5
                                        ; implicit-def: $vgpr8
                                        ; implicit-def: $vgpr9
                                        ; implicit-def: $vgpr10
	s_cbranch_vccnz .LBB138_283
; %bb.89:                               ;   in Loop: Header=BB138_18 Depth=1
	s_cmp_eq_u64 s[12:13], 1
	v_mov_b32_e32 v8, v26
	v_mov_b32_e32 v9, v30
	;; [unrolled: 1-line block ×3, first 2 shown]
	s_cselect_b32 s2, -1, 0
	s_mov_b32 s20, -1
	s_and_b32 s6, s2, s9
                                        ; implicit-def: $sgpr81
                                        ; implicit-def: $sgpr80
	s_and_saveexec_b32 s78, s6
	s_cbranch_execz .LBB138_124
; %bb.90:                               ;   in Loop: Header=BB138_18 Depth=1
	ds_read_b64 v[4:5], v3 offset:5120
	s_waitcnt lgkmcnt(0)
	s_barrier
	buffer_gl0_inv
	v_readfirstlane_b32 s20, v4
	v_readfirstlane_b32 s21, v5
	s_and_saveexec_b32 s2, s10
; %bb.91:                               ;   in Loop: Header=BB138_18 Depth=1
	ds_write_b8 v0, v3 offset:3072
; %bb.92:                               ;   in Loop: Header=BB138_18 Depth=1
	s_or_b32 exec_lo, exec_lo, s2
	v_and_b32_e32 v8, s26, v26
	v_or_b32_e32 v9, s11, v30
	s_mov_b32 s80, -1
	s_mov_b32 s81, 0
	s_cmp_eq_u64 s[20:21], 0
	s_mov_b32 s24, 0
	s_mov_b32 s25, -1
	s_waitcnt lgkmcnt(0)
	s_barrier
	buffer_gl0_inv
                                        ; implicit-def: $vgpr10
	s_cbranch_scc1 .LBB138_109
; %bb.93:                               ;   in Loop: Header=BB138_18 Depth=1
	s_add_u32 s56, s20, s94
	s_addc_u32 s23, s21, s95
	s_mov_b32 s22, s73
	s_cmp_lg_u64 s[22:23], 0
	s_cbranch_scc0 .LBB138_150
; %bb.94:                               ;   in Loop: Header=BB138_18 Depth=1
	v_cvt_f32_u32_e32 v2, s33
	s_sub_u32 s22, 0, s33
	s_subb_u32 s24, 0, 0
	v_fmac_f32_e64 v2, 0x4f800000, 0
	v_rcp_f32_e32 v2, v2
	v_mul_f32_e32 v2, 0x5f7ffffc, v2
	v_mul_f32_e32 v4, 0x2f800000, v2
	v_trunc_f32_e32 v4, v4
	v_fmac_f32_e32 v2, 0xcf800000, v4
	v_cvt_u32_f32_e32 v4, v4
	v_cvt_u32_f32_e32 v2, v2
	v_readfirstlane_b32 s2, v4
	v_readfirstlane_b32 s7, v2
	s_mul_i32 s25, s22, s2
	s_mul_hi_u32 s41, s22, s7
	s_mul_i32 s40, s24, s7
	s_add_i32 s25, s41, s25
	s_mul_i32 s42, s22, s7
	s_add_i32 s25, s25, s40
	s_mul_hi_u32 s41, s7, s42
	s_mul_i32 s62, s7, s25
	s_mul_hi_u32 s43, s2, s42
	s_mul_i32 s40, s2, s42
	s_mul_hi_u32 s42, s7, s25
	s_add_u32 s41, s41, s62
	s_addc_u32 s42, 0, s42
	s_mul_hi_u32 s72, s2, s25
	s_add_u32 s40, s41, s40
	s_mul_i32 s25, s2, s25
	s_addc_u32 s40, s42, s43
	s_addc_u32 s41, s72, 0
	s_add_u32 s25, s40, s25
	s_addc_u32 s40, 0, s41
	s_add_u32 s7, s7, s25
	s_cselect_b32 s25, -1, 0
	s_mul_hi_u32 s41, s22, s7
	s_cmp_lg_u32 s25, 0
	s_mul_i32 s25, s22, s7
	s_addc_u32 s2, s2, s40
	s_mul_i32 s24, s24, s7
	s_mul_i32 s22, s22, s2
	s_mul_hi_u32 s40, s7, s25
	s_add_i32 s22, s41, s22
	s_mul_hi_u32 s41, s2, s25
	s_add_i32 s22, s22, s24
	s_mul_i32 s24, s2, s25
	s_mul_i32 s43, s7, s22
	s_mul_hi_u32 s42, s7, s22
	s_add_u32 s40, s40, s43
	s_addc_u32 s42, 0, s42
	s_mul_hi_u32 s25, s2, s22
	s_add_u32 s24, s40, s24
	s_mul_i32 s22, s2, s22
	s_addc_u32 s24, s42, s41
	s_addc_u32 s25, s25, 0
	s_add_u32 s22, s24, s22
	s_addc_u32 s24, 0, s25
	s_add_u32 s7, s7, s22
	s_cselect_b32 s22, -1, 0
	s_mul_hi_u32 s25, s56, s7
	s_cmp_lg_u32 s22, 0
	s_mul_hi_u32 s22, s23, s7
	s_addc_u32 s2, s2, s24
	s_mul_i32 s7, s23, s7
	s_mul_i32 s40, s56, s2
	s_mul_hi_u32 s24, s56, s2
	s_add_u32 s25, s25, s40
	s_addc_u32 s24, 0, s24
	s_mul_hi_u32 s41, s23, s2
	s_add_u32 s7, s25, s7
	s_mul_i32 s2, s23, s2
	s_addc_u32 s7, s24, s22
	s_addc_u32 s22, s41, 0
	s_add_u32 s2, s7, s2
	s_addc_u32 s7, 0, s22
	s_mul_hi_u32 s22, s33, s2
	s_mul_i32 s7, s33, s7
	s_mul_i32 s2, s33, s2
	s_add_i32 s22, s22, s7
	s_sub_u32 s2, s56, s2
	s_cselect_b32 s7, -1, 0
	s_cmp_lg_u32 s7, 0
	s_subb_u32 s7, s23, s22
	s_sub_u32 s22, s2, s33
	s_cselect_b32 s24, -1, 0
	s_cmp_lg_u32 s24, 0
	s_subb_u32 s24, s7, 0
	;; [unrolled: 4-line block ×3, first 2 shown]
	s_cmp_ge_u32 s22, s33
	s_cselect_b32 s41, -1, 0
	s_cmp_eq_u32 s24, 0
	s_cselect_b32 s41, s41, -1
	s_cmp_lg_u32 s41, 0
	s_cselect_b32 s24, s40, s24
	s_cselect_b32 s22, s25, s22
	s_cmp_ge_u32 s2, s33
	s_cselect_b32 s25, -1, 0
	s_cmp_eq_u32 s7, 0
	s_cselect_b32 s25, s25, -1
	s_cmp_lg_u32 s25, 0
	s_cselect_b32 s25, s24, s7
	s_cselect_b32 s24, s22, s2
	s_cbranch_execnz .LBB138_96
.LBB138_95:                             ;   in Loop: Header=BB138_18 Depth=1
	v_cvt_f32_u32_e32 v2, s33
	s_sub_i32 s7, 0, s33
	v_rcp_iflag_f32_e32 v2, v2
	v_mul_f32_e32 v2, 0x4f7ffffe, v2
	v_cvt_u32_f32_e32 v2, v2
	v_readfirstlane_b32 s2, v2
	s_mul_i32 s7, s7, s2
	s_mul_hi_u32 s7, s2, s7
	s_add_i32 s2, s2, s7
	s_mul_hi_u32 s2, s56, s2
	s_mul_i32 s2, s2, s33
	s_sub_i32 s2, s56, s2
	s_sub_i32 s7, s2, s33
	s_cmp_ge_u32 s2, s33
	s_cselect_b32 s2, s7, s2
	s_sub_i32 s7, s2, s33
	s_cmp_ge_u32 s2, s33
	s_cselect_b32 s72, s7, s2
	s_mov_b64 s[24:25], s[72:73]
.LBB138_96:                             ;   in Loop: Header=BB138_18 Depth=1
	s_sub_u32 s22, s56, s24
	s_subb_u32 s23, s23, s25
	s_mov_b32 s25, 0
	s_mov_b32 s24, 0
	s_mov_b32 s56, exec_lo
                                        ; implicit-def: $vgpr10
	v_cmpx_gt_u64_e64 s[22:23], v[0:1]
	s_cbranch_execz .LBB138_108
; %bb.97:                               ;   in Loop: Header=BB138_18 Depth=1
	v_mov_b32_e32 v5, v1
	v_mov_b32_e32 v2, v0
	;; [unrolled: 1-line block ×3, first 2 shown]
                                        ; implicit-def: $sgpr62
	s_inst_prefetch 0x1
	s_branch .LBB138_100
	.p2align	6
.LBB138_98:                             ;   in Loop: Header=BB138_100 Depth=2
	s_or_b32 exec_lo, exec_lo, s7
	s_waitcnt lgkmcnt(0)
	s_barrier
	buffer_gl0_inv
	ds_read_u16 v6, v3 offset:3072
	s_mov_b32 s7, -1
	s_mov_b32 s72, -1
	s_waitcnt lgkmcnt(0)
	s_barrier
	buffer_gl0_inv
	v_cmp_ne_u32_sdwa s2, v6, v3 src0_sel:BYTE_0 src1_sel:DWORD
	s_and_b32 vcc_lo, exec_lo, s2
	s_cbranch_vccz .LBB138_103
.LBB138_99:                             ;   in Loop: Header=BB138_100 Depth=2
	s_and_b32 s2, exec_lo, s7
	s_or_b32 s24, s2, s24
	s_andn2_b32 s2, s62, exec_lo
	s_and_b32 s7, s72, exec_lo
	s_or_b32 s62, s2, s7
	s_andn2_b32 exec_lo, exec_lo, s24
	s_cbranch_execz .LBB138_107
.LBB138_100:                            ;   Parent Loop BB138_18 Depth=1
                                        ; =>  This Inner Loop Header: Depth=2
	s_mov_b32 s7, exec_lo
	v_cmpx_gt_u64_e64 s[20:21], v[4:5]
	s_cbranch_execz .LBB138_98
; %bb.101:                              ;   in Loop: Header=BB138_100 Depth=2
	ds_read_u8 v6, v2
	s_waitcnt lgkmcnt(0)
	v_add_nc_u32_sdwa v7, sext(v6), v28 dst_sel:DWORD dst_unused:UNUSED_PAD src0_sel:BYTE_0 src1_sel:DWORD
	v_and_b32_e32 v7, v7, v9
	v_cmp_eq_u32_e32 vcc_lo, v7, v8
	s_and_b32 exec_lo, exec_lo, vcc_lo
	s_cbranch_execz .LBB138_98
; %bb.102:                              ;   in Loop: Header=BB138_100 Depth=2
	v_lshlrev_b16 v6, 8, v6
	v_or_b32_e32 v6, 1, v6
	ds_write_b16 v3, v6 offset:3072
	s_branch .LBB138_98
.LBB138_103:                            ;   in Loop: Header=BB138_100 Depth=2
	v_add_co_u32 v4, vcc_lo, v4, s33
	v_add_co_ci_u32_e64 v5, null, 0, v5, vcc_lo
	v_add_nc_u32_e32 v2, s33, v2
	s_mov_b32 s72, 0
	v_cmp_le_u64_e32 vcc_lo, s[22:23], v[4:5]
	s_orn2_b32 s7, vcc_lo, exec_lo
	s_branch .LBB138_99
.LBB138_104:                            ;   in Loop: Header=BB138_18 Depth=1
	s_or_b32 exec_lo, exec_lo, s12
	s_waitcnt lgkmcnt(0)
	s_barrier
	buffer_gl0_inv
	s_and_saveexec_b32 s2, s3
	s_cbranch_execz .LBB138_106
; %bb.105:                              ;   in Loop: Header=BB138_18 Depth=1
	ds_read_b32 v4, v3 offset:5144
	s_waitcnt lgkmcnt(0)
	v_ashrrev_i32_e32 v5, 31, v4
	ds_write_b64 v3, v[4:5] offset:5120
.LBB138_106:                            ;   in Loop: Header=BB138_18 Depth=1
	s_or_b32 exec_lo, exec_lo, s2
	s_waitcnt lgkmcnt(0)
	s_mov_b32 s6, -1
	s_barrier
	s_and_b32 vcc_lo, exec_lo, s11
	s_cbranch_vccnz .LBB138_33
	s_branch .LBB138_48
.LBB138_107:                            ;   in Loop: Header=BB138_18 Depth=1
	s_inst_prefetch 0x2
	s_or_b32 exec_lo, exec_lo, s24
	v_lshrrev_b32_sdwa v10, v29, v6 dst_sel:DWORD dst_unused:UNUSED_PAD src0_sel:DWORD src1_sel:WORD_0
	s_and_b32 s24, s62, exec_lo
.LBB138_108:                            ;   in Loop: Header=BB138_18 Depth=1
	s_or_b32 exec_lo, exec_lo, s56
.LBB138_109:                            ;   in Loop: Header=BB138_18 Depth=1
	s_and_b32 vcc_lo, exec_lo, s25
	s_cbranch_vccz .LBB138_123
; %bb.110:                              ;   in Loop: Header=BB138_18 Depth=1
	s_mov_b32 s74, s73
	s_cmp_lg_u64 s[74:75], 0
	s_cbranch_scc0 .LBB138_151
; %bb.111:                              ;   in Loop: Header=BB138_18 Depth=1
	v_cvt_f32_u32_e32 v2, s33
	s_sub_u32 s20, 0, s33
	s_subb_u32 s21, 0, 0
	v_fmac_f32_e64 v2, 0x4f800000, 0
	v_rcp_f32_e32 v2, v2
	v_mul_f32_e32 v2, 0x5f7ffffc, v2
	v_mul_f32_e32 v4, 0x2f800000, v2
	v_trunc_f32_e32 v4, v4
	v_fmac_f32_e32 v2, 0xcf800000, v4
	v_cvt_u32_f32_e32 v4, v4
	v_cvt_u32_f32_e32 v2, v2
	v_readfirstlane_b32 s2, v4
	v_readfirstlane_b32 s7, v2
	s_mul_i32 s22, s20, s2
	s_mul_hi_u32 s25, s20, s7
	s_mul_i32 s23, s21, s7
	s_add_i32 s22, s25, s22
	s_mul_i32 s40, s20, s7
	s_add_i32 s22, s22, s23
	s_mul_hi_u32 s25, s7, s40
	s_mul_i32 s42, s7, s22
	s_mul_hi_u32 s41, s2, s40
	s_mul_i32 s23, s2, s40
	s_mul_hi_u32 s40, s7, s22
	s_add_u32 s25, s25, s42
	s_addc_u32 s40, 0, s40
	s_mul_hi_u32 s43, s2, s22
	s_add_u32 s23, s25, s23
	s_mul_i32 s22, s2, s22
	s_addc_u32 s23, s40, s41
	s_addc_u32 s25, s43, 0
	s_add_u32 s22, s23, s22
	s_addc_u32 s23, 0, s25
	s_add_u32 s7, s7, s22
	s_cselect_b32 s22, -1, 0
	s_mul_hi_u32 s25, s20, s7
	s_cmp_lg_u32 s22, 0
	s_mul_i32 s22, s20, s7
	s_addc_u32 s2, s2, s23
	s_mul_i32 s21, s21, s7
	s_mul_i32 s20, s20, s2
	s_mul_hi_u32 s23, s7, s22
	s_add_i32 s20, s25, s20
	s_mul_hi_u32 s25, s2, s22
	s_add_i32 s20, s20, s21
	s_mul_i32 s21, s2, s22
	s_mul_i32 s41, s7, s20
	s_mul_hi_u32 s40, s7, s20
	s_add_u32 s23, s23, s41
	s_addc_u32 s40, 0, s40
	s_mul_hi_u32 s22, s2, s20
	s_add_u32 s21, s23, s21
	s_mul_i32 s20, s2, s20
	s_addc_u32 s21, s40, s25
	s_addc_u32 s22, s22, 0
	s_add_u32 s20, s21, s20
	s_addc_u32 s21, 0, s22
	s_add_u32 s7, s7, s20
	s_cselect_b32 s20, -1, 0
	s_mul_hi_u32 s22, s96, s7
	s_cmp_lg_u32 s20, 0
	s_mul_hi_u32 s20, s75, s7
	s_addc_u32 s2, s2, s21
	s_mul_i32 s7, s75, s7
	s_mul_i32 s23, s96, s2
	s_mul_hi_u32 s21, s96, s2
	s_add_u32 s22, s22, s23
	s_addc_u32 s21, 0, s21
	s_mul_hi_u32 s25, s75, s2
	s_add_u32 s7, s22, s7
	s_mul_i32 s2, s75, s2
	s_addc_u32 s7, s21, s20
	s_addc_u32 s20, s25, 0
	s_add_u32 s2, s7, s2
	s_addc_u32 s7, 0, s20
	s_mul_hi_u32 s20, s33, s2
	s_mul_i32 s7, s33, s7
	s_mul_i32 s2, s33, s2
	s_add_i32 s20, s20, s7
	s_sub_u32 s2, s96, s2
	s_cselect_b32 s7, -1, 0
	s_cmp_lg_u32 s7, 0
	s_subb_u32 s7, s75, s20
	s_sub_u32 s20, s2, s33
	s_cselect_b32 s21, -1, 0
	s_cmp_lg_u32 s21, 0
	s_subb_u32 s21, s7, 0
	;; [unrolled: 4-line block ×3, first 2 shown]
	s_cmp_ge_u32 s20, s33
	s_cselect_b32 s25, -1, 0
	s_cmp_eq_u32 s21, 0
	s_cselect_b32 s25, s25, -1
	s_cmp_lg_u32 s25, 0
	s_cselect_b32 s21, s23, s21
	s_cselect_b32 s20, s22, s20
	s_cmp_ge_u32 s2, s33
	s_cselect_b32 s22, -1, 0
	s_cmp_eq_u32 s7, 0
	s_cselect_b32 s22, s22, -1
	s_cmp_lg_u32 s22, 0
	s_cselect_b32 s21, s21, s7
	s_cselect_b32 s20, s20, s2
	s_cbranch_execnz .LBB138_113
.LBB138_112:                            ;   in Loop: Header=BB138_18 Depth=1
	v_cvt_f32_u32_e32 v2, s33
	s_sub_i32 s7, 0, s33
	v_rcp_iflag_f32_e32 v2, v2
	v_mul_f32_e32 v2, 0x4f7ffffe, v2
	v_cvt_u32_f32_e32 v2, v2
	v_readfirstlane_b32 s2, v2
	s_mul_i32 s7, s7, s2
	s_mul_hi_u32 s7, s2, s7
	s_add_i32 s2, s2, s7
	s_mul_hi_u32 s2, s96, s2
	s_mul_i32 s2, s2, s33
	s_sub_i32 s2, s96, s2
	s_sub_i32 s7, s2, s33
	s_cmp_ge_u32 s2, s33
	s_cselect_b32 s2, s7, s2
	s_sub_i32 s7, s2, s33
	s_cmp_ge_u32 s2, s33
	s_cselect_b32 s72, s7, s2
	s_mov_b64 s[20:21], s[72:73]
.LBB138_113:                            ;   in Loop: Header=BB138_18 Depth=1
	s_sub_u32 s20, s96, s20
	s_subb_u32 s21, s75, s21
	s_mov_b32 s22, exec_lo
                                        ; implicit-def: $vgpr10
	v_cmpx_gt_u64_e64 s[20:21], v[0:1]
	s_cbranch_execz .LBB138_122
; %bb.114:                              ;   in Loop: Header=BB138_18 Depth=1
	v_mov_b32_e32 v5, v1
	v_mov_b32_e32 v4, v0
	s_mov_b32 s23, 0
                                        ; implicit-def: $sgpr25
	s_branch .LBB138_117
.LBB138_115:                            ;   in Loop: Header=BB138_117 Depth=2
	s_or_b32 exec_lo, exec_lo, s56
	s_waitcnt lgkmcnt(0)
	s_barrier
	buffer_gl0_inv
	ds_read_u16 v2, v3 offset:3072
	s_mov_b32 s7, -1
	s_waitcnt lgkmcnt(0)
	s_barrier
	buffer_gl0_inv
	v_cmp_ne_u32_sdwa s2, v2, v3 src0_sel:BYTE_0 src1_sel:DWORD
	s_and_b32 vcc_lo, exec_lo, s2
	s_mov_b32 s2, -1
	s_cbranch_vccz .LBB138_120
.LBB138_116:                            ;   in Loop: Header=BB138_117 Depth=2
	s_and_b32 s7, exec_lo, s7
	s_or_b32 s23, s7, s23
	s_andn2_b32 s7, s25, exec_lo
	s_and_b32 s2, s2, exec_lo
	s_or_b32 s25, s7, s2
	s_andn2_b32 exec_lo, exec_lo, s23
	s_cbranch_execz .LBB138_121
.LBB138_117:                            ;   Parent Loop BB138_18 Depth=1
                                        ; =>  This Inner Loop Header: Depth=2
	s_mov_b32 s56, exec_lo
	v_cmpx_gt_u64_e64 s[36:37], v[4:5]
	s_cbranch_execz .LBB138_115
; %bb.118:                              ;   in Loop: Header=BB138_117 Depth=2
	v_mad_u64_u32 v[6:7], null, v4, s30, s[28:29]
	v_mul_lo_u32 v2, v4, s31
	v_mul_lo_u32 v10, v5, s30
	v_add3_u32 v7, v10, v7, v2
	global_load_ubyte v2, v[6:7], off
	s_waitcnt vmcnt(0)
	v_add_nc_u32_sdwa v6, sext(v2), v28 dst_sel:DWORD dst_unused:UNUSED_PAD src0_sel:BYTE_0 src1_sel:DWORD
	v_and_b32_e32 v6, v6, v9
	v_cmp_eq_u32_e32 vcc_lo, v6, v8
	s_and_b32 exec_lo, exec_lo, vcc_lo
	s_cbranch_execz .LBB138_115
; %bb.119:                              ;   in Loop: Header=BB138_117 Depth=2
	v_lshlrev_b16 v2, 8, v2
	v_or_b32_e32 v2, 1, v2
	ds_write_b16 v3, v2 offset:3072
	s_branch .LBB138_115
.LBB138_120:                            ;   in Loop: Header=BB138_117 Depth=2
	v_add_co_u32 v4, vcc_lo, v4, s33
	v_add_co_ci_u32_e64 v5, null, 0, v5, vcc_lo
	s_mov_b32 s2, 0
	v_cmp_le_u64_e32 vcc_lo, s[20:21], v[4:5]
	s_orn2_b32 s7, vcc_lo, exec_lo
	s_branch .LBB138_116
.LBB138_121:                            ;   in Loop: Header=BB138_18 Depth=1
	s_or_b32 exec_lo, exec_lo, s23
	v_lshrrev_b32_sdwa v10, v29, v2 dst_sel:DWORD dst_unused:UNUSED_PAD src0_sel:DWORD src1_sel:WORD_0
	s_andn2_b32 s2, s24, exec_lo
	s_and_b32 s7, s25, exec_lo
	s_or_b32 s24, s2, s7
.LBB138_122:                            ;   in Loop: Header=BB138_18 Depth=1
	s_or_b32 exec_lo, exec_lo, s22
	s_mov_b32 s80, 0
	s_mov_b32 s81, -1
.LBB138_123:                            ;   in Loop: Header=BB138_18 Depth=1
	s_orn2_b32 s20, s24, exec_lo
.LBB138_124:                            ;   in Loop: Header=BB138_18 Depth=1
	s_or_b32 exec_lo, exec_lo, s78
	s_mov_b32 s82, 0
	s_mov_b32 s79, 0
	;; [unrolled: 1-line block ×3, first 2 shown]
                                        ; implicit-def: $vgpr4_vgpr5
                                        ; implicit-def: $vgpr2
	s_and_saveexec_b32 s83, s20
	s_cbranch_execz .LBB138_282
; %bb.125:                              ;   in Loop: Header=BB138_18 Depth=1
	v_mov_b32_e32 v4, 1
	v_mov_b32_e32 v5, 0
	;; [unrolled: 1-line block ×3, first 2 shown]
	s_xor_b32 s2, s6, -1
	s_mov_b32 s21, 0
	s_and_saveexec_b32 s6, s2
	s_cbranch_execz .LBB138_134
; %bb.126:                              ;   in Loop: Header=BB138_18 Depth=1
	s_mov_b32 s2, exec_lo
	v_cmpx_ge_u64_e64 s[12:13], v[19:20]
	s_xor_b32 s20, exec_lo, s2
	s_cbranch_execz .LBB138_131
; %bb.127:                              ;   in Loop: Header=BB138_18 Depth=1
	ds_read_b64 v[4:5], v3 offset:5120
	v_and_b32_e32 v8, s26, v8
	v_or_b32_e32 v9, s11, v9
	s_waitcnt lgkmcnt(0)
	v_cmp_ne_u64_e32 vcc_lo, 0, v[4:5]
	s_cbranch_vccnz .LBB138_131
; %bb.128:                              ;   in Loop: Header=BB138_18 Depth=1
	s_and_saveexec_b32 s2, s3
; %bb.129:                              ;   in Loop: Header=BB138_18 Depth=1
	v_mov_b32_e32 v4, s12
	v_mov_b32_e32 v5, s13
	ds_write_b64 v3, v[4:5] offset:5128
; %bb.130:                              ;   in Loop: Header=BB138_18 Depth=1
	s_or_b32 exec_lo, exec_lo, s2
	s_waitcnt lgkmcnt(0)
	s_barrier
	buffer_gl0_inv
.LBB138_131:                            ;   in Loop: Header=BB138_18 Depth=1
	s_or_saveexec_b32 s20, s20
	v_mov_b32_e32 v4, v19
	v_mov_b32_e32 v2, 8
	;; [unrolled: 1-line block ×3, first 2 shown]
	s_xor_b32 exec_lo, exec_lo, s20
; %bb.132:                              ;   in Loop: Header=BB138_18 Depth=1
	v_sub_co_u32 v4, vcc_lo, v19, s12
	v_subrev_co_ci_u32_e64 v5, null, s13, v20, vcc_lo
	v_mov_b32_e32 v2, 0
	s_mov_b32 s21, exec_lo
; %bb.133:                              ;   in Loop: Header=BB138_18 Depth=1
	s_or_b32 exec_lo, exec_lo, s20
	s_and_b32 s21, s21, exec_lo
.LBB138_134:                            ;   in Loop: Header=BB138_18 Depth=1
	s_or_b32 exec_lo, exec_lo, s6
	s_mov_b32 s20, -1
                                        ; implicit-def: $sgpr78
                                        ; implicit-def: $sgpr79
	s_and_saveexec_b32 s2, s21
	s_xor_b32 s6, exec_lo, s2
	s_cbranch_execz .LBB138_279
; %bb.135:                              ;   in Loop: Header=BB138_18 Depth=1
	v_cmp_eq_u64_e32 vcc_lo, 1, v[4:5]
	s_cmp_eq_u64 s[14:15], 1
                                        ; implicit-def: $sgpr79
                                        ; implicit-def: $sgpr78
	s_cselect_b32 s2, -1, 0
	s_and_b32 s85, s2, vcc_lo
	s_and_saveexec_b32 s84, s85
	s_cbranch_execz .LBB138_169
; %bb.136:                              ;   in Loop: Header=BB138_18 Depth=1
	ds_read_b64 v[6:7], v3 offset:5120
	s_waitcnt lgkmcnt(0)
	s_barrier
	buffer_gl0_inv
	v_readfirstlane_b32 s20, v6
	v_readfirstlane_b32 s21, v7
	s_and_saveexec_b32 s2, s10
; %bb.137:                              ;   in Loop: Header=BB138_18 Depth=1
	ds_write_b8 v0, v3 offset:3072
; %bb.138:                              ;   in Loop: Header=BB138_18 Depth=1
	s_or_b32 exec_lo, exec_lo, s2
	s_lshl_b32 s2, 1, s69
	v_or_b32_e32 v9, s11, v9
	v_and_or_b32 v8, v8, s26, s2
	s_mov_b32 s78, -1
	s_mov_b32 s79, 0
	s_cmp_eq_u64 s[20:21], 0
	s_mov_b32 s24, 0
	s_mov_b32 s25, -1
	s_waitcnt lgkmcnt(0)
	s_barrier
	buffer_gl0_inv
                                        ; implicit-def: $vgpr10
	s_cbranch_scc1 .LBB138_154
; %bb.139:                              ;   in Loop: Header=BB138_18 Depth=1
	s_add_u32 s56, s20, s94
	s_addc_u32 s23, s21, s95
	s_mov_b32 s22, s73
	s_cmp_lg_u64 s[22:23], 0
	s_cbranch_scc0 .LBB138_195
; %bb.140:                              ;   in Loop: Header=BB138_18 Depth=1
	v_cvt_f32_u32_e32 v6, s33
	s_sub_u32 s22, 0, s33
	s_subb_u32 s24, 0, 0
	v_fmac_f32_e64 v6, 0x4f800000, 0
	v_rcp_f32_e32 v6, v6
	v_mul_f32_e32 v6, 0x5f7ffffc, v6
	v_mul_f32_e32 v7, 0x2f800000, v6
	v_trunc_f32_e32 v7, v7
	v_fmac_f32_e32 v6, 0xcf800000, v7
	v_cvt_u32_f32_e32 v7, v7
	v_cvt_u32_f32_e32 v6, v6
	v_readfirstlane_b32 s2, v7
	v_readfirstlane_b32 s7, v6
	s_mul_i32 s25, s22, s2
	s_mul_hi_u32 s72, s22, s7
	s_mul_i32 s62, s24, s7
	s_add_i32 s25, s72, s25
	s_mul_i32 s74, s22, s7
	s_add_i32 s25, s25, s62
	s_mul_hi_u32 s72, s7, s74
	s_mul_i32 s87, s7, s25
	s_mul_hi_u32 s86, s2, s74
	s_mul_i32 s62, s2, s74
	s_mul_hi_u32 s74, s7, s25
	s_add_u32 s72, s72, s87
	s_addc_u32 s74, 0, s74
	s_mul_hi_u32 s88, s2, s25
	s_add_u32 s62, s72, s62
	s_mul_i32 s25, s2, s25
	s_addc_u32 s62, s74, s86
	s_addc_u32 s72, s88, 0
	s_add_u32 s25, s62, s25
	s_addc_u32 s62, 0, s72
	s_add_u32 s7, s7, s25
	s_cselect_b32 s25, -1, 0
	s_mul_hi_u32 s72, s22, s7
	s_cmp_lg_u32 s25, 0
	s_mul_i32 s25, s22, s7
	s_addc_u32 s2, s2, s62
	s_mul_i32 s24, s24, s7
	s_mul_i32 s22, s22, s2
	s_mul_hi_u32 s62, s7, s25
	s_add_i32 s22, s72, s22
	s_mul_hi_u32 s72, s2, s25
	s_add_i32 s22, s22, s24
	s_mul_i32 s24, s2, s25
	s_mul_i32 s86, s7, s22
	s_mul_hi_u32 s74, s7, s22
	s_add_u32 s62, s62, s86
	s_addc_u32 s74, 0, s74
	s_mul_hi_u32 s25, s2, s22
	s_add_u32 s24, s62, s24
	s_mul_i32 s22, s2, s22
	s_addc_u32 s24, s74, s72
	s_addc_u32 s25, s25, 0
	s_add_u32 s22, s24, s22
	s_addc_u32 s24, 0, s25
	s_add_u32 s7, s7, s22
	s_cselect_b32 s22, -1, 0
	s_mul_hi_u32 s25, s56, s7
	s_cmp_lg_u32 s22, 0
	s_mul_hi_u32 s22, s23, s7
	s_addc_u32 s2, s2, s24
	s_mul_i32 s7, s23, s7
	s_mul_i32 s62, s56, s2
	s_mul_hi_u32 s24, s56, s2
	s_add_u32 s25, s25, s62
	s_addc_u32 s24, 0, s24
	s_mul_hi_u32 s72, s23, s2
	s_add_u32 s7, s25, s7
	s_mul_i32 s2, s23, s2
	s_addc_u32 s7, s24, s22
	s_addc_u32 s22, s72, 0
	s_add_u32 s2, s7, s2
	s_addc_u32 s7, 0, s22
	s_mul_hi_u32 s22, s33, s2
	s_mul_i32 s7, s33, s7
	s_mul_i32 s2, s33, s2
	s_add_i32 s22, s22, s7
	s_sub_u32 s2, s56, s2
	s_cselect_b32 s7, -1, 0
	s_cmp_lg_u32 s7, 0
	s_subb_u32 s7, s23, s22
	s_sub_u32 s22, s2, s33
	s_cselect_b32 s24, -1, 0
	s_cmp_lg_u32 s24, 0
	s_subb_u32 s24, s7, 0
	;; [unrolled: 4-line block ×3, first 2 shown]
	s_cmp_ge_u32 s22, s33
	s_cselect_b32 s72, -1, 0
	s_cmp_eq_u32 s24, 0
	s_cselect_b32 s72, s72, -1
	s_cmp_lg_u32 s72, 0
	s_cselect_b32 s24, s62, s24
	s_cselect_b32 s22, s25, s22
	s_cmp_ge_u32 s2, s33
	s_cselect_b32 s25, -1, 0
	s_cmp_eq_u32 s7, 0
	s_cselect_b32 s25, s25, -1
	s_cmp_lg_u32 s25, 0
	s_cselect_b32 s25, s24, s7
	s_cselect_b32 s24, s22, s2
	s_cbranch_execnz .LBB138_142
.LBB138_141:                            ;   in Loop: Header=BB138_18 Depth=1
	v_cvt_f32_u32_e32 v6, s33
	s_sub_i32 s7, 0, s33
	v_rcp_iflag_f32_e32 v6, v6
	v_mul_f32_e32 v6, 0x4f7ffffe, v6
	v_cvt_u32_f32_e32 v6, v6
	v_readfirstlane_b32 s2, v6
	s_mul_i32 s7, s7, s2
	s_mul_hi_u32 s7, s2, s7
	s_add_i32 s2, s2, s7
	s_mul_hi_u32 s2, s56, s2
	s_mul_i32 s2, s2, s33
	s_sub_i32 s2, s56, s2
	s_sub_i32 s7, s2, s33
	s_cmp_ge_u32 s2, s33
	s_cselect_b32 s2, s7, s2
	s_sub_i32 s7, s2, s33
	s_cmp_ge_u32 s2, s33
	s_cselect_b32 s72, s7, s2
	s_mov_b64 s[24:25], s[72:73]
.LBB138_142:                            ;   in Loop: Header=BB138_18 Depth=1
	s_sub_u32 s22, s56, s24
	s_subb_u32 s23, s23, s25
	s_mov_b32 s25, 0
	s_mov_b32 s24, 0
	s_mov_b32 s56, exec_lo
                                        ; implicit-def: $vgpr10
	v_cmpx_gt_u64_e64 s[22:23], v[0:1]
	s_cbranch_execz .LBB138_153
; %bb.143:                              ;   in Loop: Header=BB138_18 Depth=1
	v_mov_b32_e32 v7, v1
	v_mov_b32_e32 v10, v0
	;; [unrolled: 1-line block ×3, first 2 shown]
                                        ; implicit-def: $sgpr62
	s_inst_prefetch 0x1
	s_branch .LBB138_146
	.p2align	6
.LBB138_144:                            ;   in Loop: Header=BB138_146 Depth=2
	s_or_b32 exec_lo, exec_lo, s72
	s_waitcnt lgkmcnt(0)
	s_barrier
	buffer_gl0_inv
	ds_read_u16 v11, v3 offset:3072
	s_mov_b32 s7, -1
	s_mov_b32 s72, -1
	s_waitcnt lgkmcnt(0)
	s_barrier
	buffer_gl0_inv
	v_cmp_ne_u32_sdwa s2, v11, v3 src0_sel:BYTE_0 src1_sel:DWORD
	s_and_b32 vcc_lo, exec_lo, s2
	s_cbranch_vccz .LBB138_149
.LBB138_145:                            ;   in Loop: Header=BB138_146 Depth=2
	s_and_b32 s2, exec_lo, s7
	s_or_b32 s24, s2, s24
	s_andn2_b32 s2, s62, exec_lo
	s_and_b32 s7, s72, exec_lo
	s_or_b32 s62, s2, s7
	s_andn2_b32 exec_lo, exec_lo, s24
	s_cbranch_execz .LBB138_152
.LBB138_146:                            ;   Parent Loop BB138_18 Depth=1
                                        ; =>  This Inner Loop Header: Depth=2
	s_mov_b32 s72, exec_lo
	v_cmpx_gt_u64_e64 s[20:21], v[6:7]
	s_cbranch_execz .LBB138_144
; %bb.147:                              ;   in Loop: Header=BB138_146 Depth=2
	ds_read_u8 v11, v10
	s_waitcnt lgkmcnt(0)
	v_add_nc_u32_sdwa v21, sext(v11), v28 dst_sel:DWORD dst_unused:UNUSED_PAD src0_sel:BYTE_0 src1_sel:DWORD
	v_and_b32_e32 v21, v21, v9
	v_cmp_eq_u32_e32 vcc_lo, v21, v8
	s_and_b32 exec_lo, exec_lo, vcc_lo
	s_cbranch_execz .LBB138_144
; %bb.148:                              ;   in Loop: Header=BB138_146 Depth=2
	v_lshlrev_b16 v11, 8, v11
	v_or_b32_e32 v11, 1, v11
	ds_write_b16 v3, v11 offset:3072
	s_branch .LBB138_144
.LBB138_149:                            ;   in Loop: Header=BB138_146 Depth=2
	v_add_co_u32 v6, vcc_lo, v6, s33
	v_add_co_ci_u32_e64 v7, null, 0, v7, vcc_lo
	v_add_nc_u32_e32 v10, s33, v10
	s_mov_b32 s72, 0
	v_cmp_le_u64_e32 vcc_lo, s[22:23], v[6:7]
	s_orn2_b32 s7, vcc_lo, exec_lo
	s_branch .LBB138_145
.LBB138_150:                            ;   in Loop: Header=BB138_18 Depth=1
                                        ; implicit-def: $sgpr24_sgpr25
	s_branch .LBB138_95
.LBB138_151:                            ;   in Loop: Header=BB138_18 Depth=1
                                        ; implicit-def: $sgpr20_sgpr21
	s_branch .LBB138_112
.LBB138_152:                            ;   in Loop: Header=BB138_18 Depth=1
	s_inst_prefetch 0x2
	s_or_b32 exec_lo, exec_lo, s24
	v_lshrrev_b32_sdwa v10, v29, v11 dst_sel:DWORD dst_unused:UNUSED_PAD src0_sel:DWORD src1_sel:WORD_0
	s_and_b32 s24, s62, exec_lo
.LBB138_153:                            ;   in Loop: Header=BB138_18 Depth=1
	s_or_b32 exec_lo, exec_lo, s56
.LBB138_154:                            ;   in Loop: Header=BB138_18 Depth=1
	s_and_b32 vcc_lo, exec_lo, s25
	s_cbranch_vccz .LBB138_168
; %bb.155:                              ;   in Loop: Header=BB138_18 Depth=1
	s_mov_b32 s74, s73
	s_cmp_lg_u64 s[74:75], 0
	s_cbranch_scc0 .LBB138_196
; %bb.156:                              ;   in Loop: Header=BB138_18 Depth=1
	v_cvt_f32_u32_e32 v6, s33
	s_sub_u32 s20, 0, s33
	s_subb_u32 s21, 0, 0
	v_fmac_f32_e64 v6, 0x4f800000, 0
	v_rcp_f32_e32 v6, v6
	v_mul_f32_e32 v6, 0x5f7ffffc, v6
	v_mul_f32_e32 v7, 0x2f800000, v6
	v_trunc_f32_e32 v7, v7
	v_fmac_f32_e32 v6, 0xcf800000, v7
	v_cvt_u32_f32_e32 v7, v7
	v_cvt_u32_f32_e32 v6, v6
	v_readfirstlane_b32 s2, v7
	v_readfirstlane_b32 s7, v6
	s_mul_i32 s22, s20, s2
	s_mul_hi_u32 s25, s20, s7
	s_mul_i32 s23, s21, s7
	s_add_i32 s22, s25, s22
	s_mul_i32 s56, s20, s7
	s_add_i32 s22, s22, s23
	s_mul_hi_u32 s25, s7, s56
	s_mul_i32 s72, s7, s22
	s_mul_hi_u32 s62, s2, s56
	s_mul_i32 s23, s2, s56
	s_mul_hi_u32 s56, s7, s22
	s_add_u32 s25, s25, s72
	s_addc_u32 s56, 0, s56
	s_mul_hi_u32 s74, s2, s22
	s_add_u32 s23, s25, s23
	s_mul_i32 s22, s2, s22
	s_addc_u32 s23, s56, s62
	s_addc_u32 s25, s74, 0
	s_add_u32 s22, s23, s22
	s_addc_u32 s23, 0, s25
	s_add_u32 s7, s7, s22
	s_cselect_b32 s22, -1, 0
	s_mul_hi_u32 s25, s20, s7
	s_cmp_lg_u32 s22, 0
	s_mul_i32 s22, s20, s7
	s_addc_u32 s2, s2, s23
	s_mul_i32 s21, s21, s7
	s_mul_i32 s20, s20, s2
	s_mul_hi_u32 s23, s7, s22
	s_add_i32 s20, s25, s20
	s_mul_hi_u32 s25, s2, s22
	s_add_i32 s20, s20, s21
	s_mul_i32 s21, s2, s22
	s_mul_i32 s62, s7, s20
	s_mul_hi_u32 s56, s7, s20
	s_add_u32 s23, s23, s62
	s_addc_u32 s56, 0, s56
	s_mul_hi_u32 s22, s2, s20
	s_add_u32 s21, s23, s21
	s_mul_i32 s20, s2, s20
	s_addc_u32 s21, s56, s25
	s_addc_u32 s22, s22, 0
	s_add_u32 s20, s21, s20
	s_addc_u32 s21, 0, s22
	s_add_u32 s7, s7, s20
	s_cselect_b32 s20, -1, 0
	s_mul_hi_u32 s22, s96, s7
	s_cmp_lg_u32 s20, 0
	s_mul_hi_u32 s20, s75, s7
	s_addc_u32 s2, s2, s21
	s_mul_i32 s7, s75, s7
	s_mul_i32 s23, s96, s2
	s_mul_hi_u32 s21, s96, s2
	s_add_u32 s22, s22, s23
	s_addc_u32 s21, 0, s21
	s_mul_hi_u32 s25, s75, s2
	s_add_u32 s7, s22, s7
	s_mul_i32 s2, s75, s2
	s_addc_u32 s7, s21, s20
	s_addc_u32 s20, s25, 0
	s_add_u32 s2, s7, s2
	s_addc_u32 s7, 0, s20
	s_mul_hi_u32 s20, s33, s2
	s_mul_i32 s7, s33, s7
	s_mul_i32 s2, s33, s2
	s_add_i32 s20, s20, s7
	s_sub_u32 s2, s96, s2
	s_cselect_b32 s7, -1, 0
	s_cmp_lg_u32 s7, 0
	s_subb_u32 s7, s75, s20
	s_sub_u32 s20, s2, s33
	s_cselect_b32 s21, -1, 0
	s_cmp_lg_u32 s21, 0
	s_subb_u32 s21, s7, 0
	s_sub_u32 s22, s20, s33
	s_cselect_b32 s23, -1, 0
	s_cmp_lg_u32 s23, 0
	s_subb_u32 s23, s21, 0
	s_cmp_ge_u32 s20, s33
	s_cselect_b32 s25, -1, 0
	s_cmp_eq_u32 s21, 0
	s_cselect_b32 s25, s25, -1
	s_cmp_lg_u32 s25, 0
	s_cselect_b32 s21, s23, s21
	s_cselect_b32 s20, s22, s20
	s_cmp_ge_u32 s2, s33
	s_cselect_b32 s22, -1, 0
	s_cmp_eq_u32 s7, 0
	s_cselect_b32 s22, s22, -1
	s_cmp_lg_u32 s22, 0
	s_cselect_b32 s21, s21, s7
	s_cselect_b32 s20, s20, s2
	s_cbranch_execnz .LBB138_158
.LBB138_157:                            ;   in Loop: Header=BB138_18 Depth=1
	v_cvt_f32_u32_e32 v6, s33
	s_sub_i32 s7, 0, s33
	v_rcp_iflag_f32_e32 v6, v6
	v_mul_f32_e32 v6, 0x4f7ffffe, v6
	v_cvt_u32_f32_e32 v6, v6
	v_readfirstlane_b32 s2, v6
	s_mul_i32 s7, s7, s2
	s_mul_hi_u32 s7, s2, s7
	s_add_i32 s2, s2, s7
	s_mul_hi_u32 s2, s96, s2
	s_mul_i32 s2, s2, s33
	s_sub_i32 s2, s96, s2
	s_sub_i32 s7, s2, s33
	s_cmp_ge_u32 s2, s33
	s_cselect_b32 s2, s7, s2
	s_sub_i32 s7, s2, s33
	s_cmp_ge_u32 s2, s33
	s_cselect_b32 s72, s7, s2
	s_mov_b64 s[20:21], s[72:73]
.LBB138_158:                            ;   in Loop: Header=BB138_18 Depth=1
	s_sub_u32 s20, s96, s20
	s_subb_u32 s21, s75, s21
	s_mov_b32 s22, exec_lo
                                        ; implicit-def: $vgpr10
	v_cmpx_gt_u64_e64 s[20:21], v[0:1]
	s_cbranch_execz .LBB138_167
; %bb.159:                              ;   in Loop: Header=BB138_18 Depth=1
	v_mov_b32_e32 v7, v1
	v_mov_b32_e32 v6, v0
	s_mov_b32 s23, 0
                                        ; implicit-def: $sgpr25
	s_branch .LBB138_162
.LBB138_160:                            ;   in Loop: Header=BB138_162 Depth=2
	s_or_b32 exec_lo, exec_lo, s56
	s_waitcnt lgkmcnt(0)
	s_barrier
	buffer_gl0_inv
	ds_read_u16 v10, v3 offset:3072
	s_mov_b32 s7, -1
	s_waitcnt lgkmcnt(0)
	s_barrier
	buffer_gl0_inv
	v_cmp_eq_u32_sdwa s2, v10, v3 src0_sel:BYTE_0 src1_sel:DWORD
	s_and_b32 vcc_lo, exec_lo, s2
	s_mov_b32 s2, -1
	s_cbranch_vccnz .LBB138_165
.LBB138_161:                            ;   in Loop: Header=BB138_162 Depth=2
	s_and_b32 s7, exec_lo, s7
	s_or_b32 s23, s7, s23
	s_andn2_b32 s7, s25, exec_lo
	s_and_b32 s2, s2, exec_lo
	s_or_b32 s25, s7, s2
	s_andn2_b32 exec_lo, exec_lo, s23
	s_cbranch_execz .LBB138_166
.LBB138_162:                            ;   Parent Loop BB138_18 Depth=1
                                        ; =>  This Inner Loop Header: Depth=2
	s_mov_b32 s56, exec_lo
	v_cmpx_gt_u64_e64 s[36:37], v[6:7]
	s_cbranch_execz .LBB138_160
; %bb.163:                              ;   in Loop: Header=BB138_162 Depth=2
	v_mul_lo_u32 v21, v6, s31
	v_mul_lo_u32 v22, v7, s30
	v_mad_u64_u32 v[10:11], null, v6, s30, s[28:29]
	v_add3_u32 v11, v22, v11, v21
	global_load_ubyte v10, v[10:11], off
	s_waitcnt vmcnt(0)
	v_add_nc_u32_sdwa v11, sext(v10), v28 dst_sel:DWORD dst_unused:UNUSED_PAD src0_sel:BYTE_0 src1_sel:DWORD
	v_and_b32_e32 v11, v11, v9
	v_cmp_eq_u32_e32 vcc_lo, v11, v8
	s_and_b32 exec_lo, exec_lo, vcc_lo
	s_cbranch_execz .LBB138_160
; %bb.164:                              ;   in Loop: Header=BB138_162 Depth=2
	v_lshlrev_b16 v10, 8, v10
	v_or_b32_e32 v10, 1, v10
	ds_write_b16 v3, v10 offset:3072
	s_branch .LBB138_160
.LBB138_165:                            ;   in Loop: Header=BB138_162 Depth=2
	v_add_co_u32 v6, vcc_lo, v6, s33
	v_add_co_ci_u32_e64 v7, null, 0, v7, vcc_lo
	s_mov_b32 s2, 0
	v_cmp_le_u64_e32 vcc_lo, s[20:21], v[6:7]
	s_orn2_b32 s7, vcc_lo, exec_lo
	s_branch .LBB138_161
.LBB138_166:                            ;   in Loop: Header=BB138_18 Depth=1
	s_or_b32 exec_lo, exec_lo, s23
	v_lshrrev_b32_sdwa v10, v29, v10 dst_sel:DWORD dst_unused:UNUSED_PAD src0_sel:DWORD src1_sel:WORD_0
	s_andn2_b32 s2, s24, exec_lo
	s_and_b32 s7, s25, exec_lo
	s_or_b32 s24, s2, s7
.LBB138_167:                            ;   in Loop: Header=BB138_18 Depth=1
	s_or_b32 exec_lo, exec_lo, s22
	s_mov_b32 s78, 0
	s_mov_b32 s79, -1
.LBB138_168:                            ;   in Loop: Header=BB138_18 Depth=1
	s_orn2_b32 s20, s24, exec_lo
.LBB138_169:                            ;   in Loop: Header=BB138_18 Depth=1
	s_or_b32 exec_lo, exec_lo, s84
	s_mov_b32 s21, 0
	s_and_saveexec_b32 s84, s20
	s_cbranch_execz .LBB138_278
; %bb.170:                              ;   in Loop: Header=BB138_18 Depth=1
	v_mov_b32_e32 v6, 1
	v_mov_b32_e32 v7, 0
	;; [unrolled: 1-line block ×3, first 2 shown]
	s_xor_b32 s2, s85, -1
	s_and_saveexec_b32 s20, s2
	s_cbranch_execz .LBB138_179
; %bb.171:                              ;   in Loop: Header=BB138_18 Depth=1
	s_mov_b32 s2, exec_lo
	v_cmpx_ge_u64_e64 s[14:15], v[4:5]
	s_xor_b32 s21, exec_lo, s2
	s_cbranch_execz .LBB138_176
; %bb.172:                              ;   in Loop: Header=BB138_18 Depth=1
	ds_read_b64 v[6:7], v3 offset:5120
	s_lshl_b32 s2, 1, s69
	v_or_b32_e32 v9, s11, v9
	v_and_or_b32 v8, v8, s26, s2
	s_waitcnt lgkmcnt(0)
	v_cmp_ne_u64_e32 vcc_lo, 0, v[6:7]
	s_cbranch_vccnz .LBB138_176
; %bb.173:                              ;   in Loop: Header=BB138_18 Depth=1
	s_and_saveexec_b32 s2, s3
; %bb.174:                              ;   in Loop: Header=BB138_18 Depth=1
	v_mov_b32_e32 v6, s14
	v_mov_b32_e32 v7, s15
	ds_write_b64 v3, v[6:7] offset:5128
; %bb.175:                              ;   in Loop: Header=BB138_18 Depth=1
	s_or_b32 exec_lo, exec_lo, s2
	s_waitcnt lgkmcnt(0)
	s_barrier
	buffer_gl0_inv
.LBB138_176:                            ;   in Loop: Header=BB138_18 Depth=1
	s_or_saveexec_b32 s21, s21
	v_mov_b32_e32 v2, 8
	s_mov_b32 s22, 0
	s_xor_b32 exec_lo, exec_lo, s21
; %bb.177:                              ;   in Loop: Header=BB138_18 Depth=1
	v_sub_co_u32 v4, vcc_lo, v4, s14
	v_subrev_co_ci_u32_e64 v5, null, s15, v5, vcc_lo
	v_mov_b32_e32 v2, 0
	s_mov_b32 s22, exec_lo
; %bb.178:                              ;   in Loop: Header=BB138_18 Depth=1
	s_or_b32 exec_lo, exec_lo, s21
	v_mov_b32_e32 v7, v5
	v_mov_b32_e32 v6, v4
	s_and_b32 s21, s22, exec_lo
.LBB138_179:                            ;   in Loop: Header=BB138_18 Depth=1
	s_or_b32 exec_lo, exec_lo, s20
	s_mov_b32 s20, -1
                                        ; implicit-def: $sgpr86
                                        ; implicit-def: $sgpr87
	s_and_saveexec_b32 s85, s21
	s_cbranch_execz .LBB138_277
; %bb.180:                              ;   in Loop: Header=BB138_18 Depth=1
	v_cmp_eq_u64_e32 vcc_lo, 1, v[6:7]
	s_cmp_eq_u64 s[16:17], 1
                                        ; implicit-def: $sgpr87
                                        ; implicit-def: $sgpr86
	s_cselect_b32 s2, -1, 0
	s_and_b32 s89, s2, vcc_lo
	s_and_saveexec_b32 s88, s89
	s_cbranch_execz .LBB138_214
; %bb.181:                              ;   in Loop: Header=BB138_18 Depth=1
	ds_read_b64 v[4:5], v3 offset:5120
	s_waitcnt lgkmcnt(0)
	s_barrier
	buffer_gl0_inv
	v_readfirstlane_b32 s20, v4
	v_readfirstlane_b32 s21, v5
	s_and_saveexec_b32 s2, s10
; %bb.182:                              ;   in Loop: Header=BB138_18 Depth=1
	ds_write_b8 v0, v3 offset:3072
; %bb.183:                              ;   in Loop: Header=BB138_18 Depth=1
	s_or_b32 exec_lo, exec_lo, s2
	s_lshl_b32 s2, 2, s69
	v_or_b32_e32 v9, s11, v9
	v_and_or_b32 v8, v8, s26, s2
	s_mov_b32 s86, -1
	s_mov_b32 s87, 0
	s_cmp_eq_u64 s[20:21], 0
	s_mov_b32 s24, 0
	s_mov_b32 s25, -1
	s_waitcnt lgkmcnt(0)
	s_barrier
	buffer_gl0_inv
                                        ; implicit-def: $vgpr10
	s_cbranch_scc1 .LBB138_199
; %bb.184:                              ;   in Loop: Header=BB138_18 Depth=1
	s_add_u32 s56, s20, s94
	s_addc_u32 s23, s21, s95
	s_mov_b32 s22, s73
	s_cmp_lg_u64 s[22:23], 0
	s_cbranch_scc0 .LBB138_231
; %bb.185:                              ;   in Loop: Header=BB138_18 Depth=1
	v_cvt_f32_u32_e32 v4, s33
	s_sub_u32 s22, 0, s33
	s_subb_u32 s24, 0, 0
	v_fmac_f32_e64 v4, 0x4f800000, 0
	v_rcp_f32_e32 v4, v4
	v_mul_f32_e32 v4, 0x5f7ffffc, v4
	v_mul_f32_e32 v5, 0x2f800000, v4
	v_trunc_f32_e32 v5, v5
	v_fmac_f32_e32 v4, 0xcf800000, v5
	v_cvt_u32_f32_e32 v5, v5
	v_cvt_u32_f32_e32 v4, v4
	v_readfirstlane_b32 s2, v5
	v_readfirstlane_b32 s7, v4
	s_mul_i32 s25, s22, s2
	s_mul_hi_u32 s72, s22, s7
	s_mul_i32 s62, s24, s7
	s_add_i32 s25, s72, s25
	s_mul_i32 s74, s22, s7
	s_add_i32 s25, s25, s62
	s_mul_hi_u32 s72, s7, s74
	s_mul_i32 s91, s7, s25
	s_mul_hi_u32 s90, s2, s74
	s_mul_i32 s62, s2, s74
	s_mul_hi_u32 s74, s7, s25
	s_add_u32 s72, s72, s91
	s_addc_u32 s74, 0, s74
	s_mul_hi_u32 vcc_lo, s2, s25
	s_add_u32 s62, s72, s62
	s_mul_i32 s25, s2, s25
	s_addc_u32 s62, s74, s90
	s_addc_u32 s72, vcc_lo, 0
	s_add_u32 s25, s62, s25
	s_addc_u32 s62, 0, s72
	s_add_u32 s7, s7, s25
	s_cselect_b32 s25, -1, 0
	s_mul_hi_u32 s72, s22, s7
	s_cmp_lg_u32 s25, 0
	s_mul_i32 s25, s22, s7
	s_addc_u32 s2, s2, s62
	s_mul_i32 s24, s24, s7
	s_mul_i32 s22, s22, s2
	s_mul_hi_u32 s62, s7, s25
	s_add_i32 s22, s72, s22
	s_mul_hi_u32 s72, s2, s25
	s_add_i32 s22, s22, s24
	s_mul_i32 s24, s2, s25
	s_mul_i32 s90, s7, s22
	s_mul_hi_u32 s74, s7, s22
	s_add_u32 s62, s62, s90
	s_addc_u32 s74, 0, s74
	s_mul_hi_u32 s25, s2, s22
	s_add_u32 s24, s62, s24
	s_mul_i32 s22, s2, s22
	s_addc_u32 s24, s74, s72
	s_addc_u32 s25, s25, 0
	s_add_u32 s22, s24, s22
	s_addc_u32 s24, 0, s25
	s_add_u32 s7, s7, s22
	s_cselect_b32 s22, -1, 0
	s_mul_hi_u32 s25, s56, s7
	s_cmp_lg_u32 s22, 0
	s_mul_hi_u32 s22, s23, s7
	s_addc_u32 s2, s2, s24
	s_mul_i32 s7, s23, s7
	s_mul_i32 s62, s56, s2
	s_mul_hi_u32 s24, s56, s2
	s_add_u32 s25, s25, s62
	s_addc_u32 s24, 0, s24
	s_mul_hi_u32 s72, s23, s2
	s_add_u32 s7, s25, s7
	s_mul_i32 s2, s23, s2
	s_addc_u32 s7, s24, s22
	s_addc_u32 s22, s72, 0
	s_add_u32 s2, s7, s2
	s_addc_u32 s7, 0, s22
	s_mul_hi_u32 s22, s33, s2
	s_mul_i32 s7, s33, s7
	s_mul_i32 s2, s33, s2
	s_add_i32 s22, s22, s7
	s_sub_u32 s2, s56, s2
	s_cselect_b32 s7, -1, 0
	s_cmp_lg_u32 s7, 0
	s_subb_u32 s7, s23, s22
	s_sub_u32 s22, s2, s33
	s_cselect_b32 s24, -1, 0
	s_cmp_lg_u32 s24, 0
	s_subb_u32 s24, s7, 0
	;; [unrolled: 4-line block ×3, first 2 shown]
	s_cmp_ge_u32 s22, s33
	s_cselect_b32 s72, -1, 0
	s_cmp_eq_u32 s24, 0
	s_cselect_b32 s72, s72, -1
	s_cmp_lg_u32 s72, 0
	s_cselect_b32 s24, s62, s24
	s_cselect_b32 s22, s25, s22
	s_cmp_ge_u32 s2, s33
	s_cselect_b32 s25, -1, 0
	s_cmp_eq_u32 s7, 0
	s_cselect_b32 s25, s25, -1
	s_cmp_lg_u32 s25, 0
	s_cselect_b32 s25, s24, s7
	s_cselect_b32 s24, s22, s2
	s_cbranch_execnz .LBB138_187
.LBB138_186:                            ;   in Loop: Header=BB138_18 Depth=1
	v_cvt_f32_u32_e32 v4, s33
	s_sub_i32 s7, 0, s33
	v_rcp_iflag_f32_e32 v4, v4
	v_mul_f32_e32 v4, 0x4f7ffffe, v4
	v_cvt_u32_f32_e32 v4, v4
	v_readfirstlane_b32 s2, v4
	s_mul_i32 s7, s7, s2
	s_mul_hi_u32 s7, s2, s7
	s_add_i32 s2, s2, s7
	s_mul_hi_u32 s2, s56, s2
	s_mul_i32 s2, s2, s33
	s_sub_i32 s2, s56, s2
	s_sub_i32 s7, s2, s33
	s_cmp_ge_u32 s2, s33
	s_cselect_b32 s2, s7, s2
	s_sub_i32 s7, s2, s33
	s_cmp_ge_u32 s2, s33
	s_cselect_b32 s72, s7, s2
	s_mov_b64 s[24:25], s[72:73]
.LBB138_187:                            ;   in Loop: Header=BB138_18 Depth=1
	s_sub_u32 s22, s56, s24
	s_subb_u32 s23, s23, s25
	s_mov_b32 s25, 0
	s_mov_b32 s24, 0
	s_mov_b32 s56, exec_lo
                                        ; implicit-def: $vgpr10
	v_cmpx_gt_u64_e64 s[22:23], v[0:1]
	s_cbranch_execz .LBB138_198
; %bb.188:                              ;   in Loop: Header=BB138_18 Depth=1
	v_mov_b32_e32 v5, v1
	v_mov_b32_e32 v10, v0
	;; [unrolled: 1-line block ×3, first 2 shown]
                                        ; implicit-def: $sgpr62
	s_inst_prefetch 0x1
	s_branch .LBB138_191
	.p2align	6
.LBB138_189:                            ;   in Loop: Header=BB138_191 Depth=2
	s_or_b32 exec_lo, exec_lo, s72
	s_waitcnt lgkmcnt(0)
	s_barrier
	buffer_gl0_inv
	ds_read_u16 v11, v3 offset:3072
	s_mov_b32 s7, -1
	s_mov_b32 s72, -1
	s_waitcnt lgkmcnt(0)
	s_barrier
	buffer_gl0_inv
	v_cmp_ne_u32_sdwa s2, v11, v3 src0_sel:BYTE_0 src1_sel:DWORD
	s_and_b32 vcc_lo, exec_lo, s2
	s_cbranch_vccz .LBB138_194
.LBB138_190:                            ;   in Loop: Header=BB138_191 Depth=2
	s_and_b32 s2, exec_lo, s7
	s_or_b32 s24, s2, s24
	s_andn2_b32 s2, s62, exec_lo
	s_and_b32 s7, s72, exec_lo
	s_or_b32 s62, s2, s7
	s_andn2_b32 exec_lo, exec_lo, s24
	s_cbranch_execz .LBB138_197
.LBB138_191:                            ;   Parent Loop BB138_18 Depth=1
                                        ; =>  This Inner Loop Header: Depth=2
	s_mov_b32 s72, exec_lo
	v_cmpx_gt_u64_e64 s[20:21], v[4:5]
	s_cbranch_execz .LBB138_189
; %bb.192:                              ;   in Loop: Header=BB138_191 Depth=2
	ds_read_u8 v11, v10
	s_waitcnt lgkmcnt(0)
	v_add_nc_u32_sdwa v21, sext(v11), v28 dst_sel:DWORD dst_unused:UNUSED_PAD src0_sel:BYTE_0 src1_sel:DWORD
	v_and_b32_e32 v21, v21, v9
	v_cmp_eq_u32_e32 vcc_lo, v21, v8
	s_and_b32 exec_lo, exec_lo, vcc_lo
	s_cbranch_execz .LBB138_189
; %bb.193:                              ;   in Loop: Header=BB138_191 Depth=2
	v_lshlrev_b16 v11, 8, v11
	v_or_b32_e32 v11, 1, v11
	ds_write_b16 v3, v11 offset:3072
	s_branch .LBB138_189
.LBB138_194:                            ;   in Loop: Header=BB138_191 Depth=2
	v_add_co_u32 v4, vcc_lo, v4, s33
	v_add_co_ci_u32_e64 v5, null, 0, v5, vcc_lo
	v_add_nc_u32_e32 v10, s33, v10
	s_mov_b32 s72, 0
	v_cmp_le_u64_e32 vcc_lo, s[22:23], v[4:5]
	s_orn2_b32 s7, vcc_lo, exec_lo
	s_branch .LBB138_190
.LBB138_195:                            ;   in Loop: Header=BB138_18 Depth=1
                                        ; implicit-def: $sgpr24_sgpr25
	s_branch .LBB138_141
.LBB138_196:                            ;   in Loop: Header=BB138_18 Depth=1
                                        ; implicit-def: $sgpr20_sgpr21
	s_branch .LBB138_157
.LBB138_197:                            ;   in Loop: Header=BB138_18 Depth=1
	s_inst_prefetch 0x2
	s_or_b32 exec_lo, exec_lo, s24
	v_lshrrev_b32_sdwa v10, v29, v11 dst_sel:DWORD dst_unused:UNUSED_PAD src0_sel:DWORD src1_sel:WORD_0
	s_and_b32 s24, s62, exec_lo
.LBB138_198:                            ;   in Loop: Header=BB138_18 Depth=1
	s_or_b32 exec_lo, exec_lo, s56
.LBB138_199:                            ;   in Loop: Header=BB138_18 Depth=1
	s_and_b32 vcc_lo, exec_lo, s25
	s_cbranch_vccz .LBB138_213
; %bb.200:                              ;   in Loop: Header=BB138_18 Depth=1
	s_mov_b32 s74, s73
	s_cmp_lg_u64 s[74:75], 0
	s_cbranch_scc0 .LBB138_232
; %bb.201:                              ;   in Loop: Header=BB138_18 Depth=1
	v_cvt_f32_u32_e32 v4, s33
	s_sub_u32 s20, 0, s33
	s_subb_u32 s21, 0, 0
	v_fmac_f32_e64 v4, 0x4f800000, 0
	v_rcp_f32_e32 v4, v4
	v_mul_f32_e32 v4, 0x5f7ffffc, v4
	v_mul_f32_e32 v5, 0x2f800000, v4
	v_trunc_f32_e32 v5, v5
	v_fmac_f32_e32 v4, 0xcf800000, v5
	v_cvt_u32_f32_e32 v5, v5
	v_cvt_u32_f32_e32 v4, v4
	v_readfirstlane_b32 s2, v5
	v_readfirstlane_b32 s7, v4
	s_mul_i32 s22, s20, s2
	s_mul_hi_u32 s25, s20, s7
	s_mul_i32 s23, s21, s7
	s_add_i32 s22, s25, s22
	s_mul_i32 s56, s20, s7
	s_add_i32 s22, s22, s23
	s_mul_hi_u32 s25, s7, s56
	s_mul_i32 s72, s7, s22
	s_mul_hi_u32 s62, s2, s56
	s_mul_i32 s23, s2, s56
	s_mul_hi_u32 s56, s7, s22
	s_add_u32 s25, s25, s72
	s_addc_u32 s56, 0, s56
	s_mul_hi_u32 s74, s2, s22
	s_add_u32 s23, s25, s23
	s_mul_i32 s22, s2, s22
	s_addc_u32 s23, s56, s62
	s_addc_u32 s25, s74, 0
	s_add_u32 s22, s23, s22
	s_addc_u32 s23, 0, s25
	s_add_u32 s7, s7, s22
	s_cselect_b32 s22, -1, 0
	s_mul_hi_u32 s25, s20, s7
	s_cmp_lg_u32 s22, 0
	s_mul_i32 s22, s20, s7
	s_addc_u32 s2, s2, s23
	s_mul_i32 s21, s21, s7
	s_mul_i32 s20, s20, s2
	s_mul_hi_u32 s23, s7, s22
	s_add_i32 s20, s25, s20
	s_mul_hi_u32 s25, s2, s22
	s_add_i32 s20, s20, s21
	s_mul_i32 s21, s2, s22
	s_mul_i32 s62, s7, s20
	s_mul_hi_u32 s56, s7, s20
	s_add_u32 s23, s23, s62
	s_addc_u32 s56, 0, s56
	s_mul_hi_u32 s22, s2, s20
	s_add_u32 s21, s23, s21
	s_mul_i32 s20, s2, s20
	s_addc_u32 s21, s56, s25
	s_addc_u32 s22, s22, 0
	s_add_u32 s20, s21, s20
	s_addc_u32 s21, 0, s22
	s_add_u32 s7, s7, s20
	s_cselect_b32 s20, -1, 0
	s_mul_hi_u32 s22, s96, s7
	s_cmp_lg_u32 s20, 0
	s_mul_hi_u32 s20, s75, s7
	s_addc_u32 s2, s2, s21
	s_mul_i32 s7, s75, s7
	s_mul_i32 s23, s96, s2
	s_mul_hi_u32 s21, s96, s2
	s_add_u32 s22, s22, s23
	s_addc_u32 s21, 0, s21
	s_mul_hi_u32 s25, s75, s2
	s_add_u32 s7, s22, s7
	s_mul_i32 s2, s75, s2
	s_addc_u32 s7, s21, s20
	s_addc_u32 s20, s25, 0
	s_add_u32 s2, s7, s2
	s_addc_u32 s7, 0, s20
	s_mul_hi_u32 s20, s33, s2
	s_mul_i32 s7, s33, s7
	s_mul_i32 s2, s33, s2
	s_add_i32 s20, s20, s7
	s_sub_u32 s2, s96, s2
	s_cselect_b32 s7, -1, 0
	s_cmp_lg_u32 s7, 0
	s_subb_u32 s7, s75, s20
	s_sub_u32 s20, s2, s33
	s_cselect_b32 s21, -1, 0
	s_cmp_lg_u32 s21, 0
	s_subb_u32 s21, s7, 0
	;; [unrolled: 4-line block ×3, first 2 shown]
	s_cmp_ge_u32 s20, s33
	s_cselect_b32 s25, -1, 0
	s_cmp_eq_u32 s21, 0
	s_cselect_b32 s25, s25, -1
	s_cmp_lg_u32 s25, 0
	s_cselect_b32 s21, s23, s21
	s_cselect_b32 s20, s22, s20
	s_cmp_ge_u32 s2, s33
	s_cselect_b32 s22, -1, 0
	s_cmp_eq_u32 s7, 0
	s_cselect_b32 s22, s22, -1
	s_cmp_lg_u32 s22, 0
	s_cselect_b32 s21, s21, s7
	s_cselect_b32 s20, s20, s2
	s_cbranch_execnz .LBB138_203
.LBB138_202:                            ;   in Loop: Header=BB138_18 Depth=1
	v_cvt_f32_u32_e32 v4, s33
	s_sub_i32 s7, 0, s33
	v_rcp_iflag_f32_e32 v4, v4
	v_mul_f32_e32 v4, 0x4f7ffffe, v4
	v_cvt_u32_f32_e32 v4, v4
	v_readfirstlane_b32 s2, v4
	s_mul_i32 s7, s7, s2
	s_mul_hi_u32 s7, s2, s7
	s_add_i32 s2, s2, s7
	s_mul_hi_u32 s2, s96, s2
	s_mul_i32 s2, s2, s33
	s_sub_i32 s2, s96, s2
	s_sub_i32 s7, s2, s33
	s_cmp_ge_u32 s2, s33
	s_cselect_b32 s2, s7, s2
	s_sub_i32 s7, s2, s33
	s_cmp_ge_u32 s2, s33
	s_cselect_b32 s72, s7, s2
	s_mov_b64 s[20:21], s[72:73]
.LBB138_203:                            ;   in Loop: Header=BB138_18 Depth=1
	s_sub_u32 s20, s96, s20
	s_subb_u32 s21, s75, s21
	s_mov_b32 s22, exec_lo
                                        ; implicit-def: $vgpr10
	v_cmpx_gt_u64_e64 s[20:21], v[0:1]
	s_cbranch_execz .LBB138_212
; %bb.204:                              ;   in Loop: Header=BB138_18 Depth=1
	v_mov_b32_e32 v5, v1
	v_mov_b32_e32 v4, v0
	s_mov_b32 s23, 0
                                        ; implicit-def: $sgpr25
	s_branch .LBB138_207
.LBB138_205:                            ;   in Loop: Header=BB138_207 Depth=2
	s_or_b32 exec_lo, exec_lo, s56
	s_waitcnt lgkmcnt(0)
	s_barrier
	buffer_gl0_inv
	ds_read_u16 v10, v3 offset:3072
	s_mov_b32 s7, -1
	s_waitcnt lgkmcnt(0)
	s_barrier
	buffer_gl0_inv
	v_cmp_eq_u32_sdwa s2, v10, v3 src0_sel:BYTE_0 src1_sel:DWORD
	s_and_b32 vcc_lo, exec_lo, s2
	s_mov_b32 s2, -1
	s_cbranch_vccnz .LBB138_210
.LBB138_206:                            ;   in Loop: Header=BB138_207 Depth=2
	s_and_b32 s7, exec_lo, s7
	s_or_b32 s23, s7, s23
	s_andn2_b32 s7, s25, exec_lo
	s_and_b32 s2, s2, exec_lo
	s_or_b32 s25, s7, s2
	s_andn2_b32 exec_lo, exec_lo, s23
	s_cbranch_execz .LBB138_211
.LBB138_207:                            ;   Parent Loop BB138_18 Depth=1
                                        ; =>  This Inner Loop Header: Depth=2
	s_mov_b32 s56, exec_lo
	v_cmpx_gt_u64_e64 s[36:37], v[4:5]
	s_cbranch_execz .LBB138_205
; %bb.208:                              ;   in Loop: Header=BB138_207 Depth=2
	v_mul_lo_u32 v21, v4, s31
	v_mul_lo_u32 v22, v5, s30
	v_mad_u64_u32 v[10:11], null, v4, s30, s[28:29]
	v_add3_u32 v11, v22, v11, v21
	global_load_ubyte v10, v[10:11], off
	s_waitcnt vmcnt(0)
	v_add_nc_u32_sdwa v11, sext(v10), v28 dst_sel:DWORD dst_unused:UNUSED_PAD src0_sel:BYTE_0 src1_sel:DWORD
	v_and_b32_e32 v11, v11, v9
	v_cmp_eq_u32_e32 vcc_lo, v11, v8
	s_and_b32 exec_lo, exec_lo, vcc_lo
	s_cbranch_execz .LBB138_205
; %bb.209:                              ;   in Loop: Header=BB138_207 Depth=2
	v_lshlrev_b16 v10, 8, v10
	v_or_b32_e32 v10, 1, v10
	ds_write_b16 v3, v10 offset:3072
	s_branch .LBB138_205
.LBB138_210:                            ;   in Loop: Header=BB138_207 Depth=2
	v_add_co_u32 v4, vcc_lo, v4, s33
	v_add_co_ci_u32_e64 v5, null, 0, v5, vcc_lo
	s_mov_b32 s2, 0
	v_cmp_le_u64_e32 vcc_lo, s[20:21], v[4:5]
	s_orn2_b32 s7, vcc_lo, exec_lo
	s_branch .LBB138_206
.LBB138_211:                            ;   in Loop: Header=BB138_18 Depth=1
	s_or_b32 exec_lo, exec_lo, s23
	v_lshrrev_b32_sdwa v10, v29, v10 dst_sel:DWORD dst_unused:UNUSED_PAD src0_sel:DWORD src1_sel:WORD_0
	s_andn2_b32 s2, s24, exec_lo
	s_and_b32 s7, s25, exec_lo
	s_or_b32 s24, s2, s7
.LBB138_212:                            ;   in Loop: Header=BB138_18 Depth=1
	s_or_b32 exec_lo, exec_lo, s22
	s_mov_b32 s86, 0
	s_mov_b32 s87, -1
.LBB138_213:                            ;   in Loop: Header=BB138_18 Depth=1
	s_orn2_b32 s20, s24, exec_lo
.LBB138_214:                            ;   in Loop: Header=BB138_18 Depth=1
	s_or_b32 exec_lo, exec_lo, s88
	s_mov_b32 s21, 0
	s_and_saveexec_b32 s88, s20
	s_cbranch_execz .LBB138_276
; %bb.215:                              ;   in Loop: Header=BB138_18 Depth=1
	v_mov_b32_e32 v4, 1
	v_mov_b32_e32 v5, 0
	;; [unrolled: 1-line block ×3, first 2 shown]
	s_xor_b32 s2, s89, -1
	s_and_saveexec_b32 s20, s2
	s_cbranch_execz .LBB138_224
; %bb.216:                              ;   in Loop: Header=BB138_18 Depth=1
	s_mov_b32 s2, exec_lo
	v_cmpx_ge_u64_e64 s[16:17], v[6:7]
	s_xor_b32 s21, exec_lo, s2
	s_cbranch_execz .LBB138_221
; %bb.217:                              ;   in Loop: Header=BB138_18 Depth=1
	ds_read_b64 v[4:5], v3 offset:5120
	s_lshl_b32 s2, 2, s69
	v_or_b32_e32 v9, s11, v9
	v_and_or_b32 v8, v8, s26, s2
	s_waitcnt lgkmcnt(0)
	v_cmp_ne_u64_e32 vcc_lo, 0, v[4:5]
	s_cbranch_vccnz .LBB138_221
; %bb.218:                              ;   in Loop: Header=BB138_18 Depth=1
	s_and_saveexec_b32 s2, s3
; %bb.219:                              ;   in Loop: Header=BB138_18 Depth=1
	v_mov_b32_e32 v4, s16
	v_mov_b32_e32 v5, s17
	ds_write_b64 v3, v[4:5] offset:5128
; %bb.220:                              ;   in Loop: Header=BB138_18 Depth=1
	s_or_b32 exec_lo, exec_lo, s2
	s_waitcnt lgkmcnt(0)
	s_barrier
	buffer_gl0_inv
.LBB138_221:                            ;   in Loop: Header=BB138_18 Depth=1
	s_or_saveexec_b32 s21, s21
	v_mov_b32_e32 v2, 8
	s_mov_b32 s22, 0
	s_xor_b32 exec_lo, exec_lo, s21
; %bb.222:                              ;   in Loop: Header=BB138_18 Depth=1
	v_sub_co_u32 v6, vcc_lo, v6, s16
	v_subrev_co_ci_u32_e64 v7, null, s17, v7, vcc_lo
	v_mov_b32_e32 v2, 0
	s_mov_b32 s22, exec_lo
; %bb.223:                              ;   in Loop: Header=BB138_18 Depth=1
	s_or_b32 exec_lo, exec_lo, s21
	v_mov_b32_e32 v4, v6
	v_mov_b32_e32 v5, v7
	s_and_b32 s21, s22, exec_lo
.LBB138_224:                            ;   in Loop: Header=BB138_18 Depth=1
	s_or_b32 exec_lo, exec_lo, s20
	s_mov_b32 s20, -1
                                        ; implicit-def: $sgpr56
                                        ; implicit-def: $sgpr74
	s_and_saveexec_b32 s89, s21
	s_cbranch_execz .LBB138_275
; %bb.225:                              ;   in Loop: Header=BB138_18 Depth=1
	v_cmp_eq_u64_e32 vcc_lo, 1, v[4:5]
	s_cmp_eq_u64 s[18:19], 1
	s_mov_b32 s21, -1
	s_cselect_b32 s2, -1, 0
                                        ; implicit-def: $sgpr56
                                        ; implicit-def: $sgpr74
	s_and_b32 s90, s2, vcc_lo
	s_and_saveexec_b32 s91, s90
	s_cbranch_execz .LBB138_263
; %bb.226:                              ;   in Loop: Header=BB138_18 Depth=1
	ds_read_b64 v[6:7], v3 offset:5120
	s_waitcnt lgkmcnt(0)
	s_barrier
	buffer_gl0_inv
	v_readfirstlane_b32 s20, v6
	v_readfirstlane_b32 s21, v7
	s_and_saveexec_b32 s2, s10
; %bb.227:                              ;   in Loop: Header=BB138_18 Depth=1
	ds_write_b8 v0, v3 offset:3072
; %bb.228:                              ;   in Loop: Header=BB138_18 Depth=1
	s_or_b32 exec_lo, exec_lo, s2
	v_or_b32_e32 v8, s11, v8
	v_or_b32_e32 v9, s11, v9
	s_mov_b32 s74, -1
	s_mov_b32 s56, 0
	s_cmp_eq_u64 s[20:21], 0
	s_mov_b32 s24, 0
	s_mov_b32 s25, -1
	s_waitcnt lgkmcnt(0)
	s_barrier
	buffer_gl0_inv
                                        ; implicit-def: $vgpr10
	s_cbranch_scc1 .LBB138_246
; %bb.229:                              ;   in Loop: Header=BB138_18 Depth=1
	s_add_u32 s62, s20, s94
	s_addc_u32 s23, s21, s95
	s_mov_b32 s22, s73
	s_cmp_lg_u64 s[22:23], 0
	s_cbranch_scc0 .LBB138_233
; %bb.230:                              ;   in Loop: Header=BB138_18 Depth=1
	v_cvt_f32_u32_e32 v6, s33
	s_sub_u32 s22, 0, s33
	s_subb_u32 s24, 0, 0
	v_fmac_f32_e64 v6, 0x4f800000, 0
	v_rcp_f32_e32 v6, v6
	v_mul_f32_e32 v6, 0x5f7ffffc, v6
	v_mul_f32_e32 v7, 0x2f800000, v6
	v_trunc_f32_e32 v7, v7
	v_fmac_f32_e32 v6, 0xcf800000, v7
	v_cvt_u32_f32_e32 v7, v7
	v_cvt_u32_f32_e32 v6, v6
	v_readfirstlane_b32 s2, v7
	v_readfirstlane_b32 s7, v6
	s_mul_i32 s25, s22, s2
	s_mul_hi_u32 vcc_lo, s22, s7
	s_mul_i32 s72, s24, s7
	s_add_i32 s25, vcc_lo, s25
	s_mul_i32 s40, s22, s7
	s_add_i32 s25, s25, s72
	s_mul_hi_u32 s41, s7, s40
	s_mul_i32 s72, s7, s25
	s_mul_hi_u32 s43, s7, s25
	s_mul_hi_u32 s42, s2, s40
	s_mul_i32 s40, s2, s40
	s_add_u32 s41, s41, s72
	s_addc_u32 s43, 0, s43
	s_mul_hi_u32 vcc_lo, s2, s25
	s_add_u32 s40, s41, s40
	s_mul_i32 s25, s2, s25
	s_addc_u32 s40, s43, s42
	s_addc_u32 s41, vcc_lo, 0
	s_add_u32 s25, s40, s25
	s_addc_u32 s40, 0, s41
	s_add_u32 s7, s7, s25
	s_cselect_b32 s25, -1, 0
	s_mul_hi_u32 s41, s22, s7
	s_cmp_lg_u32 s25, 0
	s_mul_i32 s25, s22, s7
	s_addc_u32 s2, s2, s40
	s_mul_i32 s24, s24, s7
	s_mul_i32 s22, s22, s2
	s_mul_hi_u32 s40, s7, s25
	s_add_i32 s22, s41, s22
	s_mul_hi_u32 s41, s2, s25
	s_add_i32 s22, s22, s24
	s_mul_i32 s24, s2, s25
	s_mul_i32 s43, s7, s22
	s_mul_hi_u32 s42, s7, s22
	s_add_u32 s40, s40, s43
	s_addc_u32 s42, 0, s42
	s_mul_hi_u32 s25, s2, s22
	s_add_u32 s24, s40, s24
	s_mul_i32 s22, s2, s22
	s_addc_u32 s24, s42, s41
	s_addc_u32 s25, s25, 0
	s_add_u32 s22, s24, s22
	s_addc_u32 s24, 0, s25
	s_add_u32 s7, s7, s22
	s_cselect_b32 s22, -1, 0
	s_mul_hi_u32 s25, s62, s7
	s_cmp_lg_u32 s22, 0
	s_mul_hi_u32 s22, s23, s7
	s_addc_u32 s2, s2, s24
	s_mul_i32 s7, s23, s7
	s_mul_i32 s40, s62, s2
	s_mul_hi_u32 s24, s62, s2
	s_add_u32 s25, s25, s40
	s_addc_u32 s24, 0, s24
	s_mul_hi_u32 s41, s23, s2
	s_add_u32 s7, s25, s7
	s_mul_i32 s2, s23, s2
	s_addc_u32 s7, s24, s22
	s_addc_u32 s22, s41, 0
	s_add_u32 s2, s7, s2
	s_addc_u32 s7, 0, s22
	s_mul_hi_u32 s22, s33, s2
	s_mul_i32 s7, s33, s7
	s_mul_i32 s2, s33, s2
	s_add_i32 s22, s22, s7
	s_sub_u32 s2, s62, s2
	s_cselect_b32 s7, -1, 0
	s_cmp_lg_u32 s7, 0
	s_subb_u32 s7, s23, s22
	s_sub_u32 s22, s2, s33
	s_cselect_b32 s24, -1, 0
	s_cmp_lg_u32 s24, 0
	s_subb_u32 s24, s7, 0
	;; [unrolled: 4-line block ×3, first 2 shown]
	s_cmp_ge_u32 s22, s33
	s_cselect_b32 s41, -1, 0
	s_cmp_eq_u32 s24, 0
	s_cselect_b32 s41, s41, -1
	s_cmp_lg_u32 s41, 0
	s_cselect_b32 s24, s40, s24
	s_cselect_b32 s22, s25, s22
	s_cmp_ge_u32 s2, s33
	s_cselect_b32 s25, -1, 0
	s_cmp_eq_u32 s7, 0
	s_cselect_b32 s25, s25, -1
	s_cmp_lg_u32 s25, 0
	s_cselect_b32 s25, s24, s7
	s_cselect_b32 s24, s22, s2
	s_mov_b32 s2, 0
	s_branch .LBB138_234
.LBB138_231:                            ;   in Loop: Header=BB138_18 Depth=1
                                        ; implicit-def: $sgpr24_sgpr25
	s_branch .LBB138_186
.LBB138_232:                            ;   in Loop: Header=BB138_18 Depth=1
                                        ; implicit-def: $sgpr20_sgpr21
	s_branch .LBB138_202
.LBB138_233:                            ;   in Loop: Header=BB138_18 Depth=1
	s_mov_b32 s2, -1
                                        ; implicit-def: $sgpr24_sgpr25
.LBB138_234:                            ;   in Loop: Header=BB138_18 Depth=1
	s_andn2_b32 vcc_lo, exec_lo, s2
	s_cbranch_vccnz .LBB138_236
; %bb.235:                              ;   in Loop: Header=BB138_18 Depth=1
	v_cvt_f32_u32_e32 v6, s33
	s_sub_i32 s7, 0, s33
	v_rcp_iflag_f32_e32 v6, v6
	v_mul_f32_e32 v6, 0x4f7ffffe, v6
	v_cvt_u32_f32_e32 v6, v6
	v_readfirstlane_b32 s2, v6
	s_mul_i32 s7, s7, s2
	s_mul_hi_u32 s7, s2, s7
	s_add_i32 s2, s2, s7
	s_mul_hi_u32 s2, s62, s2
	s_mul_i32 s2, s2, s33
	s_sub_i32 s2, s62, s2
	s_sub_i32 s7, s2, s33
	s_cmp_ge_u32 s2, s33
	s_cselect_b32 s2, s7, s2
	s_sub_i32 s7, s2, s33
	s_cmp_ge_u32 s2, s33
	s_cselect_b32 s72, s7, s2
	s_mov_b64 s[24:25], s[72:73]
.LBB138_236:                            ;   in Loop: Header=BB138_18 Depth=1
	s_sub_u32 s22, s62, s24
	s_subb_u32 s23, s23, s25
	s_mov_b32 s25, 0
	s_mov_b32 s24, 0
	s_mov_b32 s62, exec_lo
                                        ; implicit-def: $vgpr10
	v_cmpx_gt_u64_e64 s[22:23], v[0:1]
	s_cbranch_execz .LBB138_245
; %bb.237:                              ;   in Loop: Header=BB138_18 Depth=1
	v_mov_b32_e32 v7, v1
	v_mov_b32_e32 v10, v0
	;; [unrolled: 1-line block ×3, first 2 shown]
                                        ; implicit-def: $sgpr72
	s_inst_prefetch 0x1
	s_branch .LBB138_240
	.p2align	6
.LBB138_238:                            ;   in Loop: Header=BB138_240 Depth=2
	s_or_b32 exec_lo, exec_lo, s7
	s_waitcnt lgkmcnt(0)
	s_barrier
	buffer_gl0_inv
	ds_read_u16 v11, v3 offset:3072
	s_mov_b32 s7, -1
	s_waitcnt lgkmcnt(0)
	s_barrier
	buffer_gl0_inv
	v_cmp_ne_u32_sdwa s2, v11, v3 src0_sel:BYTE_0 src1_sel:DWORD
	s_and_b32 vcc_lo, exec_lo, s2
	s_mov_b32 s2, -1
	s_cbranch_vccz .LBB138_243
.LBB138_239:                            ;   in Loop: Header=BB138_240 Depth=2
	s_and_b32 s7, exec_lo, s7
	s_or_b32 s24, s7, s24
	s_andn2_b32 s7, s72, exec_lo
	s_and_b32 s2, s2, exec_lo
	s_or_b32 s72, s7, s2
	s_andn2_b32 exec_lo, exec_lo, s24
	s_cbranch_execz .LBB138_244
.LBB138_240:                            ;   Parent Loop BB138_18 Depth=1
                                        ; =>  This Inner Loop Header: Depth=2
	s_mov_b32 s7, exec_lo
	v_cmpx_gt_u64_e64 s[20:21], v[6:7]
	s_cbranch_execz .LBB138_238
; %bb.241:                              ;   in Loop: Header=BB138_240 Depth=2
	ds_read_u8 v11, v10
	s_waitcnt lgkmcnt(0)
	v_add_nc_u32_sdwa v21, sext(v11), v28 dst_sel:DWORD dst_unused:UNUSED_PAD src0_sel:BYTE_0 src1_sel:DWORD
	v_and_b32_e32 v21, v21, v9
	v_cmp_eq_u32_e32 vcc_lo, v21, v8
	s_and_b32 exec_lo, exec_lo, vcc_lo
	s_cbranch_execz .LBB138_238
; %bb.242:                              ;   in Loop: Header=BB138_240 Depth=2
	v_lshlrev_b16 v11, 8, v11
	v_or_b32_e32 v11, 1, v11
	ds_write_b16 v3, v11 offset:3072
	s_branch .LBB138_238
.LBB138_243:                            ;   in Loop: Header=BB138_240 Depth=2
	v_add_co_u32 v6, vcc_lo, v6, s33
	v_add_co_ci_u32_e64 v7, null, 0, v7, vcc_lo
	v_add_nc_u32_e32 v10, s33, v10
	s_mov_b32 s2, 0
	v_cmp_le_u64_e32 vcc_lo, s[22:23], v[6:7]
	s_orn2_b32 s7, vcc_lo, exec_lo
	s_branch .LBB138_239
.LBB138_244:                            ;   in Loop: Header=BB138_18 Depth=1
	s_inst_prefetch 0x2
	s_or_b32 exec_lo, exec_lo, s24
	v_lshrrev_b32_sdwa v10, v29, v11 dst_sel:DWORD dst_unused:UNUSED_PAD src0_sel:DWORD src1_sel:WORD_0
	s_and_b32 s24, s72, exec_lo
.LBB138_245:                            ;   in Loop: Header=BB138_18 Depth=1
	s_or_b32 exec_lo, exec_lo, s62
.LBB138_246:                            ;   in Loop: Header=BB138_18 Depth=1
	s_and_b32 vcc_lo, exec_lo, s25
	s_cbranch_vccz .LBB138_262
; %bb.247:                              ;   in Loop: Header=BB138_18 Depth=1
	s_mov_b32 s74, s73
	s_cmp_lg_u64 s[74:75], 0
	s_cbranch_scc0 .LBB138_249
; %bb.248:                              ;   in Loop: Header=BB138_18 Depth=1
	v_cvt_f32_u32_e32 v6, s33
	s_sub_u32 s20, 0, s33
	s_subb_u32 s21, 0, 0
	v_fmac_f32_e64 v6, 0x4f800000, 0
	v_rcp_f32_e32 v6, v6
	v_mul_f32_e32 v6, 0x5f7ffffc, v6
	v_mul_f32_e32 v7, 0x2f800000, v6
	v_trunc_f32_e32 v7, v7
	v_fmac_f32_e32 v6, 0xcf800000, v7
	v_cvt_u32_f32_e32 v7, v7
	v_cvt_u32_f32_e32 v6, v6
	v_readfirstlane_b32 s2, v7
	v_readfirstlane_b32 s7, v6
	s_mul_i32 s22, s20, s2
	s_mul_hi_u32 s25, s20, s7
	s_mul_i32 s23, s21, s7
	s_add_i32 s22, s25, s22
	s_mul_i32 s40, s20, s7
	s_add_i32 s22, s22, s23
	s_mul_hi_u32 s25, s7, s40
	s_mul_i32 s42, s7, s22
	s_mul_hi_u32 s41, s2, s40
	s_mul_i32 s23, s2, s40
	s_mul_hi_u32 s40, s7, s22
	s_add_u32 s25, s25, s42
	s_addc_u32 s40, 0, s40
	s_mul_hi_u32 s43, s2, s22
	s_add_u32 s23, s25, s23
	s_mul_i32 s22, s2, s22
	s_addc_u32 s23, s40, s41
	s_addc_u32 s25, s43, 0
	s_add_u32 s22, s23, s22
	s_addc_u32 s23, 0, s25
	s_add_u32 s7, s7, s22
	s_cselect_b32 s22, -1, 0
	s_mul_hi_u32 s25, s20, s7
	s_cmp_lg_u32 s22, 0
	s_mul_i32 s22, s20, s7
	s_addc_u32 s2, s2, s23
	s_mul_i32 s21, s21, s7
	s_mul_i32 s20, s20, s2
	s_mul_hi_u32 s23, s7, s22
	s_add_i32 s20, s25, s20
	s_mul_hi_u32 s25, s2, s22
	s_add_i32 s20, s20, s21
	s_mul_i32 s21, s2, s22
	s_mul_i32 s41, s7, s20
	s_mul_hi_u32 s40, s7, s20
	s_add_u32 s23, s23, s41
	s_addc_u32 s40, 0, s40
	s_mul_hi_u32 s22, s2, s20
	s_add_u32 s21, s23, s21
	s_mul_i32 s20, s2, s20
	s_addc_u32 s21, s40, s25
	s_addc_u32 s22, s22, 0
	s_add_u32 s20, s21, s20
	s_addc_u32 s21, 0, s22
	s_add_u32 s7, s7, s20
	s_cselect_b32 s20, -1, 0
	s_mul_hi_u32 s22, s96, s7
	s_cmp_lg_u32 s20, 0
	s_mul_hi_u32 s20, s75, s7
	s_addc_u32 s2, s2, s21
	s_mul_i32 s7, s75, s7
	s_mul_i32 s23, s96, s2
	s_mul_hi_u32 s21, s96, s2
	s_add_u32 s22, s22, s23
	s_addc_u32 s21, 0, s21
	s_mul_hi_u32 s25, s75, s2
	s_add_u32 s7, s22, s7
	s_mul_i32 s2, s75, s2
	s_addc_u32 s7, s21, s20
	s_addc_u32 s20, s25, 0
	s_add_u32 s2, s7, s2
	s_addc_u32 s7, 0, s20
	s_mul_hi_u32 s20, s33, s2
	s_mul_i32 s7, s33, s7
	s_mul_i32 s2, s33, s2
	s_add_i32 s20, s20, s7
	s_sub_u32 s2, s96, s2
	s_cselect_b32 s7, -1, 0
	s_cmp_lg_u32 s7, 0
	s_subb_u32 s7, s75, s20
	s_sub_u32 s20, s2, s33
	s_cselect_b32 s21, -1, 0
	s_cmp_lg_u32 s21, 0
	s_subb_u32 s21, s7, 0
	;; [unrolled: 4-line block ×3, first 2 shown]
	s_cmp_ge_u32 s20, s33
	s_cselect_b32 s25, -1, 0
	s_cmp_eq_u32 s21, 0
	s_cselect_b32 s25, s25, -1
	s_cmp_lg_u32 s25, 0
	s_cselect_b32 s21, s23, s21
	s_cselect_b32 s20, s22, s20
	s_cmp_ge_u32 s2, s33
	s_cselect_b32 s22, -1, 0
	s_cmp_eq_u32 s7, 0
	s_cselect_b32 s22, s22, -1
	s_cmp_lg_u32 s22, 0
	s_cselect_b32 s21, s21, s7
	s_cselect_b32 s20, s20, s2
	s_mov_b32 s2, 0
	s_branch .LBB138_250
.LBB138_249:                            ;   in Loop: Header=BB138_18 Depth=1
	s_mov_b32 s2, -1
                                        ; implicit-def: $sgpr20_sgpr21
.LBB138_250:                            ;   in Loop: Header=BB138_18 Depth=1
	s_andn2_b32 vcc_lo, exec_lo, s2
	s_cbranch_vccnz .LBB138_252
; %bb.251:                              ;   in Loop: Header=BB138_18 Depth=1
	v_cvt_f32_u32_e32 v6, s33
	s_sub_i32 s7, 0, s33
	v_rcp_iflag_f32_e32 v6, v6
	v_mul_f32_e32 v6, 0x4f7ffffe, v6
	v_cvt_u32_f32_e32 v6, v6
	v_readfirstlane_b32 s2, v6
	s_mul_i32 s7, s7, s2
	s_mul_hi_u32 s7, s2, s7
	s_add_i32 s2, s2, s7
	s_mul_hi_u32 s2, s96, s2
	s_mul_i32 s2, s2, s33
	s_sub_i32 s2, s96, s2
	s_sub_i32 s7, s2, s33
	s_cmp_ge_u32 s2, s33
	s_cselect_b32 s2, s7, s2
	s_sub_i32 s7, s2, s33
	s_cmp_ge_u32 s2, s33
	s_cselect_b32 s72, s7, s2
	s_mov_b64 s[20:21], s[72:73]
.LBB138_252:                            ;   in Loop: Header=BB138_18 Depth=1
	s_sub_u32 s20, s96, s20
	s_subb_u32 s21, s75, s21
	s_mov_b32 s22, exec_lo
                                        ; implicit-def: $vgpr10
	v_cmpx_gt_u64_e64 s[20:21], v[0:1]
	s_cbranch_execz .LBB138_261
; %bb.253:                              ;   in Loop: Header=BB138_18 Depth=1
	v_mov_b32_e32 v7, v1
	v_mov_b32_e32 v6, v0
	s_mov_b32 s23, 0
                                        ; implicit-def: $sgpr25
	s_branch .LBB138_256
.LBB138_254:                            ;   in Loop: Header=BB138_256 Depth=2
	s_or_b32 exec_lo, exec_lo, s56
	s_waitcnt lgkmcnt(0)
	s_barrier
	buffer_gl0_inv
	ds_read_u16 v10, v3 offset:3072
	s_mov_b32 s7, -1
	s_waitcnt lgkmcnt(0)
	s_barrier
	buffer_gl0_inv
	v_cmp_eq_u32_sdwa s2, v10, v3 src0_sel:BYTE_0 src1_sel:DWORD
	s_and_b32 vcc_lo, exec_lo, s2
	s_mov_b32 s2, -1
	s_cbranch_vccnz .LBB138_259
.LBB138_255:                            ;   in Loop: Header=BB138_256 Depth=2
	s_and_b32 s7, exec_lo, s7
	s_or_b32 s23, s7, s23
	s_andn2_b32 s7, s25, exec_lo
	s_and_b32 s2, s2, exec_lo
	s_or_b32 s25, s7, s2
	s_andn2_b32 exec_lo, exec_lo, s23
	s_cbranch_execz .LBB138_260
.LBB138_256:                            ;   Parent Loop BB138_18 Depth=1
                                        ; =>  This Inner Loop Header: Depth=2
	s_mov_b32 s56, exec_lo
	v_cmpx_gt_u64_e64 s[36:37], v[6:7]
	s_cbranch_execz .LBB138_254
; %bb.257:                              ;   in Loop: Header=BB138_256 Depth=2
	v_mul_lo_u32 v21, v6, s31
	v_mul_lo_u32 v22, v7, s30
	v_mad_u64_u32 v[10:11], null, v6, s30, s[28:29]
	v_add3_u32 v11, v22, v11, v21
	global_load_ubyte v10, v[10:11], off
	s_waitcnt vmcnt(0)
	v_add_nc_u32_sdwa v11, sext(v10), v28 dst_sel:DWORD dst_unused:UNUSED_PAD src0_sel:BYTE_0 src1_sel:DWORD
	v_and_b32_e32 v11, v11, v9
	v_cmp_eq_u32_e32 vcc_lo, v11, v8
	s_and_b32 exec_lo, exec_lo, vcc_lo
	s_cbranch_execz .LBB138_254
; %bb.258:                              ;   in Loop: Header=BB138_256 Depth=2
	v_lshlrev_b16 v10, 8, v10
	v_or_b32_e32 v10, 1, v10
	ds_write_b16 v3, v10 offset:3072
	s_branch .LBB138_254
.LBB138_259:                            ;   in Loop: Header=BB138_256 Depth=2
	v_add_co_u32 v6, vcc_lo, v6, s33
	v_add_co_ci_u32_e64 v7, null, 0, v7, vcc_lo
	s_mov_b32 s2, 0
	v_cmp_le_u64_e32 vcc_lo, s[20:21], v[6:7]
	s_orn2_b32 s7, vcc_lo, exec_lo
	s_branch .LBB138_255
.LBB138_260:                            ;   in Loop: Header=BB138_18 Depth=1
	s_or_b32 exec_lo, exec_lo, s23
	v_lshrrev_b32_sdwa v10, v29, v10 dst_sel:DWORD dst_unused:UNUSED_PAD src0_sel:DWORD src1_sel:WORD_0
	s_andn2_b32 s2, s24, exec_lo
	s_and_b32 s7, s25, exec_lo
	s_or_b32 s24, s2, s7
.LBB138_261:                            ;   in Loop: Header=BB138_18 Depth=1
	s_or_b32 exec_lo, exec_lo, s22
	s_mov_b32 s74, 0
	s_mov_b32 s56, -1
.LBB138_262:                            ;   in Loop: Header=BB138_18 Depth=1
	s_orn2_b32 s21, s24, exec_lo
.LBB138_263:                            ;   in Loop: Header=BB138_18 Depth=1
	s_or_b32 exec_lo, exec_lo, s91
	s_mov_b32 s22, 0
	s_and_saveexec_b32 s20, s21
	s_cbranch_execz .LBB138_274
; %bb.264:                              ;   in Loop: Header=BB138_18 Depth=1
	v_mov_b32_e32 v6, 1
	v_mov_b32_e32 v7, 0
	;; [unrolled: 1-line block ×3, first 2 shown]
	s_xor_b32 s2, s90, -1
	s_and_saveexec_b32 s21, s2
	s_cbranch_execz .LBB138_273
; %bb.265:                              ;   in Loop: Header=BB138_18 Depth=1
	s_mov_b32 s2, exec_lo
	v_cmpx_ge_u64_e64 s[18:19], v[4:5]
	s_xor_b32 s22, exec_lo, s2
	s_cbranch_execz .LBB138_270
; %bb.266:                              ;   in Loop: Header=BB138_18 Depth=1
	ds_read_b64 v[6:7], v3 offset:5120
	v_or_b32_e32 v8, s11, v8
	v_or_b32_e32 v9, s11, v9
	s_waitcnt lgkmcnt(0)
	v_cmp_ne_u64_e32 vcc_lo, 0, v[6:7]
	s_cbranch_vccnz .LBB138_270
; %bb.267:                              ;   in Loop: Header=BB138_18 Depth=1
	s_and_saveexec_b32 s2, s3
; %bb.268:                              ;   in Loop: Header=BB138_18 Depth=1
	v_mov_b32_e32 v6, s18
	v_mov_b32_e32 v7, s19
	ds_write_b64 v3, v[6:7] offset:5128
; %bb.269:                              ;   in Loop: Header=BB138_18 Depth=1
	s_or_b32 exec_lo, exec_lo, s2
	s_waitcnt lgkmcnt(0)
	s_barrier
	buffer_gl0_inv
.LBB138_270:                            ;   in Loop: Header=BB138_18 Depth=1
	s_andn2_saveexec_b32 s22, s22
; %bb.271:                              ;   in Loop: Header=BB138_18 Depth=1
	v_sub_co_u32 v4, vcc_lo, v4, s18
	v_subrev_co_ci_u32_e64 v5, null, s19, v5, vcc_lo
; %bb.272:                              ;   in Loop: Header=BB138_18 Depth=1
	s_or_b32 exec_lo, exec_lo, s22
	v_mov_b32_e32 v7, v5
	v_mov_b32_e32 v2, 8
	;; [unrolled: 1-line block ×3, first 2 shown]
.LBB138_273:                            ;   in Loop: Header=BB138_18 Depth=1
	s_or_b32 exec_lo, exec_lo, s21
	v_mov_b32_e32 v4, v6
	v_mov_b32_e32 v5, v7
	s_mov_b32 s22, exec_lo
.LBB138_274:                            ;   in Loop: Header=BB138_18 Depth=1
	s_or_b32 exec_lo, exec_lo, s20
	s_orn2_b32 s20, s22, exec_lo
.LBB138_275:                            ;   in Loop: Header=BB138_18 Depth=1
	s_or_b32 exec_lo, exec_lo, s89
	v_mov_b32_e32 v7, v5
	v_mov_b32_e32 v6, v4
	s_andn2_b32 s2, s87, exec_lo
	s_and_b32 s7, s56, exec_lo
	s_andn2_b32 s21, s86, exec_lo
	s_and_b32 s22, s74, exec_lo
	s_or_b32 s87, s2, s7
	s_or_b32 s86, s21, s22
	s_and_b32 s21, s20, exec_lo
.LBB138_276:                            ;   in Loop: Header=BB138_18 Depth=1
	s_or_b32 exec_lo, exec_lo, s88
	s_orn2_b32 s20, s21, exec_lo
.LBB138_277:                            ;   in Loop: Header=BB138_18 Depth=1
	s_or_b32 exec_lo, exec_lo, s85
	v_mov_b32_e32 v4, v6
	v_mov_b32_e32 v5, v7
	s_andn2_b32 s2, s79, exec_lo
	s_and_b32 s7, s87, exec_lo
	s_andn2_b32 s21, s78, exec_lo
	s_and_b32 s22, s86, exec_lo
	s_or_b32 s79, s2, s7
	s_or_b32 s78, s21, s22
	s_and_b32 s21, s20, exec_lo
.LBB138_278:                            ;   in Loop: Header=BB138_18 Depth=1
	s_or_b32 exec_lo, exec_lo, s84
	s_orn2_b32 s20, s21, exec_lo
.LBB138_279:                            ;   in Loop: Header=BB138_18 Depth=1
	s_or_b32 exec_lo, exec_lo, s6
	s_mov_b32 s6, 0
	s_mov_b32 s21, 0
	s_and_saveexec_b32 s2, s20
	s_xor_b32 s2, exec_lo, s2
; %bb.280:                              ;   in Loop: Header=BB138_18 Depth=1
	v_cmp_ne_u32_e32 vcc_lo, 8, v2
	v_cmp_eq_u32_e64 s6, 8, v2
	s_and_b32 s21, vcc_lo, exec_lo
	s_and_b32 s6, s6, exec_lo
; %bb.281:                              ;   in Loop: Header=BB138_18 Depth=1
	s_or_b32 exec_lo, exec_lo, s2
	s_andn2_b32 s2, s81, exec_lo
	s_and_b32 s7, s79, exec_lo
	s_andn2_b32 s20, s80, exec_lo
	s_and_b32 s22, s78, exec_lo
	s_or_b32 s81, s2, s7
	s_or_b32 s80, s20, s22
	s_and_b32 s78, s21, exec_lo
	s_and_b32 s79, s6, exec_lo
.LBB138_282:                            ;   in Loop: Header=BB138_18 Depth=1
	s_or_b32 exec_lo, exec_lo, s83
.LBB138_283:                            ;   in Loop: Header=BB138_18 Depth=1
	s_and_b32 vcc_lo, exec_lo, s82
	s_cbranch_vccz .LBB138_299
; %bb.284:                              ;   in Loop: Header=BB138_18 Depth=1
	s_cmp_eq_u64 s[18:19], 1
	s_mov_b32 s20, -1
	s_cselect_b32 s2, -1, 0
                                        ; implicit-def: $sgpr27
	s_and_b32 s6, s2, s9
                                        ; implicit-def: $sgpr9
	s_and_saveexec_b32 s80, s6
	s_cbranch_execz .LBB138_317
; %bb.285:                              ;   in Loop: Header=BB138_18 Depth=1
	ds_read_b64 v[4:5], v3 offset:5120
	s_waitcnt lgkmcnt(0)
	s_barrier
	buffer_gl0_inv
	v_readfirstlane_b32 s20, v4
	v_readfirstlane_b32 s21, v5
	s_and_saveexec_b32 s2, s10
; %bb.286:                              ;   in Loop: Header=BB138_18 Depth=1
	ds_write_b8 v0, v3 offset:3072
; %bb.287:                              ;   in Loop: Header=BB138_18 Depth=1
	s_or_b32 exec_lo, exec_lo, s2
	v_or_b32_e32 v26, s11, v26
	v_or_b32_e32 v30, s11, v30
	s_mov_b32 s27, -1
	s_mov_b32 s9, 0
	s_cmp_eq_u64 s[20:21], 0
	s_mov_b32 s24, 0
	s_mov_b32 s25, -1
	s_waitcnt lgkmcnt(0)
	s_barrier
	buffer_gl0_inv
                                        ; implicit-def: $vgpr31
	s_cbranch_scc1 .LBB138_302
; %bb.288:                              ;   in Loop: Header=BB138_18 Depth=1
	s_add_u32 s56, s20, s94
	s_addc_u32 s23, s21, s95
	s_mov_b32 s22, s73
	s_cmp_lg_u64 s[22:23], 0
	s_cbranch_scc0 .LBB138_343
; %bb.289:                              ;   in Loop: Header=BB138_18 Depth=1
	v_cvt_f32_u32_e32 v2, s33
	s_sub_u32 s22, 0, s33
	s_subb_u32 s24, 0, 0
	v_fmac_f32_e64 v2, 0x4f800000, 0
	v_rcp_f32_e32 v2, v2
	v_mul_f32_e32 v2, 0x5f7ffffc, v2
	v_mul_f32_e32 v4, 0x2f800000, v2
	v_trunc_f32_e32 v4, v4
	v_fmac_f32_e32 v2, 0xcf800000, v4
	v_cvt_u32_f32_e32 v4, v4
	v_cvt_u32_f32_e32 v2, v2
	v_readfirstlane_b32 s2, v4
	v_readfirstlane_b32 s7, v2
	s_mul_i32 s25, s22, s2
	s_mul_hi_u32 s72, s22, s7
	s_mul_i32 s62, s24, s7
	s_add_i32 s25, s72, s25
	s_mul_i32 s74, s22, s7
	s_add_i32 s25, s25, s62
	s_mul_hi_u32 s72, s7, s74
	s_mul_i32 s82, s7, s25
	s_mul_hi_u32 s81, s2, s74
	s_mul_i32 s62, s2, s74
	s_mul_hi_u32 s74, s7, s25
	s_add_u32 s72, s72, s82
	s_addc_u32 s74, 0, s74
	s_mul_hi_u32 s83, s2, s25
	s_add_u32 s62, s72, s62
	s_mul_i32 s25, s2, s25
	s_addc_u32 s62, s74, s81
	s_addc_u32 s72, s83, 0
	s_add_u32 s25, s62, s25
	s_addc_u32 s62, 0, s72
	s_add_u32 s7, s7, s25
	s_cselect_b32 s25, -1, 0
	s_mul_hi_u32 s72, s22, s7
	s_cmp_lg_u32 s25, 0
	s_mul_i32 s25, s22, s7
	s_addc_u32 s2, s2, s62
	s_mul_i32 s24, s24, s7
	s_mul_i32 s22, s22, s2
	s_mul_hi_u32 s62, s7, s25
	s_add_i32 s22, s72, s22
	s_mul_hi_u32 s72, s2, s25
	s_add_i32 s22, s22, s24
	s_mul_i32 s24, s2, s25
	s_mul_i32 s81, s7, s22
	s_mul_hi_u32 s74, s7, s22
	s_add_u32 s62, s62, s81
	s_addc_u32 s74, 0, s74
	s_mul_hi_u32 s25, s2, s22
	s_add_u32 s24, s62, s24
	s_mul_i32 s22, s2, s22
	s_addc_u32 s24, s74, s72
	s_addc_u32 s25, s25, 0
	s_add_u32 s22, s24, s22
	s_addc_u32 s24, 0, s25
	s_add_u32 s7, s7, s22
	s_cselect_b32 s22, -1, 0
	s_mul_hi_u32 s25, s56, s7
	s_cmp_lg_u32 s22, 0
	s_mul_hi_u32 s22, s23, s7
	s_addc_u32 s2, s2, s24
	s_mul_i32 s7, s23, s7
	s_mul_i32 s62, s56, s2
	s_mul_hi_u32 s24, s56, s2
	s_add_u32 s25, s25, s62
	s_addc_u32 s24, 0, s24
	s_mul_hi_u32 s72, s23, s2
	s_add_u32 s7, s25, s7
	s_mul_i32 s2, s23, s2
	s_addc_u32 s7, s24, s22
	s_addc_u32 s22, s72, 0
	s_add_u32 s2, s7, s2
	s_addc_u32 s7, 0, s22
	s_mul_hi_u32 s22, s33, s2
	s_mul_i32 s7, s33, s7
	s_mul_i32 s2, s33, s2
	s_add_i32 s22, s22, s7
	s_sub_u32 s2, s56, s2
	s_cselect_b32 s7, -1, 0
	s_cmp_lg_u32 s7, 0
	s_subb_u32 s7, s23, s22
	s_sub_u32 s22, s2, s33
	s_cselect_b32 s24, -1, 0
	s_cmp_lg_u32 s24, 0
	s_subb_u32 s24, s7, 0
	;; [unrolled: 4-line block ×3, first 2 shown]
	s_cmp_ge_u32 s22, s33
	s_cselect_b32 s72, -1, 0
	s_cmp_eq_u32 s24, 0
	s_cselect_b32 s72, s72, -1
	s_cmp_lg_u32 s72, 0
	s_cselect_b32 s24, s62, s24
	s_cselect_b32 s22, s25, s22
	s_cmp_ge_u32 s2, s33
	s_cselect_b32 s25, -1, 0
	s_cmp_eq_u32 s7, 0
	s_cselect_b32 s25, s25, -1
	s_cmp_lg_u32 s25, 0
	s_cselect_b32 s25, s24, s7
	s_cselect_b32 s24, s22, s2
	s_cbranch_execnz .LBB138_291
.LBB138_290:                            ;   in Loop: Header=BB138_18 Depth=1
	v_cvt_f32_u32_e32 v2, s33
	s_sub_i32 s7, 0, s33
	v_rcp_iflag_f32_e32 v2, v2
	v_mul_f32_e32 v2, 0x4f7ffffe, v2
	v_cvt_u32_f32_e32 v2, v2
	v_readfirstlane_b32 s2, v2
	s_mul_i32 s7, s7, s2
	s_mul_hi_u32 s7, s2, s7
	s_add_i32 s2, s2, s7
	s_mul_hi_u32 s2, s56, s2
	s_mul_i32 s2, s2, s33
	s_sub_i32 s2, s56, s2
	s_sub_i32 s7, s2, s33
	s_cmp_ge_u32 s2, s33
	s_cselect_b32 s2, s7, s2
	s_sub_i32 s7, s2, s33
	s_cmp_ge_u32 s2, s33
	s_cselect_b32 s72, s7, s2
	s_mov_b64 s[24:25], s[72:73]
.LBB138_291:                            ;   in Loop: Header=BB138_18 Depth=1
	s_sub_u32 s22, s56, s24
	s_subb_u32 s23, s23, s25
	s_mov_b32 s25, 0
	s_mov_b32 s24, 0
	s_mov_b32 s56, exec_lo
                                        ; implicit-def: $vgpr31
	v_cmpx_gt_u64_e64 s[22:23], v[0:1]
	s_cbranch_execz .LBB138_301
; %bb.292:                              ;   in Loop: Header=BB138_18 Depth=1
	v_mov_b32_e32 v5, v1
	v_mov_b32_e32 v2, v0
	;; [unrolled: 1-line block ×3, first 2 shown]
                                        ; implicit-def: $sgpr62
	s_inst_prefetch 0x1
	s_branch .LBB138_295
	.p2align	6
.LBB138_293:                            ;   in Loop: Header=BB138_295 Depth=2
	s_or_b32 exec_lo, exec_lo, s72
	s_waitcnt lgkmcnt(0)
	s_barrier
	buffer_gl0_inv
	ds_read_u16 v6, v3 offset:3072
	s_mov_b32 s2, -1
	s_waitcnt lgkmcnt(0)
	s_barrier
	buffer_gl0_inv
	v_cmp_ne_u32_sdwa s7, v6, v3 src0_sel:BYTE_0 src1_sel:DWORD
	s_and_b32 vcc_lo, exec_lo, s7
	s_mov_b32 s7, -1
	s_cbranch_vccz .LBB138_298
.LBB138_294:                            ;   in Loop: Header=BB138_295 Depth=2
	s_and_b32 s2, exec_lo, s2
	s_or_b32 s24, s2, s24
	s_andn2_b32 s2, s62, exec_lo
	s_and_b32 s7, s7, exec_lo
	s_or_b32 s62, s2, s7
	s_andn2_b32 exec_lo, exec_lo, s24
	s_cbranch_execz .LBB138_300
.LBB138_295:                            ;   Parent Loop BB138_18 Depth=1
                                        ; =>  This Inner Loop Header: Depth=2
	s_mov_b32 s72, exec_lo
	v_cmpx_gt_u64_e64 s[20:21], v[4:5]
	s_cbranch_execz .LBB138_293
; %bb.296:                              ;   in Loop: Header=BB138_295 Depth=2
	ds_read_u8 v6, v2
	s_waitcnt lgkmcnt(0)
	v_add_nc_u32_sdwa v7, sext(v6), v28 dst_sel:DWORD dst_unused:UNUSED_PAD src0_sel:BYTE_0 src1_sel:DWORD
	v_and_b32_e32 v7, v7, v30
	v_cmp_eq_u32_e32 vcc_lo, v7, v26
	s_and_b32 exec_lo, exec_lo, vcc_lo
	s_cbranch_execz .LBB138_293
; %bb.297:                              ;   in Loop: Header=BB138_295 Depth=2
	v_lshlrev_b16 v6, 8, v6
	v_or_b32_e32 v6, 1, v6
	ds_write_b16 v3, v6 offset:3072
	s_branch .LBB138_293
.LBB138_298:                            ;   in Loop: Header=BB138_295 Depth=2
	v_add_co_u32 v4, vcc_lo, v4, s33
	v_add_co_ci_u32_e64 v5, null, 0, v5, vcc_lo
	v_add_nc_u32_e32 v2, s33, v2
	s_mov_b32 s7, 0
	v_cmp_le_u64_e32 vcc_lo, s[22:23], v[4:5]
	s_orn2_b32 s2, vcc_lo, exec_lo
	s_branch .LBB138_294
.LBB138_299:                            ;   in Loop: Header=BB138_18 Depth=1
	v_mov_b32_e32 v26, v8
	v_mov_b32_e32 v30, v9
	;; [unrolled: 1-line block ×3, first 2 shown]
	s_mov_b32 s9, 0
	s_and_saveexec_b32 s2, s79
	s_cbranch_execnz .LBB138_476
	s_branch .LBB138_477
.LBB138_300:                            ;   in Loop: Header=BB138_18 Depth=1
	s_inst_prefetch 0x2
	s_or_b32 exec_lo, exec_lo, s24
	v_lshrrev_b32_sdwa v31, v29, v6 dst_sel:DWORD dst_unused:UNUSED_PAD src0_sel:DWORD src1_sel:WORD_0
	s_and_b32 s24, s62, exec_lo
.LBB138_301:                            ;   in Loop: Header=BB138_18 Depth=1
	s_or_b32 exec_lo, exec_lo, s56
.LBB138_302:                            ;   in Loop: Header=BB138_18 Depth=1
	s_and_b32 vcc_lo, exec_lo, s25
	s_cbranch_vccz .LBB138_316
; %bb.303:                              ;   in Loop: Header=BB138_18 Depth=1
	s_mov_b32 s74, s73
	s_cmp_lg_u64 s[74:75], 0
	s_cbranch_scc0 .LBB138_344
; %bb.304:                              ;   in Loop: Header=BB138_18 Depth=1
	v_cvt_f32_u32_e32 v2, s33
	s_sub_u32 s9, 0, s33
	s_subb_u32 s20, 0, 0
	v_fmac_f32_e64 v2, 0x4f800000, 0
	v_rcp_f32_e32 v2, v2
	v_mul_f32_e32 v2, 0x5f7ffffc, v2
	v_mul_f32_e32 v4, 0x2f800000, v2
	v_trunc_f32_e32 v4, v4
	v_fmac_f32_e32 v2, 0xcf800000, v4
	v_cvt_u32_f32_e32 v4, v4
	v_cvt_u32_f32_e32 v2, v2
	v_readfirstlane_b32 s2, v4
	v_readfirstlane_b32 s7, v2
	s_mul_i32 s21, s9, s2
	s_mul_hi_u32 s23, s9, s7
	s_mul_i32 s22, s20, s7
	s_add_i32 s21, s23, s21
	s_mul_i32 s25, s9, s7
	s_add_i32 s21, s21, s22
	s_mul_hi_u32 s23, s7, s25
	s_mul_i32 s56, s7, s21
	s_mul_hi_u32 s27, s2, s25
	s_mul_i32 s22, s2, s25
	s_mul_hi_u32 s25, s7, s21
	s_add_u32 s23, s23, s56
	s_addc_u32 s25, 0, s25
	s_mul_hi_u32 s62, s2, s21
	s_add_u32 s22, s23, s22
	s_mul_i32 s21, s2, s21
	s_addc_u32 s22, s25, s27
	s_addc_u32 s23, s62, 0
	s_add_u32 s21, s22, s21
	s_addc_u32 s22, 0, s23
	s_add_u32 s7, s7, s21
	s_cselect_b32 s21, -1, 0
	s_mul_hi_u32 s23, s9, s7
	s_cmp_lg_u32 s21, 0
	s_mul_i32 s21, s9, s7
	s_addc_u32 s2, s2, s22
	s_mul_i32 s20, s20, s7
	s_mul_i32 s9, s9, s2
	s_mul_hi_u32 s22, s7, s21
	s_add_i32 s9, s23, s9
	s_mul_hi_u32 s23, s2, s21
	s_add_i32 s9, s9, s20
	s_mul_i32 s20, s2, s21
	s_mul_i32 s27, s7, s9
	s_mul_hi_u32 s25, s7, s9
	s_add_u32 s22, s22, s27
	s_addc_u32 s25, 0, s25
	s_mul_hi_u32 s21, s2, s9
	s_add_u32 s20, s22, s20
	s_mul_i32 s9, s2, s9
	s_addc_u32 s20, s25, s23
	s_addc_u32 s21, s21, 0
	s_add_u32 s9, s20, s9
	s_addc_u32 s20, 0, s21
	s_add_u32 s7, s7, s9
	s_cselect_b32 s9, -1, 0
	s_mul_hi_u32 s21, s96, s7
	s_cmp_lg_u32 s9, 0
	s_mul_hi_u32 s9, s75, s7
	s_addc_u32 s2, s2, s20
	s_mul_i32 s7, s75, s7
	s_mul_i32 s22, s96, s2
	s_mul_hi_u32 s20, s96, s2
	s_add_u32 s21, s21, s22
	s_addc_u32 s20, 0, s20
	s_mul_hi_u32 s23, s75, s2
	s_add_u32 s7, s21, s7
	s_mul_i32 s2, s75, s2
	s_addc_u32 s7, s20, s9
	s_addc_u32 s9, s23, 0
	s_add_u32 s2, s7, s2
	s_addc_u32 s7, 0, s9
	s_mul_hi_u32 s9, s33, s2
	s_mul_i32 s7, s33, s7
	s_mul_i32 s2, s33, s2
	s_add_i32 s9, s9, s7
	s_sub_u32 s2, s96, s2
	s_cselect_b32 s7, -1, 0
	s_cmp_lg_u32 s7, 0
	s_subb_u32 s7, s75, s9
	s_sub_u32 s9, s2, s33
	s_cselect_b32 s20, -1, 0
	s_cmp_lg_u32 s20, 0
	s_subb_u32 s20, s7, 0
	;; [unrolled: 4-line block ×3, first 2 shown]
	s_cmp_ge_u32 s9, s33
	s_cselect_b32 s23, -1, 0
	s_cmp_eq_u32 s20, 0
	s_cselect_b32 s23, s23, -1
	s_cmp_lg_u32 s23, 0
	s_cselect_b32 s20, s22, s20
	s_cselect_b32 s9, s21, s9
	s_cmp_ge_u32 s2, s33
	s_cselect_b32 s21, -1, 0
	s_cmp_eq_u32 s7, 0
	s_cselect_b32 s21, s21, -1
	s_cmp_lg_u32 s21, 0
	s_cselect_b32 s21, s20, s7
	s_cselect_b32 s20, s9, s2
	s_cbranch_execnz .LBB138_306
.LBB138_305:                            ;   in Loop: Header=BB138_18 Depth=1
	v_cvt_f32_u32_e32 v2, s33
	s_sub_i32 s7, 0, s33
	v_rcp_iflag_f32_e32 v2, v2
	v_mul_f32_e32 v2, 0x4f7ffffe, v2
	v_cvt_u32_f32_e32 v2, v2
	v_readfirstlane_b32 s2, v2
	s_mul_i32 s7, s7, s2
	s_mul_hi_u32 s7, s2, s7
	s_add_i32 s2, s2, s7
	s_mul_hi_u32 s2, s96, s2
	s_mul_i32 s2, s2, s33
	s_sub_i32 s2, s96, s2
	s_sub_i32 s7, s2, s33
	s_cmp_ge_u32 s2, s33
	s_cselect_b32 s2, s7, s2
	s_sub_i32 s7, s2, s33
	s_cmp_ge_u32 s2, s33
	s_cselect_b32 s72, s7, s2
	s_mov_b64 s[20:21], s[72:73]
.LBB138_306:                            ;   in Loop: Header=BB138_18 Depth=1
	s_sub_u32 s20, s96, s20
	s_subb_u32 s21, s75, s21
	s_mov_b32 s9, exec_lo
                                        ; implicit-def: $vgpr31
	v_cmpx_gt_u64_e64 s[20:21], v[0:1]
	s_cbranch_execz .LBB138_315
; %bb.307:                              ;   in Loop: Header=BB138_18 Depth=1
	v_mov_b32_e32 v5, v1
	v_mov_b32_e32 v4, v0
	s_mov_b32 s22, 0
                                        ; implicit-def: $sgpr23
	s_branch .LBB138_310
.LBB138_308:                            ;   in Loop: Header=BB138_310 Depth=2
	s_or_b32 exec_lo, exec_lo, s25
	s_waitcnt lgkmcnt(0)
	s_barrier
	buffer_gl0_inv
	ds_read_u16 v2, v3 offset:3072
	s_mov_b32 s7, -1
	s_waitcnt lgkmcnt(0)
	s_barrier
	buffer_gl0_inv
	v_cmp_ne_u32_sdwa s2, v2, v3 src0_sel:BYTE_0 src1_sel:DWORD
	s_and_b32 vcc_lo, exec_lo, s2
	s_mov_b32 s2, -1
	s_cbranch_vccz .LBB138_313
.LBB138_309:                            ;   in Loop: Header=BB138_310 Depth=2
	s_and_b32 s7, exec_lo, s7
	s_or_b32 s22, s7, s22
	s_andn2_b32 s7, s23, exec_lo
	s_and_b32 s2, s2, exec_lo
	s_or_b32 s23, s7, s2
	s_andn2_b32 exec_lo, exec_lo, s22
	s_cbranch_execz .LBB138_314
.LBB138_310:                            ;   Parent Loop BB138_18 Depth=1
                                        ; =>  This Inner Loop Header: Depth=2
	s_mov_b32 s25, exec_lo
	v_cmpx_gt_u64_e64 s[36:37], v[4:5]
	s_cbranch_execz .LBB138_308
; %bb.311:                              ;   in Loop: Header=BB138_310 Depth=2
	v_mad_u64_u32 v[6:7], null, v4, s30, s[28:29]
	v_mul_lo_u32 v2, v4, s31
	v_mul_lo_u32 v8, v5, s30
	v_add3_u32 v7, v8, v7, v2
	global_load_ubyte v2, v[6:7], off
	s_waitcnt vmcnt(0)
	v_add_nc_u32_sdwa v6, sext(v2), v28 dst_sel:DWORD dst_unused:UNUSED_PAD src0_sel:BYTE_0 src1_sel:DWORD
	v_and_b32_e32 v6, v6, v30
	v_cmp_eq_u32_e32 vcc_lo, v6, v26
	s_and_b32 exec_lo, exec_lo, vcc_lo
	s_cbranch_execz .LBB138_308
; %bb.312:                              ;   in Loop: Header=BB138_310 Depth=2
	v_lshlrev_b16 v2, 8, v2
	v_or_b32_e32 v2, 1, v2
	ds_write_b16 v3, v2 offset:3072
	s_branch .LBB138_308
.LBB138_313:                            ;   in Loop: Header=BB138_310 Depth=2
	v_add_co_u32 v4, vcc_lo, v4, s33
	v_add_co_ci_u32_e64 v5, null, 0, v5, vcc_lo
	s_mov_b32 s2, 0
	v_cmp_le_u64_e32 vcc_lo, s[20:21], v[4:5]
	s_orn2_b32 s7, vcc_lo, exec_lo
	s_branch .LBB138_309
.LBB138_314:                            ;   in Loop: Header=BB138_18 Depth=1
	s_or_b32 exec_lo, exec_lo, s22
	v_lshrrev_b32_sdwa v31, v29, v2 dst_sel:DWORD dst_unused:UNUSED_PAD src0_sel:DWORD src1_sel:WORD_0
	s_andn2_b32 s2, s24, exec_lo
	s_and_b32 s7, s23, exec_lo
	s_or_b32 s24, s2, s7
.LBB138_315:                            ;   in Loop: Header=BB138_18 Depth=1
	s_or_b32 exec_lo, exec_lo, s9
	s_mov_b32 s27, 0
	s_mov_b32 s9, -1
.LBB138_316:                            ;   in Loop: Header=BB138_18 Depth=1
	s_orn2_b32 s20, s24, exec_lo
.LBB138_317:                            ;   in Loop: Header=BB138_18 Depth=1
	s_or_b32 exec_lo, exec_lo, s80
                                        ; implicit-def: $vgpr4_vgpr5
                                        ; implicit-def: $vgpr2
	s_and_saveexec_b32 s24, s20
	s_cbranch_execz .LBB138_475
; %bb.318:                              ;   in Loop: Header=BB138_18 Depth=1
	v_mov_b32_e32 v4, 1
	v_mov_b32_e32 v5, 0
	;; [unrolled: 1-line block ×3, first 2 shown]
	s_xor_b32 s2, s6, -1
	s_mov_b32 s20, 0
	s_and_saveexec_b32 s6, s2
	s_cbranch_execz .LBB138_327
; %bb.319:                              ;   in Loop: Header=BB138_18 Depth=1
	s_mov_b32 s2, exec_lo
	v_cmpx_ge_u64_e64 s[18:19], v[19:20]
	s_xor_b32 s20, exec_lo, s2
	s_cbranch_execz .LBB138_324
; %bb.320:                              ;   in Loop: Header=BB138_18 Depth=1
	ds_read_b64 v[4:5], v3 offset:5120
	v_or_b32_e32 v26, s11, v26
	v_or_b32_e32 v30, s11, v30
	s_waitcnt lgkmcnt(0)
	v_cmp_ne_u64_e32 vcc_lo, 0, v[4:5]
	s_cbranch_vccnz .LBB138_324
; %bb.321:                              ;   in Loop: Header=BB138_18 Depth=1
	s_and_saveexec_b32 s2, s3
; %bb.322:                              ;   in Loop: Header=BB138_18 Depth=1
	v_mov_b32_e32 v4, s18
	v_mov_b32_e32 v5, s19
	ds_write_b64 v3, v[4:5] offset:5128
; %bb.323:                              ;   in Loop: Header=BB138_18 Depth=1
	s_or_b32 exec_lo, exec_lo, s2
	s_waitcnt lgkmcnt(0)
	s_barrier
	buffer_gl0_inv
.LBB138_324:                            ;   in Loop: Header=BB138_18 Depth=1
	s_or_saveexec_b32 s20, s20
	v_mov_b32_e32 v2, 5
	s_mov_b32 s21, 0
	s_xor_b32 exec_lo, exec_lo, s20
; %bb.325:                              ;   in Loop: Header=BB138_18 Depth=1
	v_sub_co_u32 v19, vcc_lo, v19, s18
	v_subrev_co_ci_u32_e64 v20, null, s19, v20, vcc_lo
	v_mov_b32_e32 v2, 0
	s_mov_b32 s21, exec_lo
; %bb.326:                              ;   in Loop: Header=BB138_18 Depth=1
	s_or_b32 exec_lo, exec_lo, s20
	v_mov_b32_e32 v4, v19
	v_mov_b32_e32 v5, v20
	s_and_b32 s20, s21, exec_lo
.LBB138_327:                            ;   in Loop: Header=BB138_18 Depth=1
	s_or_b32 exec_lo, exec_lo, s6
	s_mov_b32 s18, -1
                                        ; implicit-def: $sgpr25
                                        ; implicit-def: $sgpr80
	s_and_saveexec_b32 s2, s20
	s_xor_b32 s6, exec_lo, s2
	s_cbranch_execz .LBB138_472
; %bb.328:                              ;   in Loop: Header=BB138_18 Depth=1
	v_cmp_eq_u64_e32 vcc_lo, 1, v[4:5]
	s_cmp_eq_u64 s[16:17], 1
                                        ; implicit-def: $sgpr80
                                        ; implicit-def: $sgpr25
	s_cselect_b32 s2, -1, 0
	s_and_b32 s81, s2, vcc_lo
	s_and_saveexec_b32 s82, s81
	s_cbranch_execz .LBB138_362
; %bb.329:                              ;   in Loop: Header=BB138_18 Depth=1
	ds_read_b64 v[6:7], v3 offset:5120
	s_waitcnt lgkmcnt(0)
	s_barrier
	buffer_gl0_inv
	v_readfirstlane_b32 s18, v6
	v_readfirstlane_b32 s19, v7
	s_and_saveexec_b32 s2, s10
; %bb.330:                              ;   in Loop: Header=BB138_18 Depth=1
	ds_write_b8 v0, v3 offset:3072
; %bb.331:                              ;   in Loop: Header=BB138_18 Depth=1
	s_or_b32 exec_lo, exec_lo, s2
	s_lshl_b32 s2, 2, s69
	v_or_b32_e32 v30, s11, v30
	v_and_or_b32 v26, v26, s26, s2
	s_mov_b32 s25, -1
	s_mov_b32 s80, 0
	s_cmp_eq_u64 s[18:19], 0
	s_mov_b32 s22, 0
	s_mov_b32 s23, -1
	s_waitcnt lgkmcnt(0)
	s_barrier
	buffer_gl0_inv
                                        ; implicit-def: $vgpr31
	s_cbranch_scc1 .LBB138_347
; %bb.332:                              ;   in Loop: Header=BB138_18 Depth=1
	s_add_u32 s56, s18, s94
	s_addc_u32 s21, s19, s95
	s_mov_b32 s20, s73
	s_cmp_lg_u64 s[20:21], 0
	s_cbranch_scc0 .LBB138_388
; %bb.333:                              ;   in Loop: Header=BB138_18 Depth=1
	v_cvt_f32_u32_e32 v6, s33
	s_sub_u32 s20, 0, s33
	s_subb_u32 s22, 0, 0
	v_fmac_f32_e64 v6, 0x4f800000, 0
	v_rcp_f32_e32 v6, v6
	v_mul_f32_e32 v6, 0x5f7ffffc, v6
	v_mul_f32_e32 v7, 0x2f800000, v6
	v_trunc_f32_e32 v7, v7
	v_fmac_f32_e32 v6, 0xcf800000, v7
	v_cvt_u32_f32_e32 v7, v7
	v_cvt_u32_f32_e32 v6, v6
	v_readfirstlane_b32 s2, v7
	v_readfirstlane_b32 s7, v6
	s_mul_i32 s23, s20, s2
	s_mul_hi_u32 s72, s20, s7
	s_mul_i32 s62, s22, s7
	s_add_i32 s23, s72, s23
	s_mul_i32 s74, s20, s7
	s_add_i32 s23, s23, s62
	s_mul_hi_u32 s72, s7, s74
	s_mul_i32 s84, s7, s23
	s_mul_hi_u32 s83, s2, s74
	s_mul_i32 s62, s2, s74
	s_mul_hi_u32 s74, s7, s23
	s_add_u32 s72, s72, s84
	s_addc_u32 s74, 0, s74
	s_mul_hi_u32 s85, s2, s23
	s_add_u32 s62, s72, s62
	s_mul_i32 s23, s2, s23
	s_addc_u32 s62, s74, s83
	s_addc_u32 s72, s85, 0
	s_add_u32 s23, s62, s23
	s_addc_u32 s62, 0, s72
	s_add_u32 s7, s7, s23
	s_cselect_b32 s23, -1, 0
	s_mul_hi_u32 s72, s20, s7
	s_cmp_lg_u32 s23, 0
	s_mul_i32 s23, s20, s7
	s_addc_u32 s2, s2, s62
	s_mul_i32 s22, s22, s7
	s_mul_i32 s20, s20, s2
	s_mul_hi_u32 s62, s7, s23
	s_add_i32 s20, s72, s20
	s_mul_hi_u32 s72, s2, s23
	s_add_i32 s20, s20, s22
	s_mul_i32 s22, s2, s23
	s_mul_i32 s83, s7, s20
	s_mul_hi_u32 s74, s7, s20
	s_add_u32 s62, s62, s83
	s_addc_u32 s74, 0, s74
	s_mul_hi_u32 s23, s2, s20
	s_add_u32 s22, s62, s22
	s_mul_i32 s20, s2, s20
	s_addc_u32 s22, s74, s72
	s_addc_u32 s23, s23, 0
	s_add_u32 s20, s22, s20
	s_addc_u32 s22, 0, s23
	s_add_u32 s7, s7, s20
	s_cselect_b32 s20, -1, 0
	s_mul_hi_u32 s23, s56, s7
	s_cmp_lg_u32 s20, 0
	s_mul_hi_u32 s20, s21, s7
	s_addc_u32 s2, s2, s22
	s_mul_i32 s7, s21, s7
	s_mul_i32 s62, s56, s2
	s_mul_hi_u32 s22, s56, s2
	s_add_u32 s23, s23, s62
	s_addc_u32 s22, 0, s22
	s_mul_hi_u32 s72, s21, s2
	s_add_u32 s7, s23, s7
	s_mul_i32 s2, s21, s2
	s_addc_u32 s7, s22, s20
	s_addc_u32 s20, s72, 0
	s_add_u32 s2, s7, s2
	s_addc_u32 s7, 0, s20
	s_mul_hi_u32 s20, s33, s2
	s_mul_i32 s7, s33, s7
	s_mul_i32 s2, s33, s2
	s_add_i32 s20, s20, s7
	s_sub_u32 s2, s56, s2
	s_cselect_b32 s7, -1, 0
	s_cmp_lg_u32 s7, 0
	s_subb_u32 s7, s21, s20
	s_sub_u32 s20, s2, s33
	s_cselect_b32 s22, -1, 0
	s_cmp_lg_u32 s22, 0
	s_subb_u32 s22, s7, 0
	;; [unrolled: 4-line block ×3, first 2 shown]
	s_cmp_ge_u32 s20, s33
	s_cselect_b32 s72, -1, 0
	s_cmp_eq_u32 s22, 0
	s_cselect_b32 s72, s72, -1
	s_cmp_lg_u32 s72, 0
	s_cselect_b32 s22, s62, s22
	s_cselect_b32 s20, s23, s20
	s_cmp_ge_u32 s2, s33
	s_cselect_b32 s23, -1, 0
	s_cmp_eq_u32 s7, 0
	s_cselect_b32 s23, s23, -1
	s_cmp_lg_u32 s23, 0
	s_cselect_b32 s23, s22, s7
	s_cselect_b32 s22, s20, s2
	s_cbranch_execnz .LBB138_335
.LBB138_334:                            ;   in Loop: Header=BB138_18 Depth=1
	v_cvt_f32_u32_e32 v6, s33
	s_sub_i32 s7, 0, s33
	v_rcp_iflag_f32_e32 v6, v6
	v_mul_f32_e32 v6, 0x4f7ffffe, v6
	v_cvt_u32_f32_e32 v6, v6
	v_readfirstlane_b32 s2, v6
	s_mul_i32 s7, s7, s2
	s_mul_hi_u32 s7, s2, s7
	s_add_i32 s2, s2, s7
	s_mul_hi_u32 s2, s56, s2
	s_mul_i32 s2, s2, s33
	s_sub_i32 s2, s56, s2
	s_sub_i32 s7, s2, s33
	s_cmp_ge_u32 s2, s33
	s_cselect_b32 s2, s7, s2
	s_sub_i32 s7, s2, s33
	s_cmp_ge_u32 s2, s33
	s_cselect_b32 s72, s7, s2
	s_mov_b64 s[22:23], s[72:73]
.LBB138_335:                            ;   in Loop: Header=BB138_18 Depth=1
	s_sub_u32 s20, s56, s22
	s_subb_u32 s21, s21, s23
	s_mov_b32 s23, 0
	s_mov_b32 s22, 0
	s_mov_b32 s56, exec_lo
                                        ; implicit-def: $vgpr31
	v_cmpx_gt_u64_e64 s[20:21], v[0:1]
	s_cbranch_execz .LBB138_346
; %bb.336:                              ;   in Loop: Header=BB138_18 Depth=1
	v_mov_b32_e32 v7, v1
	v_mov_b32_e32 v8, v0
	;; [unrolled: 1-line block ×3, first 2 shown]
                                        ; implicit-def: $sgpr62
	s_inst_prefetch 0x1
	s_branch .LBB138_339
	.p2align	6
.LBB138_337:                            ;   in Loop: Header=BB138_339 Depth=2
	s_or_b32 exec_lo, exec_lo, s72
	s_waitcnt lgkmcnt(0)
	s_barrier
	buffer_gl0_inv
	ds_read_u16 v9, v3 offset:3072
	s_mov_b32 s2, -1
	s_waitcnt lgkmcnt(0)
	s_barrier
	buffer_gl0_inv
	v_cmp_ne_u32_sdwa s7, v9, v3 src0_sel:BYTE_0 src1_sel:DWORD
	s_and_b32 vcc_lo, exec_lo, s7
	s_mov_b32 s7, -1
	s_cbranch_vccz .LBB138_342
.LBB138_338:                            ;   in Loop: Header=BB138_339 Depth=2
	s_and_b32 s2, exec_lo, s2
	s_or_b32 s22, s2, s22
	s_andn2_b32 s2, s62, exec_lo
	s_and_b32 s7, s7, exec_lo
	s_or_b32 s62, s2, s7
	s_andn2_b32 exec_lo, exec_lo, s22
	s_cbranch_execz .LBB138_345
.LBB138_339:                            ;   Parent Loop BB138_18 Depth=1
                                        ; =>  This Inner Loop Header: Depth=2
	s_mov_b32 s72, exec_lo
	v_cmpx_gt_u64_e64 s[18:19], v[6:7]
	s_cbranch_execz .LBB138_337
; %bb.340:                              ;   in Loop: Header=BB138_339 Depth=2
	ds_read_u8 v9, v8
	s_waitcnt lgkmcnt(0)
	v_add_nc_u32_sdwa v10, sext(v9), v28 dst_sel:DWORD dst_unused:UNUSED_PAD src0_sel:BYTE_0 src1_sel:DWORD
	v_and_b32_e32 v10, v10, v30
	v_cmp_eq_u32_e32 vcc_lo, v10, v26
	s_and_b32 exec_lo, exec_lo, vcc_lo
	s_cbranch_execz .LBB138_337
; %bb.341:                              ;   in Loop: Header=BB138_339 Depth=2
	v_lshlrev_b16 v9, 8, v9
	v_or_b32_e32 v9, 1, v9
	ds_write_b16 v3, v9 offset:3072
	s_branch .LBB138_337
.LBB138_342:                            ;   in Loop: Header=BB138_339 Depth=2
	v_add_co_u32 v6, vcc_lo, v6, s33
	v_add_co_ci_u32_e64 v7, null, 0, v7, vcc_lo
	v_add_nc_u32_e32 v8, s33, v8
	s_mov_b32 s7, 0
	v_cmp_le_u64_e32 vcc_lo, s[20:21], v[6:7]
	s_orn2_b32 s2, vcc_lo, exec_lo
	s_branch .LBB138_338
.LBB138_343:                            ;   in Loop: Header=BB138_18 Depth=1
                                        ; implicit-def: $sgpr24_sgpr25
	s_branch .LBB138_290
.LBB138_344:                            ;   in Loop: Header=BB138_18 Depth=1
                                        ; implicit-def: $sgpr20_sgpr21
	s_branch .LBB138_305
.LBB138_345:                            ;   in Loop: Header=BB138_18 Depth=1
	s_inst_prefetch 0x2
	s_or_b32 exec_lo, exec_lo, s22
	v_lshrrev_b32_sdwa v31, v29, v9 dst_sel:DWORD dst_unused:UNUSED_PAD src0_sel:DWORD src1_sel:WORD_0
	s_and_b32 s22, s62, exec_lo
.LBB138_346:                            ;   in Loop: Header=BB138_18 Depth=1
	s_or_b32 exec_lo, exec_lo, s56
.LBB138_347:                            ;   in Loop: Header=BB138_18 Depth=1
	s_and_b32 vcc_lo, exec_lo, s23
	s_cbranch_vccz .LBB138_361
; %bb.348:                              ;   in Loop: Header=BB138_18 Depth=1
	s_mov_b32 s74, s73
	s_cmp_lg_u64 s[74:75], 0
	s_cbranch_scc0 .LBB138_389
; %bb.349:                              ;   in Loop: Header=BB138_18 Depth=1
	v_cvt_f32_u32_e32 v6, s33
	s_sub_u32 s18, 0, s33
	s_subb_u32 s19, 0, 0
	v_fmac_f32_e64 v6, 0x4f800000, 0
	v_rcp_f32_e32 v6, v6
	v_mul_f32_e32 v6, 0x5f7ffffc, v6
	v_mul_f32_e32 v7, 0x2f800000, v6
	v_trunc_f32_e32 v7, v7
	v_fmac_f32_e32 v6, 0xcf800000, v7
	v_cvt_u32_f32_e32 v7, v7
	v_cvt_u32_f32_e32 v6, v6
	v_readfirstlane_b32 s2, v7
	v_readfirstlane_b32 s7, v6
	s_mul_i32 s20, s18, s2
	s_mul_hi_u32 s23, s18, s7
	s_mul_i32 s21, s19, s7
	s_add_i32 s20, s23, s20
	s_mul_i32 s25, s18, s7
	s_add_i32 s20, s20, s21
	s_mul_hi_u32 s23, s7, s25
	s_mul_i32 s62, s7, s20
	s_mul_hi_u32 s56, s2, s25
	s_mul_i32 s21, s2, s25
	s_mul_hi_u32 s25, s7, s20
	s_add_u32 s23, s23, s62
	s_addc_u32 s25, 0, s25
	s_mul_hi_u32 s72, s2, s20
	s_add_u32 s21, s23, s21
	s_mul_i32 s20, s2, s20
	s_addc_u32 s21, s25, s56
	s_addc_u32 s23, s72, 0
	s_add_u32 s20, s21, s20
	s_addc_u32 s21, 0, s23
	s_add_u32 s7, s7, s20
	s_cselect_b32 s20, -1, 0
	s_mul_hi_u32 s23, s18, s7
	s_cmp_lg_u32 s20, 0
	s_mul_i32 s20, s18, s7
	s_addc_u32 s2, s2, s21
	s_mul_i32 s19, s19, s7
	s_mul_i32 s18, s18, s2
	s_mul_hi_u32 s21, s7, s20
	s_add_i32 s18, s23, s18
	s_mul_hi_u32 s23, s2, s20
	s_add_i32 s18, s18, s19
	s_mul_i32 s19, s2, s20
	s_mul_i32 s56, s7, s18
	s_mul_hi_u32 s25, s7, s18
	s_add_u32 s21, s21, s56
	s_addc_u32 s25, 0, s25
	s_mul_hi_u32 s20, s2, s18
	s_add_u32 s19, s21, s19
	s_mul_i32 s18, s2, s18
	s_addc_u32 s19, s25, s23
	s_addc_u32 s20, s20, 0
	s_add_u32 s18, s19, s18
	s_addc_u32 s19, 0, s20
	s_add_u32 s7, s7, s18
	s_cselect_b32 s18, -1, 0
	s_mul_hi_u32 s20, s96, s7
	s_cmp_lg_u32 s18, 0
	s_mul_hi_u32 s18, s75, s7
	s_addc_u32 s2, s2, s19
	s_mul_i32 s7, s75, s7
	s_mul_i32 s21, s96, s2
	s_mul_hi_u32 s19, s96, s2
	s_add_u32 s20, s20, s21
	s_addc_u32 s19, 0, s19
	s_mul_hi_u32 s23, s75, s2
	s_add_u32 s7, s20, s7
	s_mul_i32 s2, s75, s2
	s_addc_u32 s7, s19, s18
	s_addc_u32 s18, s23, 0
	s_add_u32 s2, s7, s2
	s_addc_u32 s7, 0, s18
	s_mul_hi_u32 s18, s33, s2
	s_mul_i32 s7, s33, s7
	s_mul_i32 s2, s33, s2
	s_add_i32 s18, s18, s7
	s_sub_u32 s2, s96, s2
	s_cselect_b32 s7, -1, 0
	s_cmp_lg_u32 s7, 0
	s_subb_u32 s7, s75, s18
	s_sub_u32 s18, s2, s33
	s_cselect_b32 s19, -1, 0
	s_cmp_lg_u32 s19, 0
	s_subb_u32 s19, s7, 0
	;; [unrolled: 4-line block ×3, first 2 shown]
	s_cmp_ge_u32 s18, s33
	s_cselect_b32 s23, -1, 0
	s_cmp_eq_u32 s19, 0
	s_cselect_b32 s23, s23, -1
	s_cmp_lg_u32 s23, 0
	s_cselect_b32 s19, s21, s19
	s_cselect_b32 s18, s20, s18
	s_cmp_ge_u32 s2, s33
	s_cselect_b32 s20, -1, 0
	s_cmp_eq_u32 s7, 0
	s_cselect_b32 s20, s20, -1
	s_cmp_lg_u32 s20, 0
	s_cselect_b32 s19, s19, s7
	s_cselect_b32 s18, s18, s2
	s_cbranch_execnz .LBB138_351
.LBB138_350:                            ;   in Loop: Header=BB138_18 Depth=1
	v_cvt_f32_u32_e32 v6, s33
	s_sub_i32 s7, 0, s33
	v_rcp_iflag_f32_e32 v6, v6
	v_mul_f32_e32 v6, 0x4f7ffffe, v6
	v_cvt_u32_f32_e32 v6, v6
	v_readfirstlane_b32 s2, v6
	s_mul_i32 s7, s7, s2
	s_mul_hi_u32 s7, s2, s7
	s_add_i32 s2, s2, s7
	s_mul_hi_u32 s2, s96, s2
	s_mul_i32 s2, s2, s33
	s_sub_i32 s2, s96, s2
	s_sub_i32 s7, s2, s33
	s_cmp_ge_u32 s2, s33
	s_cselect_b32 s2, s7, s2
	s_sub_i32 s7, s2, s33
	s_cmp_ge_u32 s2, s33
	s_cselect_b32 s72, s7, s2
	s_mov_b64 s[18:19], s[72:73]
.LBB138_351:                            ;   in Loop: Header=BB138_18 Depth=1
	s_sub_u32 s18, s96, s18
	s_subb_u32 s19, s75, s19
	s_mov_b32 s20, exec_lo
                                        ; implicit-def: $vgpr31
	v_cmpx_gt_u64_e64 s[18:19], v[0:1]
	s_cbranch_execz .LBB138_360
; %bb.352:                              ;   in Loop: Header=BB138_18 Depth=1
	v_mov_b32_e32 v7, v1
	v_mov_b32_e32 v6, v0
	s_mov_b32 s21, 0
                                        ; implicit-def: $sgpr23
	s_branch .LBB138_355
.LBB138_353:                            ;   in Loop: Header=BB138_355 Depth=2
	s_or_b32 exec_lo, exec_lo, s25
	s_waitcnt lgkmcnt(0)
	s_barrier
	buffer_gl0_inv
	ds_read_u16 v8, v3 offset:3072
	s_mov_b32 s7, -1
	s_waitcnt lgkmcnt(0)
	s_barrier
	buffer_gl0_inv
	v_cmp_eq_u32_sdwa s2, v8, v3 src0_sel:BYTE_0 src1_sel:DWORD
	s_and_b32 vcc_lo, exec_lo, s2
	s_mov_b32 s2, -1
	s_cbranch_vccnz .LBB138_358
.LBB138_354:                            ;   in Loop: Header=BB138_355 Depth=2
	s_and_b32 s7, exec_lo, s7
	s_or_b32 s21, s7, s21
	s_andn2_b32 s7, s23, exec_lo
	s_and_b32 s2, s2, exec_lo
	s_or_b32 s23, s7, s2
	s_andn2_b32 exec_lo, exec_lo, s21
	s_cbranch_execz .LBB138_359
.LBB138_355:                            ;   Parent Loop BB138_18 Depth=1
                                        ; =>  This Inner Loop Header: Depth=2
	s_mov_b32 s25, exec_lo
	v_cmpx_gt_u64_e64 s[36:37], v[6:7]
	s_cbranch_execz .LBB138_353
; %bb.356:                              ;   in Loop: Header=BB138_355 Depth=2
	v_mul_lo_u32 v10, v6, s31
	v_mul_lo_u32 v11, v7, s30
	v_mad_u64_u32 v[8:9], null, v6, s30, s[28:29]
	v_add3_u32 v9, v11, v9, v10
	global_load_ubyte v8, v[8:9], off
	s_waitcnt vmcnt(0)
	v_add_nc_u32_sdwa v9, sext(v8), v28 dst_sel:DWORD dst_unused:UNUSED_PAD src0_sel:BYTE_0 src1_sel:DWORD
	v_and_b32_e32 v9, v9, v30
	v_cmp_eq_u32_e32 vcc_lo, v9, v26
	s_and_b32 exec_lo, exec_lo, vcc_lo
	s_cbranch_execz .LBB138_353
; %bb.357:                              ;   in Loop: Header=BB138_355 Depth=2
	v_lshlrev_b16 v8, 8, v8
	v_or_b32_e32 v8, 1, v8
	ds_write_b16 v3, v8 offset:3072
	s_branch .LBB138_353
.LBB138_358:                            ;   in Loop: Header=BB138_355 Depth=2
	v_add_co_u32 v6, vcc_lo, v6, s33
	v_add_co_ci_u32_e64 v7, null, 0, v7, vcc_lo
	s_mov_b32 s2, 0
	v_cmp_le_u64_e32 vcc_lo, s[18:19], v[6:7]
	s_orn2_b32 s7, vcc_lo, exec_lo
	s_branch .LBB138_354
.LBB138_359:                            ;   in Loop: Header=BB138_18 Depth=1
	s_or_b32 exec_lo, exec_lo, s21
	v_lshrrev_b32_sdwa v31, v29, v8 dst_sel:DWORD dst_unused:UNUSED_PAD src0_sel:DWORD src1_sel:WORD_0
	s_andn2_b32 s2, s22, exec_lo
	s_and_b32 s7, s23, exec_lo
	s_or_b32 s22, s2, s7
.LBB138_360:                            ;   in Loop: Header=BB138_18 Depth=1
	s_or_b32 exec_lo, exec_lo, s20
	s_mov_b32 s25, 0
	s_mov_b32 s80, -1
.LBB138_361:                            ;   in Loop: Header=BB138_18 Depth=1
	s_orn2_b32 s18, s22, exec_lo
.LBB138_362:                            ;   in Loop: Header=BB138_18 Depth=1
	s_or_b32 exec_lo, exec_lo, s82
	s_mov_b32 s19, 0
	s_and_saveexec_b32 s22, s18
	s_cbranch_execz .LBB138_471
; %bb.363:                              ;   in Loop: Header=BB138_18 Depth=1
	v_mov_b32_e32 v6, 1
	v_mov_b32_e32 v7, 0
	;; [unrolled: 1-line block ×3, first 2 shown]
	s_xor_b32 s2, s81, -1
	s_and_saveexec_b32 s18, s2
	s_cbranch_execz .LBB138_372
; %bb.364:                              ;   in Loop: Header=BB138_18 Depth=1
	s_mov_b32 s2, exec_lo
	v_cmpx_ge_u64_e64 s[16:17], v[4:5]
	s_xor_b32 s19, exec_lo, s2
	s_cbranch_execz .LBB138_369
; %bb.365:                              ;   in Loop: Header=BB138_18 Depth=1
	ds_read_b64 v[6:7], v3 offset:5120
	s_lshl_b32 s2, 2, s69
	v_or_b32_e32 v30, s11, v30
	v_and_or_b32 v26, v26, s26, s2
	s_waitcnt lgkmcnt(0)
	v_cmp_ne_u64_e32 vcc_lo, 0, v[6:7]
	s_cbranch_vccnz .LBB138_369
; %bb.366:                              ;   in Loop: Header=BB138_18 Depth=1
	s_and_saveexec_b32 s2, s3
; %bb.367:                              ;   in Loop: Header=BB138_18 Depth=1
	v_mov_b32_e32 v6, s16
	v_mov_b32_e32 v7, s17
	ds_write_b64 v3, v[6:7] offset:5128
; %bb.368:                              ;   in Loop: Header=BB138_18 Depth=1
	s_or_b32 exec_lo, exec_lo, s2
	s_waitcnt lgkmcnt(0)
	s_barrier
	buffer_gl0_inv
.LBB138_369:                            ;   in Loop: Header=BB138_18 Depth=1
	s_or_saveexec_b32 s19, s19
	v_mov_b32_e32 v2, 5
	s_mov_b32 s20, 0
	s_xor_b32 exec_lo, exec_lo, s19
; %bb.370:                              ;   in Loop: Header=BB138_18 Depth=1
	v_sub_co_u32 v4, vcc_lo, v4, s16
	v_subrev_co_ci_u32_e64 v5, null, s17, v5, vcc_lo
	v_mov_b32_e32 v2, 0
	s_mov_b32 s20, exec_lo
; %bb.371:                              ;   in Loop: Header=BB138_18 Depth=1
	s_or_b32 exec_lo, exec_lo, s19
	v_mov_b32_e32 v7, v5
	v_mov_b32_e32 v6, v4
	s_and_b32 s19, s20, exec_lo
.LBB138_372:                            ;   in Loop: Header=BB138_18 Depth=1
	s_or_b32 exec_lo, exec_lo, s18
	s_mov_b32 s16, -1
                                        ; implicit-def: $sgpr81
                                        ; implicit-def: $sgpr82
	s_and_saveexec_b32 s23, s19
	s_cbranch_execz .LBB138_470
; %bb.373:                              ;   in Loop: Header=BB138_18 Depth=1
	v_cmp_eq_u64_e32 vcc_lo, 1, v[6:7]
	s_cmp_eq_u64 s[14:15], 1
                                        ; implicit-def: $sgpr82
                                        ; implicit-def: $sgpr81
	s_cselect_b32 s2, -1, 0
	s_and_b32 s83, s2, vcc_lo
	s_and_saveexec_b32 s84, s83
	s_cbranch_execz .LBB138_407
; %bb.374:                              ;   in Loop: Header=BB138_18 Depth=1
	ds_read_b64 v[4:5], v3 offset:5120
	s_waitcnt lgkmcnt(0)
	s_barrier
	buffer_gl0_inv
	v_readfirstlane_b32 s16, v4
	v_readfirstlane_b32 s17, v5
	s_and_saveexec_b32 s2, s10
; %bb.375:                              ;   in Loop: Header=BB138_18 Depth=1
	ds_write_b8 v0, v3 offset:3072
; %bb.376:                              ;   in Loop: Header=BB138_18 Depth=1
	s_or_b32 exec_lo, exec_lo, s2
	s_lshl_b32 s2, 1, s69
	v_or_b32_e32 v30, s11, v30
	v_and_or_b32 v26, v26, s26, s2
	s_mov_b32 s81, -1
	s_mov_b32 s82, 0
	s_cmp_eq_u64 s[16:17], 0
	s_mov_b32 s20, 0
	s_mov_b32 s21, -1
	s_waitcnt lgkmcnt(0)
	s_barrier
	buffer_gl0_inv
                                        ; implicit-def: $vgpr31
	s_cbranch_scc1 .LBB138_392
; %bb.377:                              ;   in Loop: Header=BB138_18 Depth=1
	s_add_u32 s56, s16, s94
	s_addc_u32 s19, s17, s95
	s_mov_b32 s18, s73
	s_cmp_lg_u64 s[18:19], 0
	s_cbranch_scc0 .LBB138_424
; %bb.378:                              ;   in Loop: Header=BB138_18 Depth=1
	v_cvt_f32_u32_e32 v4, s33
	s_sub_u32 s18, 0, s33
	s_subb_u32 s20, 0, 0
	v_fmac_f32_e64 v4, 0x4f800000, 0
	v_rcp_f32_e32 v4, v4
	v_mul_f32_e32 v4, 0x5f7ffffc, v4
	v_mul_f32_e32 v5, 0x2f800000, v4
	v_trunc_f32_e32 v5, v5
	v_fmac_f32_e32 v4, 0xcf800000, v5
	v_cvt_u32_f32_e32 v5, v5
	v_cvt_u32_f32_e32 v4, v4
	v_readfirstlane_b32 s2, v5
	v_readfirstlane_b32 s7, v4
	s_mul_i32 s21, s18, s2
	s_mul_hi_u32 s72, s18, s7
	s_mul_i32 s62, s20, s7
	s_add_i32 s21, s72, s21
	s_mul_i32 s74, s18, s7
	s_add_i32 s21, s21, s62
	s_mul_hi_u32 s72, s7, s74
	s_mul_i32 s86, s7, s21
	s_mul_hi_u32 s85, s2, s74
	s_mul_i32 s62, s2, s74
	s_mul_hi_u32 s74, s7, s21
	s_add_u32 s72, s72, s86
	s_addc_u32 s74, 0, s74
	s_mul_hi_u32 s87, s2, s21
	s_add_u32 s62, s72, s62
	s_mul_i32 s21, s2, s21
	s_addc_u32 s62, s74, s85
	s_addc_u32 s72, s87, 0
	s_add_u32 s21, s62, s21
	s_addc_u32 s62, 0, s72
	s_add_u32 s7, s7, s21
	s_cselect_b32 s21, -1, 0
	s_mul_hi_u32 s72, s18, s7
	s_cmp_lg_u32 s21, 0
	s_mul_i32 s21, s18, s7
	s_addc_u32 s2, s2, s62
	s_mul_i32 s20, s20, s7
	s_mul_i32 s18, s18, s2
	s_mul_hi_u32 s62, s7, s21
	s_add_i32 s18, s72, s18
	s_mul_hi_u32 s72, s2, s21
	s_add_i32 s18, s18, s20
	s_mul_i32 s20, s2, s21
	s_mul_i32 s85, s7, s18
	s_mul_hi_u32 s74, s7, s18
	s_add_u32 s62, s62, s85
	s_addc_u32 s74, 0, s74
	s_mul_hi_u32 s21, s2, s18
	s_add_u32 s20, s62, s20
	s_mul_i32 s18, s2, s18
	s_addc_u32 s20, s74, s72
	s_addc_u32 s21, s21, 0
	s_add_u32 s18, s20, s18
	s_addc_u32 s20, 0, s21
	s_add_u32 s7, s7, s18
	s_cselect_b32 s18, -1, 0
	s_mul_hi_u32 s21, s56, s7
	s_cmp_lg_u32 s18, 0
	s_mul_hi_u32 s18, s19, s7
	s_addc_u32 s2, s2, s20
	s_mul_i32 s7, s19, s7
	s_mul_i32 s62, s56, s2
	s_mul_hi_u32 s20, s56, s2
	s_add_u32 s21, s21, s62
	s_addc_u32 s20, 0, s20
	s_mul_hi_u32 s72, s19, s2
	s_add_u32 s7, s21, s7
	s_mul_i32 s2, s19, s2
	s_addc_u32 s7, s20, s18
	s_addc_u32 s18, s72, 0
	s_add_u32 s2, s7, s2
	s_addc_u32 s7, 0, s18
	s_mul_hi_u32 s18, s33, s2
	s_mul_i32 s7, s33, s7
	s_mul_i32 s2, s33, s2
	s_add_i32 s18, s18, s7
	s_sub_u32 s2, s56, s2
	s_cselect_b32 s7, -1, 0
	s_cmp_lg_u32 s7, 0
	s_subb_u32 s7, s19, s18
	s_sub_u32 s18, s2, s33
	s_cselect_b32 s20, -1, 0
	s_cmp_lg_u32 s20, 0
	s_subb_u32 s20, s7, 0
	;; [unrolled: 4-line block ×3, first 2 shown]
	s_cmp_ge_u32 s18, s33
	s_cselect_b32 s72, -1, 0
	s_cmp_eq_u32 s20, 0
	s_cselect_b32 s72, s72, -1
	s_cmp_lg_u32 s72, 0
	s_cselect_b32 s20, s62, s20
	s_cselect_b32 s18, s21, s18
	s_cmp_ge_u32 s2, s33
	s_cselect_b32 s21, -1, 0
	s_cmp_eq_u32 s7, 0
	s_cselect_b32 s21, s21, -1
	s_cmp_lg_u32 s21, 0
	s_cselect_b32 s21, s20, s7
	s_cselect_b32 s20, s18, s2
	s_cbranch_execnz .LBB138_380
.LBB138_379:                            ;   in Loop: Header=BB138_18 Depth=1
	v_cvt_f32_u32_e32 v4, s33
	s_sub_i32 s7, 0, s33
	v_rcp_iflag_f32_e32 v4, v4
	v_mul_f32_e32 v4, 0x4f7ffffe, v4
	v_cvt_u32_f32_e32 v4, v4
	v_readfirstlane_b32 s2, v4
	s_mul_i32 s7, s7, s2
	s_mul_hi_u32 s7, s2, s7
	s_add_i32 s2, s2, s7
	s_mul_hi_u32 s2, s56, s2
	s_mul_i32 s2, s2, s33
	s_sub_i32 s2, s56, s2
	s_sub_i32 s7, s2, s33
	s_cmp_ge_u32 s2, s33
	s_cselect_b32 s2, s7, s2
	s_sub_i32 s7, s2, s33
	s_cmp_ge_u32 s2, s33
	s_cselect_b32 s72, s7, s2
	s_mov_b64 s[20:21], s[72:73]
.LBB138_380:                            ;   in Loop: Header=BB138_18 Depth=1
	s_sub_u32 s18, s56, s20
	s_subb_u32 s19, s19, s21
	s_mov_b32 s21, 0
	s_mov_b32 s20, 0
	s_mov_b32 s56, exec_lo
                                        ; implicit-def: $vgpr31
	v_cmpx_gt_u64_e64 s[18:19], v[0:1]
	s_cbranch_execz .LBB138_391
; %bb.381:                              ;   in Loop: Header=BB138_18 Depth=1
	v_mov_b32_e32 v5, v1
	v_mov_b32_e32 v8, v0
	;; [unrolled: 1-line block ×3, first 2 shown]
                                        ; implicit-def: $sgpr62
	s_inst_prefetch 0x1
	s_branch .LBB138_384
	.p2align	6
.LBB138_382:                            ;   in Loop: Header=BB138_384 Depth=2
	s_or_b32 exec_lo, exec_lo, s72
	s_waitcnt lgkmcnt(0)
	s_barrier
	buffer_gl0_inv
	ds_read_u16 v9, v3 offset:3072
	s_mov_b32 s2, -1
	s_waitcnt lgkmcnt(0)
	s_barrier
	buffer_gl0_inv
	v_cmp_ne_u32_sdwa s7, v9, v3 src0_sel:BYTE_0 src1_sel:DWORD
	s_and_b32 vcc_lo, exec_lo, s7
	s_mov_b32 s7, -1
	s_cbranch_vccz .LBB138_387
.LBB138_383:                            ;   in Loop: Header=BB138_384 Depth=2
	s_and_b32 s2, exec_lo, s2
	s_or_b32 s20, s2, s20
	s_andn2_b32 s2, s62, exec_lo
	s_and_b32 s7, s7, exec_lo
	s_or_b32 s62, s2, s7
	s_andn2_b32 exec_lo, exec_lo, s20
	s_cbranch_execz .LBB138_390
.LBB138_384:                            ;   Parent Loop BB138_18 Depth=1
                                        ; =>  This Inner Loop Header: Depth=2
	s_mov_b32 s72, exec_lo
	v_cmpx_gt_u64_e64 s[16:17], v[4:5]
	s_cbranch_execz .LBB138_382
; %bb.385:                              ;   in Loop: Header=BB138_384 Depth=2
	ds_read_u8 v9, v8
	s_waitcnt lgkmcnt(0)
	v_add_nc_u32_sdwa v10, sext(v9), v28 dst_sel:DWORD dst_unused:UNUSED_PAD src0_sel:BYTE_0 src1_sel:DWORD
	v_and_b32_e32 v10, v10, v30
	v_cmp_eq_u32_e32 vcc_lo, v10, v26
	s_and_b32 exec_lo, exec_lo, vcc_lo
	s_cbranch_execz .LBB138_382
; %bb.386:                              ;   in Loop: Header=BB138_384 Depth=2
	v_lshlrev_b16 v9, 8, v9
	v_or_b32_e32 v9, 1, v9
	ds_write_b16 v3, v9 offset:3072
	s_branch .LBB138_382
.LBB138_387:                            ;   in Loop: Header=BB138_384 Depth=2
	v_add_co_u32 v4, vcc_lo, v4, s33
	v_add_co_ci_u32_e64 v5, null, 0, v5, vcc_lo
	v_add_nc_u32_e32 v8, s33, v8
	s_mov_b32 s7, 0
	v_cmp_le_u64_e32 vcc_lo, s[18:19], v[4:5]
	s_orn2_b32 s2, vcc_lo, exec_lo
	s_branch .LBB138_383
.LBB138_388:                            ;   in Loop: Header=BB138_18 Depth=1
                                        ; implicit-def: $sgpr22_sgpr23
	s_branch .LBB138_334
.LBB138_389:                            ;   in Loop: Header=BB138_18 Depth=1
                                        ; implicit-def: $sgpr18_sgpr19
	s_branch .LBB138_350
.LBB138_390:                            ;   in Loop: Header=BB138_18 Depth=1
	s_inst_prefetch 0x2
	s_or_b32 exec_lo, exec_lo, s20
	v_lshrrev_b32_sdwa v31, v29, v9 dst_sel:DWORD dst_unused:UNUSED_PAD src0_sel:DWORD src1_sel:WORD_0
	s_and_b32 s20, s62, exec_lo
.LBB138_391:                            ;   in Loop: Header=BB138_18 Depth=1
	s_or_b32 exec_lo, exec_lo, s56
.LBB138_392:                            ;   in Loop: Header=BB138_18 Depth=1
	s_and_b32 vcc_lo, exec_lo, s21
	s_cbranch_vccz .LBB138_406
; %bb.393:                              ;   in Loop: Header=BB138_18 Depth=1
	s_mov_b32 s74, s73
	s_cmp_lg_u64 s[74:75], 0
	s_cbranch_scc0 .LBB138_425
; %bb.394:                              ;   in Loop: Header=BB138_18 Depth=1
	v_cvt_f32_u32_e32 v4, s33
	s_sub_u32 s16, 0, s33
	s_subb_u32 s17, 0, 0
	v_fmac_f32_e64 v4, 0x4f800000, 0
	v_rcp_f32_e32 v4, v4
	v_mul_f32_e32 v4, 0x5f7ffffc, v4
	v_mul_f32_e32 v5, 0x2f800000, v4
	v_trunc_f32_e32 v5, v5
	v_fmac_f32_e32 v4, 0xcf800000, v5
	v_cvt_u32_f32_e32 v5, v5
	v_cvt_u32_f32_e32 v4, v4
	v_readfirstlane_b32 s2, v5
	v_readfirstlane_b32 s7, v4
	s_mul_i32 s18, s16, s2
	s_mul_hi_u32 s21, s16, s7
	s_mul_i32 s19, s17, s7
	s_add_i32 s18, s21, s18
	s_mul_i32 s56, s16, s7
	s_add_i32 s18, s18, s19
	s_mul_hi_u32 s21, s7, s56
	s_mul_i32 s72, s7, s18
	s_mul_hi_u32 s62, s2, s56
	s_mul_i32 s19, s2, s56
	s_mul_hi_u32 s56, s7, s18
	s_add_u32 s21, s21, s72
	s_addc_u32 s56, 0, s56
	s_mul_hi_u32 s74, s2, s18
	s_add_u32 s19, s21, s19
	s_mul_i32 s18, s2, s18
	s_addc_u32 s19, s56, s62
	s_addc_u32 s21, s74, 0
	s_add_u32 s18, s19, s18
	s_addc_u32 s19, 0, s21
	s_add_u32 s7, s7, s18
	s_cselect_b32 s18, -1, 0
	s_mul_hi_u32 s21, s16, s7
	s_cmp_lg_u32 s18, 0
	s_mul_i32 s18, s16, s7
	s_addc_u32 s2, s2, s19
	s_mul_i32 s17, s17, s7
	s_mul_i32 s16, s16, s2
	s_mul_hi_u32 s19, s7, s18
	s_add_i32 s16, s21, s16
	s_mul_hi_u32 s21, s2, s18
	s_add_i32 s16, s16, s17
	s_mul_i32 s17, s2, s18
	s_mul_i32 s62, s7, s16
	s_mul_hi_u32 s56, s7, s16
	s_add_u32 s19, s19, s62
	s_addc_u32 s56, 0, s56
	s_mul_hi_u32 s18, s2, s16
	s_add_u32 s17, s19, s17
	s_mul_i32 s16, s2, s16
	s_addc_u32 s17, s56, s21
	s_addc_u32 s18, s18, 0
	s_add_u32 s16, s17, s16
	s_addc_u32 s17, 0, s18
	s_add_u32 s7, s7, s16
	s_cselect_b32 s16, -1, 0
	s_mul_hi_u32 s18, s96, s7
	s_cmp_lg_u32 s16, 0
	s_mul_hi_u32 s16, s75, s7
	s_addc_u32 s2, s2, s17
	s_mul_i32 s7, s75, s7
	s_mul_i32 s19, s96, s2
	s_mul_hi_u32 s17, s96, s2
	s_add_u32 s18, s18, s19
	s_addc_u32 s17, 0, s17
	s_mul_hi_u32 s21, s75, s2
	s_add_u32 s7, s18, s7
	s_mul_i32 s2, s75, s2
	s_addc_u32 s7, s17, s16
	s_addc_u32 s16, s21, 0
	s_add_u32 s2, s7, s2
	s_addc_u32 s7, 0, s16
	s_mul_hi_u32 s16, s33, s2
	s_mul_i32 s7, s33, s7
	s_mul_i32 s2, s33, s2
	s_add_i32 s16, s16, s7
	s_sub_u32 s2, s96, s2
	s_cselect_b32 s7, -1, 0
	s_cmp_lg_u32 s7, 0
	s_subb_u32 s7, s75, s16
	s_sub_u32 s16, s2, s33
	s_cselect_b32 s17, -1, 0
	s_cmp_lg_u32 s17, 0
	s_subb_u32 s17, s7, 0
	s_sub_u32 s18, s16, s33
	s_cselect_b32 s19, -1, 0
	s_cmp_lg_u32 s19, 0
	s_subb_u32 s19, s17, 0
	s_cmp_ge_u32 s16, s33
	s_cselect_b32 s21, -1, 0
	s_cmp_eq_u32 s17, 0
	s_cselect_b32 s21, s21, -1
	s_cmp_lg_u32 s21, 0
	s_cselect_b32 s17, s19, s17
	s_cselect_b32 s16, s18, s16
	s_cmp_ge_u32 s2, s33
	s_cselect_b32 s18, -1, 0
	s_cmp_eq_u32 s7, 0
	s_cselect_b32 s18, s18, -1
	s_cmp_lg_u32 s18, 0
	s_cselect_b32 s17, s17, s7
	s_cselect_b32 s16, s16, s2
	s_cbranch_execnz .LBB138_396
.LBB138_395:                            ;   in Loop: Header=BB138_18 Depth=1
	v_cvt_f32_u32_e32 v4, s33
	s_sub_i32 s7, 0, s33
	v_rcp_iflag_f32_e32 v4, v4
	v_mul_f32_e32 v4, 0x4f7ffffe, v4
	v_cvt_u32_f32_e32 v4, v4
	v_readfirstlane_b32 s2, v4
	s_mul_i32 s7, s7, s2
	s_mul_hi_u32 s7, s2, s7
	s_add_i32 s2, s2, s7
	s_mul_hi_u32 s2, s96, s2
	s_mul_i32 s2, s2, s33
	s_sub_i32 s2, s96, s2
	s_sub_i32 s7, s2, s33
	s_cmp_ge_u32 s2, s33
	s_cselect_b32 s2, s7, s2
	s_sub_i32 s7, s2, s33
	s_cmp_ge_u32 s2, s33
	s_cselect_b32 s72, s7, s2
	s_mov_b64 s[16:17], s[72:73]
.LBB138_396:                            ;   in Loop: Header=BB138_18 Depth=1
	s_sub_u32 s16, s96, s16
	s_subb_u32 s17, s75, s17
	s_mov_b32 s18, exec_lo
                                        ; implicit-def: $vgpr31
	v_cmpx_gt_u64_e64 s[16:17], v[0:1]
	s_cbranch_execz .LBB138_405
; %bb.397:                              ;   in Loop: Header=BB138_18 Depth=1
	v_mov_b32_e32 v5, v1
	v_mov_b32_e32 v4, v0
	s_mov_b32 s19, 0
                                        ; implicit-def: $sgpr21
	s_branch .LBB138_400
.LBB138_398:                            ;   in Loop: Header=BB138_400 Depth=2
	s_or_b32 exec_lo, exec_lo, s56
	s_waitcnt lgkmcnt(0)
	s_barrier
	buffer_gl0_inv
	ds_read_u16 v8, v3 offset:3072
	s_mov_b32 s7, -1
	s_waitcnt lgkmcnt(0)
	s_barrier
	buffer_gl0_inv
	v_cmp_eq_u32_sdwa s2, v8, v3 src0_sel:BYTE_0 src1_sel:DWORD
	s_and_b32 vcc_lo, exec_lo, s2
	s_mov_b32 s2, -1
	s_cbranch_vccnz .LBB138_403
.LBB138_399:                            ;   in Loop: Header=BB138_400 Depth=2
	s_and_b32 s7, exec_lo, s7
	s_or_b32 s19, s7, s19
	s_andn2_b32 s7, s21, exec_lo
	s_and_b32 s2, s2, exec_lo
	s_or_b32 s21, s7, s2
	s_andn2_b32 exec_lo, exec_lo, s19
	s_cbranch_execz .LBB138_404
.LBB138_400:                            ;   Parent Loop BB138_18 Depth=1
                                        ; =>  This Inner Loop Header: Depth=2
	s_mov_b32 s56, exec_lo
	v_cmpx_gt_u64_e64 s[36:37], v[4:5]
	s_cbranch_execz .LBB138_398
; %bb.401:                              ;   in Loop: Header=BB138_400 Depth=2
	v_mul_lo_u32 v10, v4, s31
	v_mul_lo_u32 v11, v5, s30
	v_mad_u64_u32 v[8:9], null, v4, s30, s[28:29]
	v_add3_u32 v9, v11, v9, v10
	global_load_ubyte v8, v[8:9], off
	s_waitcnt vmcnt(0)
	v_add_nc_u32_sdwa v9, sext(v8), v28 dst_sel:DWORD dst_unused:UNUSED_PAD src0_sel:BYTE_0 src1_sel:DWORD
	v_and_b32_e32 v9, v9, v30
	v_cmp_eq_u32_e32 vcc_lo, v9, v26
	s_and_b32 exec_lo, exec_lo, vcc_lo
	s_cbranch_execz .LBB138_398
; %bb.402:                              ;   in Loop: Header=BB138_400 Depth=2
	v_lshlrev_b16 v8, 8, v8
	v_or_b32_e32 v8, 1, v8
	ds_write_b16 v3, v8 offset:3072
	s_branch .LBB138_398
.LBB138_403:                            ;   in Loop: Header=BB138_400 Depth=2
	v_add_co_u32 v4, vcc_lo, v4, s33
	v_add_co_ci_u32_e64 v5, null, 0, v5, vcc_lo
	s_mov_b32 s2, 0
	v_cmp_le_u64_e32 vcc_lo, s[16:17], v[4:5]
	s_orn2_b32 s7, vcc_lo, exec_lo
	s_branch .LBB138_399
.LBB138_404:                            ;   in Loop: Header=BB138_18 Depth=1
	s_or_b32 exec_lo, exec_lo, s19
	v_lshrrev_b32_sdwa v31, v29, v8 dst_sel:DWORD dst_unused:UNUSED_PAD src0_sel:DWORD src1_sel:WORD_0
	s_andn2_b32 s2, s20, exec_lo
	s_and_b32 s7, s21, exec_lo
	s_or_b32 s20, s2, s7
.LBB138_405:                            ;   in Loop: Header=BB138_18 Depth=1
	s_or_b32 exec_lo, exec_lo, s18
	s_mov_b32 s81, 0
	s_mov_b32 s82, -1
.LBB138_406:                            ;   in Loop: Header=BB138_18 Depth=1
	s_orn2_b32 s16, s20, exec_lo
.LBB138_407:                            ;   in Loop: Header=BB138_18 Depth=1
	s_or_b32 exec_lo, exec_lo, s84
	s_mov_b32 s17, 0
	s_and_saveexec_b32 s20, s16
	s_cbranch_execz .LBB138_469
; %bb.408:                              ;   in Loop: Header=BB138_18 Depth=1
	v_mov_b32_e32 v4, 1
	v_mov_b32_e32 v5, 0
	;; [unrolled: 1-line block ×3, first 2 shown]
	s_xor_b32 s2, s83, -1
	s_and_saveexec_b32 s16, s2
	s_cbranch_execz .LBB138_417
; %bb.409:                              ;   in Loop: Header=BB138_18 Depth=1
	s_mov_b32 s2, exec_lo
	v_cmpx_ge_u64_e64 s[14:15], v[6:7]
	s_xor_b32 s17, exec_lo, s2
	s_cbranch_execz .LBB138_414
; %bb.410:                              ;   in Loop: Header=BB138_18 Depth=1
	ds_read_b64 v[4:5], v3 offset:5120
	s_lshl_b32 s2, 1, s69
	v_or_b32_e32 v30, s11, v30
	v_and_or_b32 v26, v26, s26, s2
	s_waitcnt lgkmcnt(0)
	v_cmp_ne_u64_e32 vcc_lo, 0, v[4:5]
	s_cbranch_vccnz .LBB138_414
; %bb.411:                              ;   in Loop: Header=BB138_18 Depth=1
	s_and_saveexec_b32 s2, s3
; %bb.412:                              ;   in Loop: Header=BB138_18 Depth=1
	v_mov_b32_e32 v4, s14
	v_mov_b32_e32 v5, s15
	ds_write_b64 v3, v[4:5] offset:5128
; %bb.413:                              ;   in Loop: Header=BB138_18 Depth=1
	s_or_b32 exec_lo, exec_lo, s2
	s_waitcnt lgkmcnt(0)
	s_barrier
	buffer_gl0_inv
.LBB138_414:                            ;   in Loop: Header=BB138_18 Depth=1
	s_or_saveexec_b32 s17, s17
	v_mov_b32_e32 v2, 5
	s_mov_b32 s18, 0
	s_xor_b32 exec_lo, exec_lo, s17
; %bb.415:                              ;   in Loop: Header=BB138_18 Depth=1
	v_sub_co_u32 v6, vcc_lo, v6, s14
	v_subrev_co_ci_u32_e64 v7, null, s15, v7, vcc_lo
	v_mov_b32_e32 v2, 0
	s_mov_b32 s18, exec_lo
; %bb.416:                              ;   in Loop: Header=BB138_18 Depth=1
	s_or_b32 exec_lo, exec_lo, s17
	v_mov_b32_e32 v4, v6
	v_mov_b32_e32 v5, v7
	s_and_b32 s17, s18, exec_lo
.LBB138_417:                            ;   in Loop: Header=BB138_18 Depth=1
	s_or_b32 exec_lo, exec_lo, s16
	s_mov_b32 s14, -1
                                        ; implicit-def: $sgpr85
                                        ; implicit-def: $sgpr74
	s_and_saveexec_b32 s21, s17
	s_cbranch_execz .LBB138_468
; %bb.418:                              ;   in Loop: Header=BB138_18 Depth=1
	v_cmp_eq_u64_e32 vcc_lo, 1, v[4:5]
	s_cmp_eq_u64 s[12:13], 1
	s_mov_b32 s15, -1
	s_cselect_b32 s2, -1, 0
                                        ; implicit-def: $sgpr85
                                        ; implicit-def: $sgpr74
	s_and_b32 s83, s2, vcc_lo
	s_and_saveexec_b32 s84, s83
	s_cbranch_execz .LBB138_456
; %bb.419:                              ;   in Loop: Header=BB138_18 Depth=1
	ds_read_b64 v[6:7], v3 offset:5120
	s_waitcnt lgkmcnt(0)
	s_barrier
	buffer_gl0_inv
	v_readfirstlane_b32 s14, v6
	v_readfirstlane_b32 s15, v7
	s_and_saveexec_b32 s2, s10
; %bb.420:                              ;   in Loop: Header=BB138_18 Depth=1
	ds_write_b8 v0, v3 offset:3072
; %bb.421:                              ;   in Loop: Header=BB138_18 Depth=1
	s_or_b32 exec_lo, exec_lo, s2
	v_and_b32_e32 v26, s26, v26
	v_or_b32_e32 v30, s11, v30
	s_mov_b32 s74, -1
	s_mov_b32 s85, 0
	s_cmp_eq_u64 s[14:15], 0
	s_mov_b32 s18, 0
	s_mov_b32 s19, -1
	s_waitcnt lgkmcnt(0)
	s_barrier
	buffer_gl0_inv
                                        ; implicit-def: $vgpr31
	s_cbranch_scc1 .LBB138_439
; %bb.422:                              ;   in Loop: Header=BB138_18 Depth=1
	s_add_u32 s56, s14, s94
	s_addc_u32 s17, s15, s95
	s_mov_b32 s16, s73
	s_cmp_lg_u64 s[16:17], 0
	s_cbranch_scc0 .LBB138_426
; %bb.423:                              ;   in Loop: Header=BB138_18 Depth=1
	v_cvt_f32_u32_e32 v6, s33
	s_sub_u32 s16, 0, s33
	s_subb_u32 s18, 0, 0
	v_fmac_f32_e64 v6, 0x4f800000, 0
	v_rcp_f32_e32 v6, v6
	v_mul_f32_e32 v6, 0x5f7ffffc, v6
	v_mul_f32_e32 v7, 0x2f800000, v6
	v_trunc_f32_e32 v7, v7
	v_fmac_f32_e32 v6, 0xcf800000, v7
	v_cvt_u32_f32_e32 v7, v7
	v_cvt_u32_f32_e32 v6, v6
	v_readfirstlane_b32 s2, v7
	v_readfirstlane_b32 s7, v6
	s_mul_i32 s19, s16, s2
	s_mul_hi_u32 s72, s16, s7
	s_mul_i32 s62, s18, s7
	s_add_i32 s19, s72, s19
	s_mul_i32 s86, s16, s7
	s_add_i32 s19, s19, s62
	s_mul_hi_u32 s72, s7, s86
	s_mul_i32 s88, s7, s19
	s_mul_hi_u32 s87, s2, s86
	s_mul_i32 s62, s2, s86
	s_mul_hi_u32 s86, s7, s19
	s_add_u32 s72, s72, s88
	s_addc_u32 s86, 0, s86
	s_mul_hi_u32 s89, s2, s19
	s_add_u32 s62, s72, s62
	s_mul_i32 s19, s2, s19
	s_addc_u32 s62, s86, s87
	s_addc_u32 s72, s89, 0
	s_add_u32 s19, s62, s19
	s_addc_u32 s62, 0, s72
	s_add_u32 s7, s7, s19
	s_cselect_b32 s19, -1, 0
	s_mul_hi_u32 s72, s16, s7
	s_cmp_lg_u32 s19, 0
	s_mul_i32 s19, s16, s7
	s_addc_u32 s2, s2, s62
	s_mul_i32 s18, s18, s7
	s_mul_i32 s16, s16, s2
	s_mul_hi_u32 s62, s7, s19
	s_add_i32 s16, s72, s16
	s_mul_hi_u32 s72, s2, s19
	s_add_i32 s16, s16, s18
	s_mul_i32 s18, s2, s19
	s_mul_i32 s87, s7, s16
	s_mul_hi_u32 s86, s7, s16
	s_add_u32 s62, s62, s87
	s_addc_u32 s86, 0, s86
	s_mul_hi_u32 s19, s2, s16
	s_add_u32 s18, s62, s18
	s_mul_i32 s16, s2, s16
	s_addc_u32 s18, s86, s72
	s_addc_u32 s19, s19, 0
	s_add_u32 s16, s18, s16
	s_addc_u32 s18, 0, s19
	s_add_u32 s7, s7, s16
	s_cselect_b32 s16, -1, 0
	s_mul_hi_u32 s19, s56, s7
	s_cmp_lg_u32 s16, 0
	s_mul_hi_u32 s16, s17, s7
	s_addc_u32 s2, s2, s18
	s_mul_i32 s7, s17, s7
	s_mul_i32 s62, s56, s2
	s_mul_hi_u32 s18, s56, s2
	s_add_u32 s19, s19, s62
	s_addc_u32 s18, 0, s18
	s_mul_hi_u32 s72, s17, s2
	s_add_u32 s7, s19, s7
	s_mul_i32 s2, s17, s2
	s_addc_u32 s7, s18, s16
	s_addc_u32 s16, s72, 0
	s_add_u32 s2, s7, s2
	s_addc_u32 s7, 0, s16
	s_mul_hi_u32 s16, s33, s2
	s_mul_i32 s7, s33, s7
	s_mul_i32 s2, s33, s2
	s_add_i32 s16, s16, s7
	s_sub_u32 s2, s56, s2
	s_cselect_b32 s7, -1, 0
	s_cmp_lg_u32 s7, 0
	s_subb_u32 s7, s17, s16
	s_sub_u32 s16, s2, s33
	s_cselect_b32 s18, -1, 0
	s_cmp_lg_u32 s18, 0
	s_subb_u32 s18, s7, 0
	;; [unrolled: 4-line block ×3, first 2 shown]
	s_cmp_ge_u32 s16, s33
	s_cselect_b32 s72, -1, 0
	s_cmp_eq_u32 s18, 0
	s_cselect_b32 s72, s72, -1
	s_cmp_lg_u32 s72, 0
	s_cselect_b32 s18, s62, s18
	s_cselect_b32 s16, s19, s16
	s_cmp_ge_u32 s2, s33
	s_cselect_b32 s19, -1, 0
	s_cmp_eq_u32 s7, 0
	s_cselect_b32 s19, s19, -1
	s_cmp_lg_u32 s19, 0
	s_cselect_b32 s19, s18, s7
	s_cselect_b32 s18, s16, s2
	s_mov_b32 s2, 0
	s_branch .LBB138_427
.LBB138_424:                            ;   in Loop: Header=BB138_18 Depth=1
                                        ; implicit-def: $sgpr20_sgpr21
	s_branch .LBB138_379
.LBB138_425:                            ;   in Loop: Header=BB138_18 Depth=1
                                        ; implicit-def: $sgpr16_sgpr17
	s_branch .LBB138_395
.LBB138_426:                            ;   in Loop: Header=BB138_18 Depth=1
	s_mov_b32 s2, -1
                                        ; implicit-def: $sgpr18_sgpr19
.LBB138_427:                            ;   in Loop: Header=BB138_18 Depth=1
	s_andn2_b32 vcc_lo, exec_lo, s2
	s_cbranch_vccnz .LBB138_429
; %bb.428:                              ;   in Loop: Header=BB138_18 Depth=1
	v_cvt_f32_u32_e32 v6, s33
	s_sub_i32 s7, 0, s33
	v_rcp_iflag_f32_e32 v6, v6
	v_mul_f32_e32 v6, 0x4f7ffffe, v6
	v_cvt_u32_f32_e32 v6, v6
	v_readfirstlane_b32 s2, v6
	s_mul_i32 s7, s7, s2
	s_mul_hi_u32 s7, s2, s7
	s_add_i32 s2, s2, s7
	s_mul_hi_u32 s2, s56, s2
	s_mul_i32 s2, s2, s33
	s_sub_i32 s2, s56, s2
	s_sub_i32 s7, s2, s33
	s_cmp_ge_u32 s2, s33
	s_cselect_b32 s2, s7, s2
	s_sub_i32 s7, s2, s33
	s_cmp_ge_u32 s2, s33
	s_cselect_b32 s72, s7, s2
	s_mov_b64 s[18:19], s[72:73]
.LBB138_429:                            ;   in Loop: Header=BB138_18 Depth=1
	s_sub_u32 s16, s56, s18
	s_subb_u32 s17, s17, s19
	s_mov_b32 s19, 0
	s_mov_b32 s18, 0
	s_mov_b32 s56, exec_lo
                                        ; implicit-def: $vgpr31
	v_cmpx_gt_u64_e64 s[16:17], v[0:1]
	s_cbranch_execz .LBB138_438
; %bb.430:                              ;   in Loop: Header=BB138_18 Depth=1
	v_mov_b32_e32 v7, v1
	v_mov_b32_e32 v8, v0
	;; [unrolled: 1-line block ×3, first 2 shown]
                                        ; implicit-def: $sgpr62
	s_inst_prefetch 0x1
	s_branch .LBB138_433
	.p2align	6
.LBB138_431:                            ;   in Loop: Header=BB138_433 Depth=2
	s_or_b32 exec_lo, exec_lo, s72
	s_waitcnt lgkmcnt(0)
	s_barrier
	buffer_gl0_inv
	ds_read_u16 v9, v3 offset:3072
	s_mov_b32 s2, -1
	s_waitcnt lgkmcnt(0)
	s_barrier
	buffer_gl0_inv
	v_cmp_ne_u32_sdwa s7, v9, v3 src0_sel:BYTE_0 src1_sel:DWORD
	s_and_b32 vcc_lo, exec_lo, s7
	s_mov_b32 s7, -1
	s_cbranch_vccz .LBB138_436
.LBB138_432:                            ;   in Loop: Header=BB138_433 Depth=2
	s_and_b32 s2, exec_lo, s2
	s_or_b32 s18, s2, s18
	s_andn2_b32 s2, s62, exec_lo
	s_and_b32 s7, s7, exec_lo
	s_or_b32 s62, s2, s7
	s_andn2_b32 exec_lo, exec_lo, s18
	s_cbranch_execz .LBB138_437
.LBB138_433:                            ;   Parent Loop BB138_18 Depth=1
                                        ; =>  This Inner Loop Header: Depth=2
	s_mov_b32 s72, exec_lo
	v_cmpx_gt_u64_e64 s[14:15], v[6:7]
	s_cbranch_execz .LBB138_431
; %bb.434:                              ;   in Loop: Header=BB138_433 Depth=2
	ds_read_u8 v9, v8
	s_waitcnt lgkmcnt(0)
	v_add_nc_u32_sdwa v10, sext(v9), v28 dst_sel:DWORD dst_unused:UNUSED_PAD src0_sel:BYTE_0 src1_sel:DWORD
	v_and_b32_e32 v10, v10, v30
	v_cmp_eq_u32_e32 vcc_lo, v10, v26
	s_and_b32 exec_lo, exec_lo, vcc_lo
	s_cbranch_execz .LBB138_431
; %bb.435:                              ;   in Loop: Header=BB138_433 Depth=2
	v_lshlrev_b16 v9, 8, v9
	v_or_b32_e32 v9, 1, v9
	ds_write_b16 v3, v9 offset:3072
	s_branch .LBB138_431
.LBB138_436:                            ;   in Loop: Header=BB138_433 Depth=2
	v_add_co_u32 v6, vcc_lo, v6, s33
	v_add_co_ci_u32_e64 v7, null, 0, v7, vcc_lo
	v_add_nc_u32_e32 v8, s33, v8
	s_mov_b32 s7, 0
	v_cmp_le_u64_e32 vcc_lo, s[16:17], v[6:7]
	s_orn2_b32 s2, vcc_lo, exec_lo
	s_branch .LBB138_432
.LBB138_437:                            ;   in Loop: Header=BB138_18 Depth=1
	s_inst_prefetch 0x2
	s_or_b32 exec_lo, exec_lo, s18
	v_lshrrev_b32_sdwa v31, v29, v9 dst_sel:DWORD dst_unused:UNUSED_PAD src0_sel:DWORD src1_sel:WORD_0
	s_and_b32 s18, s62, exec_lo
.LBB138_438:                            ;   in Loop: Header=BB138_18 Depth=1
	s_or_b32 exec_lo, exec_lo, s56
.LBB138_439:                            ;   in Loop: Header=BB138_18 Depth=1
	s_and_b32 vcc_lo, exec_lo, s19
	s_cbranch_vccz .LBB138_455
; %bb.440:                              ;   in Loop: Header=BB138_18 Depth=1
	s_mov_b32 s74, s73
	s_cmp_lg_u64 s[74:75], 0
	s_cbranch_scc0 .LBB138_442
; %bb.441:                              ;   in Loop: Header=BB138_18 Depth=1
	v_cvt_f32_u32_e32 v6, s33
	s_sub_u32 s14, 0, s33
	s_subb_u32 s15, 0, 0
	v_fmac_f32_e64 v6, 0x4f800000, 0
	v_rcp_f32_e32 v6, v6
	v_mul_f32_e32 v6, 0x5f7ffffc, v6
	v_mul_f32_e32 v7, 0x2f800000, v6
	v_trunc_f32_e32 v7, v7
	v_fmac_f32_e32 v6, 0xcf800000, v7
	v_cvt_u32_f32_e32 v7, v7
	v_cvt_u32_f32_e32 v6, v6
	v_readfirstlane_b32 s2, v7
	v_readfirstlane_b32 s7, v6
	s_mul_i32 s16, s14, s2
	s_mul_hi_u32 s19, s14, s7
	s_mul_i32 s17, s15, s7
	s_add_i32 s16, s19, s16
	s_mul_i32 s56, s14, s7
	s_add_i32 s16, s16, s17
	s_mul_hi_u32 s19, s7, s56
	s_mul_i32 s72, s7, s16
	s_mul_hi_u32 s62, s2, s56
	s_mul_i32 s17, s2, s56
	s_mul_hi_u32 s56, s7, s16
	s_add_u32 s19, s19, s72
	s_addc_u32 s56, 0, s56
	s_mul_hi_u32 s74, s2, s16
	s_add_u32 s17, s19, s17
	s_mul_i32 s16, s2, s16
	s_addc_u32 s17, s56, s62
	s_addc_u32 s19, s74, 0
	s_add_u32 s16, s17, s16
	s_addc_u32 s17, 0, s19
	s_add_u32 s7, s7, s16
	s_cselect_b32 s16, -1, 0
	s_mul_hi_u32 s19, s14, s7
	s_cmp_lg_u32 s16, 0
	s_mul_i32 s16, s14, s7
	s_addc_u32 s2, s2, s17
	s_mul_i32 s15, s15, s7
	s_mul_i32 s14, s14, s2
	s_mul_hi_u32 s17, s7, s16
	s_add_i32 s14, s19, s14
	s_mul_hi_u32 s19, s2, s16
	s_add_i32 s14, s14, s15
	s_mul_i32 s15, s2, s16
	s_mul_i32 s62, s7, s14
	s_mul_hi_u32 s56, s7, s14
	s_add_u32 s17, s17, s62
	s_addc_u32 s56, 0, s56
	s_mul_hi_u32 s16, s2, s14
	s_add_u32 s15, s17, s15
	s_mul_i32 s14, s2, s14
	s_addc_u32 s15, s56, s19
	s_addc_u32 s16, s16, 0
	s_add_u32 s14, s15, s14
	s_addc_u32 s15, 0, s16
	s_add_u32 s7, s7, s14
	s_cselect_b32 s14, -1, 0
	s_mul_hi_u32 s16, s96, s7
	s_cmp_lg_u32 s14, 0
	s_mul_hi_u32 s14, s75, s7
	s_addc_u32 s2, s2, s15
	s_mul_i32 s7, s75, s7
	s_mul_i32 s17, s96, s2
	s_mul_hi_u32 s15, s96, s2
	s_add_u32 s16, s16, s17
	s_addc_u32 s15, 0, s15
	s_mul_hi_u32 s19, s75, s2
	s_add_u32 s7, s16, s7
	s_mul_i32 s2, s75, s2
	s_addc_u32 s7, s15, s14
	s_addc_u32 s14, s19, 0
	s_add_u32 s2, s7, s2
	s_addc_u32 s7, 0, s14
	s_mul_hi_u32 s14, s33, s2
	s_mul_i32 s7, s33, s7
	s_mul_i32 s2, s33, s2
	s_add_i32 s14, s14, s7
	s_sub_u32 s2, s96, s2
	s_cselect_b32 s7, -1, 0
	s_cmp_lg_u32 s7, 0
	s_subb_u32 s7, s75, s14
	s_sub_u32 s14, s2, s33
	s_cselect_b32 s15, -1, 0
	s_cmp_lg_u32 s15, 0
	s_subb_u32 s15, s7, 0
	;; [unrolled: 4-line block ×3, first 2 shown]
	s_cmp_ge_u32 s14, s33
	s_cselect_b32 s19, -1, 0
	s_cmp_eq_u32 s15, 0
	s_cselect_b32 s19, s19, -1
	s_cmp_lg_u32 s19, 0
	s_cselect_b32 s15, s17, s15
	s_cselect_b32 s14, s16, s14
	s_cmp_ge_u32 s2, s33
	s_cselect_b32 s16, -1, 0
	s_cmp_eq_u32 s7, 0
	s_cselect_b32 s16, s16, -1
	s_cmp_lg_u32 s16, 0
	s_cselect_b32 s15, s15, s7
	s_cselect_b32 s14, s14, s2
	s_mov_b32 s2, 0
	s_branch .LBB138_443
.LBB138_442:                            ;   in Loop: Header=BB138_18 Depth=1
	s_mov_b32 s2, -1
                                        ; implicit-def: $sgpr14_sgpr15
.LBB138_443:                            ;   in Loop: Header=BB138_18 Depth=1
	s_andn2_b32 vcc_lo, exec_lo, s2
	s_cbranch_vccnz .LBB138_445
; %bb.444:                              ;   in Loop: Header=BB138_18 Depth=1
	v_cvt_f32_u32_e32 v6, s33
	s_sub_i32 s7, 0, s33
	v_rcp_iflag_f32_e32 v6, v6
	v_mul_f32_e32 v6, 0x4f7ffffe, v6
	v_cvt_u32_f32_e32 v6, v6
	v_readfirstlane_b32 s2, v6
	s_mul_i32 s7, s7, s2
	s_mul_hi_u32 s7, s2, s7
	s_add_i32 s2, s2, s7
	s_mul_hi_u32 s2, s96, s2
	s_mul_i32 s2, s2, s33
	s_sub_i32 s2, s96, s2
	s_sub_i32 s7, s2, s33
	s_cmp_ge_u32 s2, s33
	s_cselect_b32 s2, s7, s2
	s_sub_i32 s7, s2, s33
	s_cmp_ge_u32 s2, s33
	s_cselect_b32 s72, s7, s2
	s_mov_b64 s[14:15], s[72:73]
.LBB138_445:                            ;   in Loop: Header=BB138_18 Depth=1
	s_sub_u32 s14, s96, s14
	s_subb_u32 s15, s75, s15
	s_mov_b32 s16, exec_lo
                                        ; implicit-def: $vgpr31
	v_cmpx_gt_u64_e64 s[14:15], v[0:1]
	s_cbranch_execz .LBB138_454
; %bb.446:                              ;   in Loop: Header=BB138_18 Depth=1
	v_mov_b32_e32 v7, v1
	v_mov_b32_e32 v6, v0
	s_mov_b32 s17, 0
                                        ; implicit-def: $sgpr19
	s_branch .LBB138_449
.LBB138_447:                            ;   in Loop: Header=BB138_449 Depth=2
	s_or_b32 exec_lo, exec_lo, s56
	s_waitcnt lgkmcnt(0)
	s_barrier
	buffer_gl0_inv
	ds_read_u16 v8, v3 offset:3072
	s_mov_b32 s7, -1
	s_waitcnt lgkmcnt(0)
	s_barrier
	buffer_gl0_inv
	v_cmp_eq_u32_sdwa s2, v8, v3 src0_sel:BYTE_0 src1_sel:DWORD
	s_and_b32 vcc_lo, exec_lo, s2
	s_mov_b32 s2, -1
	s_cbranch_vccnz .LBB138_452
.LBB138_448:                            ;   in Loop: Header=BB138_449 Depth=2
	s_and_b32 s7, exec_lo, s7
	s_or_b32 s17, s7, s17
	s_andn2_b32 s7, s19, exec_lo
	s_and_b32 s2, s2, exec_lo
	s_or_b32 s19, s7, s2
	s_andn2_b32 exec_lo, exec_lo, s17
	s_cbranch_execz .LBB138_453
.LBB138_449:                            ;   Parent Loop BB138_18 Depth=1
                                        ; =>  This Inner Loop Header: Depth=2
	s_mov_b32 s56, exec_lo
	v_cmpx_gt_u64_e64 s[36:37], v[6:7]
	s_cbranch_execz .LBB138_447
; %bb.450:                              ;   in Loop: Header=BB138_449 Depth=2
	v_mul_lo_u32 v10, v6, s31
	v_mul_lo_u32 v11, v7, s30
	v_mad_u64_u32 v[8:9], null, v6, s30, s[28:29]
	v_add3_u32 v9, v11, v9, v10
	global_load_ubyte v8, v[8:9], off
	s_waitcnt vmcnt(0)
	v_add_nc_u32_sdwa v9, sext(v8), v28 dst_sel:DWORD dst_unused:UNUSED_PAD src0_sel:BYTE_0 src1_sel:DWORD
	v_and_b32_e32 v9, v9, v30
	v_cmp_eq_u32_e32 vcc_lo, v9, v26
	s_and_b32 exec_lo, exec_lo, vcc_lo
	s_cbranch_execz .LBB138_447
; %bb.451:                              ;   in Loop: Header=BB138_449 Depth=2
	v_lshlrev_b16 v8, 8, v8
	v_or_b32_e32 v8, 1, v8
	ds_write_b16 v3, v8 offset:3072
	s_branch .LBB138_447
.LBB138_452:                            ;   in Loop: Header=BB138_449 Depth=2
	v_add_co_u32 v6, vcc_lo, v6, s33
	v_add_co_ci_u32_e64 v7, null, 0, v7, vcc_lo
	s_mov_b32 s2, 0
	v_cmp_le_u64_e32 vcc_lo, s[14:15], v[6:7]
	s_orn2_b32 s7, vcc_lo, exec_lo
	s_branch .LBB138_448
.LBB138_453:                            ;   in Loop: Header=BB138_18 Depth=1
	s_or_b32 exec_lo, exec_lo, s17
	v_lshrrev_b32_sdwa v31, v29, v8 dst_sel:DWORD dst_unused:UNUSED_PAD src0_sel:DWORD src1_sel:WORD_0
	s_andn2_b32 s2, s18, exec_lo
	s_and_b32 s7, s19, exec_lo
	s_or_b32 s18, s2, s7
.LBB138_454:                            ;   in Loop: Header=BB138_18 Depth=1
	s_or_b32 exec_lo, exec_lo, s16
	s_mov_b32 s74, 0
	s_mov_b32 s85, -1
.LBB138_455:                            ;   in Loop: Header=BB138_18 Depth=1
	s_orn2_b32 s15, s18, exec_lo
.LBB138_456:                            ;   in Loop: Header=BB138_18 Depth=1
	s_or_b32 exec_lo, exec_lo, s84
	s_mov_b32 s16, 0
	s_and_saveexec_b32 s14, s15
	s_cbranch_execz .LBB138_467
; %bb.457:                              ;   in Loop: Header=BB138_18 Depth=1
	v_mov_b32_e32 v6, 1
	v_mov_b32_e32 v7, 0
	;; [unrolled: 1-line block ×3, first 2 shown]
	s_xor_b32 s2, s83, -1
	s_and_saveexec_b32 s15, s2
	s_cbranch_execz .LBB138_466
; %bb.458:                              ;   in Loop: Header=BB138_18 Depth=1
	s_mov_b32 s2, exec_lo
	v_cmpx_ge_u64_e64 s[12:13], v[4:5]
	s_xor_b32 s16, exec_lo, s2
	s_cbranch_execz .LBB138_463
; %bb.459:                              ;   in Loop: Header=BB138_18 Depth=1
	ds_read_b64 v[6:7], v3 offset:5120
	v_and_b32_e32 v26, s26, v26
	v_or_b32_e32 v30, s11, v30
	s_waitcnt lgkmcnt(0)
	v_cmp_ne_u64_e32 vcc_lo, 0, v[6:7]
	s_cbranch_vccnz .LBB138_463
; %bb.460:                              ;   in Loop: Header=BB138_18 Depth=1
	s_and_saveexec_b32 s2, s3
; %bb.461:                              ;   in Loop: Header=BB138_18 Depth=1
	v_mov_b32_e32 v6, s12
	v_mov_b32_e32 v7, s13
	ds_write_b64 v3, v[6:7] offset:5128
; %bb.462:                              ;   in Loop: Header=BB138_18 Depth=1
	s_or_b32 exec_lo, exec_lo, s2
	s_waitcnt lgkmcnt(0)
	s_barrier
	buffer_gl0_inv
.LBB138_463:                            ;   in Loop: Header=BB138_18 Depth=1
	s_andn2_saveexec_b32 s11, s16
; %bb.464:                              ;   in Loop: Header=BB138_18 Depth=1
	v_sub_co_u32 v4, vcc_lo, v4, s12
	v_subrev_co_ci_u32_e64 v5, null, s13, v5, vcc_lo
; %bb.465:                              ;   in Loop: Header=BB138_18 Depth=1
	s_or_b32 exec_lo, exec_lo, s11
	v_mov_b32_e32 v7, v5
	v_mov_b32_e32 v2, 5
	;; [unrolled: 1-line block ×3, first 2 shown]
.LBB138_466:                            ;   in Loop: Header=BB138_18 Depth=1
	s_or_b32 exec_lo, exec_lo, s15
	v_mov_b32_e32 v4, v6
	v_mov_b32_e32 v5, v7
	s_mov_b32 s16, exec_lo
.LBB138_467:                            ;   in Loop: Header=BB138_18 Depth=1
	s_or_b32 exec_lo, exec_lo, s14
	s_orn2_b32 s14, s16, exec_lo
.LBB138_468:                            ;   in Loop: Header=BB138_18 Depth=1
	s_or_b32 exec_lo, exec_lo, s21
	v_mov_b32_e32 v7, v5
	v_mov_b32_e32 v6, v4
	s_andn2_b32 s2, s82, exec_lo
	s_and_b32 s7, s85, exec_lo
	s_andn2_b32 s11, s81, exec_lo
	s_and_b32 s12, s74, exec_lo
	s_or_b32 s82, s2, s7
	s_or_b32 s81, s11, s12
	s_and_b32 s17, s14, exec_lo
.LBB138_469:                            ;   in Loop: Header=BB138_18 Depth=1
	s_or_b32 exec_lo, exec_lo, s20
	s_orn2_b32 s16, s17, exec_lo
.LBB138_470:                            ;   in Loop: Header=BB138_18 Depth=1
	s_or_b32 exec_lo, exec_lo, s23
	v_mov_b32_e32 v4, v6
	v_mov_b32_e32 v5, v7
	s_andn2_b32 s2, s80, exec_lo
	s_and_b32 s7, s82, exec_lo
	s_andn2_b32 s11, s25, exec_lo
	s_and_b32 s12, s81, exec_lo
	s_or_b32 s80, s2, s7
	s_or_b32 s25, s11, s12
	s_and_b32 s19, s16, exec_lo
.LBB138_471:                            ;   in Loop: Header=BB138_18 Depth=1
	s_or_b32 exec_lo, exec_lo, s22
	s_orn2_b32 s18, s19, exec_lo
.LBB138_472:                            ;   in Loop: Header=BB138_18 Depth=1
	s_or_b32 exec_lo, exec_lo, s6
	s_mov_b32 s6, s79
	s_mov_b32 s11, s78
	s_and_saveexec_b32 s12, s18
; %bb.473:                              ;   in Loop: Header=BB138_18 Depth=1
	v_cmp_ne_u32_e32 vcc_lo, 5, v2
	v_cmp_eq_u32_e64 s6, 5, v2
	s_andn2_b32 s2, s78, exec_lo
	s_andn2_b32 s7, s79, exec_lo
	s_and_b32 s11, vcc_lo, exec_lo
	s_and_b32 s6, s6, exec_lo
	s_or_b32 s11, s2, s11
	s_or_b32 s6, s7, s6
; %bb.474:                              ;   in Loop: Header=BB138_18 Depth=1
	s_or_b32 exec_lo, exec_lo, s12
	s_andn2_b32 s2, s9, exec_lo
	s_and_b32 s7, s80, exec_lo
	s_andn2_b32 s12, s27, exec_lo
	s_and_b32 s13, s25, exec_lo
	s_or_b32 s9, s2, s7
	s_andn2_b32 s2, s78, exec_lo
	s_and_b32 s7, s11, exec_lo
	s_andn2_b32 s11, s79, exec_lo
	s_and_b32 s6, s6, exec_lo
	s_or_b32 s27, s12, s13
	s_or_b32 s78, s2, s7
	;; [unrolled: 1-line block ×3, first 2 shown]
.LBB138_475:                            ;   in Loop: Header=BB138_18 Depth=1
	s_or_b32 exec_lo, exec_lo, s24
	s_mov_b32 s80, 0
	s_mov_b32 s81, 0
	s_and_saveexec_b32 s2, s79
.LBB138_476:                            ;   in Loop: Header=BB138_18 Depth=1
	v_mov_b32_e32 v2, 0
	s_or_b32 s78, s78, exec_lo
.LBB138_477:                            ;   in Loop: Header=BB138_18 Depth=1
	s_or_b32 exec_lo, exec_lo, s2
	s_andn2_b32 s2, s50, exec_lo
	s_and_b32 s6, s9, exec_lo
	s_andn2_b32 s7, s48, exec_lo
	s_and_b32 s9, s27, exec_lo
	v_mov_b32_e32 v20, v5
	v_mov_b32_e32 v19, v4
	s_or_b32 s50, s2, s6
	s_or_b32 s48, s7, s9
	s_andn2_b32 s2, s8, exec_lo
	s_and_b32 s6, s81, exec_lo
	s_andn2_b32 s7, s51, exec_lo
	s_and_b32 s9, s80, exec_lo
	s_mov_b32 s11, -1
	s_andn2_b32 s49, s49, exec_lo
	s_or_b32 s8, s2, s6
	s_or_b32 s51, s7, s9
	s_and_saveexec_b32 s2, s78
	s_xor_b32 s6, exec_lo, s2
	s_cbranch_execz .LBB138_17
; %bb.478:                              ;   in Loop: Header=BB138_18 Depth=1
	s_mov_b32 s9, -1
	s_mov_b32 s2, exec_lo
	v_cmpx_eq_u32_e32 0, v2
	s_cbranch_execz .LBB138_16
; %bb.479:                              ;   in Loop: Header=BB138_18 Depth=1
	s_xor_b32 s55, s55, 1
	s_add_i32 s7, s69, -2
	s_cmp_eq_u32 s69, 0
	s_mov_b32 s69, s7
	s_cselect_b32 s9, -1, 0
	s_xor_b32 s11, exec_lo, -1
	s_orn2_b32 s9, s9, exec_lo
	s_branch .LBB138_16
.LBB138_480:
	s_or_b32 exec_lo, exec_lo, s52
	s_xor_b32 s7, s61, -1
	s_xor_b32 s9, s67, -1
	;; [unrolled: 1-line block ×5, first 2 shown]
	s_mov_b32 s8, 0
	s_and_saveexec_b32 s11, s10
	s_xor_b32 s14, exec_lo, s11
	s_cbranch_execnz .LBB138_485
; %bb.481:
	s_andn2_saveexec_b32 s0, s14
	s_cbranch_execnz .LBB138_504
.LBB138_482:
	s_or_b32 exec_lo, exec_lo, s0
	s_and_saveexec_b32 s0, s8
.LBB138_483:
	; divergent unreachable
.LBB138_484:
	s_endpgm
.LBB138_485:
	s_and_saveexec_b32 s10, s2
	s_xor_b32 s15, exec_lo, s10
	s_cbranch_execz .LBB138_502
; %bb.486:
	s_and_saveexec_b32 s2, s9
	s_xor_b32 s16, exec_lo, s2
	s_cbranch_execz .LBB138_500
; %bb.487:
	;; [unrolled: 4-line block ×3, first 2 shown]
	s_and_saveexec_b32 s2, s6
	s_xor_b32 s2, exec_lo, s2
; %bb.489:
	v_xor_b32_e32 v31, 0xffffff80, v26
; %bb.490:
	s_or_b32 exec_lo, exec_lo, s2
	s_and_saveexec_b32 s2, s3
	v_readlane_b32 s35, v50, 6
; %bb.491:
	v_mov_b32_e32 v2, 0
	v_mov_b32_e32 v3, v2
	ds_write_b64 v2, v[2:3] offset:5136
; %bb.492:
	s_or_b32 exec_lo, exec_lo, s2
	v_mov_b32_e32 v14, 0
	s_waitcnt lgkmcnt(0)
	s_barrier
	buffer_gl0_inv
	s_and_saveexec_b32 s2, s1
	s_cbranch_execz .LBB138_494
; %bb.493:
	global_load_ubyte v14, v[12:13], off
.LBB138_494:
	s_or_b32 exec_lo, exec_lo, s2
	s_clause 0x3
	s_load_dwordx2 s[26:27], s[4:5], 0x450
	s_load_dwordx2 s[40:41], s[4:5], 0x2a8
	s_load_dwordx4 s[20:23], s[4:5], 0x1d8
	s_load_dwordx4 s[48:51], s[4:5], 0x298
	s_add_u32 s2, s36, 31
	s_addc_u32 s7, s37, 0
	s_and_b32 s6, s2, 0xffffffe0
	s_mul_i32 s2, s64, s47
	s_mul_hi_u32 s3, s64, s46
	s_mul_i32 s8, s64, s46
	s_add_i32 s3, s3, s2
	s_sub_u32 s2, s34, s8
	s_subb_u32 s3, 0, s3
	v_cmp_gt_u64_e32 vcc_lo, s[6:7], v[0:1]
	s_waitcnt lgkmcnt(0)
	s_mul_i32 s8, s2, s27
	s_mul_hi_u32 s9, s2, s26
	s_mul_i32 s3, s3, s26
	s_add_i32 s8, s9, s8
	s_mul_i32 s13, s58, s22
	s_add_i32 s3, s8, s3
	v_readlane_b32 s8, v50, 0
	v_readlane_b32 s9, v50, 1
	s_mul_i32 s2, s2, s26
	s_mov_b32 s24, s8
	s_mul_i32 s8, s8, s21
	s_mul_hi_u32 s9, s24, s20
	s_mul_i32 s10, s24, s20
	s_add_i32 s9, s9, s8
	s_sub_u32 s8, s58, s10
	s_subb_u32 s9, s59, s9
	s_mul_i32 s10, s8, s51
	s_mul_hi_u32 s11, s8, s50
	s_mul_i32 s9, s9, s50
	s_add_i32 s10, s11, s10
	s_mul_i32 s11, s24, s49
	s_mul_hi_u32 s12, s24, s48
	s_add_i32 s10, s10, s9
	s_add_i32 s12, s12, s11
	s_mul_i32 s9, s58, s23
	s_mul_hi_u32 s11, s58, s22
	v_readlane_b32 s20, v50, 2
	s_add_i32 s11, s11, s9
	s_sub_u32 s9, s34, s13
	s_subb_u32 s11, 0, s11
	s_mul_i32 s13, s9, s41
	s_mul_hi_u32 s18, s9, s40
	s_mul_i32 s11, s11, s40
	s_mul_i32 s23, s9, s40
	s_load_dwordx4 s[40:43], s[4:5], 0x440
	s_add_i32 s13, s18, s13
	s_mul_hi_u32 s19, s20, s44
	s_add_i32 s13, s13, s11
	s_mul_i32 s11, s20, s45
	s_mul_i32 s18, s24, s48
	s_mov_b32 s24, s20
	s_mul_i32 s20, s20, s44
	s_add_i32 s19, s19, s11
	s_sub_u32 s22, s64, s20
	s_subb_u32 s19, s65, s19
	v_readlane_b32 s21, v50, 3
	s_mul_i32 s8, s8, s50
	s_waitcnt lgkmcnt(0)
	s_mul_i32 s9, s22, s43
	s_mul_hi_u32 s11, s22, s42
	s_mul_hi_u32 s20, s24, s40
	s_add_i32 s9, s11, s9
	s_mul_i32 s11, s24, s41
	s_mul_i32 s19, s19, s42
	s_add_i32 s21, s20, s11
	s_mul_i32 s20, s24, s40
	s_load_dwordx2 s[24:25], s[4:5], 0x1c8
	s_add_i32 s19, s9, s19
	s_waitcnt lgkmcnt(0)
	s_add_u32 s9, s24, s18
	s_addc_u32 s11, s25, s12
	s_add_u32 s12, s9, s8
	s_addc_u32 s18, s11, s10
	s_clause 0x1
	s_load_dwordx2 s[8:9], s[4:5], 0x368
	s_load_dwordx2 s[10:11], s[4:5], 0x510
	s_add_u32 s12, s12, s23
	s_addc_u32 s13, s18, s13
	s_lshl_b64 s[4:5], s[20:21], 3
	v_readlane_b32 s20, v50, 4
	v_readlane_b32 s21, v50, 5
	s_mul_i32 s18, s22, s42
	s_add_u32 s20, s20, s4
	s_addc_u32 s21, s21, s5
	s_lshl_b64 s[4:5], s[18:19], 3
	s_mov_b32 s19, 0
	s_add_u32 s4, s20, s4
	s_addc_u32 s18, s21, s5
	s_lshl_b64 s[2:3], s[2:3], 3
	s_add_u32 s5, s4, s2
	s_addc_u32 s18, s18, s3
	s_mov_b32 s4, -1
	s_mov_b32 s3, 0
	s_and_saveexec_b32 s20, vcc_lo
	s_cbranch_execnz .LBB138_505
; %bb.495:
	s_or_b32 exec_lo, exec_lo, s20
	s_and_saveexec_b32 s2, s4
	s_cbranch_execnz .LBB138_520
.LBB138_496:
	s_or_b32 exec_lo, exec_lo, s2
	s_and_saveexec_b32 s0, s3
	s_xor_b32 s0, exec_lo, s0
	s_cbranch_execnz .LBB138_543
.LBB138_497:
	s_or_b32 exec_lo, exec_lo, s0
	s_waitcnt lgkmcnt(0)
	s_and_b32 s8, s19, exec_lo
.LBB138_498:
	s_andn2_saveexec_b32 s0, s17
	s_cbranch_execnz .LBB138_545
.LBB138_499:
	s_or_b32 exec_lo, exec_lo, s0
	s_and_b32 s8, s8, exec_lo
.LBB138_500:
	s_andn2_saveexec_b32 s0, s16
	s_cbranch_execnz .LBB138_544
.LBB138_501:
	s_or_b32 exec_lo, exec_lo, s0
	s_and_b32 s8, s8, exec_lo
.LBB138_502:
	s_andn2_saveexec_b32 s0, s15
	s_cbranch_execnz .LBB138_539
.LBB138_503:
	s_or_b32 exec_lo, exec_lo, s0
	s_and_b32 s8, s8, exec_lo
	s_andn2_saveexec_b32 s0, s14
	s_cbranch_execz .LBB138_482
.LBB138_504:
	s_or_b32 s8, s8, exec_lo
	s_trap 2
	s_or_b32 exec_lo, exec_lo, s0
	s_and_saveexec_b32 s0, s8
	s_cbranch_execnz .LBB138_483
	s_branch .LBB138_484
.LBB138_505:
	v_mov_b32_e32 v15, 0x80
	v_mov_b32_e32 v9, v1
	v_mov_b32_e32 v3, 0
	v_mov_b32_e32 v8, v0
	s_mov_b32 s21, 0
	v_add_nc_u32_sdwa v16, sext(v31), v15 dst_sel:DWORD dst_unused:UNUSED_PAD src0_sel:BYTE_0 src1_sel:DWORD
                                        ; implicit-def: $sgpr22
                                        ; implicit-def: $vgpr6_vgpr7
	s_branch .LBB138_507
.LBB138_506:                            ;   in Loop: Header=BB138_507 Depth=1
	s_or_b32 exec_lo, exec_lo, s24
	s_xor_b32 s2, s23, -1
	s_and_b32 s3, exec_lo, s4
	v_mov_b32_e32 v9, v5
	v_mov_b32_e32 v14, v17
	s_or_b32 s21, s3, s21
	v_mov_b32_e32 v8, v4
	s_andn2_b32 s3, s22, exec_lo
	s_and_b32 s2, s2, exec_lo
	s_or_b32 s22, s3, s2
	s_andn2_b32 exec_lo, exec_lo, s21
	s_cbranch_execz .LBB138_519
.LBB138_507:                            ; =>This Inner Loop Header: Depth=1
	v_add_co_u32 v4, s3, v8, s33
	v_add_co_ci_u32_e64 v5, null, 0, v9, s3
	v_mov_b32_e32 v17, 0
	s_mov_b32 s2, exec_lo
	v_cmpx_gt_u64_e64 s[36:37], v[4:5]
	s_cbranch_execz .LBB138_509
; %bb.508:                              ;   in Loop: Header=BB138_507 Depth=1
	v_mad_u64_u32 v[10:11], null, v4, s30, s[28:29]
	v_mul_lo_u32 v2, v4, s31
	v_mul_lo_u32 v17, v5, s30
	v_add3_u32 v11, v17, v11, v2
	global_load_ubyte v17, v[10:11], off
.LBB138_509:                            ;   in Loop: Header=BB138_507 Depth=1
	s_or_b32 exec_lo, exec_lo, s2
	s_waitcnt vmcnt(0)
	v_add_nc_u32_sdwa v2, sext(v14), v15 dst_sel:DWORD dst_unused:UNUSED_PAD src0_sel:BYTE_0 src1_sel:DWORD
	v_cmp_gt_u32_e64 s3, v2, v16
	v_cndmask_b32_e64 v10, 0, 1, s3
	v_cmp_lt_u32_e64 s3, v2, v16
	v_cndmask_b32_e64 v2, 0, 1, s3
	v_cmp_gt_u64_e64 s3, s[36:37], v[8:9]
	v_cndmask_b32_e64 v2, v2, v10, s35
	v_and_b32_e32 v2, 1, v2
	v_cmp_eq_u32_e64 s4, 1, v2
	s_and_b32 s23, s3, s4
	v_cndmask_b32_e64 v2, 0, 1, s23
	v_cmp_ne_u32_e64 s3, 0, v2
	s_cmp_lg_u32 s3, 0
	s_cselect_b32 s2, -1, 0
	s_and_b32 s2, s0, s2
	s_and_saveexec_b32 s24, s2
	s_cbranch_execz .LBB138_513
; %bb.510:                              ;   in Loop: Header=BB138_507 Depth=1
	s_mov_b32 s26, exec_lo
	s_bcnt1_i32_b32 s25, s3
	v_mbcnt_lo_u32_b32 v10, s26, 0
	s_mov_b32 s2, exec_lo
                                        ; implicit-def: $vgpr6_vgpr7
	v_cmpx_eq_u32_e32 0, v10
	s_cbranch_execz .LBB138_512
; %bb.511:                              ;   in Loop: Header=BB138_507 Depth=1
	s_bcnt1_i32_b32 s4, s26
	s_mul_i32 s4, s25, s4
	v_mov_b32_e32 v2, s4
	s_waitcnt lgkmcnt(0)
	ds_add_rtn_u64 v[6:7], v3, v[2:3] offset:5136
.LBB138_512:                            ;   in Loop: Header=BB138_507 Depth=1
	s_or_b32 exec_lo, exec_lo, s2
	s_waitcnt lgkmcnt(0)
	v_readfirstlane_b32 s27, v7
	v_readfirstlane_b32 s26, v6
	v_mad_u64_u32 v[6:7], null, s25, v10, s[26:27]
.LBB138_513:                            ;   in Loop: Header=BB138_507 Depth=1
	s_or_b32 exec_lo, exec_lo, s24
	s_waitcnt lgkmcnt(0)
	ds_bpermute_b32 v6, v3, v6
	ds_bpermute_b32 v7, v3, v7
	s_mov_b32 s4, -1
	s_mov_b32 s2, -1
	s_and_saveexec_b32 s24, s23
	s_cbranch_execz .LBB138_517
; %bb.514:                              ;   in Loop: Header=BB138_507 Depth=1
	v_and_b32_e32 v2, s3, v23
	s_mov_b32 s23, 0
	s_mov_b32 s25, exec_lo
	v_bcnt_u32_b32 v2, v2, 0
	s_waitcnt lgkmcnt(0)
	v_add_co_u32 v10, s3, v6, v2
	v_add_co_ci_u32_e64 v11, null, 0, v7, s3
	v_cmpx_gt_u64_e64 s[38:39], v[10:11]
; %bb.515:                              ;   in Loop: Header=BB138_507 Depth=1
	v_mul_lo_u32 v2, v11, s10
	v_mul_lo_u32 v22, v10, s11
	v_mad_u64_u32 v[18:19], null, v10, s10, 0
	v_mad_u64_u32 v[20:21], null, v10, s8, s[12:13]
	v_mul_lo_u32 v24, v10, s9
	s_mov_b32 s23, exec_lo
	v_add3_u32 v19, v19, v22, v2
	v_mul_lo_u32 v2, v11, s8
	v_lshlrev_b64 v[10:11], 3, v[18:19]
	v_add3_u32 v21, v2, v21, v24
	v_add_co_u32 v10, s3, s5, v10
	v_add_co_ci_u32_e64 v11, null, s18, v11, s3
	global_store_byte v[20:21], v14, off
	global_store_dwordx2 v[10:11], v[8:9], off
; %bb.516:                              ;   in Loop: Header=BB138_507 Depth=1
	s_or_b32 exec_lo, exec_lo, s25
	s_orn2_b32 s2, s23, exec_lo
.LBB138_517:                            ;   in Loop: Header=BB138_507 Depth=1
	s_or_b32 exec_lo, exec_lo, s24
	s_mov_b32 s23, -1
	s_and_saveexec_b32 s24, s2
	s_cbranch_execz .LBB138_506
; %bb.518:                              ;   in Loop: Header=BB138_507 Depth=1
	v_cmp_le_u64_e64 s3, s[6:7], v[4:5]
	s_xor_b32 s23, exec_lo, -1
	s_orn2_b32 s4, s3, exec_lo
	s_branch .LBB138_506
.LBB138_519:
	s_or_b32 exec_lo, exec_lo, s21
	s_mov_b32 s3, exec_lo
	s_orn2_b32 s4, s22, exec_lo
	s_or_b32 exec_lo, exec_lo, s20
	s_and_saveexec_b32 s2, s4
	s_cbranch_execz .LBB138_496
.LBB138_520:
	v_mov_b32_e32 v2, 0
	s_waitcnt vmcnt(0) lgkmcnt(0)
	s_waitcnt_vscnt null, 0x0
	s_barrier
	buffer_gl0_inv
	s_and_saveexec_b32 s4, s1
	s_cbranch_execz .LBB138_522
; %bb.521:
	global_load_ubyte v2, v[12:13], off
.LBB138_522:
	s_or_b32 exec_lo, exec_lo, s4
	s_mov_b32 s1, 0
	s_and_saveexec_b32 s4, vcc_lo
	s_cbranch_execz .LBB138_542
; %bb.523:
	v_mov_b32_e32 v3, 0
	s_mov_b32 s19, 0
                                        ; implicit-def: $sgpr20
                                        ; implicit-def: $vgpr6_vgpr7
	s_branch .LBB138_526
.LBB138_524:                            ;   in Loop: Header=BB138_526 Depth=1
	s_or_b32 exec_lo, exec_lo, s21
	s_orn2_b32 s23, s24, exec_lo
	s_orn2_b32 s22, s22, exec_lo
.LBB138_525:                            ;   in Loop: Header=BB138_526 Depth=1
	s_or_b32 exec_lo, exec_lo, s1
	s_xor_b32 s1, s23, -1
	s_and_b32 s21, exec_lo, s22
	v_mov_b32_e32 v0, v4
	v_mov_b32_e32 v1, v5
	s_or_b32 s19, s21, s19
	v_mov_b32_e32 v2, v10
	s_andn2_b32 s20, s20, exec_lo
	s_and_b32 s1, s1, exec_lo
	s_or_b32 s20, s20, s1
	s_andn2_b32 exec_lo, exec_lo, s19
	s_cbranch_execz .LBB138_540
.LBB138_526:                            ; =>This Inner Loop Header: Depth=1
	v_add_co_u32 v4, vcc_lo, v0, s33
	v_add_co_ci_u32_e64 v5, null, 0, v1, vcc_lo
	v_mov_b32_e32 v10, 0
	s_mov_b32 s1, exec_lo
	v_cmpx_gt_u64_e64 s[36:37], v[4:5]
	s_cbranch_execz .LBB138_528
; %bb.527:                              ;   in Loop: Header=BB138_526 Depth=1
	v_mad_u64_u32 v[8:9], null, v4, s30, s[28:29]
	v_mul_lo_u32 v10, v4, s31
	v_mul_lo_u32 v11, v5, s30
	v_add3_u32 v9, v11, v9, v10
	global_load_ubyte v10, v[8:9], off
.LBB138_528:                            ;   in Loop: Header=BB138_526 Depth=1
	s_or_b32 exec_lo, exec_lo, s1
	v_cmp_gt_u64_e32 vcc_lo, s[36:37], v[0:1]
	s_waitcnt vmcnt(0)
	v_cmp_eq_u16_sdwa s1, v2, v31 src0_sel:BYTE_0 src1_sel:BYTE_0
	s_and_b32 s21, vcc_lo, s1
	v_cndmask_b32_e64 v2, 0, 1, s21
	v_cmp_ne_u32_e32 vcc_lo, 0, v2
	s_cmp_lg_u32 vcc_lo, 0
	s_cselect_b32 s1, -1, 0
	s_and_b32 s1, s0, s1
	s_and_saveexec_b32 s22, s1
	s_cbranch_execz .LBB138_532
; %bb.529:                              ;   in Loop: Header=BB138_526 Depth=1
	s_mov_b32 s25, exec_lo
	s_bcnt1_i32_b32 s23, vcc_lo
	v_mbcnt_lo_u32_b32 v8, s25, 0
	s_mov_b32 s24, exec_lo
                                        ; implicit-def: $vgpr6_vgpr7
	v_cmpx_eq_u32_e32 0, v8
; %bb.530:                              ;   in Loop: Header=BB138_526 Depth=1
	s_bcnt1_i32_b32 s1, s25
	s_mul_i32 s1, s23, s1
	v_mov_b32_e32 v2, s1
	ds_add_rtn_u64 v[6:7], v3, v[2:3] offset:5136
; %bb.531:                              ;   in Loop: Header=BB138_526 Depth=1
	s_or_b32 exec_lo, exec_lo, s24
	s_waitcnt lgkmcnt(0)
	v_readfirstlane_b32 s25, v7
	v_readfirstlane_b32 s24, v6
	v_mad_u64_u32 v[6:7], null, s23, v8, s[24:25]
.LBB138_532:                            ;   in Loop: Header=BB138_526 Depth=1
	s_or_b32 exec_lo, exec_lo, s22
	ds_bpermute_b32 v6, v3, v6
	ds_bpermute_b32 v7, v3, v7
	s_cmp_eq_u32 vcc_lo, 0
	s_mov_b32 s22, -1
	s_cselect_b32 s23, -1, 0
	s_waitcnt lgkmcnt(0)
	v_cmp_gt_u64_e64 s1, s[38:39], v[6:7]
	s_or_b32 s24, s23, s1
	s_mov_b32 s23, -1
	s_and_saveexec_b32 s1, s24
	s_cbranch_execz .LBB138_525
; %bb.533:                              ;   in Loop: Header=BB138_526 Depth=1
	v_and_b32_e32 v2, vcc_lo, v23
	v_sub_co_u32 v8, vcc_lo, s38, v6
	v_sub_co_ci_u32_e64 v9, null, s39, v7, vcc_lo
	v_bcnt_u32_b32 v2, v2, 0
	s_mov_b32 s24, -1
	v_bcnt_u32_b32 v2, 0, v2
	v_cmp_gt_u64_e32 vcc_lo, v[8:9], v[2:3]
	s_and_b32 s25, s21, vcc_lo
	s_and_saveexec_b32 s21, s25
	s_cbranch_execz .LBB138_537
; %bb.534:                              ;   in Loop: Header=BB138_526 Depth=1
	v_add_co_u32 v8, vcc_lo, v6, v2
	v_add_co_ci_u32_e64 v9, null, 0, v7, vcc_lo
	s_mov_b32 s23, 0
	s_mov_b32 s24, exec_lo
	v_cmpx_gt_u64_e64 s[38:39], v[8:9]
; %bb.535:                              ;   in Loop: Header=BB138_526 Depth=1
	v_mul_lo_u32 v2, v9, s10
	v_mul_lo_u32 v15, v8, s11
	v_mad_u64_u32 v[11:12], null, v8, s10, 0
	v_mad_u64_u32 v[13:14], null, v8, s8, s[12:13]
	v_mul_lo_u32 v16, v8, s9
	s_mov_b32 s23, exec_lo
	v_add3_u32 v12, v12, v15, v2
	v_mul_lo_u32 v2, v9, s8
	v_lshlrev_b64 v[8:9], 3, v[11:12]
	v_add3_u32 v14, v2, v14, v16
	v_add_co_u32 v8, vcc_lo, s5, v8
	v_add_co_ci_u32_e64 v9, null, s18, v9, vcc_lo
	global_store_byte v[13:14], v31, off
	global_store_dwordx2 v[8:9], v[0:1], off
; %bb.536:                              ;   in Loop: Header=BB138_526 Depth=1
	s_or_b32 exec_lo, exec_lo, s24
	s_xor_b32 s24, exec_lo, -1
	s_orn2_b32 s23, s23, exec_lo
.LBB138_537:                            ;   in Loop: Header=BB138_526 Depth=1
	s_or_b32 exec_lo, exec_lo, s21
	s_and_saveexec_b32 s21, s23
	s_cbranch_execz .LBB138_524
; %bb.538:                              ;   in Loop: Header=BB138_526 Depth=1
	v_cmp_le_u64_e32 vcc_lo, s[6:7], v[4:5]
	s_or_b32 s24, s24, exec_lo
	s_orn2_b32 s22, vcc_lo, exec_lo
	s_branch .LBB138_524
.LBB138_539:
	s_or_b32 s8, s8, exec_lo
	s_trap 2
	s_branch .LBB138_503
.LBB138_540:
	s_or_b32 exec_lo, exec_lo, s19
	s_mov_b32 s0, 0
	s_and_saveexec_b32 s1, s20
	s_xor_b32 s1, exec_lo, s1
	s_cbranch_execnz .LBB138_546
.LBB138_541:
	s_or_b32 exec_lo, exec_lo, s1
	s_and_b32 s1, s0, exec_lo
.LBB138_542:
	s_or_b32 exec_lo, exec_lo, s4
	s_and_b32 s19, s1, exec_lo
	s_andn2_b32 s3, s3, exec_lo
	s_or_b32 exec_lo, exec_lo, s2
	s_and_saveexec_b32 s0, s3
	s_xor_b32 s0, exec_lo, s0
	s_cbranch_execz .LBB138_497
.LBB138_543:
	s_or_b32 s19, s19, exec_lo
	s_trap 2
	s_branch .LBB138_497
.LBB138_544:
	s_or_b32 s8, s8, exec_lo
	s_trap 2
	s_branch .LBB138_501
.LBB138_545:
	s_or_b32 s8, s8, exec_lo
	s_trap 2
	s_branch .LBB138_499
.LBB138_546:
	s_mov_b32 s0, exec_lo
	s_trap 2
	s_branch .LBB138_541
	.section	.rodata,"a",@progbits
	.p2align	6, 0x0
	.amdhsa_kernel _ZN2at6native6sbtopk10gatherTopKIamLi3ELb0EEEvNS_4cuda6detail10TensorInfoIKT_T0_EES8_S8_bS8_S8_NS5_IS6_S8_EES8_NS5_IlS8_EES8_PS6_
		.amdhsa_group_segment_fixed_size 5152
		.amdhsa_private_segment_fixed_size 0
		.amdhsa_kernarg_size 1568
		.amdhsa_user_sgpr_count 6
		.amdhsa_user_sgpr_private_segment_buffer 1
		.amdhsa_user_sgpr_dispatch_ptr 0
		.amdhsa_user_sgpr_queue_ptr 0
		.amdhsa_user_sgpr_kernarg_segment_ptr 1
		.amdhsa_user_sgpr_dispatch_id 0
		.amdhsa_user_sgpr_flat_scratch_init 0
		.amdhsa_user_sgpr_private_segment_size 0
		.amdhsa_wavefront_size32 1
		.amdhsa_uses_dynamic_stack 0
		.amdhsa_system_sgpr_private_segment_wavefront_offset 0
		.amdhsa_system_sgpr_workgroup_id_x 1
		.amdhsa_system_sgpr_workgroup_id_y 1
		.amdhsa_system_sgpr_workgroup_id_z 1
		.amdhsa_system_sgpr_workgroup_info 0
		.amdhsa_system_vgpr_workitem_id 0
		.amdhsa_next_free_vgpr 51
		.amdhsa_next_free_sgpr 105
		.amdhsa_reserve_vcc 1
		.amdhsa_reserve_flat_scratch 0
		.amdhsa_float_round_mode_32 0
		.amdhsa_float_round_mode_16_64 0
		.amdhsa_float_denorm_mode_32 3
		.amdhsa_float_denorm_mode_16_64 3
		.amdhsa_dx10_clamp 1
		.amdhsa_ieee_mode 1
		.amdhsa_fp16_overflow 0
		.amdhsa_workgroup_processor_mode 1
		.amdhsa_memory_ordered 1
		.amdhsa_forward_progress 1
		.amdhsa_shared_vgpr_count 0
		.amdhsa_exception_fp_ieee_invalid_op 0
		.amdhsa_exception_fp_denorm_src 0
		.amdhsa_exception_fp_ieee_div_zero 0
		.amdhsa_exception_fp_ieee_overflow 0
		.amdhsa_exception_fp_ieee_underflow 0
		.amdhsa_exception_fp_ieee_inexact 0
		.amdhsa_exception_int_div_zero 0
	.end_amdhsa_kernel
	.section	.text._ZN2at6native6sbtopk10gatherTopKIamLi3ELb0EEEvNS_4cuda6detail10TensorInfoIKT_T0_EES8_S8_bS8_S8_NS5_IS6_S8_EES8_NS5_IlS8_EES8_PS6_,"axG",@progbits,_ZN2at6native6sbtopk10gatherTopKIamLi3ELb0EEEvNS_4cuda6detail10TensorInfoIKT_T0_EES8_S8_bS8_S8_NS5_IS6_S8_EES8_NS5_IlS8_EES8_PS6_,comdat
.Lfunc_end138:
	.size	_ZN2at6native6sbtopk10gatherTopKIamLi3ELb0EEEvNS_4cuda6detail10TensorInfoIKT_T0_EES8_S8_bS8_S8_NS5_IS6_S8_EES8_NS5_IlS8_EES8_PS6_, .Lfunc_end138-_ZN2at6native6sbtopk10gatherTopKIamLi3ELb0EEEvNS_4cuda6detail10TensorInfoIKT_T0_EES8_S8_bS8_S8_NS5_IS6_S8_EES8_NS5_IlS8_EES8_PS6_
                                        ; -- End function
	.set _ZN2at6native6sbtopk10gatherTopKIamLi3ELb0EEEvNS_4cuda6detail10TensorInfoIKT_T0_EES8_S8_bS8_S8_NS5_IS6_S8_EES8_NS5_IlS8_EES8_PS6_.num_vgpr, 51
	.set _ZN2at6native6sbtopk10gatherTopKIamLi3ELb0EEEvNS_4cuda6detail10TensorInfoIKT_T0_EES8_S8_bS8_S8_NS5_IS6_S8_EES8_NS5_IlS8_EES8_PS6_.num_agpr, 0
	.set _ZN2at6native6sbtopk10gatherTopKIamLi3ELb0EEEvNS_4cuda6detail10TensorInfoIKT_T0_EES8_S8_bS8_S8_NS5_IS6_S8_EES8_NS5_IlS8_EES8_PS6_.numbered_sgpr, 105
	.set _ZN2at6native6sbtopk10gatherTopKIamLi3ELb0EEEvNS_4cuda6detail10TensorInfoIKT_T0_EES8_S8_bS8_S8_NS5_IS6_S8_EES8_NS5_IlS8_EES8_PS6_.num_named_barrier, 0
	.set _ZN2at6native6sbtopk10gatherTopKIamLi3ELb0EEEvNS_4cuda6detail10TensorInfoIKT_T0_EES8_S8_bS8_S8_NS5_IS6_S8_EES8_NS5_IlS8_EES8_PS6_.private_seg_size, 0
	.set _ZN2at6native6sbtopk10gatherTopKIamLi3ELb0EEEvNS_4cuda6detail10TensorInfoIKT_T0_EES8_S8_bS8_S8_NS5_IS6_S8_EES8_NS5_IlS8_EES8_PS6_.uses_vcc, 1
	.set _ZN2at6native6sbtopk10gatherTopKIamLi3ELb0EEEvNS_4cuda6detail10TensorInfoIKT_T0_EES8_S8_bS8_S8_NS5_IS6_S8_EES8_NS5_IlS8_EES8_PS6_.uses_flat_scratch, 0
	.set _ZN2at6native6sbtopk10gatherTopKIamLi3ELb0EEEvNS_4cuda6detail10TensorInfoIKT_T0_EES8_S8_bS8_S8_NS5_IS6_S8_EES8_NS5_IlS8_EES8_PS6_.has_dyn_sized_stack, 0
	.set _ZN2at6native6sbtopk10gatherTopKIamLi3ELb0EEEvNS_4cuda6detail10TensorInfoIKT_T0_EES8_S8_bS8_S8_NS5_IS6_S8_EES8_NS5_IlS8_EES8_PS6_.has_recursion, 0
	.set _ZN2at6native6sbtopk10gatherTopKIamLi3ELb0EEEvNS_4cuda6detail10TensorInfoIKT_T0_EES8_S8_bS8_S8_NS5_IS6_S8_EES8_NS5_IlS8_EES8_PS6_.has_indirect_call, 0
	.section	.AMDGPU.csdata,"",@progbits
; Kernel info:
; codeLenInByte = 26176
; TotalNumSgprs: 107
; NumVgprs: 51
; ScratchSize: 0
; MemoryBound: 0
; FloatMode: 240
; IeeeMode: 1
; LDSByteSize: 5152 bytes/workgroup (compile time only)
; SGPRBlocks: 0
; VGPRBlocks: 6
; NumSGPRsForWavesPerEU: 107
; NumVGPRsForWavesPerEU: 51
; Occupancy: 16
; WaveLimiterHint : 1
; COMPUTE_PGM_RSRC2:SCRATCH_EN: 0
; COMPUTE_PGM_RSRC2:USER_SGPR: 6
; COMPUTE_PGM_RSRC2:TRAP_HANDLER: 0
; COMPUTE_PGM_RSRC2:TGID_X_EN: 1
; COMPUTE_PGM_RSRC2:TGID_Y_EN: 1
; COMPUTE_PGM_RSRC2:TGID_Z_EN: 1
; COMPUTE_PGM_RSRC2:TIDIG_COMP_CNT: 0
	.section	.text._ZN2at6native6mbtopk23computeBlockDigitCountsIamjLin1EEEvNS_4cuda6detail10TensorInfoIKT_T0_EEjPjjS8_iijT1_PSB_Ps,"axG",@progbits,_ZN2at6native6mbtopk23computeBlockDigitCountsIamjLin1EEEvNS_4cuda6detail10TensorInfoIKT_T0_EEjPjjS8_iijT1_PSB_Ps,comdat
	.protected	_ZN2at6native6mbtopk23computeBlockDigitCountsIamjLin1EEEvNS_4cuda6detail10TensorInfoIKT_T0_EEjPjjS8_iijT1_PSB_Ps ; -- Begin function _ZN2at6native6mbtopk23computeBlockDigitCountsIamjLin1EEEvNS_4cuda6detail10TensorInfoIKT_T0_EEjPjjS8_iijT1_PSB_Ps
	.globl	_ZN2at6native6mbtopk23computeBlockDigitCountsIamjLin1EEEvNS_4cuda6detail10TensorInfoIKT_T0_EEjPjjS8_iijT1_PSB_Ps
	.p2align	8
	.type	_ZN2at6native6mbtopk23computeBlockDigitCountsIamjLin1EEEvNS_4cuda6detail10TensorInfoIKT_T0_EEjPjjS8_iijT1_PSB_Ps,@function
_ZN2at6native6mbtopk23computeBlockDigitCountsIamjLin1EEEvNS_4cuda6detail10TensorInfoIKT_T0_EEjPjjS8_iijT1_PSB_Ps: ; @_ZN2at6native6mbtopk23computeBlockDigitCountsIamjLin1EEEvNS_4cuda6detail10TensorInfoIKT_T0_EEjPjjS8_iijT1_PSB_Ps
; %bb.0:
	s_clause 0x2
	s_load_dwordx4 s[0:3], s[4:5], 0x1c0
	s_load_dword s13, s[4:5], 0x1b0
	s_load_dwordx2 s[10:11], s[4:5], 0x1e0
	s_waitcnt lgkmcnt(0)
	v_cvt_f32_u32_e32 v1, s2
	s_mul_i32 s8, s11, s8
	s_sub_i32 s11, 0, s2
	s_add_i32 s7, s8, s7
	v_rcp_iflag_f32_e32 v1, v1
	s_mul_i32 s24, s7, s10
	s_add_i32 s24, s24, s6
	v_mul_f32_e32 v1, 0x4f7ffffe, v1
	v_cvt_u32_f32_e32 v1, v1
	v_readfirstlane_b32 s9, v1
	s_mul_i32 s11, s11, s9
	s_mul_hi_u32 s7, s9, s11
	s_add_i32 s9, s9, s7
	s_mul_hi_u32 s6, s24, s9
	s_mul_i32 s7, s6, s2
	s_add_i32 s8, s6, 1
	s_sub_i32 s7, s24, s7
	s_sub_i32 s9, s7, s2
	s_cmp_ge_u32 s7, s2
	s_cselect_b32 s6, s8, s6
	s_cselect_b32 s7, s9, s7
	s_add_i32 s8, s6, 1
	s_cmp_ge_u32 s7, s2
	s_cselect_b32 s12, s8, s6
	s_cmp_ge_u32 s12, s13
	s_mov_b32 s13, 0
	s_cbranch_scc1 .LBB139_28
; %bb.1:
	s_clause 0x1
	s_load_dwordx4 s[8:11], s[4:5], 0x1d0
	s_load_dword s14, s[4:5], 0x198
	s_lshl_b64 s[6:7], s[12:13], 2
	s_mov_b64 s[20:21], s[12:13]
	s_waitcnt lgkmcnt(0)
	s_add_u32 s8, s8, s6
	s_addc_u32 s9, s9, s7
	s_cmp_lt_i32 s14, 2
	s_mov_b64 s[6:7], 0
	s_cbranch_scc1 .LBB139_7
; %bb.2:
	s_add_i32 s16, s14, -1
	s_mov_b32 s17, 0
	s_add_i32 s13, s14, 1
	s_lshl_b64 s[6:7], s[16:17], 3
	s_add_u32 s6, s4, s6
	s_addc_u32 s7, s5, s7
	s_add_u32 s18, s6, 8
	s_addc_u32 s19, s7, 0
	s_mov_b64 s[6:7], 0
.LBB139_3:                              ; =>This Inner Loop Header: Depth=1
	s_load_dwordx2 s[22:23], s[18:19], 0x0
	s_waitcnt lgkmcnt(0)
	v_cmp_lt_u64_e64 s14, s[20:21], s[22:23]
	s_and_b32 vcc_lo, exec_lo, s14
	s_mov_b64 s[14:15], 0
	s_cbranch_vccnz .LBB139_5
; %bb.4:                                ;   in Loop: Header=BB139_3 Depth=1
	v_cvt_f32_u32_e32 v1, s22
	s_sub_i32 s15, 0, s22
	v_rcp_iflag_f32_e32 v1, v1
	v_mul_f32_e32 v1, 0x4f7ffffe, v1
	v_cvt_u32_f32_e32 v1, v1
	v_readfirstlane_b32 s14, v1
	s_mul_i32 s15, s15, s14
	s_mul_hi_u32 s15, s14, s15
	s_add_i32 s14, s14, s15
	s_mul_hi_u32 s14, s20, s14
	s_mul_i32 s15, s14, s22
	s_add_i32 s16, s14, 1
	s_sub_i32 s15, s20, s15
	s_sub_i32 s25, s15, s22
	s_cmp_ge_u32 s15, s22
	s_cselect_b32 s14, s16, s14
	s_cselect_b32 s15, s25, s15
	s_add_i32 s16, s14, 1
	s_cmp_ge_u32 s15, s22
	s_cselect_b32 s16, s16, s14
	s_mov_b64 s[14:15], s[16:17]
.LBB139_5:                              ;   in Loop: Header=BB139_3 Depth=1
	s_load_dwordx2 s[26:27], s[18:19], 0xc8
	s_mul_i32 s16, s14, s23
	s_mul_hi_u32 s23, s14, s22
	s_mul_i32 s22, s14, s22
	s_add_i32 s23, s23, s16
	s_sub_u32 s16, s20, s22
	s_subb_u32 s20, s21, s23
	s_waitcnt lgkmcnt(0)
	s_mul_i32 s20, s26, s20
	s_mul_hi_u32 s21, s26, s16
	s_mul_i32 s22, s27, s16
	s_add_i32 s20, s21, s20
	s_mul_i32 s16, s26, s16
	s_add_i32 s20, s20, s22
	s_add_u32 s6, s16, s6
	s_addc_u32 s7, s20, s7
	s_add_i32 s13, s13, -1
	s_add_u32 s18, s18, -8
	s_addc_u32 s19, s19, -1
	s_cmp_gt_u32 s13, 2
	s_cbranch_scc0 .LBB139_8
; %bb.6:                                ;   in Loop: Header=BB139_3 Depth=1
	s_mov_b64 s[20:21], s[14:15]
	s_branch .LBB139_3
.LBB139_7:
	s_mov_b64 s[14:15], s[20:21]
.LBB139_8:
	s_load_dword s13, s[8:9], 0x0
	v_cmp_gt_u32_e32 vcc_lo, 0x100, v0
	v_lshlrev_b32_e32 v1, 2, v0
	s_and_saveexec_b32 s8, vcc_lo
; %bb.9:
	v_mov_b32_e32 v2, 0
	ds_write_b32 v1, v2
; %bb.10:
	s_or_b32 exec_lo, exec_lo, s8
	s_load_dword s15, s[4:5], 0x1a0
	s_mul_i32 s8, s12, s2
	s_waitcnt lgkmcnt(0)
	s_sub_i32 s8, s24, s8
	s_barrier
	s_mul_i32 s9, s1, s8
	s_add_i32 s12, s8, 1
	s_lshl_b32 s16, s9, 8
	buffer_gl0_inv
	s_sub_i32 s9, s15, s16
	s_add_u32 s8, s9, 0xff
	s_addc_u32 s9, 0, 0
	s_lshr_b64 s[8:9], s[8:9], 8
	s_cmp_lt_u32 s12, s2
	s_mov_b32 s12, 0
	s_cselect_b32 s1, s1, s8
	s_cmp_lt_i32 s1, 1
	s_cbranch_scc1 .LBB139_26
; %bb.11:
	s_clause 0x2
	s_load_dwordx2 s[18:19], s[4:5], 0xd0
	s_load_dwordx2 s[8:9], s[4:5], 0x1b8
	;; [unrolled: 1-line block ×3, first 2 shown]
	v_add_nc_u32_e32 v2, s16, v0
	s_waitcnt lgkmcnt(0)
	s_mul_i32 s2, s19, s14
	s_mul_hi_u32 s16, s18, s14
	s_mul_i32 s14, s18, s14
	s_add_i32 s16, s16, s2
	s_add_u32 s2, s4, s14
	s_addc_u32 s5, s5, s16
	s_add_u32 s4, s2, s6
	s_addc_u32 s5, s5, s7
	s_and_b32 s2, s0, 0xff
	s_cmp_eq_u32 s1, 1
	s_cbranch_scc1 .LBB139_21
; %bb.12:
	v_mov_b32_e32 v3, 1
	v_mov_b32_e32 v4, v2
	s_and_b32 s6, s1, 0x7ffffffe
	s_mov_b32 s7, 0
	s_branch .LBB139_14
.LBB139_13:                             ;   in Loop: Header=BB139_14 Depth=1
	s_or_b32 exec_lo, exec_lo, s12
	v_add_nc_u32_e32 v4, 0x200, v4
	s_add_i32 s7, s7, 2
	s_cmp_eq_u32 s6, s7
	s_cbranch_scc1 .LBB139_20
.LBB139_14:                             ; =>This Inner Loop Header: Depth=1
	s_mov_b32 s12, exec_lo
	v_cmpx_gt_u32_e64 s15, v4
	s_cbranch_execz .LBB139_17
; %bb.15:                               ;   in Loop: Header=BB139_14 Depth=1
	v_mad_u64_u32 v[5:6], null, s8, v4, s[4:5]
	v_mad_u64_u32 v[6:7], null, s9, v4, v[6:7]
	global_load_sbyte v5, v[5:6], off
	s_waitcnt vmcnt(0)
	v_add_nc_u32_e32 v5, 0x80, v5
	v_xor_b32_e32 v6, s13, v5
	v_and_b32_e32 v6, s3, v6
	v_cmp_eq_u32_e64 s0, 0, v6
	s_and_b32 exec_lo, exec_lo, s0
; %bb.16:                               ;   in Loop: Header=BB139_14 Depth=1
	v_lshrrev_b32_e32 v5, s2, v5
	v_lshlrev_b32_e32 v5, 2, v5
	ds_add_u32 v5, v3
.LBB139_17:                             ;   in Loop: Header=BB139_14 Depth=1
	s_or_b32 exec_lo, exec_lo, s12
	v_add_nc_u32_e32 v5, 0x100, v4
	s_mov_b32 s12, exec_lo
	v_cmpx_gt_u32_e64 s15, v5
	s_cbranch_execz .LBB139_13
; %bb.18:                               ;   in Loop: Header=BB139_14 Depth=1
	v_mad_u64_u32 v[6:7], null, s8, v5, s[4:5]
	v_mad_u64_u32 v[7:8], null, s9, v5, v[7:8]
	global_load_sbyte v5, v[6:7], off
	s_waitcnt vmcnt(0)
	v_add_nc_u32_e32 v5, 0x80, v5
	v_xor_b32_e32 v6, s13, v5
	v_and_b32_e32 v6, s3, v6
	v_cmp_eq_u32_e64 s0, 0, v6
	s_and_b32 exec_lo, exec_lo, s0
	s_cbranch_execz .LBB139_13
; %bb.19:                               ;   in Loop: Header=BB139_14 Depth=1
	v_lshrrev_b32_e32 v5, s2, v5
	v_lshlrev_b32_e32 v5, 2, v5
	ds_add_u32 v5, v3
	s_branch .LBB139_13
.LBB139_20:
	s_lshl_b32 s12, s6, 8
.LBB139_21:
	s_bitcmp0_b32 s1, 0
	s_cbranch_scc1 .LBB139_26
; %bb.22:
	v_add_nc_u32_e32 v2, s12, v2
	s_mov_b32 s1, exec_lo
	v_cmpx_gt_u32_e64 s15, v2
	s_cbranch_execz .LBB139_25
; %bb.23:
	v_mad_u64_u32 v[3:4], null, s8, v2, s[4:5]
	v_mad_u64_u32 v[4:5], null, s9, v2, v[4:5]
	global_load_sbyte v2, v[3:4], off
	s_waitcnt vmcnt(0)
	v_add_nc_u32_e32 v2, 0x80, v2
	v_xor_b32_e32 v3, s13, v2
	v_and_b32_e32 v3, s3, v3
	v_cmp_eq_u32_e64 s0, 0, v3
	s_and_b32 exec_lo, exec_lo, s0
	s_cbranch_execz .LBB139_25
; %bb.24:
	v_lshrrev_b32_e32 v2, s2, v2
	v_mov_b32_e32 v3, 1
	v_lshlrev_b32_e32 v2, 2, v2
	ds_add_u32 v2, v3
.LBB139_25:
	s_or_b32 exec_lo, exec_lo, s1
.LBB139_26:
	s_waitcnt lgkmcnt(0)
	s_barrier
	buffer_gl0_inv
	s_and_saveexec_b32 s0, vcc_lo
	s_cbranch_execz .LBB139_28
; %bb.27:
	ds_read_b32 v2, v1
	v_lshl_or_b32 v0, s24, 8, v0
	v_mov_b32_e32 v1, 0
	v_lshlrev_b64 v[0:1], 1, v[0:1]
	v_add_co_u32 v0, vcc_lo, s10, v0
	v_add_co_ci_u32_e64 v1, null, s11, v1, vcc_lo
	s_waitcnt lgkmcnt(0)
	global_store_short v[0:1], v2, off
.LBB139_28:
	s_endpgm
	.section	.rodata,"a",@progbits
	.p2align	6, 0x0
	.amdhsa_kernel _ZN2at6native6mbtopk23computeBlockDigitCountsIamjLin1EEEvNS_4cuda6detail10TensorInfoIKT_T0_EEjPjjS8_iijT1_PSB_Ps
		.amdhsa_group_segment_fixed_size 1024
		.amdhsa_private_segment_fixed_size 0
		.amdhsa_kernarg_size 736
		.amdhsa_user_sgpr_count 6
		.amdhsa_user_sgpr_private_segment_buffer 1
		.amdhsa_user_sgpr_dispatch_ptr 0
		.amdhsa_user_sgpr_queue_ptr 0
		.amdhsa_user_sgpr_kernarg_segment_ptr 1
		.amdhsa_user_sgpr_dispatch_id 0
		.amdhsa_user_sgpr_flat_scratch_init 0
		.amdhsa_user_sgpr_private_segment_size 0
		.amdhsa_wavefront_size32 1
		.amdhsa_uses_dynamic_stack 0
		.amdhsa_system_sgpr_private_segment_wavefront_offset 0
		.amdhsa_system_sgpr_workgroup_id_x 1
		.amdhsa_system_sgpr_workgroup_id_y 1
		.amdhsa_system_sgpr_workgroup_id_z 1
		.amdhsa_system_sgpr_workgroup_info 0
		.amdhsa_system_vgpr_workitem_id 0
		.amdhsa_next_free_vgpr 9
		.amdhsa_next_free_sgpr 28
		.amdhsa_reserve_vcc 1
		.amdhsa_reserve_flat_scratch 0
		.amdhsa_float_round_mode_32 0
		.amdhsa_float_round_mode_16_64 0
		.amdhsa_float_denorm_mode_32 3
		.amdhsa_float_denorm_mode_16_64 3
		.amdhsa_dx10_clamp 1
		.amdhsa_ieee_mode 1
		.amdhsa_fp16_overflow 0
		.amdhsa_workgroup_processor_mode 1
		.amdhsa_memory_ordered 1
		.amdhsa_forward_progress 1
		.amdhsa_shared_vgpr_count 0
		.amdhsa_exception_fp_ieee_invalid_op 0
		.amdhsa_exception_fp_denorm_src 0
		.amdhsa_exception_fp_ieee_div_zero 0
		.amdhsa_exception_fp_ieee_overflow 0
		.amdhsa_exception_fp_ieee_underflow 0
		.amdhsa_exception_fp_ieee_inexact 0
		.amdhsa_exception_int_div_zero 0
	.end_amdhsa_kernel
	.section	.text._ZN2at6native6mbtopk23computeBlockDigitCountsIamjLin1EEEvNS_4cuda6detail10TensorInfoIKT_T0_EEjPjjS8_iijT1_PSB_Ps,"axG",@progbits,_ZN2at6native6mbtopk23computeBlockDigitCountsIamjLin1EEEvNS_4cuda6detail10TensorInfoIKT_T0_EEjPjjS8_iijT1_PSB_Ps,comdat
.Lfunc_end139:
	.size	_ZN2at6native6mbtopk23computeBlockDigitCountsIamjLin1EEEvNS_4cuda6detail10TensorInfoIKT_T0_EEjPjjS8_iijT1_PSB_Ps, .Lfunc_end139-_ZN2at6native6mbtopk23computeBlockDigitCountsIamjLin1EEEvNS_4cuda6detail10TensorInfoIKT_T0_EEjPjjS8_iijT1_PSB_Ps
                                        ; -- End function
	.set _ZN2at6native6mbtopk23computeBlockDigitCountsIamjLin1EEEvNS_4cuda6detail10TensorInfoIKT_T0_EEjPjjS8_iijT1_PSB_Ps.num_vgpr, 9
	.set _ZN2at6native6mbtopk23computeBlockDigitCountsIamjLin1EEEvNS_4cuda6detail10TensorInfoIKT_T0_EEjPjjS8_iijT1_PSB_Ps.num_agpr, 0
	.set _ZN2at6native6mbtopk23computeBlockDigitCountsIamjLin1EEEvNS_4cuda6detail10TensorInfoIKT_T0_EEjPjjS8_iijT1_PSB_Ps.numbered_sgpr, 28
	.set _ZN2at6native6mbtopk23computeBlockDigitCountsIamjLin1EEEvNS_4cuda6detail10TensorInfoIKT_T0_EEjPjjS8_iijT1_PSB_Ps.num_named_barrier, 0
	.set _ZN2at6native6mbtopk23computeBlockDigitCountsIamjLin1EEEvNS_4cuda6detail10TensorInfoIKT_T0_EEjPjjS8_iijT1_PSB_Ps.private_seg_size, 0
	.set _ZN2at6native6mbtopk23computeBlockDigitCountsIamjLin1EEEvNS_4cuda6detail10TensorInfoIKT_T0_EEjPjjS8_iijT1_PSB_Ps.uses_vcc, 1
	.set _ZN2at6native6mbtopk23computeBlockDigitCountsIamjLin1EEEvNS_4cuda6detail10TensorInfoIKT_T0_EEjPjjS8_iijT1_PSB_Ps.uses_flat_scratch, 0
	.set _ZN2at6native6mbtopk23computeBlockDigitCountsIamjLin1EEEvNS_4cuda6detail10TensorInfoIKT_T0_EEjPjjS8_iijT1_PSB_Ps.has_dyn_sized_stack, 0
	.set _ZN2at6native6mbtopk23computeBlockDigitCountsIamjLin1EEEvNS_4cuda6detail10TensorInfoIKT_T0_EEjPjjS8_iijT1_PSB_Ps.has_recursion, 0
	.set _ZN2at6native6mbtopk23computeBlockDigitCountsIamjLin1EEEvNS_4cuda6detail10TensorInfoIKT_T0_EEjPjjS8_iijT1_PSB_Ps.has_indirect_call, 0
	.section	.AMDGPU.csdata,"",@progbits
; Kernel info:
; codeLenInByte = 1104
; TotalNumSgprs: 30
; NumVgprs: 9
; ScratchSize: 0
; MemoryBound: 0
; FloatMode: 240
; IeeeMode: 1
; LDSByteSize: 1024 bytes/workgroup (compile time only)
; SGPRBlocks: 0
; VGPRBlocks: 1
; NumSGPRsForWavesPerEU: 30
; NumVGPRsForWavesPerEU: 9
; Occupancy: 16
; WaveLimiterHint : 0
; COMPUTE_PGM_RSRC2:SCRATCH_EN: 0
; COMPUTE_PGM_RSRC2:USER_SGPR: 6
; COMPUTE_PGM_RSRC2:TRAP_HANDLER: 0
; COMPUTE_PGM_RSRC2:TGID_X_EN: 1
; COMPUTE_PGM_RSRC2:TGID_Y_EN: 1
; COMPUTE_PGM_RSRC2:TGID_Z_EN: 1
; COMPUTE_PGM_RSRC2:TIDIG_COMP_CNT: 0
	.section	.text._ZN2at6native6mbtopk10gatherTopKIamLin1EEEvNS_4cuda6detail10TensorInfoIKT_T0_EES8_S8_bjS8_NS5_IS6_S8_EES8_NS5_IlS8_EES8_jjPS6_PjSD_j,"axG",@progbits,_ZN2at6native6mbtopk10gatherTopKIamLin1EEEvNS_4cuda6detail10TensorInfoIKT_T0_EES8_S8_bjS8_NS5_IS6_S8_EES8_NS5_IlS8_EES8_jjPS6_PjSD_j,comdat
	.protected	_ZN2at6native6mbtopk10gatherTopKIamLin1EEEvNS_4cuda6detail10TensorInfoIKT_T0_EES8_S8_bjS8_NS5_IS6_S8_EES8_NS5_IlS8_EES8_jjPS6_PjSD_j ; -- Begin function _ZN2at6native6mbtopk10gatherTopKIamLin1EEEvNS_4cuda6detail10TensorInfoIKT_T0_EES8_S8_bjS8_NS5_IS6_S8_EES8_NS5_IlS8_EES8_jjPS6_PjSD_j
	.globl	_ZN2at6native6mbtopk10gatherTopKIamLin1EEEvNS_4cuda6detail10TensorInfoIKT_T0_EES8_S8_bjS8_NS5_IS6_S8_EES8_NS5_IlS8_EES8_jjPS6_PjSD_j
	.p2align	8
	.type	_ZN2at6native6mbtopk10gatherTopKIamLin1EEEvNS_4cuda6detail10TensorInfoIKT_T0_EES8_S8_bjS8_NS5_IS6_S8_EES8_NS5_IlS8_EES8_jjPS6_PjSD_j,@function
_ZN2at6native6mbtopk10gatherTopKIamLin1EEEvNS_4cuda6detail10TensorInfoIKT_T0_EES8_S8_bjS8_NS5_IS6_S8_EES8_NS5_IlS8_EES8_jjPS6_PjSD_j: ; @_ZN2at6native6mbtopk10gatherTopKIamLin1EEEvNS_4cuda6detail10TensorInfoIKT_T0_EES8_S8_bjS8_NS5_IS6_S8_EES8_NS5_IlS8_EES8_jjPS6_PjSD_j
; %bb.0:
	s_clause 0x1
	s_load_dwordx2 s[0:1], s[4:5], 0x538
	s_load_dword s2, s[4:5], 0x530
	s_waitcnt lgkmcnt(0)
	s_mul_i32 s1, s1, s8
	s_add_i32 s1, s1, s7
	s_mul_i32 s0, s1, s0
	s_add_i32 s0, s0, s6
	s_cmp_ge_u32 s0, s2
	s_cbranch_scc1 .LBB140_61
; %bb.1:
	s_clause 0x1
	s_load_dwordx2 s[6:7], s[4:5], 0x510
	s_load_dwordx4 s[8:11], s[4:5], 0x1a0
	s_mov_b32 s13, 0
	s_waitcnt lgkmcnt(0)
	v_cvt_f32_u32_e32 v1, s7
	s_sub_i32 s2, 0, s7
	s_lshl_b32 s33, s6, 8
	v_rcp_iflag_f32_e32 v1, v1
	v_mul_f32_e32 v1, 0x4f7ffffe, v1
	v_cvt_u32_f32_e32 v1, v1
	v_readfirstlane_b32 s1, v1
	s_mul_i32 s2, s2, s1
	s_mul_hi_u32 s2, s1, s2
	s_add_i32 s1, s1, s2
	s_mul_hi_u32 s1, s0, s1
	s_mul_i32 s2, s1, s7
	s_add_i32 s3, s1, 1
	s_sub_i32 s2, s0, s2
	s_sub_i32 s12, s2, s7
	s_cmp_ge_u32 s2, s7
	s_cselect_b32 s1, s3, s1
	s_cselect_b32 s2, s12, s2
	s_add_i32 s3, s1, 1
	s_cmp_ge_u32 s2, s7
	s_cselect_b32 s12, s3, s1
	s_mul_i32 s18, s12, s7
	s_sub_i32 s50, s0, s18
	s_add_i32 s0, s50, 1
	s_cmp_lt_u32 s0, s7
	s_cbranch_scc1 .LBB140_3
; %bb.2:
	s_mul_i32 s0, s50, s33
	s_sub_u32 s0, s8, s0
	s_subb_u32 s1, s9, 0
	s_add_u32 s0, s0, 0xff
	s_addc_u32 s1, s1, 0
	s_ashr_i32 s2, s1, 31
	s_lshr_b32 s2, s2, 24
	s_add_u32 s0, s0, s2
	s_addc_u32 s1, s1, 0
	s_lshr_b64 s[0:1], s[0:1], 8
	s_mov_b32 s6, s0
.LBB140_3:
	s_load_dword s2, s[4:5], 0x198
	s_mov_b64 s[16:17], 0
	s_mov_b64 s[20:21], s[12:13]
	s_waitcnt lgkmcnt(0)
	s_cmp_lt_i32 s2, 2
	s_cbranch_scc1 .LBB140_9
; %bb.4:
	s_add_i32 s0, s2, -1
	s_mov_b32 s1, 0
	s_add_i32 s19, s2, 1
	s_lshl_b64 s[14:15], s[0:1], 3
	s_add_u32 s0, s4, s14
	s_addc_u32 s3, s5, s15
	s_add_u32 s2, s0, 8
	s_addc_u32 s3, s3, 0
	s_mov_b64 s[14:15], s[12:13]
.LBB140_5:                              ; =>This Inner Loop Header: Depth=1
	s_load_dwordx2 s[22:23], s[2:3], 0x0
	s_mov_b64 s[20:21], 0
	s_waitcnt lgkmcnt(0)
	v_cmp_lt_u64_e64 s0, s[14:15], s[22:23]
	s_and_b32 vcc_lo, exec_lo, s0
	s_cbranch_vccnz .LBB140_7
; %bb.6:                                ;   in Loop: Header=BB140_5 Depth=1
	v_cvt_f32_u32_e32 v1, s22
	s_sub_i32 s20, 0, s22
	v_rcp_iflag_f32_e32 v1, v1
	v_mul_f32_e32 v1, 0x4f7ffffe, v1
	v_cvt_u32_f32_e32 v1, v1
	v_readfirstlane_b32 s0, v1
	s_mul_i32 s20, s20, s0
	s_mul_hi_u32 s20, s0, s20
	s_add_i32 s0, s0, s20
	s_mul_hi_u32 s0, s14, s0
	s_mul_i32 s20, s0, s22
	s_add_i32 s21, s0, 1
	s_sub_i32 s20, s14, s20
	s_sub_i32 s24, s20, s22
	s_cmp_ge_u32 s20, s22
	s_cselect_b32 s0, s21, s0
	s_cselect_b32 s20, s24, s20
	s_add_i32 s21, s0, 1
	s_cmp_ge_u32 s20, s22
	s_cselect_b32 s0, s21, s0
	s_mov_b64 s[20:21], s[0:1]
.LBB140_7:                              ;   in Loop: Header=BB140_5 Depth=1
	s_load_dwordx2 s[24:25], s[2:3], 0xc8
	s_mul_i32 s0, s20, s23
	s_mul_hi_u32 s23, s20, s22
	s_mul_i32 s22, s20, s22
	s_add_i32 s23, s23, s0
	s_sub_u32 s0, s14, s22
	s_subb_u32 s14, s15, s23
	s_waitcnt lgkmcnt(0)
	s_mul_i32 s14, s24, s14
	s_mul_hi_u32 s15, s24, s0
	s_mul_i32 s22, s25, s0
	s_add_i32 s14, s15, s14
	s_mul_i32 s0, s24, s0
	s_add_i32 s14, s14, s22
	s_add_u32 s16, s0, s16
	s_addc_u32 s17, s14, s17
	s_add_i32 s19, s19, -1
	s_add_u32 s2, s2, -8
	s_addc_u32 s3, s3, -1
	s_cmp_gt_u32 s19, 2
	s_cbranch_scc0 .LBB140_9
; %bb.8:                                ;   in Loop: Header=BB140_5 Depth=1
	s_mov_b64 s[14:15], s[20:21]
	s_branch .LBB140_5
.LBB140_9:
	s_clause 0x1
	s_load_dword s14, s[4:5], 0x358
	s_load_dwordx2 s[24:25], s[4:5], 0xd0
	s_add_u32 s0, s4, 0x1c0
	s_addc_u32 s1, s5, 0
	s_mov_b64 s[22:23], 0
	s_mov_b64 s[26:27], s[12:13]
	s_waitcnt lgkmcnt(0)
	s_cmp_lt_i32 s14, 2
	s_cbranch_scc1 .LBB140_15
; %bb.10:
	s_add_i32 s2, s14, -1
	s_mov_b32 s3, 0
	s_add_i32 s19, s14, 1
	s_lshl_b64 s[22:23], s[2:3], 3
	s_mov_b64 s[28:29], s[12:13]
	s_add_u32 s2, s0, s22
	s_addc_u32 s15, s1, s23
	s_add_u32 s14, s2, 8
	s_addc_u32 s15, s15, 0
	s_mov_b64 s[22:23], 0
.LBB140_11:                             ; =>This Inner Loop Header: Depth=1
	s_load_dwordx2 s[30:31], s[14:15], 0x0
	s_mov_b64 s[26:27], 0
	s_waitcnt lgkmcnt(0)
	v_cmp_lt_u64_e64 s2, s[28:29], s[30:31]
	s_and_b32 vcc_lo, exec_lo, s2
	s_cbranch_vccnz .LBB140_13
; %bb.12:                               ;   in Loop: Header=BB140_11 Depth=1
	v_cvt_f32_u32_e32 v1, s30
	s_sub_i32 s21, 0, s30
	v_rcp_iflag_f32_e32 v1, v1
	v_mul_f32_e32 v1, 0x4f7ffffe, v1
	v_cvt_u32_f32_e32 v1, v1
	v_readfirstlane_b32 s2, v1
	s_mul_i32 s21, s21, s2
	s_mul_hi_u32 s21, s2, s21
	s_add_i32 s2, s2, s21
	s_mul_hi_u32 s2, s28, s2
	s_mul_i32 s21, s2, s30
	s_add_i32 s26, s2, 1
	s_sub_i32 s21, s28, s21
	s_sub_i32 s27, s21, s30
	s_cmp_ge_u32 s21, s30
	s_cselect_b32 s2, s26, s2
	s_cselect_b32 s21, s27, s21
	s_add_i32 s26, s2, 1
	s_cmp_ge_u32 s21, s30
	s_cselect_b32 s2, s26, s2
	s_mov_b64 s[26:27], s[2:3]
.LBB140_13:                             ;   in Loop: Header=BB140_11 Depth=1
	s_load_dwordx2 s[34:35], s[14:15], 0xc8
	s_mul_i32 s2, s26, s31
	s_mul_hi_u32 s21, s26, s30
	s_mul_i32 s30, s26, s30
	s_add_i32 s21, s21, s2
	s_sub_u32 s2, s28, s30
	s_subb_u32 s21, s29, s21
	s_waitcnt lgkmcnt(0)
	s_mul_i32 s21, s34, s21
	s_mul_hi_u32 s28, s34, s2
	s_mul_i32 s29, s35, s2
	s_add_i32 s21, s28, s21
	s_mul_i32 s2, s34, s2
	s_add_i32 s21, s21, s29
	s_add_u32 s22, s2, s22
	s_addc_u32 s23, s21, s23
	s_add_i32 s19, s19, -1
	s_add_u32 s14, s14, -8
	s_addc_u32 s15, s15, -1
	s_cmp_gt_u32 s19, 2
	s_cbranch_scc0 .LBB140_15
; %bb.14:                               ;   in Loop: Header=BB140_11 Depth=1
	s_mov_b64 s[28:29], s[26:27]
	s_branch .LBB140_11
.LBB140_15:
	s_clause 0x1
	s_load_dword s2, s[4:5], 0x500
	s_load_dwordx2 s[30:31], s[0:1], 0xd0
	s_add_u32 s3, s4, 0x368
	s_addc_u32 s14, s5, 0
	s_mov_b64 s[28:29], 0
	s_waitcnt lgkmcnt(0)
	s_cmp_lt_i32 s2, 2
	s_cbranch_scc1 .LBB140_21
; %bb.16:
	s_add_i32 s0, s2, -1
	s_mov_b32 s1, 0
	s_add_i32 s19, s2, 1
	s_lshl_b64 s[28:29], s[0:1], 3
	s_add_u32 s0, s3, s28
	s_addc_u32 s3, s14, s29
	s_add_u32 s2, s0, 8
	s_addc_u32 s3, s3, 0
	s_mov_b64 s[28:29], 0
	s_mov_b64 s[14:15], s[12:13]
.LBB140_17:                             ; =>This Inner Loop Header: Depth=1
	s_load_dwordx2 s[36:37], s[2:3], 0x0
	s_mov_b64 s[34:35], 0
	s_waitcnt lgkmcnt(0)
	v_cmp_lt_u64_e64 s0, s[14:15], s[36:37]
	s_and_b32 vcc_lo, exec_lo, s0
	s_cbranch_vccnz .LBB140_19
; %bb.18:                               ;   in Loop: Header=BB140_17 Depth=1
	v_cvt_f32_u32_e32 v1, s36
	s_sub_i32 s13, 0, s36
	v_rcp_iflag_f32_e32 v1, v1
	v_mul_f32_e32 v1, 0x4f7ffffe, v1
	v_cvt_u32_f32_e32 v1, v1
	v_readfirstlane_b32 s0, v1
	s_mul_i32 s13, s13, s0
	s_mul_hi_u32 s13, s0, s13
	s_add_i32 s0, s0, s13
	s_mul_hi_u32 s0, s14, s0
	s_mul_i32 s13, s0, s36
	s_add_i32 s21, s0, 1
	s_sub_i32 s13, s14, s13
	s_sub_i32 s27, s13, s36
	s_cmp_ge_u32 s13, s36
	s_cselect_b32 s0, s21, s0
	s_cselect_b32 s13, s27, s13
	s_add_i32 s21, s0, 1
	s_cmp_ge_u32 s13, s36
	s_cselect_b32 s0, s21, s0
	s_mov_b64 s[34:35], s[0:1]
.LBB140_19:                             ;   in Loop: Header=BB140_17 Depth=1
	s_load_dwordx2 s[38:39], s[2:3], 0xc8
	s_mul_i32 s0, s34, s37
	s_mul_hi_u32 s13, s34, s36
	s_mul_i32 s21, s34, s36
	s_add_i32 s13, s13, s0
	s_sub_u32 s0, s14, s21
	s_subb_u32 s13, s15, s13
	s_waitcnt lgkmcnt(0)
	s_mul_i32 s13, s38, s13
	s_mul_hi_u32 s14, s38, s0
	s_mul_i32 s15, s39, s0
	s_add_i32 s13, s14, s13
	s_mul_i32 s0, s38, s0
	s_add_i32 s13, s13, s15
	s_add_u32 s28, s0, s28
	s_addc_u32 s29, s13, s29
	s_add_i32 s19, s19, -1
	s_add_u32 s2, s2, -8
	s_addc_u32 s3, s3, -1
	s_cmp_gt_u32 s19, 2
	s_cbranch_scc0 .LBB140_22
; %bb.20:                               ;   in Loop: Header=BB140_17 Depth=1
	s_mov_b64 s[14:15], s[34:35]
	s_branch .LBB140_17
.LBB140_21:
	s_mov_b64 s[34:35], s[12:13]
.LBB140_22:
	s_load_dwordx4 s[0:3], s[4:5], 0x518
	v_mov_b32_e32 v1, 0
	s_mov_b32 s19, 0
	s_waitcnt lgkmcnt(0)
	s_add_u32 s0, s0, s12
	s_addc_u32 s1, s1, 0
	global_load_ubyte v8, v1, s[0:1]
	s_clause 0x3
	s_load_dwordx2 s[42:43], s[4:5], 0x438
	s_load_dwordx2 s[40:41], s[4:5], 0x0
	;; [unrolled: 1-line block ×4, first 2 shown]
	v_cmp_ne_u32_e64 s0, 0, v0
	v_cmp_eq_u32_e64 s1, 0, v0
	s_and_saveexec_b32 s21, s1
	s_cbranch_execz .LBB140_38
; %bb.23:
	s_load_dwordx2 s[44:45], s[4:5], 0x528
	s_lshl_b64 s[46:47], s[18:19], 2
	s_mov_b32 s18, 0
	s_add_u32 s12, s2, s46
	s_addc_u32 s13, s3, s47
	s_mov_b32 s27, 0
	s_waitcnt lgkmcnt(0)
	s_add_u32 s14, s44, s46
	s_addc_u32 s15, s45, s47
	s_cmp_lt_u32 s7, 4
	s_cbranch_scc1 .LBB140_35
; %bb.24:
	s_mov_b32 s35, 0
.LBB140_25:                             ; =>This Inner Loop Header: Depth=1
	s_add_u32 s12, s2, s46
	s_addc_u32 s13, s3, s47
	s_add_u32 s48, s44, s46
	s_load_dwordx4 s[12:15], s[12:13], 0x0
	s_addc_u32 s49, s45, s47
	s_cmp_ge_u32 s35, s50
	s_cbranch_scc0 .LBB140_32
; %bb.26:                               ;   in Loop: Header=BB140_25 Depth=1
	s_add_i32 s51, s35, 1
	s_cmp_ge_u32 s51, s50
	s_cbranch_scc0 .LBB140_33
.LBB140_27:                             ;   in Loop: Header=BB140_25 Depth=1
	s_add_i32 s51, s51, 1
	s_cmp_ge_u32 s51, s50
	s_cbranch_scc0 .LBB140_34
.LBB140_28:                             ;   in Loop: Header=BB140_25 Depth=1
	s_add_i32 s51, s51, 1
	s_cmp_ge_u32 s51, s50
	s_cbranch_scc1 .LBB140_30
.LBB140_29:                             ;   in Loop: Header=BB140_25 Depth=1
	s_load_dword s48, s[48:49], 0xc
	s_waitcnt lgkmcnt(0)
	s_add_i32 s19, s19, s15
	s_add_i32 s18, s48, s18
.LBB140_30:                             ;   in Loop: Header=BB140_25 Depth=1
	s_waitcnt lgkmcnt(0)
	s_add_i32 s12, s12, s27
	s_add_i32 s12, s12, s13
	;; [unrolled: 1-line block ×4, first 2 shown]
	s_add_u32 s2, s2, 16
	s_addc_u32 s3, s3, 0
	s_add_u32 s44, s44, 16
	s_addc_u32 s45, s45, 0
	s_add_i32 s49, s51, 4
	s_add_u32 s14, s44, s46
	s_addc_u32 s15, s45, s47
	s_add_u32 s12, s2, s46
	s_addc_u32 s13, s3, s47
	s_add_i32 s48, s51, 1
	s_cmp_ge_u32 s49, s7
	s_cbranch_scc1 .LBB140_36
; %bb.31:                               ;   in Loop: Header=BB140_25 Depth=1
	s_mov_b32 s35, s48
	s_branch .LBB140_25
.LBB140_32:                             ;   in Loop: Header=BB140_25 Depth=1
	s_load_dword s51, s[48:49], 0x0
	s_waitcnt lgkmcnt(0)
	s_add_i32 s19, s12, s19
	s_add_i32 s18, s51, s18
	;; [unrolled: 1-line block ×3, first 2 shown]
	s_cmp_ge_u32 s51, s50
	s_cbranch_scc1 .LBB140_27
.LBB140_33:                             ;   in Loop: Header=BB140_25 Depth=1
	s_load_dword s52, s[48:49], 0x4
	s_waitcnt lgkmcnt(0)
	s_add_i32 s19, s19, s13
	s_add_i32 s18, s52, s18
	;; [unrolled: 1-line block ×3, first 2 shown]
	s_cmp_ge_u32 s51, s50
	s_cbranch_scc1 .LBB140_28
.LBB140_34:                             ;   in Loop: Header=BB140_25 Depth=1
	s_load_dword s52, s[48:49], 0x8
	s_waitcnt lgkmcnt(0)
	s_add_i32 s19, s19, s14
	s_add_i32 s18, s52, s18
	;; [unrolled: 1-line block ×3, first 2 shown]
	s_cmp_ge_u32 s51, s50
	s_cbranch_scc0 .LBB140_29
	s_branch .LBB140_30
.LBB140_35:
	s_mov_b32 s2, 0
	s_cmp_ge_u32 s2, s7
	s_cbranch_scc0 .LBB140_59
	s_branch .LBB140_37
.LBB140_36:
	s_add_i32 s2, s35, 4
	s_cmp_ge_u32 s2, s7
	s_cbranch_scc0 .LBB140_59
.LBB140_37:
	v_mov_b32_e32 v1, s18
	v_mov_b32_e32 v2, s27
	;; [unrolled: 1-line block ×4, first 2 shown]
	ds_write_b96 v4, v[1:3] offset:1056
.LBB140_38:
	s_or_b32 exec_lo, exec_lo, s21
	s_cmp_eq_u32 s6, 0
	s_waitcnt vmcnt(0) lgkmcnt(0)
	s_barrier
	buffer_gl0_inv
	s_cbranch_scc1 .LBB140_61
; %bb.39:
	v_mov_b32_e32 v5, 0
	s_mul_i32 s2, s31, s26
	s_mul_hi_u32 s3, s30, s26
	s_mul_i32 s13, s24, s20
	s_add_i32 s7, s3, s2
	s_mul_i32 s2, s25, s20
	s_mul_hi_u32 s3, s24, s20
	ds_read_b96 v[1:3], v5 offset:1056
	s_add_i32 s12, s3, s2
	s_mul_i32 s2, s43, s34
	s_mul_hi_u32 s3, s42, s34
	s_mul_i32 s14, s30, s26
	s_add_i32 s3, s3, s2
	s_add_u32 s13, s40, s13
	s_addc_u32 s15, s41, s12
	s_add_u32 s12, s13, s16
	s_addc_u32 s13, s15, s17
	s_add_u32 s14, s38, s14
	s_mul_i32 s2, s42, s34
	s_addc_u32 s7, s39, s7
	s_add_u32 s14, s14, s22
	s_addc_u32 s15, s7, s23
	s_lshl_b64 s[2:3], s[2:3], 3
	v_add_nc_u32_e32 v13, -1, v0
	s_add_u32 s7, s36, s2
	s_addc_u32 s16, s37, s3
	s_lshl_b64 s[2:3], s[28:29], 3
	s_waitcnt lgkmcnt(0)
	v_add_nc_u32_e32 v1, v1, v2
	s_add_u32 s7, s7, s2
	s_addc_u32 s20, s16, s3
	s_clause 0x3
	s_load_dword s3, s[4:5], 0x1b0
	s_load_dwordx2 s[16:17], s[4:5], 0x1b8
	s_load_dwordx2 s[18:19], s[4:5], 0x360
	;; [unrolled: 1-line block ×3, first 2 shown]
	v_lshrrev_b32_e32 v6, 3, v13
	v_lshrrev_b32_e32 v4, 3, v0
	v_mov_b32_e32 v9, 0x80
	v_lshlrev_b32_e32 v14, 5, v0
	v_mbcnt_lo_u32_b32 v11, -1, 0
	v_and_b32_e32 v15, 0x1ffffffc, v6
	v_mad_u64_u32 v[6:7], null, s50, s33, v[0:1]
	v_and_b32_e32 v2, 28, v4
	v_and_b32_e32 v4, 0xfc, v0
	v_add_nc_u32_sdwa v10, sext(v8), v9 dst_sel:DWORD dst_unused:UNUSED_PAD src0_sel:BYTE_0 src1_sel:DWORD
	v_cmp_gt_u32_e64 s2, 32, v0
	v_add_nc_u32_e32 v16, -1, v11
	v_lshl_add_u32 v12, v0, 2, v2
	v_lshl_add_u32 v0, v13, 2, v15
	v_add_nc_u32_e32 v13, v4, v14
	v_and_b32_e32 v14, 15, v11
	v_bfe_i32 v15, v11, 4, 1
	v_mov_b32_e32 v4, v6
	s_waitcnt lgkmcnt(0)
	s_bitcmp1_b32 s3, 0
                                        ; implicit-def: $vgpr17
	s_cselect_b32 s3, -1, 0
	s_branch .LBB140_42
.LBB140_40:                             ;   in Loop: Header=BB140_42 Depth=1
	s_or_b32 exec_lo, exec_lo, s21
	v_add_nc_u32_e32 v1, v2, v1
.LBB140_41:                             ;   in Loop: Header=BB140_42 Depth=1
	v_add_nc_u32_e32 v3, v18, v3
	v_add_nc_u32_e32 v4, 0x100, v4
	s_add_i32 s6, s6, -1
	s_cmp_lg_u32 s6, 0
	s_cbranch_scc0 .LBB140_61
.LBB140_42:                             ; =>This Inner Loop Header: Depth=1
	v_mov_b32_e32 v2, v5
	v_mov_b32_e32 v6, v5
	s_mov_b32 s21, exec_lo
	v_cmpx_gt_u64_e64 s[8:9], v[4:5]
	s_cbranch_execz .LBB140_44
; %bb.43:                               ;   in Loop: Header=BB140_42 Depth=1
	v_mad_u64_u32 v[6:7], null, s16, v4, s[12:13]
	v_mov_b32_e32 v2, v7
	v_mad_u64_u32 v[17:18], null, s17, v4, v[2:3]
	v_mov_b32_e32 v7, v17
	global_load_ubyte v17, v[6:7], off
	s_waitcnt vmcnt(0)
	v_add_nc_u32_sdwa v2, sext(v17), v9 dst_sel:DWORD dst_unused:UNUSED_PAD src0_sel:BYTE_0 src1_sel:DWORD
	v_cmp_eq_u16_sdwa s22, v17, v8 src0_sel:DWORD src1_sel:BYTE_0
	v_cmp_gt_u32_e32 vcc_lo, v2, v10
	v_cndmask_b32_e64 v6, 0, 1, vcc_lo
	v_cmp_lt_u32_e32 vcc_lo, v2, v10
	v_cndmask_b32_e64 v2, 0, 1, vcc_lo
	v_cndmask_b32_e64 v2, v2, v6, s3
	v_cndmask_b32_e64 v6, 0, 1, s22
	v_and_b32_e32 v2, 1, v2
.LBB140_44:                             ;   in Loop: Header=BB140_42 Depth=1
	s_or_b32 exec_lo, exec_lo, s21
	ds_write_b32 v12, v2
	s_waitcnt lgkmcnt(0)
	s_barrier
	buffer_gl0_inv
	s_and_saveexec_b32 s21, s2
	s_cbranch_execz .LBB140_46
; %bb.45:                               ;   in Loop: Header=BB140_42 Depth=1
	ds_read2_b32 v[18:19], v13 offset1:1
	ds_read2_b32 v[20:21], v13 offset0:2 offset1:3
	ds_read2_b32 v[22:23], v13 offset0:4 offset1:5
	;; [unrolled: 1-line block ×3, first 2 shown]
	v_cmp_ne_u32_e32 vcc_lo, 0, v14
	; wave barrier
	s_waitcnt lgkmcnt(3)
	v_add_nc_u32_e32 v7, v19, v18
	s_waitcnt lgkmcnt(2)
	v_add3_u32 v7, v7, v20, v21
	s_waitcnt lgkmcnt(1)
	v_add3_u32 v7, v7, v22, v23
	;; [unrolled: 2-line block ×3, first 2 shown]
	v_mov_b32_dpp v19, v7 row_shr:1 row_mask:0xf bank_mask:0xf
	v_cndmask_b32_e32 v19, 0, v19, vcc_lo
	v_cmp_lt_u32_e32 vcc_lo, 1, v14
	v_add_nc_u32_e32 v7, v19, v7
	v_mov_b32_dpp v19, v7 row_shr:2 row_mask:0xf bank_mask:0xf
	v_cndmask_b32_e32 v19, 0, v19, vcc_lo
	v_cmp_lt_u32_e32 vcc_lo, 3, v14
	v_add_nc_u32_e32 v7, v7, v19
	;; [unrolled: 4-line block ×3, first 2 shown]
	v_mov_b32_dpp v19, v7 row_shr:8 row_mask:0xf bank_mask:0xf
	v_cndmask_b32_e32 v19, 0, v19, vcc_lo
	v_cmp_gt_i32_e32 vcc_lo, 0, v16
	v_add_nc_u32_e32 v7, v7, v19
	v_cndmask_b32_e32 v20, v16, v11, vcc_lo
	ds_swizzle_b32 v19, v7 offset:swizzle(BROADCAST,32,15)
	v_lshlrev_b32_e32 v20, 2, v20
	s_waitcnt lgkmcnt(0)
	v_and_b32_e32 v19, v15, v19
	v_add_nc_u32_e32 v7, v7, v19
	ds_bpermute_b32 v7, v20, v7
	s_waitcnt lgkmcnt(0)
	v_add_nc_u32_e32 v7, v7, v18
	v_cndmask_b32_e64 v7, v7, v2, s1
	ds_write_b32 v13, v7
	; wave barrier
	ds_read2_b32 v[18:19], v13 offset0:1 offset1:2
	ds_read2_b32 v[20:21], v13 offset0:3 offset1:4
	;; [unrolled: 1-line block ×3, first 2 shown]
	ds_read_b32 v24, v13 offset:28
	s_waitcnt lgkmcnt(3)
	v_add_nc_u32_e32 v7, v18, v7
	v_add_nc_u32_e32 v18, v19, v7
	s_waitcnt lgkmcnt(2)
	v_add_nc_u32_e32 v19, v20, v18
	v_add_nc_u32_e32 v20, v21, v19
	;; [unrolled: 3-line block ×3, first 2 shown]
	s_waitcnt lgkmcnt(0)
	v_add_nc_u32_e32 v23, v24, v22
	ds_write2_b32 v13, v7, v18 offset0:1 offset1:2
	ds_write2_b32 v13, v19, v20 offset0:3 offset1:4
	;; [unrolled: 1-line block ×3, first 2 shown]
	ds_write_b32 v13, v23 offset:28
.LBB140_46:                             ;   in Loop: Header=BB140_42 Depth=1
	s_or_b32 exec_lo, exec_lo, s21
	v_mov_b32_e32 v7, 0
	s_waitcnt lgkmcnt(0)
	s_barrier
	buffer_gl0_inv
	s_and_saveexec_b32 s21, s0
; %bb.47:                               ;   in Loop: Header=BB140_42 Depth=1
	ds_read_b32 v7, v0
; %bb.48:                               ;   in Loop: Header=BB140_42 Depth=1
	s_or_b32 exec_lo, exec_lo, s21
	ds_read_b32 v18, v5 offset:1048
	s_mov_b32 s21, exec_lo
	s_waitcnt lgkmcnt(0)
	s_barrier
	buffer_gl0_inv
	v_cmpx_ne_u32_e32 0, v2
	s_cbranch_execz .LBB140_50
; %bb.49:                               ;   in Loop: Header=BB140_42 Depth=1
	v_add_nc_u32_e32 v7, v7, v3
	v_mad_u64_u32 v[19:20], null, s4, v7, 0
	v_mad_u64_u32 v[21:22], null, s18, v7, s[14:15]
	v_mov_b32_e32 v2, v20
	v_mad_u64_u32 v[23:24], null, s5, v7, v[2:3]
	v_mov_b32_e32 v2, v22
	v_mov_b32_e32 v20, v23
	v_mad_u64_u32 v[22:23], null, s19, v7, v[2:3]
	v_lshlrev_b64 v[19:20], 3, v[19:20]
	v_add_co_u32 v19, vcc_lo, s7, v19
	v_add_co_ci_u32_e64 v20, null, s20, v20, vcc_lo
	global_store_byte v[21:22], v17, off
	global_store_dwordx2 v[19:20], v[4:5], off
.LBB140_50:                             ;   in Loop: Header=BB140_42 Depth=1
	s_or_b32 exec_lo, exec_lo, s21
	v_mov_b32_e32 v2, v5
	v_cmp_le_u64_e32 vcc_lo, s[10:11], v[1:2]
	s_cbranch_vccnz .LBB140_41
; %bb.51:                               ;   in Loop: Header=BB140_42 Depth=1
	ds_write_b32 v12, v6
	s_waitcnt lgkmcnt(0)
	s_waitcnt_vscnt null, 0x0
	s_barrier
	buffer_gl0_inv
	s_and_saveexec_b32 s21, s2
	s_cbranch_execz .LBB140_53
; %bb.52:                               ;   in Loop: Header=BB140_42 Depth=1
	ds_read2_b32 v[19:20], v13 offset1:1
	ds_read2_b32 v[21:22], v13 offset0:2 offset1:3
	ds_read2_b32 v[23:24], v13 offset0:4 offset1:5
	;; [unrolled: 1-line block ×3, first 2 shown]
	v_cmp_ne_u32_e32 vcc_lo, 0, v14
	; wave barrier
	s_waitcnt lgkmcnt(3)
	v_add_nc_u32_e32 v2, v20, v19
	s_waitcnt lgkmcnt(2)
	v_add3_u32 v2, v2, v21, v22
	s_waitcnt lgkmcnt(1)
	v_add3_u32 v2, v2, v23, v24
	s_waitcnt lgkmcnt(0)
	v_add3_u32 v2, v2, v25, v26
	v_mov_b32_dpp v7, v2 row_shr:1 row_mask:0xf bank_mask:0xf
	v_cndmask_b32_e32 v7, 0, v7, vcc_lo
	v_cmp_lt_u32_e32 vcc_lo, 1, v14
	v_add_nc_u32_e32 v2, v7, v2
	v_mov_b32_dpp v7, v2 row_shr:2 row_mask:0xf bank_mask:0xf
	v_cndmask_b32_e32 v7, 0, v7, vcc_lo
	v_cmp_lt_u32_e32 vcc_lo, 3, v14
	v_add_nc_u32_e32 v2, v2, v7
	;; [unrolled: 4-line block ×3, first 2 shown]
	v_mov_b32_dpp v7, v2 row_shr:8 row_mask:0xf bank_mask:0xf
	v_cndmask_b32_e32 v7, 0, v7, vcc_lo
	v_cmp_gt_i32_e32 vcc_lo, 0, v16
	v_add_nc_u32_e32 v2, v2, v7
	v_cndmask_b32_e32 v20, v16, v11, vcc_lo
	ds_swizzle_b32 v7, v2 offset:swizzle(BROADCAST,32,15)
	v_lshlrev_b32_e32 v20, 2, v20
	s_waitcnt lgkmcnt(0)
	v_and_b32_e32 v7, v15, v7
	v_add_nc_u32_e32 v2, v2, v7
	ds_bpermute_b32 v2, v20, v2
	s_waitcnt lgkmcnt(0)
	v_add_nc_u32_e32 v2, v2, v19
	v_cndmask_b32_e64 v2, v2, v6, s1
	ds_write_b32 v13, v2
	; wave barrier
	ds_read2_b32 v[19:20], v13 offset0:1 offset1:2
	ds_read2_b32 v[21:22], v13 offset0:3 offset1:4
	;; [unrolled: 1-line block ×3, first 2 shown]
	ds_read_b32 v7, v13 offset:28
	s_waitcnt lgkmcnt(3)
	v_add_nc_u32_e32 v2, v19, v2
	v_add_nc_u32_e32 v19, v20, v2
	s_waitcnt lgkmcnt(2)
	v_add_nc_u32_e32 v20, v21, v19
	v_add_nc_u32_e32 v21, v22, v20
	;; [unrolled: 3-line block ×3, first 2 shown]
	s_waitcnt lgkmcnt(0)
	v_add_nc_u32_e32 v7, v7, v23
	ds_write2_b32 v13, v2, v19 offset0:1 offset1:2
	ds_write2_b32 v13, v20, v21 offset0:3 offset1:4
	;; [unrolled: 1-line block ×3, first 2 shown]
	ds_write_b32 v13, v7 offset:28
.LBB140_53:                             ;   in Loop: Header=BB140_42 Depth=1
	s_or_b32 exec_lo, exec_lo, s21
	v_mov_b32_e32 v7, 0
	s_waitcnt lgkmcnt(0)
	s_barrier
	buffer_gl0_inv
	s_and_saveexec_b32 s21, s0
; %bb.54:                               ;   in Loop: Header=BB140_42 Depth=1
	ds_read_b32 v7, v0
; %bb.55:                               ;   in Loop: Header=BB140_42 Depth=1
	s_or_b32 exec_lo, exec_lo, s21
	ds_read_b32 v2, v5 offset:1048
	s_mov_b32 s21, exec_lo
	s_waitcnt lgkmcnt(0)
	s_barrier
	buffer_gl0_inv
	v_cmpx_ne_u32_e32 0, v6
	s_cbranch_execz .LBB140_40
; %bb.56:                               ;   in Loop: Header=BB140_42 Depth=1
	v_add_nc_u32_e32 v6, v7, v1
	v_mov_b32_e32 v7, v5
	v_cmp_gt_u64_e32 vcc_lo, s[10:11], v[6:7]
	s_and_b32 exec_lo, exec_lo, vcc_lo
	s_cbranch_execz .LBB140_40
; %bb.57:                               ;   in Loop: Header=BB140_42 Depth=1
	v_mad_u64_u32 v[19:20], null, s4, v6, 0
	v_mad_u64_u32 v[21:22], null, s18, v6, s[14:15]
	v_mov_b32_e32 v7, v20
	v_mad_u64_u32 v[23:24], null, s5, v6, v[7:8]
	v_mov_b32_e32 v7, v22
	;; [unrolled: 2-line block ×3, first 2 shown]
	v_lshlrev_b64 v[19:20], 3, v[19:20]
	v_mov_b32_e32 v22, v6
	v_add_co_u32 v6, vcc_lo, s7, v19
	v_add_co_ci_u32_e64 v7, null, s20, v20, vcc_lo
	global_store_byte v[21:22], v17, off
	global_store_dwordx2 v[6:7], v[4:5], off
	s_branch .LBB140_40
	.p2align	6
.LBB140_58:                             ;   in Loop: Header=BB140_59 Depth=1
	s_add_u32 s12, s12, 4
	s_addc_u32 s13, s13, 0
	s_waitcnt lgkmcnt(0)
	s_add_i32 s27, s3, s27
	s_add_u32 s14, s14, 4
	s_addc_u32 s15, s15, 0
	s_add_i32 s2, s2, 1
	s_cmp_lt_u32 s2, s7
	s_cbranch_scc0 .LBB140_37
.LBB140_59:                             ; =>This Inner Loop Header: Depth=1
	s_load_dword s3, s[12:13], 0x0
	s_cmp_ge_u32 s2, s50
	s_cbranch_scc1 .LBB140_58
; %bb.60:                               ;   in Loop: Header=BB140_59 Depth=1
	s_load_dword s35, s[14:15], 0x0
	s_waitcnt lgkmcnt(0)
	s_add_i32 s19, s3, s19
	s_add_i32 s18, s35, s18
	s_branch .LBB140_58
.LBB140_61:
	s_endpgm
	.section	.rodata,"a",@progbits
	.p2align	6, 0x0
	.amdhsa_kernel _ZN2at6native6mbtopk10gatherTopKIamLin1EEEvNS_4cuda6detail10TensorInfoIKT_T0_EES8_S8_bjS8_NS5_IS6_S8_EES8_NS5_IlS8_EES8_jjPS6_PjSD_j
		.amdhsa_group_segment_fixed_size 1068
		.amdhsa_private_segment_fixed_size 0
		.amdhsa_kernarg_size 1592
		.amdhsa_user_sgpr_count 6
		.amdhsa_user_sgpr_private_segment_buffer 1
		.amdhsa_user_sgpr_dispatch_ptr 0
		.amdhsa_user_sgpr_queue_ptr 0
		.amdhsa_user_sgpr_kernarg_segment_ptr 1
		.amdhsa_user_sgpr_dispatch_id 0
		.amdhsa_user_sgpr_flat_scratch_init 0
		.amdhsa_user_sgpr_private_segment_size 0
		.amdhsa_wavefront_size32 1
		.amdhsa_uses_dynamic_stack 0
		.amdhsa_system_sgpr_private_segment_wavefront_offset 0
		.amdhsa_system_sgpr_workgroup_id_x 1
		.amdhsa_system_sgpr_workgroup_id_y 1
		.amdhsa_system_sgpr_workgroup_id_z 1
		.amdhsa_system_sgpr_workgroup_info 0
		.amdhsa_system_vgpr_workitem_id 0
		.amdhsa_next_free_vgpr 27
		.amdhsa_next_free_sgpr 53
		.amdhsa_reserve_vcc 1
		.amdhsa_reserve_flat_scratch 0
		.amdhsa_float_round_mode_32 0
		.amdhsa_float_round_mode_16_64 0
		.amdhsa_float_denorm_mode_32 3
		.amdhsa_float_denorm_mode_16_64 3
		.amdhsa_dx10_clamp 1
		.amdhsa_ieee_mode 1
		.amdhsa_fp16_overflow 0
		.amdhsa_workgroup_processor_mode 1
		.amdhsa_memory_ordered 1
		.amdhsa_forward_progress 1
		.amdhsa_shared_vgpr_count 0
		.amdhsa_exception_fp_ieee_invalid_op 0
		.amdhsa_exception_fp_denorm_src 0
		.amdhsa_exception_fp_ieee_div_zero 0
		.amdhsa_exception_fp_ieee_overflow 0
		.amdhsa_exception_fp_ieee_underflow 0
		.amdhsa_exception_fp_ieee_inexact 0
		.amdhsa_exception_int_div_zero 0
	.end_amdhsa_kernel
	.section	.text._ZN2at6native6mbtopk10gatherTopKIamLin1EEEvNS_4cuda6detail10TensorInfoIKT_T0_EES8_S8_bjS8_NS5_IS6_S8_EES8_NS5_IlS8_EES8_jjPS6_PjSD_j,"axG",@progbits,_ZN2at6native6mbtopk10gatherTopKIamLin1EEEvNS_4cuda6detail10TensorInfoIKT_T0_EES8_S8_bjS8_NS5_IS6_S8_EES8_NS5_IlS8_EES8_jjPS6_PjSD_j,comdat
.Lfunc_end140:
	.size	_ZN2at6native6mbtopk10gatherTopKIamLin1EEEvNS_4cuda6detail10TensorInfoIKT_T0_EES8_S8_bjS8_NS5_IS6_S8_EES8_NS5_IlS8_EES8_jjPS6_PjSD_j, .Lfunc_end140-_ZN2at6native6mbtopk10gatherTopKIamLin1EEEvNS_4cuda6detail10TensorInfoIKT_T0_EES8_S8_bjS8_NS5_IS6_S8_EES8_NS5_IlS8_EES8_jjPS6_PjSD_j
                                        ; -- End function
	.set _ZN2at6native6mbtopk10gatherTopKIamLin1EEEvNS_4cuda6detail10TensorInfoIKT_T0_EES8_S8_bjS8_NS5_IS6_S8_EES8_NS5_IlS8_EES8_jjPS6_PjSD_j.num_vgpr, 27
	.set _ZN2at6native6mbtopk10gatherTopKIamLin1EEEvNS_4cuda6detail10TensorInfoIKT_T0_EES8_S8_bjS8_NS5_IS6_S8_EES8_NS5_IlS8_EES8_jjPS6_PjSD_j.num_agpr, 0
	.set _ZN2at6native6mbtopk10gatherTopKIamLin1EEEvNS_4cuda6detail10TensorInfoIKT_T0_EES8_S8_bjS8_NS5_IS6_S8_EES8_NS5_IlS8_EES8_jjPS6_PjSD_j.numbered_sgpr, 53
	.set _ZN2at6native6mbtopk10gatherTopKIamLin1EEEvNS_4cuda6detail10TensorInfoIKT_T0_EES8_S8_bjS8_NS5_IS6_S8_EES8_NS5_IlS8_EES8_jjPS6_PjSD_j.num_named_barrier, 0
	.set _ZN2at6native6mbtopk10gatherTopKIamLin1EEEvNS_4cuda6detail10TensorInfoIKT_T0_EES8_S8_bjS8_NS5_IS6_S8_EES8_NS5_IlS8_EES8_jjPS6_PjSD_j.private_seg_size, 0
	.set _ZN2at6native6mbtopk10gatherTopKIamLin1EEEvNS_4cuda6detail10TensorInfoIKT_T0_EES8_S8_bjS8_NS5_IS6_S8_EES8_NS5_IlS8_EES8_jjPS6_PjSD_j.uses_vcc, 1
	.set _ZN2at6native6mbtopk10gatherTopKIamLin1EEEvNS_4cuda6detail10TensorInfoIKT_T0_EES8_S8_bjS8_NS5_IS6_S8_EES8_NS5_IlS8_EES8_jjPS6_PjSD_j.uses_flat_scratch, 0
	.set _ZN2at6native6mbtopk10gatherTopKIamLin1EEEvNS_4cuda6detail10TensorInfoIKT_T0_EES8_S8_bjS8_NS5_IS6_S8_EES8_NS5_IlS8_EES8_jjPS6_PjSD_j.has_dyn_sized_stack, 0
	.set _ZN2at6native6mbtopk10gatherTopKIamLin1EEEvNS_4cuda6detail10TensorInfoIKT_T0_EES8_S8_bjS8_NS5_IS6_S8_EES8_NS5_IlS8_EES8_jjPS6_PjSD_j.has_recursion, 0
	.set _ZN2at6native6mbtopk10gatherTopKIamLin1EEEvNS_4cuda6detail10TensorInfoIKT_T0_EES8_S8_bjS8_NS5_IS6_S8_EES8_NS5_IlS8_EES8_jjPS6_PjSD_j.has_indirect_call, 0
	.section	.AMDGPU.csdata,"",@progbits
; Kernel info:
; codeLenInByte = 3280
; TotalNumSgprs: 55
; NumVgprs: 27
; ScratchSize: 0
; MemoryBound: 0
; FloatMode: 240
; IeeeMode: 1
; LDSByteSize: 1068 bytes/workgroup (compile time only)
; SGPRBlocks: 0
; VGPRBlocks: 3
; NumSGPRsForWavesPerEU: 55
; NumVGPRsForWavesPerEU: 27
; Occupancy: 16
; WaveLimiterHint : 1
; COMPUTE_PGM_RSRC2:SCRATCH_EN: 0
; COMPUTE_PGM_RSRC2:USER_SGPR: 6
; COMPUTE_PGM_RSRC2:TRAP_HANDLER: 0
; COMPUTE_PGM_RSRC2:TGID_X_EN: 1
; COMPUTE_PGM_RSRC2:TGID_Y_EN: 1
; COMPUTE_PGM_RSRC2:TGID_Z_EN: 1
; COMPUTE_PGM_RSRC2:TIDIG_COMP_CNT: 0
	.section	.text._ZN2at6native6sbtopk10gatherTopKIamLin1ELb0EEEvNS_4cuda6detail10TensorInfoIKT_T0_EES8_S8_bS8_S8_NS5_IS6_S8_EES8_NS5_IlS8_EES8_PS6_,"axG",@progbits,_ZN2at6native6sbtopk10gatherTopKIamLin1ELb0EEEvNS_4cuda6detail10TensorInfoIKT_T0_EES8_S8_bS8_S8_NS5_IS6_S8_EES8_NS5_IlS8_EES8_PS6_,comdat
	.protected	_ZN2at6native6sbtopk10gatherTopKIamLin1ELb0EEEvNS_4cuda6detail10TensorInfoIKT_T0_EES8_S8_bS8_S8_NS5_IS6_S8_EES8_NS5_IlS8_EES8_PS6_ ; -- Begin function _ZN2at6native6sbtopk10gatherTopKIamLin1ELb0EEEvNS_4cuda6detail10TensorInfoIKT_T0_EES8_S8_bS8_S8_NS5_IS6_S8_EES8_NS5_IlS8_EES8_PS6_
	.globl	_ZN2at6native6sbtopk10gatherTopKIamLin1ELb0EEEvNS_4cuda6detail10TensorInfoIKT_T0_EES8_S8_bS8_S8_NS5_IS6_S8_EES8_NS5_IlS8_EES8_PS6_
	.p2align	8
	.type	_ZN2at6native6sbtopk10gatherTopKIamLin1ELb0EEEvNS_4cuda6detail10TensorInfoIKT_T0_EES8_S8_bS8_S8_NS5_IS6_S8_EES8_NS5_IlS8_EES8_PS6_,@function
_ZN2at6native6sbtopk10gatherTopKIamLin1ELb0EEEvNS_4cuda6detail10TensorInfoIKT_T0_EES8_S8_bS8_S8_NS5_IS6_S8_EES8_NS5_IlS8_EES8_PS6_: ; @_ZN2at6native6sbtopk10gatherTopKIamLin1ELb0EEEvNS_4cuda6detail10TensorInfoIKT_T0_EES8_S8_bS8_S8_NS5_IS6_S8_EES8_NS5_IlS8_EES8_PS6_
; %bb.0:
	s_clause 0x1
	s_load_dwordx2 s[16:17], s[4:5], 0x520
	s_load_dwordx4 s[28:31], s[4:5], 0x1b8
	s_add_u32 s14, s4, 0x520
	s_addc_u32 s15, s5, 0
	s_mov_b32 s1, 0
	s_waitcnt lgkmcnt(0)
	s_mul_i32 s0, s17, s8
	s_add_i32 s0, s0, s7
	s_mul_i32 s0, s0, s16
	s_add_i32 s0, s0, s6
	v_cmp_le_u64_e64 s2, s[28:29], s[0:1]
	s_and_b32 vcc_lo, exec_lo, s2
	s_cbranch_vccnz .LBB141_497
; %bb.1:
	s_load_dword s3, s[4:5], 0x198
	s_mov_b64 s[12:13], 0
	s_mov_b64 s[8:9], s[0:1]
	s_waitcnt lgkmcnt(0)
	s_cmp_lt_i32 s3, 2
	s_cbranch_scc1 .LBB141_9
; %bb.2:
	s_mov_b32 s2, 0
	s_add_i32 s8, s3, -1
	s_mov_b32 s9, s2
	s_add_i32 s7, s3, 1
	s_lshl_b64 s[8:9], s[8:9], 3
	s_mov_b64 s[18:19], s[0:1]
	s_add_u32 s3, s4, s8
	s_addc_u32 s8, s5, s9
	s_add_u32 s10, s3, 8
	s_addc_u32 s11, s8, 0
.LBB141_3:                              ; =>This Inner Loop Header: Depth=1
	s_load_dwordx2 s[20:21], s[10:11], 0x0
	s_waitcnt lgkmcnt(0)
	s_or_b64 s[8:9], s[18:19], s[20:21]
	s_mov_b32 s3, s9
                                        ; implicit-def: $sgpr8_sgpr9
	s_cmp_lg_u64 s[2:3], 0
	s_mov_b32 s3, -1
	s_cbranch_scc0 .LBB141_5
; %bb.4:                                ;   in Loop: Header=BB141_3 Depth=1
	v_cvt_f32_u32_e32 v1, s20
	v_cvt_f32_u32_e32 v2, s21
	s_sub_u32 s9, 0, s20
	s_subb_u32 s17, 0, s21
	v_fmac_f32_e32 v1, 0x4f800000, v2
	v_rcp_f32_e32 v1, v1
	v_mul_f32_e32 v1, 0x5f7ffffc, v1
	v_mul_f32_e32 v2, 0x2f800000, v1
	v_trunc_f32_e32 v2, v2
	v_fmac_f32_e32 v1, 0xcf800000, v2
	v_cvt_u32_f32_e32 v2, v2
	v_cvt_u32_f32_e32 v1, v1
	v_readfirstlane_b32 s3, v2
	v_readfirstlane_b32 s8, v1
	s_mul_i32 s22, s9, s3
	s_mul_hi_u32 s24, s9, s8
	s_mul_i32 s23, s17, s8
	s_add_i32 s22, s24, s22
	s_mul_i32 s25, s9, s8
	s_add_i32 s22, s22, s23
	s_mul_hi_u32 s24, s8, s25
	s_mul_i32 s27, s8, s22
	s_mul_hi_u32 s26, s3, s25
	s_mul_i32 s23, s3, s25
	s_mul_hi_u32 s25, s8, s22
	s_add_u32 s24, s24, s27
	s_addc_u32 s25, 0, s25
	s_mul_hi_u32 s28, s3, s22
	s_add_u32 s23, s24, s23
	s_mul_i32 s22, s3, s22
	s_addc_u32 s23, s25, s26
	s_addc_u32 s24, s28, 0
	s_add_u32 s22, s23, s22
	s_addc_u32 s23, 0, s24
	s_add_u32 s8, s8, s22
	s_cselect_b32 s22, -1, 0
	s_mul_hi_u32 s24, s9, s8
	s_cmp_lg_u32 s22, 0
	s_mul_i32 s22, s9, s8
	s_addc_u32 s3, s3, s23
	s_mul_i32 s17, s17, s8
	s_mul_i32 s9, s9, s3
	s_mul_hi_u32 s23, s8, s22
	s_add_i32 s9, s24, s9
	s_mul_hi_u32 s24, s3, s22
	s_add_i32 s9, s9, s17
	s_mul_i32 s17, s3, s22
	s_mul_i32 s26, s8, s9
	s_mul_hi_u32 s25, s8, s9
	s_add_u32 s23, s23, s26
	s_addc_u32 s25, 0, s25
	s_mul_hi_u32 s22, s3, s9
	s_add_u32 s17, s23, s17
	s_mul_i32 s9, s3, s9
	s_addc_u32 s17, s25, s24
	s_addc_u32 s22, s22, 0
	s_add_u32 s9, s17, s9
	s_addc_u32 s17, 0, s22
	s_add_u32 s8, s8, s9
	s_cselect_b32 s9, -1, 0
	s_mul_hi_u32 s22, s18, s8
	s_cmp_lg_u32 s9, 0
	s_mul_hi_u32 s9, s19, s8
	s_addc_u32 s3, s3, s17
	s_mul_i32 s8, s19, s8
	s_mul_i32 s23, s18, s3
	s_mul_hi_u32 s17, s18, s3
	s_add_u32 s22, s22, s23
	s_addc_u32 s17, 0, s17
	s_mul_hi_u32 s24, s19, s3
	s_add_u32 s8, s22, s8
	s_mul_i32 s3, s19, s3
	s_addc_u32 s8, s17, s9
	s_addc_u32 s9, s24, 0
	s_add_u32 s3, s8, s3
	s_addc_u32 s8, 0, s9
	s_mul_hi_u32 s9, s20, s3
	s_mul_i32 s17, s20, s8
	s_mul_i32 s22, s21, s3
	s_add_i32 s9, s9, s17
	s_mul_i32 s17, s20, s3
	s_add_i32 s9, s9, s22
	s_sub_i32 s22, s19, s9
	s_sub_u32 s17, s18, s17
	s_cselect_b32 s23, -1, 0
	s_cmp_lg_u32 s23, 0
	s_subb_u32 s22, s22, s21
	s_sub_u32 s24, s17, s20
	s_cselect_b32 s25, -1, 0
	s_cmp_lg_u32 s25, 0
	s_subb_u32 s22, s22, 0
	s_cmp_ge_u32 s22, s21
	s_cselect_b32 s25, -1, 0
	s_cmp_ge_u32 s24, s20
	s_cselect_b32 s24, -1, 0
	s_cmp_eq_u32 s22, s21
	s_cselect_b32 s22, s24, s25
	s_add_u32 s24, s3, 1
	s_addc_u32 s25, s8, 0
	s_add_u32 s26, s3, 2
	s_addc_u32 s27, s8, 0
	s_cmp_lg_u32 s22, 0
	s_cselect_b32 s22, s26, s24
	s_cselect_b32 s24, s27, s25
	s_cmp_lg_u32 s23, 0
	s_subb_u32 s9, s19, s9
	s_cmp_ge_u32 s9, s21
	s_cselect_b32 s23, -1, 0
	s_cmp_ge_u32 s17, s20
	s_cselect_b32 s17, -1, 0
	s_cmp_eq_u32 s9, s21
	s_cselect_b32 s9, s17, s23
	s_cmp_lg_u32 s9, 0
	s_cselect_b32 s9, s24, s8
	s_cselect_b32 s8, s22, s3
	s_mov_b32 s3, 0
.LBB141_5:                              ;   in Loop: Header=BB141_3 Depth=1
	s_andn2_b32 vcc_lo, exec_lo, s3
	s_cbranch_vccnz .LBB141_7
; %bb.6:                                ;   in Loop: Header=BB141_3 Depth=1
	v_cvt_f32_u32_e32 v1, s20
	s_sub_i32 s8, 0, s20
	v_rcp_iflag_f32_e32 v1, v1
	v_mul_f32_e32 v1, 0x4f7ffffe, v1
	v_cvt_u32_f32_e32 v1, v1
	v_readfirstlane_b32 s3, v1
	s_mul_i32 s8, s8, s3
	s_mul_hi_u32 s8, s3, s8
	s_add_i32 s3, s3, s8
	s_mul_hi_u32 s3, s18, s3
	s_mul_i32 s8, s3, s20
	s_add_i32 s9, s3, 1
	s_sub_i32 s8, s18, s8
	s_sub_i32 s17, s8, s20
	s_cmp_ge_u32 s8, s20
	s_cselect_b32 s3, s9, s3
	s_cselect_b32 s8, s17, s8
	s_add_i32 s9, s3, 1
	s_cmp_ge_u32 s8, s20
	s_cselect_b32 s8, s9, s3
	s_mov_b32 s9, s2
.LBB141_7:                              ;   in Loop: Header=BB141_3 Depth=1
	s_load_dwordx2 s[22:23], s[10:11], 0xc8
	s_mul_i32 s3, s8, s21
	s_mul_hi_u32 s17, s8, s20
	s_mul_i32 s21, s9, s20
	s_add_i32 s3, s17, s3
	s_mul_i32 s17, s8, s20
	s_add_i32 s3, s3, s21
	s_sub_u32 s17, s18, s17
	s_subb_u32 s3, s19, s3
	s_waitcnt lgkmcnt(0)
	s_mul_i32 s3, s22, s3
	s_mul_hi_u32 s18, s22, s17
	s_mul_i32 s19, s23, s17
	s_add_i32 s3, s18, s3
	s_mul_i32 s17, s22, s17
	s_add_i32 s3, s3, s19
	s_add_u32 s12, s17, s12
	s_addc_u32 s13, s3, s13
	s_add_i32 s7, s7, -1
	s_add_u32 s10, s10, -8
	s_addc_u32 s11, s11, -1
	s_cmp_gt_u32 s7, 2
	s_cbranch_scc0 .LBB141_9
; %bb.8:                                ;   in Loop: Header=BB141_3 Depth=1
	s_mov_b64 s[18:19], s[8:9]
	s_branch .LBB141_3
.LBB141_9:
	s_clause 0x1
	s_load_dword s7, s[4:5], 0x360
	s_load_dwordx2 s[10:11], s[4:5], 0xd0
	s_add_u32 s2, s4, 0x1c8
	s_addc_u32 s3, s5, 0
	s_mov_b64 s[28:29], 0
	s_mov_b64 s[34:35], s[0:1]
	s_waitcnt lgkmcnt(0)
	s_cmp_lt_i32 s7, 2
	s_cbranch_scc1 .LBB141_17
; %bb.10:
	s_mov_b32 s18, 0
	s_add_i32 s20, s7, -1
	s_mov_b32 s21, s18
	s_add_i32 s7, s7, 1
	s_lshl_b64 s[20:21], s[20:21], 3
	s_mov_b64 s[22:23], s[0:1]
	s_add_u32 s17, s2, s20
	s_addc_u32 s19, s3, s21
	s_add_u32 s20, s17, 8
	s_addc_u32 s21, s19, 0
.LBB141_11:                             ; =>This Inner Loop Header: Depth=1
	s_load_dwordx2 s[24:25], s[20:21], 0x0
	s_mov_b32 s17, -1
                                        ; implicit-def: $sgpr34_sgpr35
	s_waitcnt lgkmcnt(0)
	s_or_b64 s[26:27], s[22:23], s[24:25]
	s_mov_b32 s19, s27
	s_cmp_lg_u64 s[18:19], 0
	s_cbranch_scc0 .LBB141_13
; %bb.12:                               ;   in Loop: Header=BB141_11 Depth=1
	v_cvt_f32_u32_e32 v1, s24
	v_cvt_f32_u32_e32 v2, s25
	s_sub_u32 s26, 0, s24
	s_subb_u32 s27, 0, s25
	v_fmac_f32_e32 v1, 0x4f800000, v2
	v_rcp_f32_e32 v1, v1
	v_mul_f32_e32 v1, 0x5f7ffffc, v1
	v_mul_f32_e32 v2, 0x2f800000, v1
	v_trunc_f32_e32 v2, v2
	v_fmac_f32_e32 v1, 0xcf800000, v2
	v_cvt_u32_f32_e32 v2, v2
	v_cvt_u32_f32_e32 v1, v1
	v_readfirstlane_b32 s17, v2
	v_readfirstlane_b32 s19, v1
	s_mul_i32 s33, s26, s17
	s_mul_hi_u32 s35, s26, s19
	s_mul_i32 s34, s27, s19
	s_add_i32 s33, s35, s33
	s_mul_i32 s36, s26, s19
	s_add_i32 s33, s33, s34
	s_mul_hi_u32 s35, s19, s36
	s_mul_i32 s38, s19, s33
	s_mul_hi_u32 s37, s17, s36
	s_mul_i32 s34, s17, s36
	s_mul_hi_u32 s36, s19, s33
	s_add_u32 s35, s35, s38
	s_addc_u32 s36, 0, s36
	s_mul_hi_u32 s39, s17, s33
	s_add_u32 s34, s35, s34
	s_mul_i32 s33, s17, s33
	s_addc_u32 s34, s36, s37
	s_addc_u32 s35, s39, 0
	s_add_u32 s33, s34, s33
	s_addc_u32 s34, 0, s35
	s_add_u32 s19, s19, s33
	s_cselect_b32 s33, -1, 0
	s_mul_hi_u32 s35, s26, s19
	s_cmp_lg_u32 s33, 0
	s_mul_i32 s33, s26, s19
	s_addc_u32 s17, s17, s34
	s_mul_i32 s27, s27, s19
	s_mul_i32 s26, s26, s17
	s_mul_hi_u32 s34, s19, s33
	s_add_i32 s26, s35, s26
	s_mul_hi_u32 s35, s17, s33
	s_add_i32 s26, s26, s27
	s_mul_i32 s27, s17, s33
	s_mul_i32 s37, s19, s26
	s_mul_hi_u32 s36, s19, s26
	s_add_u32 s34, s34, s37
	s_addc_u32 s36, 0, s36
	s_mul_hi_u32 s33, s17, s26
	s_add_u32 s27, s34, s27
	s_mul_i32 s26, s17, s26
	s_addc_u32 s27, s36, s35
	s_addc_u32 s33, s33, 0
	s_add_u32 s26, s27, s26
	s_addc_u32 s27, 0, s33
	s_add_u32 s19, s19, s26
	s_cselect_b32 s26, -1, 0
	s_mul_hi_u32 s33, s22, s19
	s_cmp_lg_u32 s26, 0
	s_mul_hi_u32 s26, s23, s19
	s_addc_u32 s17, s17, s27
	s_mul_i32 s19, s23, s19
	s_mul_i32 s34, s22, s17
	s_mul_hi_u32 s27, s22, s17
	s_add_u32 s33, s33, s34
	s_addc_u32 s27, 0, s27
	s_mul_hi_u32 s35, s23, s17
	s_add_u32 s19, s33, s19
	s_mul_i32 s17, s23, s17
	s_addc_u32 s19, s27, s26
	s_addc_u32 s26, s35, 0
	s_add_u32 s17, s19, s17
	s_addc_u32 s19, 0, s26
	s_mul_hi_u32 s26, s24, s17
	s_mul_i32 s27, s24, s19
	s_mul_i32 s33, s25, s17
	s_add_i32 s26, s26, s27
	s_mul_i32 s27, s24, s17
	s_add_i32 s26, s26, s33
	s_sub_i32 s33, s23, s26
	s_sub_u32 s27, s22, s27
	s_cselect_b32 s34, -1, 0
	s_cmp_lg_u32 s34, 0
	s_subb_u32 s33, s33, s25
	s_sub_u32 s35, s27, s24
	s_cselect_b32 s36, -1, 0
	s_cmp_lg_u32 s36, 0
	s_subb_u32 s33, s33, 0
	s_cmp_ge_u32 s33, s25
	s_cselect_b32 s36, -1, 0
	s_cmp_ge_u32 s35, s24
	s_cselect_b32 s35, -1, 0
	s_cmp_eq_u32 s33, s25
	s_cselect_b32 s33, s35, s36
	s_add_u32 s35, s17, 1
	s_addc_u32 s36, s19, 0
	s_add_u32 s37, s17, 2
	s_addc_u32 s38, s19, 0
	s_cmp_lg_u32 s33, 0
	s_cselect_b32 s33, s37, s35
	s_cselect_b32 s35, s38, s36
	s_cmp_lg_u32 s34, 0
	s_subb_u32 s26, s23, s26
	s_cmp_ge_u32 s26, s25
	s_cselect_b32 s34, -1, 0
	s_cmp_ge_u32 s27, s24
	s_cselect_b32 s27, -1, 0
	s_cmp_eq_u32 s26, s25
	s_cselect_b32 s26, s27, s34
	s_cmp_lg_u32 s26, 0
	s_cselect_b32 s35, s35, s19
	s_cselect_b32 s34, s33, s17
	s_mov_b32 s17, 0
.LBB141_13:                             ;   in Loop: Header=BB141_11 Depth=1
	s_andn2_b32 vcc_lo, exec_lo, s17
	s_cbranch_vccnz .LBB141_15
; %bb.14:                               ;   in Loop: Header=BB141_11 Depth=1
	v_cvt_f32_u32_e32 v1, s24
	s_sub_i32 s19, 0, s24
	s_mov_b32 s35, s18
	v_rcp_iflag_f32_e32 v1, v1
	v_mul_f32_e32 v1, 0x4f7ffffe, v1
	v_cvt_u32_f32_e32 v1, v1
	v_readfirstlane_b32 s17, v1
	s_mul_i32 s19, s19, s17
	s_mul_hi_u32 s19, s17, s19
	s_add_i32 s17, s17, s19
	s_mul_hi_u32 s17, s22, s17
	s_mul_i32 s19, s17, s24
	s_add_i32 s26, s17, 1
	s_sub_i32 s19, s22, s19
	s_sub_i32 s27, s19, s24
	s_cmp_ge_u32 s19, s24
	s_cselect_b32 s17, s26, s17
	s_cselect_b32 s19, s27, s19
	s_add_i32 s26, s17, 1
	s_cmp_ge_u32 s19, s24
	s_cselect_b32 s34, s26, s17
.LBB141_15:                             ;   in Loop: Header=BB141_11 Depth=1
	s_load_dwordx2 s[26:27], s[20:21], 0xc8
	s_mul_i32 s17, s34, s25
	s_mul_hi_u32 s19, s34, s24
	s_mul_i32 s25, s35, s24
	s_add_i32 s17, s19, s17
	s_mul_i32 s19, s34, s24
	s_add_i32 s17, s17, s25
	s_sub_u32 s19, s22, s19
	s_subb_u32 s17, s23, s17
	s_waitcnt lgkmcnt(0)
	s_mul_i32 s17, s26, s17
	s_mul_hi_u32 s22, s26, s19
	s_mul_i32 s23, s27, s19
	s_add_i32 s17, s22, s17
	s_mul_i32 s19, s26, s19
	s_add_i32 s17, s17, s23
	s_add_u32 s28, s19, s28
	s_addc_u32 s29, s17, s29
	s_add_i32 s7, s7, -1
	s_add_u32 s20, s20, -8
	s_addc_u32 s21, s21, -1
	s_cmp_gt_u32 s7, 2
	s_cbranch_scc0 .LBB141_17
; %bb.16:                               ;   in Loop: Header=BB141_11 Depth=1
	s_mov_b64 s[22:23], s[34:35]
	s_branch .LBB141_11
.LBB141_17:
	s_clause 0x1
	s_load_dword s7, s[4:5], 0x508
	s_load_dwordx2 s[2:3], s[2:3], 0xd0
                                        ; implicit-def: $vgpr60 : SGPR spill to VGPR lane
	s_mov_b64 s[40:41], 0
	s_waitcnt lgkmcnt(0)
	v_writelane_b32 v60, s2, 0
	v_writelane_b32 v60, s3, 1
	s_add_u32 s3, s4, 0x370
	s_addc_u32 s17, s5, 0
	s_cmp_lt_i32 s7, 2
	s_cbranch_scc1 .LBB141_25
; %bb.18:
	s_mov_b32 s2, 0
	s_add_i32 s18, s7, -1
	s_mov_b32 s19, s2
	s_add_i32 s7, s7, 1
	s_lshl_b64 s[18:19], s[18:19], 3
	s_add_u32 s3, s3, s18
	s_addc_u32 s17, s17, s19
	s_add_u32 s18, s3, 8
	s_addc_u32 s19, s17, 0
.LBB141_19:                             ; =>This Inner Loop Header: Depth=1
	s_load_dwordx2 s[20:21], s[18:19], 0x0
                                        ; implicit-def: $sgpr46_sgpr47
	s_waitcnt lgkmcnt(0)
	s_or_b64 s[22:23], s[0:1], s[20:21]
	s_mov_b32 s3, s23
	s_cmp_lg_u64 s[2:3], 0
	s_mov_b32 s3, -1
	s_cbranch_scc0 .LBB141_21
; %bb.20:                               ;   in Loop: Header=BB141_19 Depth=1
	v_cvt_f32_u32_e32 v1, s20
	v_cvt_f32_u32_e32 v2, s21
	s_sub_u32 s22, 0, s20
	s_subb_u32 s23, 0, s21
	v_fmac_f32_e32 v1, 0x4f800000, v2
	v_rcp_f32_e32 v1, v1
	v_mul_f32_e32 v1, 0x5f7ffffc, v1
	v_mul_f32_e32 v2, 0x2f800000, v1
	v_trunc_f32_e32 v2, v2
	v_fmac_f32_e32 v1, 0xcf800000, v2
	v_cvt_u32_f32_e32 v2, v2
	v_cvt_u32_f32_e32 v1, v1
	v_readfirstlane_b32 s3, v2
	v_readfirstlane_b32 s17, v1
	s_mul_i32 s24, s22, s3
	s_mul_hi_u32 s26, s22, s17
	s_mul_i32 s25, s23, s17
	s_add_i32 s24, s26, s24
	s_mul_i32 s27, s22, s17
	s_add_i32 s24, s24, s25
	s_mul_hi_u32 s26, s17, s27
	s_mul_i32 s36, s17, s24
	s_mul_hi_u32 s33, s3, s27
	s_mul_i32 s25, s3, s27
	s_mul_hi_u32 s27, s17, s24
	s_add_u32 s26, s26, s36
	s_addc_u32 s27, 0, s27
	s_mul_hi_u32 s37, s3, s24
	s_add_u32 s25, s26, s25
	s_mul_i32 s24, s3, s24
	s_addc_u32 s25, s27, s33
	s_addc_u32 s26, s37, 0
	s_add_u32 s24, s25, s24
	s_addc_u32 s25, 0, s26
	s_add_u32 s17, s17, s24
	s_cselect_b32 s24, -1, 0
	s_mul_hi_u32 s26, s22, s17
	s_cmp_lg_u32 s24, 0
	s_mul_i32 s24, s22, s17
	s_addc_u32 s3, s3, s25
	s_mul_i32 s23, s23, s17
	s_mul_i32 s22, s22, s3
	s_mul_hi_u32 s25, s17, s24
	s_add_i32 s22, s26, s22
	s_mul_hi_u32 s26, s3, s24
	s_add_i32 s22, s22, s23
	s_mul_i32 s23, s3, s24
	s_mul_i32 s33, s17, s22
	s_mul_hi_u32 s27, s17, s22
	s_add_u32 s25, s25, s33
	s_addc_u32 s27, 0, s27
	s_mul_hi_u32 s24, s3, s22
	s_add_u32 s23, s25, s23
	s_mul_i32 s22, s3, s22
	s_addc_u32 s23, s27, s26
	s_addc_u32 s24, s24, 0
	s_add_u32 s22, s23, s22
	s_addc_u32 s23, 0, s24
	s_add_u32 s17, s17, s22
	s_cselect_b32 s22, -1, 0
	s_mul_hi_u32 s24, s0, s17
	s_cmp_lg_u32 s22, 0
	s_mul_hi_u32 s22, s1, s17
	s_addc_u32 s3, s3, s23
	s_mul_i32 s17, s1, s17
	s_mul_i32 s25, s0, s3
	s_mul_hi_u32 s23, s0, s3
	s_add_u32 s24, s24, s25
	s_addc_u32 s23, 0, s23
	s_mul_hi_u32 s26, s1, s3
	s_add_u32 s17, s24, s17
	s_mul_i32 s3, s1, s3
	s_addc_u32 s17, s23, s22
	s_addc_u32 s22, s26, 0
	s_add_u32 s3, s17, s3
	s_addc_u32 s17, 0, s22
	s_mul_hi_u32 s22, s20, s3
	s_mul_i32 s23, s20, s17
	s_mul_i32 s24, s21, s3
	s_add_i32 s22, s22, s23
	s_mul_i32 s23, s20, s3
	s_add_i32 s22, s22, s24
	s_sub_i32 s24, s1, s22
	s_sub_u32 s23, s0, s23
	s_cselect_b32 s25, -1, 0
	s_cmp_lg_u32 s25, 0
	s_subb_u32 s24, s24, s21
	s_sub_u32 s26, s23, s20
	s_cselect_b32 s27, -1, 0
	s_cmp_lg_u32 s27, 0
	s_subb_u32 s24, s24, 0
	s_cmp_ge_u32 s24, s21
	s_cselect_b32 s27, -1, 0
	s_cmp_ge_u32 s26, s20
	s_cselect_b32 s26, -1, 0
	s_cmp_eq_u32 s24, s21
	s_cselect_b32 s24, s26, s27
	s_add_u32 s26, s3, 1
	s_addc_u32 s27, s17, 0
	s_add_u32 s33, s3, 2
	s_addc_u32 s36, s17, 0
	s_cmp_lg_u32 s24, 0
	s_cselect_b32 s24, s33, s26
	s_cselect_b32 s26, s36, s27
	s_cmp_lg_u32 s25, 0
	s_subb_u32 s22, s1, s22
	s_cmp_ge_u32 s22, s21
	s_cselect_b32 s25, -1, 0
	s_cmp_ge_u32 s23, s20
	s_cselect_b32 s23, -1, 0
	s_cmp_eq_u32 s22, s21
	s_cselect_b32 s22, s23, s25
	s_cmp_lg_u32 s22, 0
	s_cselect_b32 s47, s26, s17
	s_cselect_b32 s46, s24, s3
	s_mov_b32 s3, 0
.LBB141_21:                             ;   in Loop: Header=BB141_19 Depth=1
	s_andn2_b32 vcc_lo, exec_lo, s3
	s_cbranch_vccnz .LBB141_23
; %bb.22:                               ;   in Loop: Header=BB141_19 Depth=1
	v_cvt_f32_u32_e32 v1, s20
	s_sub_i32 s17, 0, s20
	s_mov_b32 s47, s2
	v_rcp_iflag_f32_e32 v1, v1
	v_mul_f32_e32 v1, 0x4f7ffffe, v1
	v_cvt_u32_f32_e32 v1, v1
	v_readfirstlane_b32 s3, v1
	s_mul_i32 s17, s17, s3
	s_mul_hi_u32 s17, s3, s17
	s_add_i32 s3, s3, s17
	s_mul_hi_u32 s3, s0, s3
	s_mul_i32 s17, s3, s20
	s_add_i32 s22, s3, 1
	s_sub_i32 s17, s0, s17
	s_sub_i32 s23, s17, s20
	s_cmp_ge_u32 s17, s20
	s_cselect_b32 s3, s22, s3
	s_cselect_b32 s17, s23, s17
	s_add_i32 s22, s3, 1
	s_cmp_ge_u32 s17, s20
	s_cselect_b32 s46, s22, s3
.LBB141_23:                             ;   in Loop: Header=BB141_19 Depth=1
	s_load_dwordx2 s[22:23], s[18:19], 0xc8
	s_mul_i32 s3, s46, s21
	s_mul_hi_u32 s17, s46, s20
	s_mul_i32 s21, s47, s20
	s_add_i32 s3, s17, s3
	s_mul_i32 s17, s46, s20
	s_add_i32 s3, s3, s21
	s_sub_u32 s0, s0, s17
	s_subb_u32 s1, s1, s3
	s_waitcnt lgkmcnt(0)
	s_mul_i32 s1, s22, s1
	s_mul_hi_u32 s3, s22, s0
	s_mul_i32 s17, s23, s0
	s_add_i32 s1, s3, s1
	s_mul_i32 s0, s22, s0
	s_add_i32 s1, s1, s17
	s_add_u32 s40, s0, s40
	s_addc_u32 s41, s1, s41
	s_add_i32 s7, s7, -1
	s_add_u32 s18, s18, -8
	s_addc_u32 s19, s19, -1
	s_cmp_gt_u32 s7, 2
	s_cbranch_scc0 .LBB141_26
; %bb.24:                               ;   in Loop: Header=BB141_19 Depth=1
	s_mov_b64 s[0:1], s[46:47]
	s_branch .LBB141_19
.LBB141_25:
	s_mov_b64 s[46:47], s[0:1]
.LBB141_26:
	s_clause 0x2
	s_load_dwordx4 s[36:39], s[4:5], 0x1a0
	s_load_dwordx2 s[18:19], s[4:5], 0x0
	s_load_dwordx2 s[0:1], s[4:5], 0x1c8
	v_cmp_eq_u32_e64 s3, 0, v0
	s_mov_b32 s55, 0
	s_waitcnt lgkmcnt(0)
	v_writelane_b32 v60, s0, 2
	v_writelane_b32 v60, s1, 3
	s_load_dwordx2 s[0:1], s[4:5], 0x370
	s_waitcnt lgkmcnt(0)
	v_writelane_b32 v60, s0, 4
	v_writelane_b32 v60, s1, 5
	s_and_saveexec_b32 s0, s3
	s_cbranch_execz .LBB141_28
; %bb.27:
	v_mov_b32_e32 v1, 0
	v_mov_b32_e32 v3, s36
	;; [unrolled: 1-line block ×4, first 2 shown]
	ds_write_b32 v1, v1 offset:5144
	ds_write_b128 v1, v[1:4] offset:5120
.LBB141_28:
	s_or_b32 exec_lo, exec_lo, s0
	s_load_dword s0, s[4:5], 0x1b0
	v_mad_u64_u32 v[4:5], null, s30, v0, 0
	s_mul_i32 s1, s10, s9
	s_mul_hi_u32 s2, s10, s8
	s_mul_i32 s7, s11, s8
	v_mbcnt_lo_u32_b32 v35, -1, 0
	s_add_i32 s1, s2, s1
	s_mul_i32 s8, s10, s8
	v_mov_b32_e32 v1, v5
	s_add_i32 s7, s1, s7
	s_add_u32 s1, s18, s8
	s_waitcnt lgkmcnt(0)
	s_barrier
	buffer_gl0_inv
	s_load_dword s2, s[14:15], 0xc
	s_addc_u32 s9, s19, s7
	v_mad_u64_u32 v[6:7], null, s31, v0, v[1:2]
	v_cmp_gt_u32_e32 vcc_lo, 32, v0
	s_add_u32 s56, s1, s12
	v_cmp_gt_i32_e64 s1, 4, v35
	s_addc_u32 s57, s9, s13
	v_mov_b32_e32 v3, 0
	v_add_nc_u32_e32 v2, 2, v0
	s_bitcmp1_b32 s0, 0
	v_lshlrev_b64 v[7:8], v35, -1
	s_cselect_b32 s0, -1, 0
	s_and_b32 s85, vcc_lo, s1
	v_add_co_u32 v12, vcc_lo, s56, v4
	v_add_co_ci_u32_e64 v13, null, s57, v6, vcc_lo
	v_cmp_gt_u64_e32 vcc_lo, s[36:37], v[2:3]
	v_not_b32_e32 v34, v7
	v_not_b32_e32 v7, v0
	v_lshlrev_b32_e32 v14, 2, v0
	s_waitcnt lgkmcnt(0)
	s_and_b32 s33, s2, 0xffff
	s_xor_b32 s84, s0, -1
	v_cndmask_b32_e64 v2, v2, s36, vcc_lo
	v_cndmask_b32_e64 v8, 0, s37, vcc_lo
	s_bfe_u32 s1, s33, 0x80008
	v_or_b32_e32 v9, 3, v14
	s_lshl_b32 s87, s1, 3
	v_add_co_u32 v7, vcc_lo, v2, v7
	v_add_co_ci_u32_e64 v8, null, -1, v8, vcc_lo
	s_bfe_u32 s1, s2, 0xb0005
	s_movk_i32 s2, 0x3e0
	v_writelane_b32 v60, s0, 6
	v_and_or_b32 v36, v0, s2, 0xc00
	v_cmp_lt_u64_e64 s2, 3, v[7:8]
	s_cmp_gt_u32 s33, 31
	v_and_b32_e32 v16, -4, v7
	v_mov_b32_e32 v17, v8
	s_cselect_b32 s88, -1, 0
	s_add_u32 s89, s33, -1
	v_mad_u64_u32 v[19:20], null, s30, v9, 0
	s_addc_u32 s90, 0, -1
	s_add_u32 s91, s89, s36
	s_addc_u32 s59, s90, s37
	v_writelane_b32 v60, s2, 7
	v_cmp_ne_u64_e64 s2, v[7:8], v[16:17]
	v_or_b32_e32 v11, 2, v14
	s_cmp_lt_u32 s6, s16
	v_add_co_u32 v18, vcc_lo, v16, v0
	s_cselect_b32 s6, 12, 18
	v_add_co_ci_u32_e64 v2, null, 0, v8, vcc_lo
	s_add_u32 s60, s14, s6
	v_mad_u64_u32 v[21:22], null, s30, v11, 0
	v_mad_u64_u32 v[23:24], null, s30, v14, s[30:31]
	v_mov_b32_e32 v2, v20
	s_addc_u32 s61, s15, 0
	v_writelane_b32 v60, s2, 8
	s_add_i32 s1, s1, -1
	s_bfe_u32 s2, s33, 0x30005
	s_and_b32 s1, s1, 0xffff
	v_mad_u64_u32 v[9:10], null, s31, v9, v[2:3]
	s_cmp_gt_u32 s1, 6
	v_writelane_b32 v60, s2, 9
	s_cselect_b32 s99, -1, 0
	s_cmp_lg_u32 s2, 0
	v_mov_b32_e32 v7, v22
	v_mov_b32_e32 v8, v24
	s_cselect_b32 s104, -1, 0
	s_add_u32 s1, s12, s8
	s_addc_u32 s2, s13, s7
	v_writelane_b32 v60, s1, 10
	v_mad_u64_u32 v[10:11], null, s31, v11, v[7:8]
	v_mad_u64_u32 v[7:8], null, s31, v14, v[8:9]
	v_mov_b32_e32 v1, v3
	v_mov_b32_e32 v5, v6
	v_writelane_b32 v60, s2, 11
	s_add_u32 s6, s18, s1
	v_cmp_lt_u64_e64 s86, 0xc00, s[36:37]
	v_add_co_u32 v26, vcc_lo, s6, v4
	v_cmp_gt_u64_e64 s98, s[36:37], v[0:1]
	s_addc_u32 s7, s19, s2
	v_lshlrev_b64 v[24:25], 2, v[4:5]
	v_mov_b32_e32 v28, s38
	v_cmp_eq_u32_e64 s0, 0, v35
	v_mov_b32_e32 v15, v3
	v_cmp_gt_u32_e64 s10, 2, v0
	v_mov_b32_e32 v22, v9
	v_mov_b32_e32 v37, v10
	;; [unrolled: 1-line block ×3, first 2 shown]
	v_lshl_or_b32 v39, v35, 3, 0xc00
	v_writelane_b32 v60, s6, 12
	v_add_co_ci_u32_e64 v27, null, s7, v6, vcc_lo
	v_mov_b32_e32 v29, s39
	v_mov_b32_e32 v40, 0x80
	;; [unrolled: 1-line block ×6, first 2 shown]
	s_mul_i32 s1, s31, s33
	s_mul_hi_u32 s2, s30, s33
	s_mov_b32 s92, s30
	s_mov_b32 s93, s31
	;; [unrolled: 1-line block ×6, first 2 shown]
	s_mov_b32 vcc_hi, 6
	s_lshl_b64 s[64:65], s[30:31], 2
	s_add_i32 s80, s2, s1
	s_mul_i32 s81, s30, s33
	s_mov_b32 s48, 0
	s_mov_b32 s50, 0
	v_writelane_b32 v60, s7, 13
                                        ; implicit-def: $sgpr49
                                        ; implicit-def: $sgpr45
                                        ; implicit-def: $sgpr44
                                        ; implicit-def: $sgpr52
                                        ; implicit-def: $sgpr51
                                        ; implicit-def: $sgpr83
                                        ; implicit-def: $sgpr7
                                        ; implicit-def: $sgpr53
                                        ; implicit-def: $sgpr82
                                        ; implicit-def: $sgpr8
	s_branch .LBB141_31
.LBB141_29:                             ;   in Loop: Header=BB141_31 Depth=1
	s_or_b32 exec_lo, exec_lo, s1
	v_mov_b32_e32 v29, v5
	v_mov_b32_e32 v28, v4
	s_andn2_b32 s1, s8, exec_lo
	s_and_b32 s8, s9, exec_lo
	s_andn2_b32 s82, s82, exec_lo
	s_or_b32 s8, s1, s8
	s_andn2_b32 s53, s53, exec_lo
	s_andn2_b32 s7, s7, exec_lo
	;; [unrolled: 1-line block ×3, first 2 shown]
	s_orn2_b32 s6, s6, exec_lo
.LBB141_30:                             ;   in Loop: Header=BB141_31 Depth=1
	s_or_b32 exec_lo, exec_lo, s2
	s_and_b32 s1, exec_lo, s6
	s_or_b32 s48, s1, s48
	s_andn2_b32 s1, s51, exec_lo
	s_and_b32 s2, s8, exec_lo
	s_andn2_b32 s6, s52, exec_lo
	s_or_b32 s51, s1, s2
	s_and_b32 s1, s82, exec_lo
	s_andn2_b32 s2, s44, exec_lo
	s_and_b32 s9, s53, exec_lo
	s_or_b32 s52, s6, s1
	s_or_b32 s44, s2, s9
	s_andn2_b32 s1, s45, exec_lo
	s_and_b32 s2, s7, exec_lo
	s_andn2_b32 s6, s49, exec_lo
	s_and_b32 s9, s83, exec_lo
	s_or_b32 s45, s1, s2
	s_or_b32 s49, s6, s9
	s_andn2_b32 exec_lo, exec_lo, s48
	s_cbranch_execz .LBB141_493
.LBB141_31:                             ; =>This Loop Header: Depth=1
                                        ;     Child Loop BB141_36 Depth 2
                                        ;     Child Loop BB141_50 Depth 2
	;; [unrolled: 1-line block ×25, first 2 shown]
	ds_read_b128 v[4:7], v3 offset:5120
	s_waitcnt lgkmcnt(0)
	v_readfirstlane_b32 s67, v5
	v_readfirstlane_b32 s66, v4
	s_cmp_lg_u64 s[66:67], 0
	s_cbranch_scc1 .LBB141_63
; %bb.32:                               ;   in Loop: Header=BB141_31 Depth=1
	s_and_b32 vcc_lo, exec_lo, s86
	s_cbranch_vccz .LBB141_44
; %bb.33:                               ;   in Loop: Header=BB141_31 Depth=1
	v_cmp_gt_u64_e32 vcc_lo, 0xc01, v[6:7]
	s_mov_b32 s2, 0
	s_mov_b32 s6, 0
	s_cbranch_vccz .LBB141_45
; %bb.34:                               ;   in Loop: Header=BB141_31 Depth=1
	global_load_ushort v4, v3, s[60:61]
	global_load_ubyte v8, v[12:13], off
	v_readlane_b32 s12, v60, 12
	v_readlane_b32 s13, v60, 13
	s_waitcnt vmcnt(1)
	v_and_b32_e32 v2, 0xffff, v4
	v_add_co_u32 v5, s1, v0, v2
	v_add_co_ci_u32_e64 v6, null, 0, 0, s1
	v_readfirstlane_b32 s1, v4
	v_mul_lo_u32 v7, s31, v5
	v_mad_u64_u32 v[4:5], null, s30, v5, s[12:13]
	v_mul_lo_u32 v6, s30, v6
	s_and_b32 s1, 0xffff, s1
	s_mov_b32 s12, 0
	s_mul_i32 s6, s31, s1
	s_mul_hi_u32 s9, s30, s1
	s_mul_i32 s13, s30, s1
	s_add_i32 s11, s9, s6
	v_add3_u32 v5, v7, v5, v6
	v_mov_b32_e32 v7, v1
	v_mov_b32_e32 v6, v0
	s_branch .LBB141_36
.LBB141_35:                             ;   in Loop: Header=BB141_36 Depth=2
	s_or_b32 exec_lo, exec_lo, s1
	v_add_co_u32 v4, vcc_lo, v4, s13
	v_add_co_ci_u32_e64 v5, null, s11, v5, vcc_lo
	v_mov_b32_e32 v8, v9
	s_andn2_b32 exec_lo, exec_lo, s12
	s_cbranch_execz .LBB141_117
.LBB141_36:                             ;   Parent Loop BB141_31 Depth=1
                                        ; =>  This Inner Loop Header: Depth=2
	v_add_co_u32 v6, vcc_lo, v6, v2
	v_add_co_ci_u32_e64 v7, null, 0, v7, vcc_lo
	s_waitcnt lgkmcnt(0)
	v_mov_b32_e32 v10, 0
	v_mov_b32_e32 v9, 0
	s_mov_b32 s1, exec_lo
	v_cmp_le_u64_e32 vcc_lo, s[36:37], v[6:7]
	v_cmpx_gt_u64_e64 s[36:37], v[6:7]
	s_cbranch_execz .LBB141_38
; %bb.37:                               ;   in Loop: Header=BB141_36 Depth=2
	global_load_ubyte v9, v[4:5], off
.LBB141_38:                             ;   in Loop: Header=BB141_36 Depth=2
	s_or_b32 exec_lo, exec_lo, s1
	s_waitcnt vmcnt(0)
	v_add_nc_u32_sdwa v11, sext(v8), v40 dst_sel:DWORD dst_unused:UNUSED_PAD src0_sel:BYTE_0 src1_sel:DWORD
	v_and_b32_e32 v11, v11, v42
	v_cmp_eq_u32_e64 s6, v11, v20
	s_cmp_lg_u32 s6, 0
	s_cselect_b32 s1, -1, 0
	s_and_b32 s1, s0, s1
	s_and_saveexec_b32 s14, s1
	s_cbranch_execz .LBB141_42
; %bb.39:                               ;   in Loop: Header=BB141_36 Depth=2
	s_mov_b32 s16, exec_lo
	s_bcnt1_i32_b32 s1, s6
	v_mbcnt_lo_u32_b32 v10, s16, 0
	s_mov_b32 s15, exec_lo
                                        ; implicit-def: $vgpr11
	v_cmpx_eq_u32_e32 0, v10
; %bb.40:                               ;   in Loop: Header=BB141_36 Depth=2
	s_bcnt1_i32_b32 s9, s16
	s_mul_i32 s9, s1, s9
	v_mov_b32_e32 v11, s9
	ds_add_rtn_u32 v11, v3, v11 offset:5144
; %bb.41:                               ;   in Loop: Header=BB141_36 Depth=2
	s_or_b32 exec_lo, exec_lo, s15
	s_waitcnt lgkmcnt(0)
	v_readfirstlane_b32 s9, v11
	v_mad_u32_u24 v10, s1, v10, s9
.LBB141_42:                             ;   in Loop: Header=BB141_36 Depth=2
	s_or_b32 exec_lo, exec_lo, s14
	ds_bpermute_b32 v10, v3, v10
	s_and_b32 s1, exec_lo, vcc_lo
	s_or_b32 s12, s1, s12
	s_and_saveexec_b32 s1, s6
	s_cbranch_execz .LBB141_35
; %bb.43:                               ;   in Loop: Header=BB141_36 Depth=2
	v_and_b32_e32 v11, s6, v34
	s_waitcnt lgkmcnt(0)
	v_bcnt_u32_b32 v10, v11, v10
	ds_write_b8 v10, v8
	s_branch .LBB141_35
.LBB141_44:                             ;   in Loop: Header=BB141_31 Depth=1
	s_mov_b32 s2, -1
	s_mov_b32 s6, 0
.LBB141_45:                             ;   in Loop: Header=BB141_31 Depth=1
	s_and_b32 vcc_lo, exec_lo, s2
	s_cbranch_vccz .LBB141_61
.LBB141_46:                             ;   in Loop: Header=BB141_31 Depth=1
	s_and_saveexec_b32 s2, s98
	s_cbranch_execz .LBB141_58
; %bb.47:                               ;   in Loop: Header=BB141_31 Depth=1
	global_load_ushort v4, v3, s[60:61]
	global_load_ubyte v32, v[12:13], off
	v_mov_b32_e32 v8, v0
	s_mov_b32 s11, exec_lo
	s_waitcnt vmcnt(1)
	v_add_nc_u32_sdwa v2, v4, v0 dst_sel:DWORD dst_unused:UNUSED_PAD src0_sel:WORD_0 src1_sel:DWORD
	v_readfirstlane_b32 s1, v4
	v_cmpx_gt_u64_e64 s[36:37], v[2:3]
	s_cbranch_execz .LBB141_57
; %bb.48:                               ;   in Loop: Header=BB141_31 Depth=1
	s_and_b32 s12, s1, 0xffff
	v_readlane_b32 s6, v60, 7
	v_mov_b32_e32 v7, v1
	s_cmp_eq_u32 s12, 1
	v_mov_b32_e32 v5, v3
	v_mov_b32_e32 v6, v0
	;; [unrolled: 1-line block ×3, first 2 shown]
	s_cselect_b32 s1, -1, 0
                                        ; implicit-def: $vgpr8_vgpr9
	s_and_b32 s1, s6, s1
	s_mov_b32 s6, -1
	s_and_saveexec_b32 s13, s1
	s_cbranch_execz .LBB141_52
; %bb.49:                               ;   in Loop: Header=BB141_31 Depth=1
	v_add_co_u32 v8, s1, v2, 3
	v_add_co_ci_u32_e64 v9, null, 0, 0, s1
	v_add_co_u32 v6, s1, v2, 2
	v_add_co_ci_u32_e64 v7, null, 0, 0, s1
	;; [unrolled: 2-line block ×3, first 2 shown]
	v_mov_b32_e32 v31, v17
	v_mov_b32_e32 v11, v9
	s_waitcnt vmcnt(0)
	v_lshlrev_b32_e32 v44, 24, v32
	v_mov_b32_e32 v30, v16
	v_mov_b32_e32 v33, v0
	;; [unrolled: 1-line block ×9, first 2 shown]
	s_mov_b32 s14, 0
.LBB141_50:                             ;   Parent Loop BB141_31 Depth=1
                                        ; =>  This Inner Loop Header: Depth=2
	v_mul_lo_u32 v54, v7, s30
	v_mul_lo_u32 v55, v6, s31
	v_mad_u64_u32 v[47:48], null, v6, s30, 0
	v_mul_lo_u32 v32, v9, s94
	v_mul_lo_u32 v53, v8, s95
	v_mad_u64_u32 v[45:46], null, v8, s94, 0
	;; [unrolled: 3-line block ×3, first 2 shown]
	v_mad_u64_u32 v[51:52], null, v10, s96, s[56:57]
	v_mul_lo_u32 v58, v10, s97
	v_mul_lo_u32 v59, v11, s96
	v_add3_u32 v54, v48, v55, v54
	v_add3_u32 v32, v46, v53, v32
	;; [unrolled: 1-line block ×3, first 2 shown]
	v_add_co_u32 v53, s9, s56, v47
	v_add_co_u32 v48, s6, s56, v45
	v_add3_u32 v52, v59, v52, v58
	v_add_co_u32 v46, vcc_lo, s56, v49
	v_add_co_ci_u32_e64 v54, null, s57, v54, s9
	v_add_co_ci_u32_e64 v49, null, s57, v32, s6
	v_add_co_ci_u32_e64 v47, null, s57, v50, vcc_lo
	s_clause 0x3
	global_load_ubyte v32, v[51:52], off
	global_load_ubyte v45, v[53:54], off
	;; [unrolled: 1-line block ×4, first 2 shown]
	v_add_co_u32 v10, vcc_lo, v10, 4
	v_add_co_ci_u32_e64 v11, null, 0, v11, vcc_lo
	v_add_co_u32 v8, vcc_lo, v8, 4
	v_add_co_ci_u32_e64 v9, null, 0, v9, vcc_lo
	;; [unrolled: 2-line block ×3, first 2 shown]
	v_add_co_u32 v30, vcc_lo, v30, -4
	v_add_co_ci_u32_e64 v31, null, -1, v31, vcc_lo
	v_add_co_u32 v4, vcc_lo, v4, 4
	v_add_co_ci_u32_e64 v5, null, 0, v5, vcc_lo
	v_cmp_eq_u64_e64 s6, 0, v[30:31]
	s_or_b32 s14, s6, s14
	s_waitcnt vmcnt(0)
	v_perm_b32 v47, v46, v45, 0xc0c0004
	v_perm_b32 v45, v45, v48, 0xc0c0004
	;; [unrolled: 1-line block ×4, first 2 shown]
	v_lshl_or_b32 v44, v45, 16, v44
	v_lshl_or_b32 v45, v46, 16, v47
	ds_write_b32 v33, v44
	v_add_nc_u32_e32 v33, 4, v33
	v_mov_b32_e32 v44, v45
	s_andn2_b32 exec_lo, exec_lo, s14
	s_cbranch_execnz .LBB141_50
; %bb.51:                               ;   in Loop: Header=BB141_31 Depth=1
	s_or_b32 exec_lo, exec_lo, s14
	v_add_co_u32 v4, vcc_lo, v2, v16
	v_readlane_b32 s1, v60, 8
	v_add_co_ci_u32_e64 v5, null, 0, v17, vcc_lo
	v_add_co_u32 v8, vcc_lo, v4, -1
	v_mov_b32_e32 v6, v18
	s_orn2_b32 s6, s1, exec_lo
	v_add_co_ci_u32_e64 v2, null, -1, v5, vcc_lo
	v_mov_b32_e32 v7, v19
.LBB141_52:                             ;   in Loop: Header=BB141_31 Depth=1
	s_or_b32 exec_lo, exec_lo, s13
	s_and_saveexec_b32 s9, s6
	s_cbranch_execz .LBB141_56
; %bb.53:                               ;   in Loop: Header=BB141_31 Depth=1
	v_readlane_b32 s14, v60, 12
	v_readlane_b32 s15, v60, 13
	v_mul_lo_u32 v2, s30, v5
	v_mul_lo_u32 v7, s31, v4
	s_mul_i32 s1, s31, s12
	s_mul_hi_u32 s6, s30, s12
	v_mad_u64_u32 v[9:10], null, s30, v4, s[14:15]
	s_sub_u32 s13, 0, s12
	s_subb_u32 s14, 0, 0
	s_add_i32 s15, s6, s1
	s_mul_i32 s16, s30, s12
	s_mov_b32 s17, 0
	v_add3_u32 v10, v7, v10, v2
	.p2align	6
.LBB141_54:                             ;   Parent Loop BB141_31 Depth=1
                                        ; =>  This Inner Loop Header: Depth=2
	global_load_ubyte v2, v[9:10], off
	v_mov_b32_e32 v8, v5
	v_mov_b32_e32 v7, v4
	v_add_co_u32 v9, vcc_lo, v9, s16
	v_add_co_ci_u32_e64 v10, null, s15, v10, vcc_lo
	v_add_co_u32 v4, s6, v7, s12
	v_add_co_ci_u32_e64 v5, null, 0, v8, s6
	s_waitcnt vmcnt(1)
	ds_write_b8 v6, v32
	v_mov_b32_e32 v6, v7
	v_mov_b32_e32 v7, v8
	v_cmp_le_u64_e32 vcc_lo, s[36:37], v[4:5]
	v_add_co_u32 v8, s6, s13, v4
	v_add_co_ci_u32_e64 v7, null, s14, v5, s6
	s_or_b32 s17, vcc_lo, s17
	s_waitcnt vmcnt(0)
	v_mov_b32_e32 v32, v2
	s_andn2_b32 exec_lo, exec_lo, s17
	s_cbranch_execnz .LBB141_54
; %bb.55:                               ;   in Loop: Header=BB141_31 Depth=1
	s_or_b32 exec_lo, exec_lo, s17
	v_mov_b32_e32 v32, v2
.LBB141_56:                             ;   in Loop: Header=BB141_31 Depth=1
	s_or_b32 exec_lo, exec_lo, s9
.LBB141_57:                             ;   in Loop: Header=BB141_31 Depth=1
	s_or_b32 exec_lo, exec_lo, s11
	s_waitcnt vmcnt(0)
	ds_write_b8 v8, v32
.LBB141_58:                             ;   in Loop: Header=BB141_31 Depth=1
	s_or_b32 exec_lo, exec_lo, s2
	s_waitcnt lgkmcnt(0)
	s_barrier
	buffer_gl0_inv
	s_and_saveexec_b32 s1, s3
; %bb.59:                               ;   in Loop: Header=BB141_31 Depth=1
	v_mov_b32_e32 v4, s36
	v_mov_b32_e32 v5, s37
	ds_write_b64 v3, v[4:5] offset:5120
; %bb.60:                               ;   in Loop: Header=BB141_31 Depth=1
	s_or_b32 exec_lo, exec_lo, s1
	s_waitcnt lgkmcnt(0)
	s_mov_b32 s6, -1
	s_barrier
.LBB141_61:                             ;   in Loop: Header=BB141_31 Depth=1
	s_and_b32 vcc_lo, exec_lo, s6
	s_mov_b64 s[66:67], 0
	s_cbranch_vccz .LBB141_63
; %bb.62:                               ;   in Loop: Header=BB141_31 Depth=1
	buffer_gl0_inv
	ds_read_b64 v[4:5], v3 offset:5120
	s_waitcnt lgkmcnt(0)
	v_readfirstlane_b32 s66, v4
.LBB141_63:                             ;   in Loop: Header=BB141_31 Depth=1
	s_cmp_lt_i32 s66, 1
	s_mov_b32 s2, -1
                                        ; implicit-def: $vgpr10_vgpr11
                                        ; implicit-def: $vgpr6_vgpr7
	s_cbranch_scc1 .LBB141_73
; %bb.64:                               ;   in Loop: Header=BB141_31 Depth=1
	s_and_b32 vcc_lo, exec_lo, s2
	s_cbranch_vccnz .LBB141_87
.LBB141_65:                             ;   in Loop: Header=BB141_31 Depth=1
	s_lshl_b32 s2, s50, 7
	s_and_saveexec_b32 s1, s0
	s_cbranch_execz .LBB141_67
.LBB141_66:                             ;   in Loop: Header=BB141_31 Depth=1
	v_lshl_add_u32 v2, s2, 3, v36
	ds_write_b128 v2, v[4:7]
	ds_write_b128 v2, v[8:11] offset:16
.LBB141_67:                             ;   in Loop: Header=BB141_31 Depth=1
	s_or_b32 exec_lo, exec_lo, s1
	s_waitcnt lgkmcnt(0)
	s_barrier
	buffer_gl0_inv
	s_and_saveexec_b32 s6, s85
	s_cbranch_execz .LBB141_101
; %bb.68:                               ;   in Loop: Header=BB141_31 Depth=1
	v_mov_b32_e32 v4, 0
	v_mov_b32_e32 v5, 0
	s_andn2_b32 vcc_lo, exec_lo, s88
	s_cbranch_vccnz .LBB141_100
; %bb.69:                               ;   in Loop: Header=BB141_31 Depth=1
	v_mov_b32_e32 v4, 0
	v_mov_b32_e32 v5, 0
	s_andn2_b32 vcc_lo, exec_lo, s99
	s_cbranch_vccnz .LBB141_97
; %bb.70:                               ;   in Loop: Header=BB141_31 Depth=1
	v_lshl_add_u32 v2, s50, 10, v39
	s_mov_b32 s9, 0
	s_inst_prefetch 0x1
	.p2align	6
.LBB141_71:                             ;   Parent Loop BB141_31 Depth=1
                                        ; =>  This Inner Loop Header: Depth=2
	ds_read2_b64 v[6:9], v2 offset1:4
	ds_read2_b64 v[30:33], v2 offset0:8 offset1:12
	ds_read2_b64 v[44:47], v2 offset0:16 offset1:20
	s_add_i32 s9, s9, 8
	s_cmp_eq_u32 s87, s9
	s_waitcnt lgkmcnt(2)
	v_add_co_u32 v4, vcc_lo, v6, v4
	v_add_co_ci_u32_e64 v5, null, v7, v5, vcc_lo
	v_add_co_u32 v8, vcc_lo, v8, v4
	v_add_co_ci_u32_e64 v9, null, v9, v5, vcc_lo
	ds_read2_b64 v[4:7], v2 offset0:24 offset1:28
	s_waitcnt lgkmcnt(2)
	v_add_co_u32 v8, vcc_lo, v30, v8
	v_add_co_ci_u32_e64 v9, null, v31, v9, vcc_lo
	v_add_nc_u32_e32 v2, 0x100, v2
	v_add_co_u32 v8, vcc_lo, v32, v8
	v_add_co_ci_u32_e64 v9, null, v33, v9, vcc_lo
	s_waitcnt lgkmcnt(1)
	v_add_co_u32 v8, vcc_lo, v44, v8
	v_add_co_ci_u32_e64 v9, null, v45, v9, vcc_lo
	v_add_co_u32 v8, vcc_lo, v46, v8
	v_add_co_ci_u32_e64 v9, null, v47, v9, vcc_lo
	s_waitcnt lgkmcnt(0)
	v_add_co_u32 v4, vcc_lo, v4, v8
	v_add_co_ci_u32_e64 v5, null, v5, v9, vcc_lo
	v_add_co_u32 v4, vcc_lo, v6, v4
	v_add_co_ci_u32_e64 v5, null, v7, v5, vcc_lo
	s_cbranch_scc0 .LBB141_71
; %bb.72:                               ;   in Loop: Header=BB141_31 Depth=1
	s_inst_prefetch 0x2
	s_mov_b32 s9, s87
	s_andn2_b32 vcc_lo, exec_lo, s104
	s_cbranch_vccz .LBB141_98
	s_branch .LBB141_100
.LBB141_73:                             ;   in Loop: Header=BB141_31 Depth=1
	global_load_ushort v2, v3, s[60:61]
	s_mov_b32 s12, s55
	s_mov_b32 s13, s37
	s_waitcnt vmcnt(0)
	v_readfirstlane_b32 s1, v2
	s_and_b32 s1, 0xffff, s1
	s_lshl_b32 s2, s1, 2
	s_cmp_lg_u64 s[12:13], 0
	s_cbranch_scc0 .LBB141_96
; %bb.74:                               ;   in Loop: Header=BB141_31 Depth=1
	v_cvt_f32_u32_e32 v4, s2
	s_sub_u32 s9, 0, s2
	s_subb_u32 s11, 0, 0
	v_fmac_f32_e64 v4, 0x4f800000, 0
	v_rcp_f32_e32 v4, v4
	v_mul_f32_e32 v4, 0x5f7ffffc, v4
	v_mul_f32_e32 v5, 0x2f800000, v4
	v_trunc_f32_e32 v5, v5
	v_fmac_f32_e32 v4, 0xcf800000, v5
	v_cvt_u32_f32_e32 v5, v5
	v_cvt_u32_f32_e32 v4, v4
	v_readfirstlane_b32 s1, v5
	v_readfirstlane_b32 s6, v4
	s_mul_i32 s12, s9, s1
	s_mul_hi_u32 s14, s9, s6
	s_mul_i32 s13, s11, s6
	s_add_i32 s12, s14, s12
	s_mul_i32 s15, s9, s6
	s_add_i32 s12, s12, s13
	s_mul_hi_u32 s14, s6, s15
	s_mul_i32 s17, s6, s12
	s_mul_hi_u32 s16, s1, s15
	s_mul_i32 s13, s1, s15
	s_mul_hi_u32 s15, s6, s12
	s_add_u32 s14, s14, s17
	s_addc_u32 s15, 0, s15
	s_mul_hi_u32 s18, s1, s12
	s_add_u32 s13, s14, s13
	s_mul_i32 s12, s1, s12
	s_addc_u32 s13, s15, s16
	s_addc_u32 s14, s18, 0
	s_add_u32 s12, s13, s12
	s_addc_u32 s13, 0, s14
	s_add_u32 s6, s6, s12
	s_cselect_b32 s12, -1, 0
	s_mul_hi_u32 s14, s9, s6
	s_cmp_lg_u32 s12, 0
	s_mul_i32 s12, s9, s6
	s_addc_u32 s1, s1, s13
	s_mul_i32 s11, s11, s6
	s_mul_i32 s9, s9, s1
	s_mul_hi_u32 s13, s6, s12
	s_add_i32 s9, s14, s9
	s_mul_hi_u32 s14, s1, s12
	s_add_i32 s9, s9, s11
	s_mul_i32 s11, s1, s12
	s_mul_i32 s16, s6, s9
	s_mul_hi_u32 s15, s6, s9
	s_add_u32 s13, s13, s16
	s_addc_u32 s15, 0, s15
	s_mul_hi_u32 s12, s1, s9
	s_add_u32 s11, s13, s11
	s_mul_i32 s9, s1, s9
	s_addc_u32 s11, s15, s14
	s_addc_u32 s12, s12, 0
	s_add_u32 s9, s11, s9
	s_addc_u32 s11, 0, s12
	s_add_u32 s6, s6, s9
	s_cselect_b32 s9, -1, 0
	s_mul_hi_u32 s12, s36, s6
	s_cmp_lg_u32 s9, 0
	s_mul_hi_u32 s9, s37, s6
	s_addc_u32 s1, s1, s11
	s_mul_i32 s6, s37, s6
	s_mul_i32 s13, s36, s1
	s_mul_hi_u32 s11, s36, s1
	s_add_u32 s12, s12, s13
	s_addc_u32 s11, 0, s11
	s_mul_hi_u32 s14, s37, s1
	s_add_u32 s6, s12, s6
	s_mul_i32 s1, s37, s1
	s_addc_u32 s6, s11, s9
	s_addc_u32 s9, s14, 0
	s_add_u32 s1, s6, s1
	s_addc_u32 s6, 0, s9
	s_mul_hi_u32 s9, s2, s1
	s_mul_i32 s6, s2, s6
	s_mul_i32 s1, s2, s1
	s_add_i32 s9, s9, s6
	s_sub_u32 s1, s36, s1
	s_cselect_b32 s6, -1, 0
	s_cmp_lg_u32 s6, 0
	s_subb_u32 s6, s37, s9
	s_sub_u32 s9, s1, s2
	s_cselect_b32 s11, -1, 0
	s_cmp_lg_u32 s11, 0
	s_subb_u32 s11, s6, 0
	;; [unrolled: 4-line block ×3, first 2 shown]
	s_cmp_ge_u32 s9, s2
	s_cselect_b32 s14, -1, 0
	s_cmp_eq_u32 s11, 0
	s_cselect_b32 s14, s14, -1
	s_cmp_lg_u32 s14, 0
	s_cselect_b32 s11, s13, s11
	s_cselect_b32 s9, s12, s9
	s_cmp_ge_u32 s1, s2
	s_cselect_b32 s12, -1, 0
	s_cmp_eq_u32 s6, 0
	s_cselect_b32 s12, s12, -1
	s_cmp_lg_u32 s12, 0
	s_cselect_b32 s13, s11, s6
	s_cselect_b32 s12, s9, s1
	s_cbranch_execnz .LBB141_76
.LBB141_75:                             ;   in Loop: Header=BB141_31 Depth=1
	v_cvt_f32_u32_e32 v4, s2
	s_sub_i32 s6, 0, s2
	v_rcp_iflag_f32_e32 v4, v4
	v_mul_f32_e32 v4, 0x4f7ffffe, v4
	v_cvt_u32_f32_e32 v4, v4
	v_readfirstlane_b32 s1, v4
	s_mul_i32 s6, s6, s1
	s_mul_hi_u32 s6, s1, s6
	s_add_i32 s1, s1, s6
	s_mul_hi_u32 s1, s36, s1
	s_mul_i32 s1, s1, s2
	s_sub_i32 s1, s36, s1
	s_sub_i32 s6, s1, s2
	s_cmp_ge_u32 s1, s2
	s_cselect_b32 s1, s6, s1
	s_sub_i32 s6, s1, s2
	s_cmp_ge_u32 s1, s2
	s_cselect_b32 s54, s6, s1
	s_mov_b64 s[12:13], s[54:55]
.LBB141_76:                             ;   in Loop: Header=BB141_31 Depth=1
	v_mov_b32_e32 v4, 0
	v_mov_b32_e32 v6, 0
	;; [unrolled: 1-line block ×8, first 2 shown]
	v_and_b32_e32 v2, 0xffff, v2
	s_sub_u32 s68, s36, s12
	s_subb_u32 s69, s37, s13
	s_mov_b32 s54, exec_lo
	v_cmpx_gt_u64_e64 s[68:69], v[14:15]
	s_cbranch_execz .LBB141_80
; %bb.77:                               ;   in Loop: Header=BB141_31 Depth=1
	v_mul_lo_u32 v4, s65, v2
	v_mul_hi_u32 v5, s64, v2
	v_mul_lo_u32 v44, s64, v2
	v_mov_b32_e32 v30, s56
	v_mov_b32_e32 v33, v15
	;; [unrolled: 1-line block ×4, first 2 shown]
	s_mov_b64 s[70:71], 0
	s_mov_b32 s58, 0
	v_add_nc_u32_e32 v45, v5, v4
	s_mov_b64 s[72:73], 0
	s_mov_b64 s[74:75], 0
	;; [unrolled: 1-line block ×3, first 2 shown]
.LBB141_78:                             ;   Parent Loop BB141_31 Depth=1
                                        ; =>  This Inner Loop Header: Depth=2
	v_add_co_u32 v4, vcc_lo, v30, v24
	v_add_co_ci_u32_e64 v5, null, v31, v25, vcc_lo
	global_load_sbyte v6, v[4:5], off
	v_add_co_u32 v4, vcc_lo, v30, v23
	v_add_co_ci_u32_e64 v5, null, v31, v38, vcc_lo
	global_load_sbyte v7, v[4:5], off
	;; [unrolled: 3-line block ×4, first 2 shown]
	s_waitcnt vmcnt(3)
	v_add_nc_u32_e32 v5, 0x80, v6
	v_and_b32_e32 v6, v5, v42
	v_bfe_u32 v5, v5, vcc_hi, 2
	v_cmp_eq_u32_e32 vcc_lo, v6, v20
	s_waitcnt vmcnt(2)
	v_add_nc_u32_e32 v6, 0x80, v7
	v_cmp_eq_u32_e64 s12, 0, v5
	v_cmp_eq_u32_e64 s13, 1, v5
	;; [unrolled: 1-line block ×4, first 2 shown]
	v_and_b32_e32 v7, v6, v42
	v_bfe_u32 v5, v6, vcc_hi, 2
	s_and_b32 s1, vcc_lo, s12
	v_cmp_eq_u32_e64 s6, v7, v20
	s_waitcnt vmcnt(1)
	v_add_nc_u32_e32 v7, 0x80, v8
	v_cmp_eq_u32_e64 s16, 0, v5
	s_waitcnt vmcnt(0)
	v_add_nc_u32_e32 v4, 0x80, v4
	v_cmp_eq_u32_e64 s17, 1, v5
	v_cmp_eq_u32_e64 s18, 2, v5
	v_and_b32_e32 v8, v7, v42
	v_cmp_eq_u32_e64 s19, 3, v5
	v_bfe_u32 v5, v7, vcc_hi, 2
	v_cmp_eq_u32_e64 s9, v8, v20
	v_and_b32_e32 v8, v4, v42
	v_bfe_u32 v4, v4, vcc_hi, 2
	v_cmp_eq_u32_e64 s20, 0, v5
	v_cmp_eq_u32_e64 s21, 1, v5
	;; [unrolled: 1-line block ×8, first 2 shown]
	v_cndmask_b32_e64 v4, 0, 1, s1
	s_and_b32 s1, s6, s16
	v_cmp_eq_u32_e64 s23, 3, v5
	v_cmp_ne_u32_e64 s12, 0, v4
	v_cndmask_b32_e64 v4, 0, 1, s1
	s_and_b32 s1, s9, s20
	v_cmp_ne_u32_e64 s16, 0, v4
	v_cndmask_b32_e64 v4, 0, 1, s1
	s_and_b32 s1, s11, s24
	v_cmp_ne_u32_e64 s20, 0, v4
	v_cndmask_b32_e64 v4, 0, 1, s1
	s_bcnt1_i32_b32 s1, s12
	s_bcnt1_i32_b32 s12, s16
	;; [unrolled: 1-line block ×3, first 2 shown]
	v_cmp_ne_u32_e64 s24, 0, v4
	s_add_i32 s1, s12, s1
	s_add_i32 s1, s1, s16
	s_bcnt1_i32_b32 s20, s24
	s_add_i32 s1, s1, s20
	s_add_u32 s76, s76, s1
	s_addc_u32 s77, s77, 0
	s_and_b32 s1, vcc_lo, s13
	v_cndmask_b32_e64 v4, 0, 1, s1
	s_and_b32 s1, s6, s17
	v_cmp_ne_u32_e64 s12, 0, v4
	v_cndmask_b32_e64 v4, 0, 1, s1
	s_and_b32 s1, s9, s21
	v_cmp_ne_u32_e64 s13, 0, v4
	;; [unrolled: 3-line block ×3, first 2 shown]
	v_cndmask_b32_e64 v4, 0, 1, s1
	s_bcnt1_i32_b32 s1, s12
	s_bcnt1_i32_b32 s12, s13
	;; [unrolled: 1-line block ×3, first 2 shown]
	v_cmp_ne_u32_e64 s17, 0, v4
	s_add_i32 s1, s12, s1
	s_add_i32 s1, s1, s13
	s_bcnt1_i32_b32 s16, s17
	s_add_i32 s1, s1, s16
	s_add_u32 s74, s74, s1
	s_addc_u32 s75, s75, 0
	s_and_b32 s1, vcc_lo, s14
	v_mov_b32_e32 v6, s74
	v_cndmask_b32_e64 v4, 0, 1, s1
	s_and_b32 s1, s6, s18
	v_mov_b32_e32 v7, s75
	v_cmp_ne_u32_e64 s12, 0, v4
	v_cndmask_b32_e64 v4, 0, 1, s1
	s_and_b32 s1, s9, s22
	v_cmp_ne_u32_e64 s13, 0, v4
	v_cndmask_b32_e64 v4, 0, 1, s1
	s_and_b32 s1, s11, s26
	v_cmp_ne_u32_e64 s14, 0, v4
	v_cndmask_b32_e64 v4, 0, 1, s1
	s_bcnt1_i32_b32 s1, s12
	s_bcnt1_i32_b32 s12, s13
	;; [unrolled: 1-line block ×3, first 2 shown]
	v_cmp_ne_u32_e64 s16, 0, v4
	s_add_i32 s1, s12, s1
	v_add_co_u32 v32, s12, v32, s2
	s_add_i32 s1, s1, s13
	s_bcnt1_i32_b32 s14, s16
	v_add_co_ci_u32_e64 v33, null, 0, v33, s12
	s_add_i32 s1, s1, s14
	v_add_co_u32 v30, s13, v30, v44
	s_add_u32 s72, s72, s1
	s_addc_u32 s73, s73, 0
	s_and_b32 s1, vcc_lo, s15
	v_cmp_le_u64_e64 s12, s[68:69], v[32:33]
	v_cndmask_b32_e64 v4, 0, 1, s1
	s_and_b32 s1, s6, s19
	v_mov_b32_e32 v8, s72
	v_add_co_ci_u32_e64 v31, null, v31, v45, s13
	v_cmp_ne_u32_e32 vcc_lo, 0, v4
	v_cndmask_b32_e64 v4, 0, 1, s1
	s_and_b32 s1, s9, s23
	v_mov_b32_e32 v9, s73
	v_cmp_ne_u32_e64 s6, 0, v4
	v_cndmask_b32_e64 v4, 0, 1, s1
	s_and_b32 s1, s11, s27
	s_bcnt1_i32_b32 s6, s6
	v_cmp_ne_u32_e64 s9, 0, v4
	v_cndmask_b32_e64 v4, 0, 1, s1
	s_bcnt1_i32_b32 s1, vcc_lo
	s_add_i32 s1, s6, s1
	s_bcnt1_i32_b32 s9, s9
	v_cmp_ne_u32_e64 s11, 0, v4
	s_add_i32 s1, s1, s9
	v_mov_b32_e32 v4, s76
	v_mov_b32_e32 v5, s77
	s_bcnt1_i32_b32 s11, s11
	s_add_i32 s1, s1, s11
	s_add_u32 s70, s70, s1
	s_addc_u32 s71, s71, 0
	v_mov_b32_e32 v10, s70
	v_mov_b32_e32 v11, s71
	s_or_b32 s58, s12, s58
	s_andn2_b32 exec_lo, exec_lo, s58
	s_cbranch_execnz .LBB141_78
; %bb.79:                               ;   in Loop: Header=BB141_31 Depth=1
	s_or_b32 exec_lo, exec_lo, s58
.LBB141_80:                             ;   in Loop: Header=BB141_31 Depth=1
	s_or_b32 exec_lo, exec_lo, s54
	v_add_co_u32 v30, s1, s68, v0
	v_add_co_ci_u32_e64 v31, null, s69, 0, s1
	s_mov_b32 s2, exec_lo
	v_cmpx_gt_u64_e64 s[36:37], v[30:31]
	s_cbranch_execz .LBB141_86
; %bb.81:                               ;   in Loop: Header=BB141_31 Depth=1
	v_mad_u64_u32 v[32:33], null, v30, s30, s[56:57]
	v_mul_lo_u32 v44, v30, s31
	v_mul_lo_u32 v45, v31, s30
	s_mov_b32 s12, 0
	v_add3_u32 v33, v45, v33, v44
	global_load_ubyte v33, v[32:33], off
	s_branch .LBB141_83
.LBB141_82:                             ;   in Loop: Header=BB141_83 Depth=2
	s_or_b32 exec_lo, exec_lo, s1
	s_waitcnt vmcnt(0)
	v_add_nc_u32_sdwa v33, sext(v33), v40 dst_sel:DWORD dst_unused:UNUSED_PAD src0_sel:BYTE_0 src1_sel:DWORD
	s_and_b32 s1, exec_lo, vcc_lo
	s_or_b32 s12, s1, s12
	v_and_b32_e32 v44, v33, v42
	v_bfe_u32 v33, v33, vcc_hi, 2
	v_cmp_eq_u32_e64 s6, v44, v20
	v_cmp_eq_u32_e64 s9, 0, v33
	v_cmp_eq_u32_e32 vcc_lo, 1, v33
	v_cmp_eq_u32_e64 s11, 2, v33
	s_and_b32 s1, s6, s9
	v_cndmask_b32_e64 v44, 0, 1, s1
	s_and_b32 s1, s6, vcc_lo
	v_cmp_eq_u32_e32 vcc_lo, 3, v33
	v_cndmask_b32_e64 v45, 0, 1, s1
	s_and_b32 s1, s6, s11
	v_cmp_ne_u32_e64 s9, 0, v44
	v_cndmask_b32_e64 v33, 0, 1, s1
	s_and_b32 s1, s6, vcc_lo
	v_cmp_ne_u32_e64 s11, 0, v45
	v_cndmask_b32_e64 v44, 0, 1, s1
	s_bcnt1_i32_b32 s1, s9
	v_cmp_ne_u32_e32 vcc_lo, 0, v33
	v_add_co_u32 v4, s6, v4, s1
	s_bcnt1_i32_b32 s9, s11
	v_add_co_ci_u32_e64 v5, null, 0, v5, s6
	s_bcnt1_i32_b32 s1, vcc_lo
	v_cmp_ne_u32_e32 vcc_lo, 0, v44
	v_add_co_u32 v6, s6, v6, s9
	v_add_co_ci_u32_e64 v7, null, 0, v7, s6
	v_add_co_u32 v8, s6, v8, s1
	s_bcnt1_i32_b32 s1, vcc_lo
	v_add_co_ci_u32_e64 v9, null, 0, v9, s6
	v_add_co_u32 v10, vcc_lo, v10, s1
	v_add_co_ci_u32_e64 v11, null, 0, v11, vcc_lo
	v_mov_b32_e32 v33, v32
	s_andn2_b32 exec_lo, exec_lo, s12
	s_cbranch_execz .LBB141_85
.LBB141_83:                             ;   Parent Loop BB141_31 Depth=1
                                        ; =>  This Inner Loop Header: Depth=2
	v_add_co_u32 v30, vcc_lo, v30, v2
	v_add_co_ci_u32_e64 v31, null, 0, v31, vcc_lo
	v_mov_b32_e32 v32, 0
	s_mov_b32 s1, exec_lo
	v_cmp_le_u64_e32 vcc_lo, s[36:37], v[30:31]
	v_cmpx_gt_u64_e64 s[36:37], v[30:31]
	s_cbranch_execz .LBB141_82
; %bb.84:                               ;   in Loop: Header=BB141_83 Depth=2
	v_mad_u64_u32 v[44:45], null, v30, s30, s[56:57]
	v_mul_lo_u32 v32, v30, s31
	v_mul_lo_u32 v46, v31, s30
	v_add3_u32 v45, v46, v45, v32
	global_load_ubyte v32, v[44:45], off
	s_branch .LBB141_82
.LBB141_85:                             ;   in Loop: Header=BB141_31 Depth=1
	s_or_b32 exec_lo, exec_lo, s12
.LBB141_86:                             ;   in Loop: Header=BB141_31 Depth=1
	s_or_b32 exec_lo, exec_lo, s2
	s_branch .LBB141_65
.LBB141_87:                             ;   in Loop: Header=BB141_31 Depth=1
	global_load_ushort v2, v3, s[60:61]
	v_mov_b32_e32 v6, 0
	v_mov_b32_e32 v8, 0
	;; [unrolled: 1-line block ×6, first 2 shown]
	s_mov_b32 s58, exec_lo
	s_waitcnt vmcnt(0)
	v_readfirstlane_b32 s1, v2
	s_and_b32 s2, 0xffff, s1
	s_lshl_b32 s54, s2, 2
	v_cvt_f32_u32_e32 v4, s54
	s_sub_i32 s6, 0, s54
	v_rcp_iflag_f32_e32 v4, v4
	v_mul_f32_e32 v4, 0x4f7ffffe, v4
	v_cvt_u32_f32_e32 v4, v4
	v_readfirstlane_b32 s1, v4
	v_mov_b32_e32 v4, 0
	v_mov_b32_e32 v5, 0
	s_mul_i32 s6, s6, s1
	s_mul_hi_u32 s6, s1, s6
	s_add_i32 s1, s1, s6
	s_mul_hi_u32 s1, s66, s1
	s_mul_i32 s6, s1, s54
	s_add_i32 s9, s1, 1
	s_sub_i32 s6, s66, s6
	s_sub_i32 s11, s6, s54
	s_cmp_ge_u32 s6, s54
	s_cselect_b32 s1, s9, s1
	s_cselect_b32 s6, s11, s6
	s_add_i32 s9, s1, 1
	s_cmp_ge_u32 s6, s54
	s_cselect_b32 s1, s9, s1
	s_mul_hi_u32 s69, s2, s1
	s_mul_i32 s68, s2, s1
	s_lshl_b64 s[70:71], s[68:69], 2
	v_cmpx_gt_u64_e64 s[70:71], v[14:15]
	s_cbranch_execz .LBB141_91
; %bb.88:                               ;   in Loop: Header=BB141_31 Depth=1
	v_mov_b32_e32 v31, v15
	v_mov_b32_e32 v32, v14
	;; [unrolled: 1-line block ×3, first 2 shown]
	s_mov_b64 s[72:73], 0
	s_mov_b32 s67, 0
	s_mov_b64 s[74:75], 0
	s_mov_b64 s[76:77], 0
	;; [unrolled: 1-line block ×3, first 2 shown]
.LBB141_89:                             ;   Parent Loop BB141_31 Depth=1
                                        ; =>  This Inner Loop Header: Depth=2
	ds_read_b32 v4, v32
	v_add_nc_u32_e32 v32, s54, v32
	s_waitcnt lgkmcnt(0)
	v_add_nc_u32_sdwa v5, sext(v4), v40 dst_sel:DWORD dst_unused:UNUSED_PAD src0_sel:BYTE_0 src1_sel:DWORD
	v_and_b32_e32 v6, v5, v42
	v_bfe_u32 v5, v5, vcc_hi, 2
	v_cmp_eq_u32_e32 vcc_lo, v6, v20
	v_add_nc_u32_sdwa v6, sext(v4), v40 dst_sel:DWORD dst_unused:UNUSED_PAD src0_sel:BYTE_1 src1_sel:DWORD
	v_cmp_eq_u32_e64 s12, 0, v5
	v_cmp_eq_u32_e64 s13, 1, v5
	;; [unrolled: 1-line block ×4, first 2 shown]
	v_and_b32_e32 v7, v6, v42
	v_bfe_u32 v5, v6, vcc_hi, 2
	s_and_b32 s1, vcc_lo, s12
	v_cmp_eq_u32_e64 s6, v7, v20
	v_add_nc_u32_sdwa v7, sext(v4), v40 dst_sel:DWORD dst_unused:UNUSED_PAD src0_sel:BYTE_2 src1_sel:DWORD
	v_add_nc_u32_sdwa v4, sext(v4), v40 dst_sel:DWORD dst_unused:UNUSED_PAD src0_sel:BYTE_3 src1_sel:DWORD
	v_cmp_eq_u32_e64 s16, 0, v5
	v_cmp_eq_u32_e64 s17, 1, v5
	;; [unrolled: 1-line block ×3, first 2 shown]
	v_and_b32_e32 v8, v7, v42
	v_cmp_eq_u32_e64 s19, 3, v5
	v_bfe_u32 v5, v7, vcc_hi, 2
	v_cmp_eq_u32_e64 s9, v8, v20
	v_and_b32_e32 v8, v4, v42
	v_bfe_u32 v4, v4, vcc_hi, 2
	v_cmp_eq_u32_e64 s20, 0, v5
	v_cmp_eq_u32_e64 s21, 1, v5
	;; [unrolled: 1-line block ×8, first 2 shown]
	v_cndmask_b32_e64 v4, 0, 1, s1
	s_and_b32 s1, s6, s16
	v_cmp_eq_u32_e64 s23, 3, v5
	v_cmp_ne_u32_e64 s12, 0, v4
	v_cndmask_b32_e64 v4, 0, 1, s1
	s_and_b32 s1, s9, s20
	v_cmp_ne_u32_e64 s16, 0, v4
	v_cndmask_b32_e64 v4, 0, 1, s1
	s_and_b32 s1, s11, s24
	v_cmp_ne_u32_e64 s20, 0, v4
	v_cndmask_b32_e64 v4, 0, 1, s1
	s_bcnt1_i32_b32 s1, s12
	s_bcnt1_i32_b32 s12, s16
	;; [unrolled: 1-line block ×3, first 2 shown]
	v_cmp_ne_u32_e64 s24, 0, v4
	s_add_i32 s1, s12, s1
	s_add_i32 s1, s1, s16
	s_bcnt1_i32_b32 s20, s24
	s_add_i32 s1, s1, s20
	s_add_u32 s78, s78, s1
	s_addc_u32 s79, s79, 0
	s_and_b32 s1, vcc_lo, s13
	v_cndmask_b32_e64 v4, 0, 1, s1
	s_and_b32 s1, s6, s17
	v_cmp_ne_u32_e64 s12, 0, v4
	v_cndmask_b32_e64 v4, 0, 1, s1
	s_and_b32 s1, s9, s21
	v_cmp_ne_u32_e64 s13, 0, v4
	;; [unrolled: 3-line block ×3, first 2 shown]
	v_cndmask_b32_e64 v4, 0, 1, s1
	s_bcnt1_i32_b32 s1, s12
	s_bcnt1_i32_b32 s12, s13
	;; [unrolled: 1-line block ×3, first 2 shown]
	v_cmp_ne_u32_e64 s17, 0, v4
	s_add_i32 s1, s12, s1
	s_add_i32 s1, s1, s13
	s_bcnt1_i32_b32 s16, s17
	s_add_i32 s1, s1, s16
	s_add_u32 s76, s76, s1
	s_addc_u32 s77, s77, 0
	s_and_b32 s1, vcc_lo, s14
	v_mov_b32_e32 v6, s76
	v_cndmask_b32_e64 v4, 0, 1, s1
	s_and_b32 s1, s6, s18
	v_mov_b32_e32 v7, s77
	v_cmp_ne_u32_e64 s12, 0, v4
	v_cndmask_b32_e64 v4, 0, 1, s1
	s_and_b32 s1, s9, s22
	v_cmp_ne_u32_e64 s13, 0, v4
	v_cndmask_b32_e64 v4, 0, 1, s1
	s_and_b32 s1, s11, s26
	v_cmp_ne_u32_e64 s14, 0, v4
	v_cndmask_b32_e64 v4, 0, 1, s1
	s_bcnt1_i32_b32 s1, s12
	s_bcnt1_i32_b32 s12, s13
	;; [unrolled: 1-line block ×3, first 2 shown]
	v_cmp_ne_u32_e64 s16, 0, v4
	s_add_i32 s1, s12, s1
	v_add_co_u32 v30, s12, v30, s54
	s_add_i32 s1, s1, s13
	s_bcnt1_i32_b32 s14, s16
	v_add_co_ci_u32_e64 v31, null, 0, v31, s12
	s_add_i32 s1, s1, s14
	s_add_u32 s74, s74, s1
	s_addc_u32 s75, s75, 0
	s_and_b32 s1, vcc_lo, s15
	v_cmp_le_u64_e64 s12, s[70:71], v[30:31]
	v_cndmask_b32_e64 v4, 0, 1, s1
	s_and_b32 s1, s6, s19
	v_mov_b32_e32 v8, s74
	v_mov_b32_e32 v9, s75
	v_cmp_ne_u32_e32 vcc_lo, 0, v4
	v_cndmask_b32_e64 v4, 0, 1, s1
	s_and_b32 s1, s9, s23
	v_cmp_ne_u32_e64 s6, 0, v4
	v_cndmask_b32_e64 v4, 0, 1, s1
	s_and_b32 s1, s11, s27
	s_bcnt1_i32_b32 s6, s6
	v_cmp_ne_u32_e64 s9, 0, v4
	v_cndmask_b32_e64 v4, 0, 1, s1
	s_bcnt1_i32_b32 s1, vcc_lo
	s_add_i32 s1, s6, s1
	s_bcnt1_i32_b32 s9, s9
	v_cmp_ne_u32_e64 s11, 0, v4
	s_add_i32 s1, s1, s9
	v_mov_b32_e32 v4, s78
	v_mov_b32_e32 v5, s79
	s_bcnt1_i32_b32 s11, s11
	s_add_i32 s1, s1, s11
	s_add_u32 s72, s72, s1
	s_addc_u32 s73, s73, 0
	v_mov_b32_e32 v10, s72
	v_mov_b32_e32 v11, s73
	s_or_b32 s67, s12, s67
	s_andn2_b32 exec_lo, exec_lo, s67
	s_cbranch_execnz .LBB141_89
; %bb.90:                               ;   in Loop: Header=BB141_31 Depth=1
	s_or_b32 exec_lo, exec_lo, s67
.LBB141_91:                             ;   in Loop: Header=BB141_31 Depth=1
	s_or_b32 exec_lo, exec_lo, s58
	v_add_co_u32 v30, s1, s70, v0
	v_and_b32_e32 v2, 0xffff, v2
	v_add_co_ci_u32_e64 v31, null, s71, 0, s1
	s_and_b32 s54, s66, 0x7fffffff
	s_mov_b32 s14, exec_lo
	v_cmpx_gt_u64_e64 s[54:55], v[30:31]
	s_cbranch_execz .LBB141_95
; %bb.92:                               ;   in Loop: Header=BB141_31 Depth=1
	v_lshl_add_u32 v32, s68, 2, v0
	s_mov_b32 s15, 0
.LBB141_93:                             ;   Parent Loop BB141_31 Depth=1
                                        ; =>  This Inner Loop Header: Depth=2
	ds_read_i8 v33, v32
	v_add_co_u32 v30, vcc_lo, v30, v2
	v_add_co_ci_u32_e64 v31, null, 0, v31, vcc_lo
	v_add_nc_u32_e32 v32, s2, v32
	v_cmp_le_u64_e32 vcc_lo, s[54:55], v[30:31]
	s_waitcnt lgkmcnt(0)
	v_add_nc_u32_e32 v33, 0x80, v33
	v_and_b32_e32 v44, v33, v42
	v_bfe_u32 v33, v33, vcc_hi, 2
	v_cmp_eq_u32_e64 s6, v44, v20
	v_cmp_eq_u32_e64 s9, 0, v33
	;; [unrolled: 1-line block ×5, first 2 shown]
	s_and_b32 s1, s6, s9
	v_cndmask_b32_e64 v33, 0, 1, s1
	s_and_b32 s1, s6, s11
	v_cndmask_b32_e64 v44, 0, 1, s1
	;; [unrolled: 2-line block ×3, first 2 shown]
	s_and_b32 s1, s6, s13
	v_cmp_ne_u32_e64 s6, 0, v33
	v_cndmask_b32_e64 v46, 0, 1, s1
	v_cmp_ne_u32_e64 s9, 0, v44
	v_cmp_ne_u32_e64 s11, 0, v45
	s_bcnt1_i32_b32 s1, s6
	v_cmp_ne_u32_e64 s12, 0, v46
	s_bcnt1_i32_b32 s9, s9
	v_add_co_u32 v4, s6, v4, s1
	s_bcnt1_i32_b32 s11, s11
	v_add_co_ci_u32_e64 v5, null, 0, v5, s6
	v_add_co_u32 v6, s6, v6, s9
	s_bcnt1_i32_b32 s12, s12
	v_add_co_ci_u32_e64 v7, null, 0, v7, s6
	v_add_co_u32 v8, s6, v8, s11
	v_add_co_ci_u32_e64 v9, null, 0, v9, s6
	v_add_co_u32 v10, s6, v10, s12
	v_add_co_ci_u32_e64 v11, null, 0, v11, s6
	s_or_b32 s15, vcc_lo, s15
	s_andn2_b32 exec_lo, exec_lo, s15
	s_cbranch_execnz .LBB141_93
; %bb.94:                               ;   in Loop: Header=BB141_31 Depth=1
	s_or_b32 exec_lo, exec_lo, s15
.LBB141_95:                             ;   in Loop: Header=BB141_31 Depth=1
	s_or_b32 exec_lo, exec_lo, s14
	s_lshl_b32 s2, s50, 7
	s_and_saveexec_b32 s1, s0
	s_cbranch_execnz .LBB141_66
	s_branch .LBB141_67
.LBB141_96:                             ;   in Loop: Header=BB141_31 Depth=1
                                        ; implicit-def: $sgpr12_sgpr13
	s_branch .LBB141_75
.LBB141_97:                             ;   in Loop: Header=BB141_31 Depth=1
	s_mov_b32 s9, 0
	s_andn2_b32 vcc_lo, exec_lo, s104
	s_cbranch_vccnz .LBB141_100
.LBB141_98:                             ;   in Loop: Header=BB141_31 Depth=1
	s_lshl_b32 s1, s50, 10
	s_lshl_b32 s9, s9, 5
	v_add3_u32 v2, s1, s9, v39
	v_readlane_b32 s9, v60, 9
.LBB141_99:                             ;   Parent Loop BB141_31 Depth=1
                                        ; =>  This Inner Loop Header: Depth=2
	ds_read_b64 v[6:7], v2
	v_add_nc_u32_e32 v2, 32, v2
	s_add_i32 s9, s9, -1
	s_cmp_lg_u32 s9, 0
	s_waitcnt lgkmcnt(0)
	v_add_co_u32 v4, vcc_lo, v6, v4
	v_add_co_ci_u32_e64 v5, null, v7, v5, vcc_lo
	s_cbranch_scc1 .LBB141_99
.LBB141_100:                            ;   in Loop: Header=BB141_31 Depth=1
	v_add_lshl_u32 v2, s2, v35, 3
	ds_write_b64 v2, v[4:5] offset:3072
.LBB141_101:                            ;   in Loop: Header=BB141_31 Depth=1
	s_or_b32 exec_lo, exec_lo, s6
	s_lshl_b32 s1, s2, 3
	s_waitcnt lgkmcnt(0)
	v_mov_b32_e32 v2, s1
	s_barrier
	buffer_gl0_inv
	v_cmp_eq_u64_e64 s9, 1, v[28:29]
	s_lshl_b32 s11, 3, vcc_hi
	ds_read_b128 v[4:7], v2 offset:3072
	ds_read_b128 v[8:11], v2 offset:3088
	s_mov_b32 s70, -1
	s_not_b32 s26, s11
	s_mov_b32 s27, 0
	s_andn2_b32 vcc_lo, exec_lo, s84
	s_mov_b32 s67, 0
	s_mov_b32 s66, 0
                                        ; implicit-def: $sgpr68
                                        ; implicit-def: $sgpr69
                                        ; implicit-def: $vgpr2
	s_waitcnt lgkmcnt(1)
	v_readfirstlane_b32 s13, v5
	v_readfirstlane_b32 s12, v4
	v_readfirstlane_b32 s15, v7
	v_readfirstlane_b32 s14, v6
	s_waitcnt lgkmcnt(0)
	v_readfirstlane_b32 s17, v9
	v_readfirstlane_b32 s16, v8
	;; [unrolled: 1-line block ×4, first 2 shown]
                                        ; implicit-def: $vgpr4_vgpr5
                                        ; implicit-def: $vgpr10
                                        ; implicit-def: $vgpr11
                                        ; implicit-def: $vgpr8
	s_cbranch_vccnz .LBB141_296
; %bb.102:                              ;   in Loop: Header=BB141_31 Depth=1
	s_cmp_eq_u64 s[12:13], 1
	v_mov_b32_e32 v10, v20
	v_mov_b32_e32 v11, v42
	;; [unrolled: 1-line block ×3, first 2 shown]
	s_cselect_b32 s1, -1, 0
	s_mov_b32 s6, -1
	s_and_b32 s72, s1, s9
                                        ; implicit-def: $sgpr69
                                        ; implicit-def: $sgpr68
	s_and_saveexec_b32 s2, s72
	s_cbranch_execz .LBB141_137
; %bb.103:                              ;   in Loop: Header=BB141_31 Depth=1
	ds_read_b64 v[4:5], v3 offset:5120
	s_waitcnt lgkmcnt(0)
	s_barrier
	buffer_gl0_inv
	v_readfirstlane_b32 s20, v4
	v_readfirstlane_b32 s21, v5
	s_and_saveexec_b32 s1, s10
; %bb.104:                              ;   in Loop: Header=BB141_31 Depth=1
	ds_write_b8 v0, v3 offset:3072
; %bb.105:                              ;   in Loop: Header=BB141_31 Depth=1
	s_or_b32 exec_lo, exec_lo, s1
	v_and_b32_e32 v10, s26, v20
	v_or_b32_e32 v11, s11, v42
	s_mov_b32 s68, -1
	s_mov_b32 s69, 0
	s_cmp_eq_u64 s[20:21], 0
	s_mov_b32 s24, 0
	s_waitcnt lgkmcnt(0)
	s_barrier
	buffer_gl0_inv
                                        ; implicit-def: $vgpr8
	s_cbranch_scc1 .LBB141_122
; %bb.106:                              ;   in Loop: Header=BB141_31 Depth=1
	s_add_u32 s6, s20, s89
	s_addc_u32 s23, s21, s90
	s_mov_b32 s22, s55
	s_cmp_lg_u64 s[22:23], 0
	s_cbranch_scc0 .LBB141_163
; %bb.107:                              ;   in Loop: Header=BB141_31 Depth=1
	v_cvt_f32_u32_e32 v2, s33
	s_sub_u32 s24, 0, s33
	s_subb_u32 s25, 0, 0
	v_fmac_f32_e64 v2, 0x4f800000, 0
	v_rcp_f32_e32 v2, v2
	v_mul_f32_e32 v2, 0x5f7ffffc, v2
	v_mul_f32_e32 v4, 0x2f800000, v2
	v_trunc_f32_e32 v4, v4
	v_fmac_f32_e32 v2, 0xcf800000, v4
	v_cvt_u32_f32_e32 v4, v4
	v_cvt_u32_f32_e32 v2, v2
	v_readfirstlane_b32 s1, v4
	v_readfirstlane_b32 s22, v2
	s_mul_i32 s42, s24, s1
	s_mul_hi_u32 s54, s24, s22
	s_mul_i32 s43, s25, s22
	s_add_i32 s42, s54, s42
	s_mul_i32 s58, s24, s22
	s_add_i32 s42, s42, s43
	s_mul_hi_u32 s54, s22, s58
	s_mul_i32 s63, s22, s42
	s_mul_hi_u32 s62, s1, s58
	s_mul_i32 s43, s1, s58
	s_mul_hi_u32 s58, s22, s42
	s_add_u32 s54, s54, s63
	s_addc_u32 s58, 0, s58
	s_mul_hi_u32 s66, s1, s42
	s_add_u32 s43, s54, s43
	s_mul_i32 s42, s1, s42
	s_addc_u32 s43, s58, s62
	s_addc_u32 s54, s66, 0
	s_add_u32 s42, s43, s42
	s_addc_u32 s43, 0, s54
	s_add_u32 s22, s22, s42
	s_cselect_b32 s42, -1, 0
	s_mul_hi_u32 s54, s24, s22
	s_cmp_lg_u32 s42, 0
	s_mul_i32 s42, s24, s22
	s_addc_u32 s1, s1, s43
	s_mul_i32 s25, s25, s22
	s_mul_i32 s24, s24, s1
	s_mul_hi_u32 s43, s22, s42
	s_add_i32 s24, s54, s24
	s_mul_hi_u32 s54, s1, s42
	s_add_i32 s24, s24, s25
	s_mul_i32 s25, s1, s42
	s_mul_i32 s62, s22, s24
	s_mul_hi_u32 s58, s22, s24
	s_add_u32 s43, s43, s62
	s_addc_u32 s58, 0, s58
	s_mul_hi_u32 s42, s1, s24
	s_add_u32 s25, s43, s25
	s_mul_i32 s24, s1, s24
	s_addc_u32 s25, s58, s54
	s_addc_u32 s42, s42, 0
	s_add_u32 s24, s25, s24
	s_addc_u32 s25, 0, s42
	s_add_u32 s22, s22, s24
	s_cselect_b32 s24, -1, 0
	s_mul_hi_u32 s42, s6, s22
	s_cmp_lg_u32 s24, 0
	s_mul_hi_u32 s24, s23, s22
	s_addc_u32 s1, s1, s25
	s_mul_i32 s22, s23, s22
	s_mul_i32 s43, s6, s1
	s_mul_hi_u32 s25, s6, s1
	s_add_u32 s42, s42, s43
	s_addc_u32 s25, 0, s25
	s_mul_hi_u32 s54, s23, s1
	s_add_u32 s22, s42, s22
	s_mul_i32 s1, s23, s1
	s_addc_u32 s22, s25, s24
	s_addc_u32 s24, s54, 0
	s_add_u32 s1, s22, s1
	s_addc_u32 s22, 0, s24
	s_mul_hi_u32 s24, s33, s1
	s_mul_i32 s22, s33, s22
	s_mul_i32 s1, s33, s1
	s_add_i32 s24, s24, s22
	s_sub_u32 s1, s6, s1
	s_cselect_b32 s22, -1, 0
	s_cmp_lg_u32 s22, 0
	s_subb_u32 s22, s23, s24
	s_sub_u32 s24, s1, s33
	s_cselect_b32 s25, -1, 0
	s_cmp_lg_u32 s25, 0
	s_subb_u32 s25, s22, 0
	;; [unrolled: 4-line block ×3, first 2 shown]
	s_cmp_ge_u32 s24, s33
	s_cselect_b32 s54, -1, 0
	s_cmp_eq_u32 s25, 0
	s_cselect_b32 s54, s54, -1
	s_cmp_lg_u32 s54, 0
	s_cselect_b32 s25, s43, s25
	s_cselect_b32 s24, s42, s24
	s_cmp_ge_u32 s1, s33
	s_cselect_b32 s42, -1, 0
	s_cmp_eq_u32 s22, 0
	s_cselect_b32 s42, s42, -1
	s_cmp_lg_u32 s42, 0
	s_cselect_b32 s25, s25, s22
	s_cselect_b32 s24, s24, s1
	s_cbranch_execnz .LBB141_109
.LBB141_108:                            ;   in Loop: Header=BB141_31 Depth=1
	v_cvt_f32_u32_e32 v2, s33
	s_sub_i32 s22, 0, s33
	v_rcp_iflag_f32_e32 v2, v2
	v_mul_f32_e32 v2, 0x4f7ffffe, v2
	v_cvt_u32_f32_e32 v2, v2
	v_readfirstlane_b32 s1, v2
	s_mul_i32 s22, s22, s1
	s_mul_hi_u32 s22, s1, s22
	s_add_i32 s1, s1, s22
	s_mul_hi_u32 s1, s6, s1
	s_mul_i32 s1, s1, s33
	s_sub_i32 s1, s6, s1
	s_sub_i32 s22, s1, s33
	s_cmp_ge_u32 s1, s33
	s_cselect_b32 s1, s22, s1
	s_sub_i32 s22, s1, s33
	s_cmp_ge_u32 s1, s33
	s_cselect_b32 s54, s22, s1
	s_mov_b64 s[24:25], s[54:55]
.LBB141_109:                            ;   in Loop: Header=BB141_31 Depth=1
	s_sub_u32 s22, s6, s24
	s_subb_u32 s23, s23, s25
	s_mov_b32 s6, 0
	s_mov_b32 s24, 0
	s_mov_b32 s25, exec_lo
                                        ; implicit-def: $vgpr8
	v_cmpx_gt_u64_e64 s[22:23], v[0:1]
	s_cbranch_execz .LBB141_121
; %bb.110:                              ;   in Loop: Header=BB141_31 Depth=1
	v_mov_b32_e32 v5, v1
	v_mov_b32_e32 v2, v0
	;; [unrolled: 1-line block ×3, first 2 shown]
                                        ; implicit-def: $sgpr42
	s_inst_prefetch 0x1
	s_branch .LBB141_113
	.p2align	6
.LBB141_111:                            ;   in Loop: Header=BB141_113 Depth=2
	s_or_b32 exec_lo, exec_lo, s43
	s_waitcnt lgkmcnt(0)
	s_barrier
	buffer_gl0_inv
	ds_read_u16 v6, v3 offset:3072
	s_mov_b32 s43, -1
	s_mov_b32 s54, -1
	s_waitcnt lgkmcnt(0)
	s_barrier
	buffer_gl0_inv
	v_cmp_ne_u32_sdwa s1, v6, v3 src0_sel:BYTE_0 src1_sel:DWORD
	s_and_b32 vcc_lo, exec_lo, s1
	s_cbranch_vccz .LBB141_116
.LBB141_112:                            ;   in Loop: Header=BB141_113 Depth=2
	s_and_b32 s1, exec_lo, s43
	s_or_b32 s24, s1, s24
	s_andn2_b32 s1, s42, exec_lo
	s_and_b32 s42, s54, exec_lo
	s_or_b32 s42, s1, s42
	s_andn2_b32 exec_lo, exec_lo, s24
	s_cbranch_execz .LBB141_120
.LBB141_113:                            ;   Parent Loop BB141_31 Depth=1
                                        ; =>  This Inner Loop Header: Depth=2
	s_mov_b32 s43, exec_lo
	v_cmpx_gt_u64_e64 s[20:21], v[4:5]
	s_cbranch_execz .LBB141_111
; %bb.114:                              ;   in Loop: Header=BB141_113 Depth=2
	ds_read_u8 v6, v2
	s_waitcnt lgkmcnt(0)
	v_add_nc_u32_sdwa v7, sext(v6), v40 dst_sel:DWORD dst_unused:UNUSED_PAD src0_sel:BYTE_0 src1_sel:DWORD
	v_and_b32_e32 v7, v7, v11
	v_cmp_eq_u32_e32 vcc_lo, v7, v10
	s_and_b32 exec_lo, exec_lo, vcc_lo
	s_cbranch_execz .LBB141_111
; %bb.115:                              ;   in Loop: Header=BB141_113 Depth=2
	v_lshlrev_b16 v6, 8, v6
	v_or_b32_e32 v6, 1, v6
	ds_write_b16 v3, v6 offset:3072
	s_branch .LBB141_111
.LBB141_116:                            ;   in Loop: Header=BB141_113 Depth=2
	v_add_co_u32 v4, vcc_lo, v4, s33
	v_add_co_ci_u32_e64 v5, null, 0, v5, vcc_lo
	v_add_nc_u32_e32 v2, s33, v2
	s_mov_b32 s54, 0
	v_cmp_le_u64_e32 vcc_lo, s[22:23], v[4:5]
	s_orn2_b32 s43, vcc_lo, exec_lo
	s_branch .LBB141_112
.LBB141_117:                            ;   in Loop: Header=BB141_31 Depth=1
	s_or_b32 exec_lo, exec_lo, s12
	s_waitcnt lgkmcnt(0)
	s_barrier
	buffer_gl0_inv
	s_and_saveexec_b32 s1, s3
	s_cbranch_execz .LBB141_119
; %bb.118:                              ;   in Loop: Header=BB141_31 Depth=1
	ds_read_b32 v4, v3 offset:5144
	s_waitcnt lgkmcnt(0)
	v_ashrrev_i32_e32 v5, 31, v4
	ds_write_b64 v3, v[4:5] offset:5120
.LBB141_119:                            ;   in Loop: Header=BB141_31 Depth=1
	s_or_b32 exec_lo, exec_lo, s1
	s_waitcnt lgkmcnt(0)
	s_mov_b32 s6, -1
	s_barrier
	s_and_b32 vcc_lo, exec_lo, s2
	s_cbranch_vccnz .LBB141_46
	s_branch .LBB141_61
.LBB141_120:                            ;   in Loop: Header=BB141_31 Depth=1
	s_inst_prefetch 0x2
	s_or_b32 exec_lo, exec_lo, s24
	v_lshrrev_b32_sdwa v8, v41, v6 dst_sel:DWORD dst_unused:UNUSED_PAD src0_sel:DWORD src1_sel:WORD_0
	s_and_b32 s24, s42, exec_lo
.LBB141_121:                            ;   in Loop: Header=BB141_31 Depth=1
	s_or_b32 exec_lo, exec_lo, s25
.LBB141_122:                            ;   in Loop: Header=BB141_31 Depth=1
	s_and_b32 vcc_lo, exec_lo, s6
	s_cbranch_vccz .LBB141_136
; %bb.123:                              ;   in Loop: Header=BB141_31 Depth=1
	s_mov_b32 s58, s55
	s_cmp_lg_u64 s[58:59], 0
	s_cbranch_scc0 .LBB141_164
; %bb.124:                              ;   in Loop: Header=BB141_31 Depth=1
	v_cvt_f32_u32_e32 v2, s33
	s_sub_u32 s20, 0, s33
	s_subb_u32 s21, 0, 0
	v_fmac_f32_e64 v2, 0x4f800000, 0
	v_rcp_f32_e32 v2, v2
	v_mul_f32_e32 v2, 0x5f7ffffc, v2
	v_mul_f32_e32 v4, 0x2f800000, v2
	v_trunc_f32_e32 v4, v4
	v_fmac_f32_e32 v2, 0xcf800000, v4
	v_cvt_u32_f32_e32 v4, v4
	v_cvt_u32_f32_e32 v2, v2
	v_readfirstlane_b32 s1, v4
	v_readfirstlane_b32 s6, v2
	s_mul_i32 s22, s20, s1
	s_mul_hi_u32 s25, s20, s6
	s_mul_i32 s23, s21, s6
	s_add_i32 s22, s25, s22
	s_mul_i32 s42, s20, s6
	s_add_i32 s22, s22, s23
	s_mul_hi_u32 s25, s6, s42
	s_mul_i32 s54, s6, s22
	s_mul_hi_u32 s43, s1, s42
	s_mul_i32 s23, s1, s42
	s_mul_hi_u32 s42, s6, s22
	s_add_u32 s25, s25, s54
	s_addc_u32 s42, 0, s42
	s_mul_hi_u32 s58, s1, s22
	s_add_u32 s23, s25, s23
	s_mul_i32 s22, s1, s22
	s_addc_u32 s23, s42, s43
	s_addc_u32 s25, s58, 0
	s_add_u32 s22, s23, s22
	s_addc_u32 s23, 0, s25
	s_add_u32 s6, s6, s22
	s_cselect_b32 s22, -1, 0
	s_mul_hi_u32 s25, s20, s6
	s_cmp_lg_u32 s22, 0
	s_mul_i32 s22, s20, s6
	s_addc_u32 s1, s1, s23
	s_mul_i32 s21, s21, s6
	s_mul_i32 s20, s20, s1
	s_mul_hi_u32 s23, s6, s22
	s_add_i32 s20, s25, s20
	s_mul_hi_u32 s25, s1, s22
	s_add_i32 s20, s20, s21
	s_mul_i32 s21, s1, s22
	s_mul_i32 s43, s6, s20
	s_mul_hi_u32 s42, s6, s20
	s_add_u32 s23, s23, s43
	s_addc_u32 s42, 0, s42
	s_mul_hi_u32 s22, s1, s20
	s_add_u32 s21, s23, s21
	s_mul_i32 s20, s1, s20
	s_addc_u32 s21, s42, s25
	s_addc_u32 s22, s22, 0
	s_add_u32 s20, s21, s20
	s_addc_u32 s21, 0, s22
	s_add_u32 s6, s6, s20
	s_cselect_b32 s20, -1, 0
	s_mul_hi_u32 s22, s91, s6
	s_cmp_lg_u32 s20, 0
	s_mul_hi_u32 s20, s59, s6
	s_addc_u32 s1, s1, s21
	s_mul_i32 s6, s59, s6
	s_mul_i32 s23, s91, s1
	s_mul_hi_u32 s21, s91, s1
	s_add_u32 s22, s22, s23
	s_addc_u32 s21, 0, s21
	s_mul_hi_u32 s25, s59, s1
	s_add_u32 s6, s22, s6
	s_mul_i32 s1, s59, s1
	s_addc_u32 s6, s21, s20
	s_addc_u32 s20, s25, 0
	s_add_u32 s1, s6, s1
	s_addc_u32 s6, 0, s20
	s_mul_hi_u32 s20, s33, s1
	s_mul_i32 s6, s33, s6
	s_mul_i32 s1, s33, s1
	s_add_i32 s20, s20, s6
	s_sub_u32 s1, s91, s1
	s_cselect_b32 s6, -1, 0
	s_cmp_lg_u32 s6, 0
	s_subb_u32 s6, s59, s20
	s_sub_u32 s20, s1, s33
	s_cselect_b32 s21, -1, 0
	s_cmp_lg_u32 s21, 0
	s_subb_u32 s21, s6, 0
	;; [unrolled: 4-line block ×3, first 2 shown]
	s_cmp_ge_u32 s20, s33
	s_cselect_b32 s25, -1, 0
	s_cmp_eq_u32 s21, 0
	s_cselect_b32 s25, s25, -1
	s_cmp_lg_u32 s25, 0
	s_cselect_b32 s21, s23, s21
	s_cselect_b32 s20, s22, s20
	s_cmp_ge_u32 s1, s33
	s_cselect_b32 s22, -1, 0
	s_cmp_eq_u32 s6, 0
	s_cselect_b32 s22, s22, -1
	s_cmp_lg_u32 s22, 0
	s_cselect_b32 s21, s21, s6
	s_cselect_b32 s20, s20, s1
	s_cbranch_execnz .LBB141_126
.LBB141_125:                            ;   in Loop: Header=BB141_31 Depth=1
	v_cvt_f32_u32_e32 v2, s33
	s_sub_i32 s6, 0, s33
	v_rcp_iflag_f32_e32 v2, v2
	v_mul_f32_e32 v2, 0x4f7ffffe, v2
	v_cvt_u32_f32_e32 v2, v2
	v_readfirstlane_b32 s1, v2
	s_mul_i32 s6, s6, s1
	s_mul_hi_u32 s6, s1, s6
	s_add_i32 s1, s1, s6
	s_mul_hi_u32 s1, s91, s1
	s_mul_i32 s1, s1, s33
	s_sub_i32 s1, s91, s1
	s_sub_i32 s6, s1, s33
	s_cmp_ge_u32 s1, s33
	s_cselect_b32 s1, s6, s1
	s_sub_i32 s6, s1, s33
	s_cmp_ge_u32 s1, s33
	s_cselect_b32 s54, s6, s1
	s_mov_b64 s[20:21], s[54:55]
.LBB141_126:                            ;   in Loop: Header=BB141_31 Depth=1
	s_sub_u32 s20, s91, s20
	s_subb_u32 s21, s59, s21
	s_mov_b32 s22, exec_lo
                                        ; implicit-def: $vgpr8
	v_cmpx_gt_u64_e64 s[20:21], v[0:1]
	s_cbranch_execz .LBB141_135
; %bb.127:                              ;   in Loop: Header=BB141_31 Depth=1
	v_mov_b32_e32 v4, v26
	v_mov_b32_e32 v7, v1
	;; [unrolled: 1-line block ×4, first 2 shown]
	s_mov_b32 s23, 0
                                        ; implicit-def: $sgpr25
	s_inst_prefetch 0x1
	s_branch .LBB141_130
	.p2align	6
.LBB141_128:                            ;   in Loop: Header=BB141_130 Depth=2
	s_or_b32 exec_lo, exec_lo, s6
	s_waitcnt lgkmcnt(0)
	s_barrier
	buffer_gl0_inv
	ds_read_u16 v2, v3 offset:3072
	s_mov_b32 s6, -1
	s_mov_b32 s42, -1
	s_waitcnt lgkmcnt(0)
	s_barrier
	buffer_gl0_inv
	v_cmp_ne_u32_sdwa s1, v2, v3 src0_sel:BYTE_0 src1_sel:DWORD
	s_and_b32 vcc_lo, exec_lo, s1
	s_cbranch_vccz .LBB141_133
.LBB141_129:                            ;   in Loop: Header=BB141_130 Depth=2
	s_and_b32 s1, exec_lo, s6
	s_or_b32 s23, s1, s23
	s_andn2_b32 s1, s25, exec_lo
	s_and_b32 s6, s42, exec_lo
	s_or_b32 s25, s1, s6
	s_andn2_b32 exec_lo, exec_lo, s23
	s_cbranch_execz .LBB141_134
.LBB141_130:                            ;   Parent Loop BB141_31 Depth=1
                                        ; =>  This Inner Loop Header: Depth=2
	s_mov_b32 s6, exec_lo
	v_cmpx_gt_u64_e64 s[36:37], v[6:7]
	s_cbranch_execz .LBB141_128
; %bb.131:                              ;   in Loop: Header=BB141_130 Depth=2
	global_load_ubyte v2, v[4:5], off
	s_waitcnt vmcnt(0)
	v_add_nc_u32_sdwa v8, sext(v2), v40 dst_sel:DWORD dst_unused:UNUSED_PAD src0_sel:BYTE_0 src1_sel:DWORD
	v_and_b32_e32 v8, v8, v11
	v_cmp_eq_u32_e32 vcc_lo, v8, v10
	s_and_b32 exec_lo, exec_lo, vcc_lo
	s_cbranch_execz .LBB141_128
; %bb.132:                              ;   in Loop: Header=BB141_130 Depth=2
	v_lshlrev_b16 v2, 8, v2
	v_or_b32_e32 v2, 1, v2
	ds_write_b16 v3, v2 offset:3072
	s_branch .LBB141_128
.LBB141_133:                            ;   in Loop: Header=BB141_130 Depth=2
	v_add_co_u32 v6, vcc_lo, v6, s33
	v_add_co_ci_u32_e64 v7, null, 0, v7, vcc_lo
	v_add_co_u32 v4, s6, v4, s81
	v_add_co_ci_u32_e64 v5, null, s80, v5, s6
	v_cmp_le_u64_e32 vcc_lo, s[20:21], v[6:7]
	s_mov_b32 s42, 0
	s_orn2_b32 s6, vcc_lo, exec_lo
	s_branch .LBB141_129
.LBB141_134:                            ;   in Loop: Header=BB141_31 Depth=1
	s_inst_prefetch 0x2
	s_or_b32 exec_lo, exec_lo, s23
	v_lshrrev_b32_sdwa v8, v41, v2 dst_sel:DWORD dst_unused:UNUSED_PAD src0_sel:DWORD src1_sel:WORD_0
	s_andn2_b32 s1, s24, exec_lo
	s_and_b32 s6, s25, exec_lo
	s_or_b32 s24, s1, s6
.LBB141_135:                            ;   in Loop: Header=BB141_31 Depth=1
	s_or_b32 exec_lo, exec_lo, s22
	s_mov_b32 s68, 0
	s_mov_b32 s69, -1
.LBB141_136:                            ;   in Loop: Header=BB141_31 Depth=1
	s_orn2_b32 s6, s24, exec_lo
.LBB141_137:                            ;   in Loop: Header=BB141_31 Depth=1
	s_or_b32 exec_lo, exec_lo, s2
	s_mov_b32 s70, 0
	s_mov_b32 s67, 0
	;; [unrolled: 1-line block ×3, first 2 shown]
                                        ; implicit-def: $vgpr4_vgpr5
                                        ; implicit-def: $vgpr2
	s_and_saveexec_b32 s71, s6
	s_cbranch_execz .LBB141_295
; %bb.138:                              ;   in Loop: Header=BB141_31 Depth=1
	v_mov_b32_e32 v4, 1
	v_mov_b32_e32 v5, 0
	;; [unrolled: 1-line block ×3, first 2 shown]
	s_xor_b32 s1, s72, -1
	s_mov_b32 s6, 0
	s_and_saveexec_b32 s2, s1
	s_cbranch_execz .LBB141_147
; %bb.139:                              ;   in Loop: Header=BB141_31 Depth=1
	s_mov_b32 s1, exec_lo
	v_cmpx_ge_u64_e64 s[12:13], v[28:29]
	s_xor_b32 s6, exec_lo, s1
	s_cbranch_execz .LBB141_144
; %bb.140:                              ;   in Loop: Header=BB141_31 Depth=1
	ds_read_b64 v[4:5], v3 offset:5120
	v_and_b32_e32 v10, s26, v10
	v_or_b32_e32 v11, s11, v11
	s_waitcnt lgkmcnt(0)
	v_cmp_ne_u64_e32 vcc_lo, 0, v[4:5]
	s_cbranch_vccnz .LBB141_144
; %bb.141:                              ;   in Loop: Header=BB141_31 Depth=1
	s_and_saveexec_b32 s1, s3
; %bb.142:                              ;   in Loop: Header=BB141_31 Depth=1
	v_mov_b32_e32 v4, s12
	v_mov_b32_e32 v5, s13
	ds_write_b64 v3, v[4:5] offset:5128
; %bb.143:                              ;   in Loop: Header=BB141_31 Depth=1
	s_or_b32 exec_lo, exec_lo, s1
	s_waitcnt lgkmcnt(0)
	s_barrier
	buffer_gl0_inv
.LBB141_144:                            ;   in Loop: Header=BB141_31 Depth=1
	s_or_saveexec_b32 s6, s6
	v_mov_b32_e32 v4, v28
	v_mov_b32_e32 v2, 8
	;; [unrolled: 1-line block ×3, first 2 shown]
	s_mov_b32 s20, 0
	s_xor_b32 exec_lo, exec_lo, s6
; %bb.145:                              ;   in Loop: Header=BB141_31 Depth=1
	v_sub_co_u32 v4, vcc_lo, v28, s12
	v_subrev_co_ci_u32_e64 v5, null, s13, v29, vcc_lo
	v_mov_b32_e32 v2, 0
	s_mov_b32 s20, exec_lo
; %bb.146:                              ;   in Loop: Header=BB141_31 Depth=1
	s_or_b32 exec_lo, exec_lo, s6
	s_and_b32 s6, s20, exec_lo
.LBB141_147:                            ;   in Loop: Header=BB141_31 Depth=1
	s_or_b32 exec_lo, exec_lo, s2
	s_mov_b32 s2, -1
                                        ; implicit-def: $sgpr67
                                        ; implicit-def: $sgpr72
	s_and_saveexec_b32 s1, s6
	s_xor_b32 s66, exec_lo, s1
	s_cbranch_execz .LBB141_292
; %bb.148:                              ;   in Loop: Header=BB141_31 Depth=1
	v_cmp_eq_u64_e32 vcc_lo, 1, v[4:5]
	s_cmp_eq_u64 s[14:15], 1
                                        ; implicit-def: $sgpr72
                                        ; implicit-def: $sgpr67
	s_cselect_b32 s1, -1, 0
	s_and_b32 s74, s1, vcc_lo
	s_and_saveexec_b32 s73, s74
	s_cbranch_execz .LBB141_182
; %bb.149:                              ;   in Loop: Header=BB141_31 Depth=1
	ds_read_b64 v[6:7], v3 offset:5120
	s_waitcnt lgkmcnt(0)
	s_barrier
	buffer_gl0_inv
	v_readfirstlane_b32 s20, v6
	v_readfirstlane_b32 s21, v7
	s_and_saveexec_b32 s1, s10
; %bb.150:                              ;   in Loop: Header=BB141_31 Depth=1
	ds_write_b8 v0, v3 offset:3072
; %bb.151:                              ;   in Loop: Header=BB141_31 Depth=1
	s_or_b32 exec_lo, exec_lo, s1
	s_lshl_b32 s1, 1, vcc_hi
	v_or_b32_e32 v11, s11, v11
	v_and_or_b32 v10, v10, s26, s1
	s_mov_b32 s67, -1
	s_mov_b32 s72, 0
	s_cmp_eq_u64 s[20:21], 0
	s_mov_b32 s2, 0
	s_mov_b32 s6, -1
	s_waitcnt lgkmcnt(0)
	s_barrier
	buffer_gl0_inv
                                        ; implicit-def: $vgpr8
	s_cbranch_scc1 .LBB141_167
; %bb.152:                              ;   in Loop: Header=BB141_31 Depth=1
	s_add_u32 s2, s20, s89
	s_addc_u32 s23, s21, s90
	s_mov_b32 s22, s55
	s_cmp_lg_u64 s[22:23], 0
	s_cbranch_scc0 .LBB141_208
; %bb.153:                              ;   in Loop: Header=BB141_31 Depth=1
	v_cvt_f32_u32_e32 v6, s33
	s_sub_u32 s22, 0, s33
	s_subb_u32 s24, 0, 0
	v_fmac_f32_e64 v6, 0x4f800000, 0
	v_rcp_f32_e32 v6, v6
	v_mul_f32_e32 v6, 0x5f7ffffc, v6
	v_mul_f32_e32 v7, 0x2f800000, v6
	v_trunc_f32_e32 v7, v7
	v_fmac_f32_e32 v6, 0xcf800000, v7
	v_cvt_u32_f32_e32 v7, v7
	v_cvt_u32_f32_e32 v6, v6
	v_readfirstlane_b32 s1, v7
	v_readfirstlane_b32 s6, v6
	s_mul_i32 s25, s22, s1
	s_mul_hi_u32 s43, s22, s6
	s_mul_i32 s42, s24, s6
	s_add_i32 s25, s43, s25
	s_mul_i32 s54, s22, s6
	s_add_i32 s25, s25, s42
	s_mul_hi_u32 s43, s6, s54
	s_mul_i32 s75, s6, s25
	s_mul_hi_u32 s58, s1, s54
	s_mul_i32 s42, s1, s54
	s_mul_hi_u32 s54, s6, s25
	s_add_u32 s43, s43, s75
	s_addc_u32 s54, 0, s54
	s_mul_hi_u32 s76, s1, s25
	s_add_u32 s42, s43, s42
	s_mul_i32 s25, s1, s25
	s_addc_u32 s42, s54, s58
	s_addc_u32 s43, s76, 0
	s_add_u32 s25, s42, s25
	s_addc_u32 s42, 0, s43
	s_add_u32 s6, s6, s25
	s_cselect_b32 s25, -1, 0
	s_mul_hi_u32 s43, s22, s6
	s_cmp_lg_u32 s25, 0
	s_mul_i32 s25, s22, s6
	s_addc_u32 s1, s1, s42
	s_mul_i32 s24, s24, s6
	s_mul_i32 s22, s22, s1
	s_mul_hi_u32 s42, s6, s25
	s_add_i32 s22, s43, s22
	s_mul_hi_u32 s43, s1, s25
	s_add_i32 s22, s22, s24
	s_mul_i32 s24, s1, s25
	s_mul_i32 s58, s6, s22
	s_mul_hi_u32 s54, s6, s22
	s_add_u32 s42, s42, s58
	s_addc_u32 s54, 0, s54
	s_mul_hi_u32 s25, s1, s22
	s_add_u32 s24, s42, s24
	s_mul_i32 s22, s1, s22
	s_addc_u32 s24, s54, s43
	s_addc_u32 s25, s25, 0
	s_add_u32 s22, s24, s22
	s_addc_u32 s24, 0, s25
	s_add_u32 s6, s6, s22
	s_cselect_b32 s22, -1, 0
	s_mul_hi_u32 s25, s2, s6
	s_cmp_lg_u32 s22, 0
	s_mul_hi_u32 s22, s23, s6
	s_addc_u32 s1, s1, s24
	s_mul_i32 s6, s23, s6
	s_mul_i32 s42, s2, s1
	s_mul_hi_u32 s24, s2, s1
	s_add_u32 s25, s25, s42
	s_addc_u32 s24, 0, s24
	s_mul_hi_u32 s43, s23, s1
	s_add_u32 s6, s25, s6
	s_mul_i32 s1, s23, s1
	s_addc_u32 s6, s24, s22
	s_addc_u32 s22, s43, 0
	s_add_u32 s1, s6, s1
	s_addc_u32 s6, 0, s22
	s_mul_hi_u32 s22, s33, s1
	s_mul_i32 s6, s33, s6
	s_mul_i32 s1, s33, s1
	s_add_i32 s22, s22, s6
	s_sub_u32 s1, s2, s1
	s_cselect_b32 s6, -1, 0
	s_cmp_lg_u32 s6, 0
	s_subb_u32 s6, s23, s22
	s_sub_u32 s22, s1, s33
	s_cselect_b32 s24, -1, 0
	s_cmp_lg_u32 s24, 0
	s_subb_u32 s24, s6, 0
	;; [unrolled: 4-line block ×3, first 2 shown]
	s_cmp_ge_u32 s22, s33
	s_cselect_b32 s43, -1, 0
	s_cmp_eq_u32 s24, 0
	s_cselect_b32 s43, s43, -1
	s_cmp_lg_u32 s43, 0
	s_cselect_b32 s24, s42, s24
	s_cselect_b32 s22, s25, s22
	s_cmp_ge_u32 s1, s33
	s_cselect_b32 s25, -1, 0
	s_cmp_eq_u32 s6, 0
	s_cselect_b32 s25, s25, -1
	s_cmp_lg_u32 s25, 0
	s_cselect_b32 s25, s24, s6
	s_cselect_b32 s24, s22, s1
	s_cbranch_execnz .LBB141_155
.LBB141_154:                            ;   in Loop: Header=BB141_31 Depth=1
	v_cvt_f32_u32_e32 v6, s33
	s_sub_i32 s6, 0, s33
	v_rcp_iflag_f32_e32 v6, v6
	v_mul_f32_e32 v6, 0x4f7ffffe, v6
	v_cvt_u32_f32_e32 v6, v6
	v_readfirstlane_b32 s1, v6
	s_mul_i32 s6, s6, s1
	s_mul_hi_u32 s6, s1, s6
	s_add_i32 s1, s1, s6
	s_mul_hi_u32 s1, s2, s1
	s_mul_i32 s1, s1, s33
	s_sub_i32 s1, s2, s1
	s_sub_i32 s6, s1, s33
	s_cmp_ge_u32 s1, s33
	s_cselect_b32 s1, s6, s1
	s_sub_i32 s6, s1, s33
	s_cmp_ge_u32 s1, s33
	s_cselect_b32 s54, s6, s1
	s_mov_b64 s[24:25], s[54:55]
.LBB141_155:                            ;   in Loop: Header=BB141_31 Depth=1
	s_sub_u32 s22, s2, s24
	s_subb_u32 s23, s23, s25
	s_mov_b32 s6, 0
	s_mov_b32 s2, 0
	s_mov_b32 s24, exec_lo
                                        ; implicit-def: $vgpr8
	v_cmpx_gt_u64_e64 s[22:23], v[0:1]
	s_cbranch_execz .LBB141_166
; %bb.156:                              ;   in Loop: Header=BB141_31 Depth=1
	v_mov_b32_e32 v7, v1
	v_mov_b32_e32 v8, v0
	v_mov_b32_e32 v6, v0
                                        ; implicit-def: $sgpr25
	s_inst_prefetch 0x1
	s_branch .LBB141_159
	.p2align	6
.LBB141_157:                            ;   in Loop: Header=BB141_159 Depth=2
	s_or_b32 exec_lo, exec_lo, s42
	s_waitcnt lgkmcnt(0)
	s_barrier
	buffer_gl0_inv
	ds_read_u16 v9, v3 offset:3072
	s_mov_b32 s42, -1
	s_mov_b32 s43, -1
	s_waitcnt lgkmcnt(0)
	s_barrier
	buffer_gl0_inv
	v_cmp_ne_u32_sdwa s1, v9, v3 src0_sel:BYTE_0 src1_sel:DWORD
	s_and_b32 vcc_lo, exec_lo, s1
	s_cbranch_vccz .LBB141_162
.LBB141_158:                            ;   in Loop: Header=BB141_159 Depth=2
	s_and_b32 s1, exec_lo, s42
	s_or_b32 s2, s1, s2
	s_andn2_b32 s1, s25, exec_lo
	s_and_b32 s25, s43, exec_lo
	s_or_b32 s25, s1, s25
	s_andn2_b32 exec_lo, exec_lo, s2
	s_cbranch_execz .LBB141_165
.LBB141_159:                            ;   Parent Loop BB141_31 Depth=1
                                        ; =>  This Inner Loop Header: Depth=2
	s_mov_b32 s42, exec_lo
	v_cmpx_gt_u64_e64 s[20:21], v[6:7]
	s_cbranch_execz .LBB141_157
; %bb.160:                              ;   in Loop: Header=BB141_159 Depth=2
	ds_read_u8 v9, v8
	s_waitcnt lgkmcnt(0)
	v_add_nc_u32_sdwa v30, sext(v9), v40 dst_sel:DWORD dst_unused:UNUSED_PAD src0_sel:BYTE_0 src1_sel:DWORD
	v_and_b32_e32 v30, v30, v11
	v_cmp_eq_u32_e32 vcc_lo, v30, v10
	s_and_b32 exec_lo, exec_lo, vcc_lo
	s_cbranch_execz .LBB141_157
; %bb.161:                              ;   in Loop: Header=BB141_159 Depth=2
	v_lshlrev_b16 v9, 8, v9
	v_or_b32_e32 v9, 1, v9
	ds_write_b16 v3, v9 offset:3072
	s_branch .LBB141_157
.LBB141_162:                            ;   in Loop: Header=BB141_159 Depth=2
	v_add_co_u32 v6, vcc_lo, v6, s33
	v_add_co_ci_u32_e64 v7, null, 0, v7, vcc_lo
	v_add_nc_u32_e32 v8, s33, v8
	s_mov_b32 s43, 0
	v_cmp_le_u64_e32 vcc_lo, s[22:23], v[6:7]
	s_orn2_b32 s42, vcc_lo, exec_lo
	s_branch .LBB141_158
.LBB141_163:                            ;   in Loop: Header=BB141_31 Depth=1
                                        ; implicit-def: $sgpr24_sgpr25
	s_branch .LBB141_108
.LBB141_164:                            ;   in Loop: Header=BB141_31 Depth=1
                                        ; implicit-def: $sgpr20_sgpr21
	s_branch .LBB141_125
.LBB141_165:                            ;   in Loop: Header=BB141_31 Depth=1
	s_inst_prefetch 0x2
	s_or_b32 exec_lo, exec_lo, s2
	v_lshrrev_b32_sdwa v8, v41, v9 dst_sel:DWORD dst_unused:UNUSED_PAD src0_sel:DWORD src1_sel:WORD_0
	s_and_b32 s2, s25, exec_lo
.LBB141_166:                            ;   in Loop: Header=BB141_31 Depth=1
	s_or_b32 exec_lo, exec_lo, s24
.LBB141_167:                            ;   in Loop: Header=BB141_31 Depth=1
	s_and_b32 vcc_lo, exec_lo, s6
	s_cbranch_vccz .LBB141_181
; %bb.168:                              ;   in Loop: Header=BB141_31 Depth=1
	s_mov_b32 s58, s55
	s_cmp_lg_u64 s[58:59], 0
	s_cbranch_scc0 .LBB141_209
; %bb.169:                              ;   in Loop: Header=BB141_31 Depth=1
	v_cvt_f32_u32_e32 v6, s33
	s_sub_u32 s20, 0, s33
	s_subb_u32 s21, 0, 0
	v_fmac_f32_e64 v6, 0x4f800000, 0
	v_rcp_f32_e32 v6, v6
	v_mul_f32_e32 v6, 0x5f7ffffc, v6
	v_mul_f32_e32 v7, 0x2f800000, v6
	v_trunc_f32_e32 v7, v7
	v_fmac_f32_e32 v6, 0xcf800000, v7
	v_cvt_u32_f32_e32 v7, v7
	v_cvt_u32_f32_e32 v6, v6
	v_readfirstlane_b32 s1, v7
	v_readfirstlane_b32 s6, v6
	s_mul_i32 s22, s20, s1
	s_mul_hi_u32 s24, s20, s6
	s_mul_i32 s23, s21, s6
	s_add_i32 s22, s24, s22
	s_mul_i32 s25, s20, s6
	s_add_i32 s22, s22, s23
	s_mul_hi_u32 s24, s6, s25
	s_mul_i32 s43, s6, s22
	s_mul_hi_u32 s42, s1, s25
	s_mul_i32 s23, s1, s25
	s_mul_hi_u32 s25, s6, s22
	s_add_u32 s24, s24, s43
	s_addc_u32 s25, 0, s25
	s_mul_hi_u32 s54, s1, s22
	s_add_u32 s23, s24, s23
	s_mul_i32 s22, s1, s22
	s_addc_u32 s23, s25, s42
	s_addc_u32 s24, s54, 0
	s_add_u32 s22, s23, s22
	s_addc_u32 s23, 0, s24
	s_add_u32 s6, s6, s22
	s_cselect_b32 s22, -1, 0
	s_mul_hi_u32 s24, s20, s6
	s_cmp_lg_u32 s22, 0
	s_mul_i32 s22, s20, s6
	s_addc_u32 s1, s1, s23
	s_mul_i32 s21, s21, s6
	s_mul_i32 s20, s20, s1
	s_mul_hi_u32 s23, s6, s22
	s_add_i32 s20, s24, s20
	s_mul_hi_u32 s24, s1, s22
	s_add_i32 s20, s20, s21
	s_mul_i32 s21, s1, s22
	s_mul_i32 s42, s6, s20
	s_mul_hi_u32 s25, s6, s20
	s_add_u32 s23, s23, s42
	s_addc_u32 s25, 0, s25
	s_mul_hi_u32 s22, s1, s20
	s_add_u32 s21, s23, s21
	s_mul_i32 s20, s1, s20
	s_addc_u32 s21, s25, s24
	s_addc_u32 s22, s22, 0
	s_add_u32 s20, s21, s20
	s_addc_u32 s21, 0, s22
	s_add_u32 s6, s6, s20
	s_cselect_b32 s20, -1, 0
	s_mul_hi_u32 s22, s91, s6
	s_cmp_lg_u32 s20, 0
	s_mul_hi_u32 s20, s59, s6
	s_addc_u32 s1, s1, s21
	s_mul_i32 s6, s59, s6
	s_mul_i32 s23, s91, s1
	s_mul_hi_u32 s21, s91, s1
	s_add_u32 s22, s22, s23
	s_addc_u32 s21, 0, s21
	s_mul_hi_u32 s24, s59, s1
	s_add_u32 s6, s22, s6
	s_mul_i32 s1, s59, s1
	s_addc_u32 s6, s21, s20
	s_addc_u32 s20, s24, 0
	s_add_u32 s1, s6, s1
	s_addc_u32 s6, 0, s20
	s_mul_hi_u32 s20, s33, s1
	s_mul_i32 s6, s33, s6
	s_mul_i32 s1, s33, s1
	s_add_i32 s20, s20, s6
	s_sub_u32 s1, s91, s1
	s_cselect_b32 s6, -1, 0
	s_cmp_lg_u32 s6, 0
	s_subb_u32 s6, s59, s20
	s_sub_u32 s20, s1, s33
	s_cselect_b32 s21, -1, 0
	s_cmp_lg_u32 s21, 0
	s_subb_u32 s21, s6, 0
	;; [unrolled: 4-line block ×3, first 2 shown]
	s_cmp_ge_u32 s20, s33
	s_cselect_b32 s24, -1, 0
	s_cmp_eq_u32 s21, 0
	s_cselect_b32 s24, s24, -1
	s_cmp_lg_u32 s24, 0
	s_cselect_b32 s21, s23, s21
	s_cselect_b32 s20, s22, s20
	s_cmp_ge_u32 s1, s33
	s_cselect_b32 s22, -1, 0
	s_cmp_eq_u32 s6, 0
	s_cselect_b32 s22, s22, -1
	s_cmp_lg_u32 s22, 0
	s_cselect_b32 s21, s21, s6
	s_cselect_b32 s20, s20, s1
	s_cbranch_execnz .LBB141_171
.LBB141_170:                            ;   in Loop: Header=BB141_31 Depth=1
	v_cvt_f32_u32_e32 v6, s33
	s_sub_i32 s6, 0, s33
	v_rcp_iflag_f32_e32 v6, v6
	v_mul_f32_e32 v6, 0x4f7ffffe, v6
	v_cvt_u32_f32_e32 v6, v6
	v_readfirstlane_b32 s1, v6
	s_mul_i32 s6, s6, s1
	s_mul_hi_u32 s6, s1, s6
	s_add_i32 s1, s1, s6
	s_mul_hi_u32 s1, s91, s1
	s_mul_i32 s1, s1, s33
	s_sub_i32 s1, s91, s1
	s_sub_i32 s6, s1, s33
	s_cmp_ge_u32 s1, s33
	s_cselect_b32 s1, s6, s1
	s_sub_i32 s6, s1, s33
	s_cmp_ge_u32 s1, s33
	s_cselect_b32 s54, s6, s1
	s_mov_b64 s[20:21], s[54:55]
.LBB141_171:                            ;   in Loop: Header=BB141_31 Depth=1
	s_sub_u32 s20, s91, s20
	s_subb_u32 s21, s59, s21
	s_mov_b32 s22, exec_lo
                                        ; implicit-def: $vgpr8
	v_cmpx_gt_u64_e64 s[20:21], v[0:1]
	s_cbranch_execz .LBB141_180
; %bb.172:                              ;   in Loop: Header=BB141_31 Depth=1
	v_mov_b32_e32 v6, v26
	v_mov_b32_e32 v9, v1
	;; [unrolled: 1-line block ×4, first 2 shown]
	s_mov_b32 s23, 0
                                        ; implicit-def: $sgpr24
	s_inst_prefetch 0x1
	s_branch .LBB141_175
	.p2align	6
.LBB141_173:                            ;   in Loop: Header=BB141_175 Depth=2
	s_or_b32 exec_lo, exec_lo, s6
	s_waitcnt lgkmcnt(0)
	s_barrier
	buffer_gl0_inv
	ds_read_u16 v30, v3 offset:3072
	s_mov_b32 s6, -1
	s_mov_b32 s25, -1
	s_waitcnt lgkmcnt(0)
	s_barrier
	buffer_gl0_inv
	v_cmp_eq_u32_sdwa s1, v30, v3 src0_sel:BYTE_0 src1_sel:DWORD
	s_and_b32 vcc_lo, exec_lo, s1
	s_cbranch_vccnz .LBB141_178
.LBB141_174:                            ;   in Loop: Header=BB141_175 Depth=2
	s_and_b32 s1, exec_lo, s6
	s_or_b32 s23, s1, s23
	s_andn2_b32 s1, s24, exec_lo
	s_and_b32 s6, s25, exec_lo
	s_or_b32 s24, s1, s6
	s_andn2_b32 exec_lo, exec_lo, s23
	s_cbranch_execz .LBB141_179
.LBB141_175:                            ;   Parent Loop BB141_31 Depth=1
                                        ; =>  This Inner Loop Header: Depth=2
	s_mov_b32 s6, exec_lo
	v_cmpx_gt_u64_e64 s[36:37], v[8:9]
	s_cbranch_execz .LBB141_173
; %bb.176:                              ;   in Loop: Header=BB141_175 Depth=2
	global_load_ubyte v30, v[6:7], off
	s_waitcnt vmcnt(0)
	v_add_nc_u32_sdwa v31, sext(v30), v40 dst_sel:DWORD dst_unused:UNUSED_PAD src0_sel:BYTE_0 src1_sel:DWORD
	v_and_b32_e32 v31, v31, v11
	v_cmp_eq_u32_e32 vcc_lo, v31, v10
	s_and_b32 exec_lo, exec_lo, vcc_lo
	s_cbranch_execz .LBB141_173
; %bb.177:                              ;   in Loop: Header=BB141_175 Depth=2
	v_lshlrev_b16 v30, 8, v30
	v_or_b32_e32 v30, 1, v30
	ds_write_b16 v3, v30 offset:3072
	s_branch .LBB141_173
.LBB141_178:                            ;   in Loop: Header=BB141_175 Depth=2
	v_add_co_u32 v8, vcc_lo, v8, s33
	v_add_co_ci_u32_e64 v9, null, 0, v9, vcc_lo
	v_add_co_u32 v6, s6, v6, s81
	v_add_co_ci_u32_e64 v7, null, s80, v7, s6
	v_cmp_le_u64_e32 vcc_lo, s[20:21], v[8:9]
	s_mov_b32 s25, 0
	s_orn2_b32 s6, vcc_lo, exec_lo
	s_branch .LBB141_174
.LBB141_179:                            ;   in Loop: Header=BB141_31 Depth=1
	s_inst_prefetch 0x2
	s_or_b32 exec_lo, exec_lo, s23
	v_lshrrev_b32_sdwa v8, v41, v30 dst_sel:DWORD dst_unused:UNUSED_PAD src0_sel:DWORD src1_sel:WORD_0
	s_andn2_b32 s1, s2, exec_lo
	s_and_b32 s2, s24, exec_lo
	s_or_b32 s2, s1, s2
.LBB141_180:                            ;   in Loop: Header=BB141_31 Depth=1
	s_or_b32 exec_lo, exec_lo, s22
	s_mov_b32 s67, 0
	s_mov_b32 s72, -1
.LBB141_181:                            ;   in Loop: Header=BB141_31 Depth=1
	s_orn2_b32 s2, s2, exec_lo
.LBB141_182:                            ;   in Loop: Header=BB141_31 Depth=1
	s_or_b32 exec_lo, exec_lo, s73
	s_mov_b32 s6, 0
	s_and_saveexec_b32 s73, s2
	s_cbranch_execz .LBB141_291
; %bb.183:                              ;   in Loop: Header=BB141_31 Depth=1
	v_mov_b32_e32 v6, 1
	v_mov_b32_e32 v7, 0
	v_mov_b32_e32 v2, 1
	s_xor_b32 s1, s74, -1
	s_and_saveexec_b32 s2, s1
	s_cbranch_execz .LBB141_192
; %bb.184:                              ;   in Loop: Header=BB141_31 Depth=1
	s_mov_b32 s1, exec_lo
	v_cmpx_ge_u64_e64 s[14:15], v[4:5]
	s_xor_b32 s6, exec_lo, s1
	s_cbranch_execz .LBB141_189
; %bb.185:                              ;   in Loop: Header=BB141_31 Depth=1
	ds_read_b64 v[6:7], v3 offset:5120
	s_lshl_b32 s1, 1, vcc_hi
	v_or_b32_e32 v11, s11, v11
	v_and_or_b32 v10, v10, s26, s1
	s_waitcnt lgkmcnt(0)
	v_cmp_ne_u64_e32 vcc_lo, 0, v[6:7]
	s_cbranch_vccnz .LBB141_189
; %bb.186:                              ;   in Loop: Header=BB141_31 Depth=1
	s_and_saveexec_b32 s1, s3
; %bb.187:                              ;   in Loop: Header=BB141_31 Depth=1
	v_mov_b32_e32 v6, s14
	v_mov_b32_e32 v7, s15
	ds_write_b64 v3, v[6:7] offset:5128
; %bb.188:                              ;   in Loop: Header=BB141_31 Depth=1
	s_or_b32 exec_lo, exec_lo, s1
	s_waitcnt lgkmcnt(0)
	s_barrier
	buffer_gl0_inv
.LBB141_189:                            ;   in Loop: Header=BB141_31 Depth=1
	s_or_saveexec_b32 s6, s6
	v_mov_b32_e32 v2, 8
	s_mov_b32 s20, 0
	s_xor_b32 exec_lo, exec_lo, s6
; %bb.190:                              ;   in Loop: Header=BB141_31 Depth=1
	v_sub_co_u32 v4, vcc_lo, v4, s14
	v_subrev_co_ci_u32_e64 v5, null, s15, v5, vcc_lo
	v_mov_b32_e32 v2, 0
	s_mov_b32 s20, exec_lo
; %bb.191:                              ;   in Loop: Header=BB141_31 Depth=1
	s_or_b32 exec_lo, exec_lo, s6
	v_mov_b32_e32 v7, v5
	v_mov_b32_e32 v6, v4
	s_and_b32 s6, s20, exec_lo
.LBB141_192:                            ;   in Loop: Header=BB141_31 Depth=1
	s_or_b32 exec_lo, exec_lo, s2
	s_mov_b32 s2, -1
                                        ; implicit-def: $sgpr75
                                        ; implicit-def: $sgpr76
	s_and_saveexec_b32 s74, s6
	s_cbranch_execz .LBB141_290
; %bb.193:                              ;   in Loop: Header=BB141_31 Depth=1
	v_cmp_eq_u64_e32 vcc_lo, 1, v[6:7]
	s_cmp_eq_u64 s[16:17], 1
                                        ; implicit-def: $sgpr76
                                        ; implicit-def: $sgpr75
	s_cselect_b32 s1, -1, 0
	s_and_b32 s78, s1, vcc_lo
	s_and_saveexec_b32 s77, s78
	s_cbranch_execz .LBB141_227
; %bb.194:                              ;   in Loop: Header=BB141_31 Depth=1
	ds_read_b64 v[4:5], v3 offset:5120
	s_waitcnt lgkmcnt(0)
	s_barrier
	buffer_gl0_inv
	v_readfirstlane_b32 s20, v4
	v_readfirstlane_b32 s21, v5
	s_and_saveexec_b32 s1, s10
; %bb.195:                              ;   in Loop: Header=BB141_31 Depth=1
	ds_write_b8 v0, v3 offset:3072
; %bb.196:                              ;   in Loop: Header=BB141_31 Depth=1
	s_or_b32 exec_lo, exec_lo, s1
	s_lshl_b32 s1, 2, vcc_hi
	v_or_b32_e32 v11, s11, v11
	v_and_or_b32 v10, v10, s26, s1
	s_mov_b32 s75, -1
	s_mov_b32 s76, 0
	s_cmp_eq_u64 s[20:21], 0
	s_mov_b32 s2, 0
	s_mov_b32 s6, -1
	s_waitcnt lgkmcnt(0)
	s_barrier
	buffer_gl0_inv
                                        ; implicit-def: $vgpr8
	s_cbranch_scc1 .LBB141_212
; %bb.197:                              ;   in Loop: Header=BB141_31 Depth=1
	s_add_u32 s2, s20, s89
	s_addc_u32 s23, s21, s90
	s_mov_b32 s22, s55
	s_cmp_lg_u64 s[22:23], 0
	s_cbranch_scc0 .LBB141_244
; %bb.198:                              ;   in Loop: Header=BB141_31 Depth=1
	v_cvt_f32_u32_e32 v4, s33
	s_sub_u32 s22, 0, s33
	s_subb_u32 s24, 0, 0
	v_fmac_f32_e64 v4, 0x4f800000, 0
	v_rcp_f32_e32 v4, v4
	v_mul_f32_e32 v4, 0x5f7ffffc, v4
	v_mul_f32_e32 v5, 0x2f800000, v4
	v_trunc_f32_e32 v5, v5
	v_fmac_f32_e32 v4, 0xcf800000, v5
	v_cvt_u32_f32_e32 v5, v5
	v_cvt_u32_f32_e32 v4, v4
	v_readfirstlane_b32 s1, v5
	v_readfirstlane_b32 s6, v4
	s_mul_i32 s25, s22, s1
	s_mul_hi_u32 s43, s22, s6
	s_mul_i32 s42, s24, s6
	s_add_i32 s25, s43, s25
	s_mul_i32 s54, s22, s6
	s_add_i32 s25, s25, s42
	s_mul_hi_u32 s43, s6, s54
	s_mul_i32 s79, s6, s25
	s_mul_hi_u32 s58, s1, s54
	s_mul_i32 s42, s1, s54
	s_mul_hi_u32 s54, s6, s25
	s_add_u32 s43, s43, s79
	s_addc_u32 s54, 0, s54
	s_mul_hi_u32 vcc_lo, s1, s25
	s_add_u32 s42, s43, s42
	s_mul_i32 s25, s1, s25
	s_addc_u32 s42, s54, s58
	s_addc_u32 s43, vcc_lo, 0
	s_add_u32 s25, s42, s25
	s_addc_u32 s42, 0, s43
	s_add_u32 s6, s6, s25
	s_cselect_b32 s25, -1, 0
	s_mul_hi_u32 s43, s22, s6
	s_cmp_lg_u32 s25, 0
	s_mul_i32 s25, s22, s6
	s_addc_u32 s1, s1, s42
	s_mul_i32 s24, s24, s6
	s_mul_i32 s22, s22, s1
	s_mul_hi_u32 s42, s6, s25
	s_add_i32 s22, s43, s22
	s_mul_hi_u32 s43, s1, s25
	s_add_i32 s22, s22, s24
	s_mul_i32 s24, s1, s25
	s_mul_i32 s58, s6, s22
	s_mul_hi_u32 s54, s6, s22
	s_add_u32 s42, s42, s58
	s_addc_u32 s54, 0, s54
	s_mul_hi_u32 s25, s1, s22
	s_add_u32 s24, s42, s24
	s_mul_i32 s22, s1, s22
	s_addc_u32 s24, s54, s43
	s_addc_u32 s25, s25, 0
	s_add_u32 s22, s24, s22
	s_addc_u32 s24, 0, s25
	s_add_u32 s6, s6, s22
	s_cselect_b32 s22, -1, 0
	s_mul_hi_u32 s25, s2, s6
	s_cmp_lg_u32 s22, 0
	s_mul_hi_u32 s22, s23, s6
	s_addc_u32 s1, s1, s24
	s_mul_i32 s6, s23, s6
	s_mul_i32 s42, s2, s1
	s_mul_hi_u32 s24, s2, s1
	s_add_u32 s25, s25, s42
	s_addc_u32 s24, 0, s24
	s_mul_hi_u32 s43, s23, s1
	s_add_u32 s6, s25, s6
	s_mul_i32 s1, s23, s1
	s_addc_u32 s6, s24, s22
	s_addc_u32 s22, s43, 0
	s_add_u32 s1, s6, s1
	s_addc_u32 s6, 0, s22
	s_mul_hi_u32 s22, s33, s1
	s_mul_i32 s6, s33, s6
	s_mul_i32 s1, s33, s1
	s_add_i32 s22, s22, s6
	s_sub_u32 s1, s2, s1
	s_cselect_b32 s6, -1, 0
	s_cmp_lg_u32 s6, 0
	s_subb_u32 s6, s23, s22
	s_sub_u32 s22, s1, s33
	s_cselect_b32 s24, -1, 0
	s_cmp_lg_u32 s24, 0
	s_subb_u32 s24, s6, 0
	;; [unrolled: 4-line block ×3, first 2 shown]
	s_cmp_ge_u32 s22, s33
	s_cselect_b32 s43, -1, 0
	s_cmp_eq_u32 s24, 0
	s_cselect_b32 s43, s43, -1
	s_cmp_lg_u32 s43, 0
	s_cselect_b32 s24, s42, s24
	s_cselect_b32 s22, s25, s22
	s_cmp_ge_u32 s1, s33
	s_cselect_b32 s25, -1, 0
	s_cmp_eq_u32 s6, 0
	s_cselect_b32 s25, s25, -1
	s_cmp_lg_u32 s25, 0
	s_cselect_b32 s25, s24, s6
	s_cselect_b32 s24, s22, s1
	s_cbranch_execnz .LBB141_200
.LBB141_199:                            ;   in Loop: Header=BB141_31 Depth=1
	v_cvt_f32_u32_e32 v4, s33
	s_sub_i32 s6, 0, s33
	v_rcp_iflag_f32_e32 v4, v4
	v_mul_f32_e32 v4, 0x4f7ffffe, v4
	v_cvt_u32_f32_e32 v4, v4
	v_readfirstlane_b32 s1, v4
	s_mul_i32 s6, s6, s1
	s_mul_hi_u32 s6, s1, s6
	s_add_i32 s1, s1, s6
	s_mul_hi_u32 s1, s2, s1
	s_mul_i32 s1, s1, s33
	s_sub_i32 s1, s2, s1
	s_sub_i32 s6, s1, s33
	s_cmp_ge_u32 s1, s33
	s_cselect_b32 s1, s6, s1
	s_sub_i32 s6, s1, s33
	s_cmp_ge_u32 s1, s33
	s_cselect_b32 s54, s6, s1
	s_mov_b64 s[24:25], s[54:55]
.LBB141_200:                            ;   in Loop: Header=BB141_31 Depth=1
	s_sub_u32 s22, s2, s24
	s_subb_u32 s23, s23, s25
	s_mov_b32 s6, 0
	s_mov_b32 s2, 0
	s_mov_b32 s24, exec_lo
                                        ; implicit-def: $vgpr8
	v_cmpx_gt_u64_e64 s[22:23], v[0:1]
	s_cbranch_execz .LBB141_211
; %bb.201:                              ;   in Loop: Header=BB141_31 Depth=1
	v_mov_b32_e32 v5, v1
	v_mov_b32_e32 v8, v0
	;; [unrolled: 1-line block ×3, first 2 shown]
                                        ; implicit-def: $sgpr25
	s_inst_prefetch 0x1
	s_branch .LBB141_204
	.p2align	6
.LBB141_202:                            ;   in Loop: Header=BB141_204 Depth=2
	s_or_b32 exec_lo, exec_lo, s42
	s_waitcnt lgkmcnt(0)
	s_barrier
	buffer_gl0_inv
	ds_read_u16 v9, v3 offset:3072
	s_mov_b32 s42, -1
	s_mov_b32 s43, -1
	s_waitcnt lgkmcnt(0)
	s_barrier
	buffer_gl0_inv
	v_cmp_ne_u32_sdwa s1, v9, v3 src0_sel:BYTE_0 src1_sel:DWORD
	s_and_b32 vcc_lo, exec_lo, s1
	s_cbranch_vccz .LBB141_207
.LBB141_203:                            ;   in Loop: Header=BB141_204 Depth=2
	s_and_b32 s1, exec_lo, s42
	s_or_b32 s2, s1, s2
	s_andn2_b32 s1, s25, exec_lo
	s_and_b32 s25, s43, exec_lo
	s_or_b32 s25, s1, s25
	s_andn2_b32 exec_lo, exec_lo, s2
	s_cbranch_execz .LBB141_210
.LBB141_204:                            ;   Parent Loop BB141_31 Depth=1
                                        ; =>  This Inner Loop Header: Depth=2
	s_mov_b32 s42, exec_lo
	v_cmpx_gt_u64_e64 s[20:21], v[4:5]
	s_cbranch_execz .LBB141_202
; %bb.205:                              ;   in Loop: Header=BB141_204 Depth=2
	ds_read_u8 v9, v8
	s_waitcnt lgkmcnt(0)
	v_add_nc_u32_sdwa v30, sext(v9), v40 dst_sel:DWORD dst_unused:UNUSED_PAD src0_sel:BYTE_0 src1_sel:DWORD
	v_and_b32_e32 v30, v30, v11
	v_cmp_eq_u32_e32 vcc_lo, v30, v10
	s_and_b32 exec_lo, exec_lo, vcc_lo
	s_cbranch_execz .LBB141_202
; %bb.206:                              ;   in Loop: Header=BB141_204 Depth=2
	v_lshlrev_b16 v9, 8, v9
	v_or_b32_e32 v9, 1, v9
	ds_write_b16 v3, v9 offset:3072
	s_branch .LBB141_202
.LBB141_207:                            ;   in Loop: Header=BB141_204 Depth=2
	v_add_co_u32 v4, vcc_lo, v4, s33
	v_add_co_ci_u32_e64 v5, null, 0, v5, vcc_lo
	v_add_nc_u32_e32 v8, s33, v8
	s_mov_b32 s43, 0
	v_cmp_le_u64_e32 vcc_lo, s[22:23], v[4:5]
	s_orn2_b32 s42, vcc_lo, exec_lo
	s_branch .LBB141_203
.LBB141_208:                            ;   in Loop: Header=BB141_31 Depth=1
                                        ; implicit-def: $sgpr24_sgpr25
	s_branch .LBB141_154
.LBB141_209:                            ;   in Loop: Header=BB141_31 Depth=1
                                        ; implicit-def: $sgpr20_sgpr21
	s_branch .LBB141_170
.LBB141_210:                            ;   in Loop: Header=BB141_31 Depth=1
	s_inst_prefetch 0x2
	s_or_b32 exec_lo, exec_lo, s2
	v_lshrrev_b32_sdwa v8, v41, v9 dst_sel:DWORD dst_unused:UNUSED_PAD src0_sel:DWORD src1_sel:WORD_0
	s_and_b32 s2, s25, exec_lo
.LBB141_211:                            ;   in Loop: Header=BB141_31 Depth=1
	s_or_b32 exec_lo, exec_lo, s24
.LBB141_212:                            ;   in Loop: Header=BB141_31 Depth=1
	s_and_b32 vcc_lo, exec_lo, s6
	s_cbranch_vccz .LBB141_226
; %bb.213:                              ;   in Loop: Header=BB141_31 Depth=1
	s_mov_b32 s58, s55
	s_cmp_lg_u64 s[58:59], 0
	s_cbranch_scc0 .LBB141_245
; %bb.214:                              ;   in Loop: Header=BB141_31 Depth=1
	v_cvt_f32_u32_e32 v4, s33
	s_sub_u32 s20, 0, s33
	s_subb_u32 s21, 0, 0
	v_fmac_f32_e64 v4, 0x4f800000, 0
	v_rcp_f32_e32 v4, v4
	v_mul_f32_e32 v4, 0x5f7ffffc, v4
	v_mul_f32_e32 v5, 0x2f800000, v4
	v_trunc_f32_e32 v5, v5
	v_fmac_f32_e32 v4, 0xcf800000, v5
	v_cvt_u32_f32_e32 v5, v5
	v_cvt_u32_f32_e32 v4, v4
	v_readfirstlane_b32 s1, v5
	v_readfirstlane_b32 s6, v4
	s_mul_i32 s22, s20, s1
	s_mul_hi_u32 s24, s20, s6
	s_mul_i32 s23, s21, s6
	s_add_i32 s22, s24, s22
	s_mul_i32 s25, s20, s6
	s_add_i32 s22, s22, s23
	s_mul_hi_u32 s24, s6, s25
	s_mul_i32 s43, s6, s22
	s_mul_hi_u32 s42, s1, s25
	s_mul_i32 s23, s1, s25
	s_mul_hi_u32 s25, s6, s22
	s_add_u32 s24, s24, s43
	s_addc_u32 s25, 0, s25
	s_mul_hi_u32 s54, s1, s22
	s_add_u32 s23, s24, s23
	s_mul_i32 s22, s1, s22
	s_addc_u32 s23, s25, s42
	s_addc_u32 s24, s54, 0
	s_add_u32 s22, s23, s22
	s_addc_u32 s23, 0, s24
	s_add_u32 s6, s6, s22
	s_cselect_b32 s22, -1, 0
	s_mul_hi_u32 s24, s20, s6
	s_cmp_lg_u32 s22, 0
	s_mul_i32 s22, s20, s6
	s_addc_u32 s1, s1, s23
	s_mul_i32 s21, s21, s6
	s_mul_i32 s20, s20, s1
	s_mul_hi_u32 s23, s6, s22
	s_add_i32 s20, s24, s20
	s_mul_hi_u32 s24, s1, s22
	s_add_i32 s20, s20, s21
	s_mul_i32 s21, s1, s22
	s_mul_i32 s42, s6, s20
	s_mul_hi_u32 s25, s6, s20
	s_add_u32 s23, s23, s42
	s_addc_u32 s25, 0, s25
	s_mul_hi_u32 s22, s1, s20
	s_add_u32 s21, s23, s21
	s_mul_i32 s20, s1, s20
	s_addc_u32 s21, s25, s24
	s_addc_u32 s22, s22, 0
	s_add_u32 s20, s21, s20
	s_addc_u32 s21, 0, s22
	s_add_u32 s6, s6, s20
	s_cselect_b32 s20, -1, 0
	s_mul_hi_u32 s22, s91, s6
	s_cmp_lg_u32 s20, 0
	s_mul_hi_u32 s20, s59, s6
	s_addc_u32 s1, s1, s21
	s_mul_i32 s6, s59, s6
	s_mul_i32 s23, s91, s1
	s_mul_hi_u32 s21, s91, s1
	s_add_u32 s22, s22, s23
	s_addc_u32 s21, 0, s21
	s_mul_hi_u32 s24, s59, s1
	s_add_u32 s6, s22, s6
	s_mul_i32 s1, s59, s1
	s_addc_u32 s6, s21, s20
	s_addc_u32 s20, s24, 0
	s_add_u32 s1, s6, s1
	s_addc_u32 s6, 0, s20
	s_mul_hi_u32 s20, s33, s1
	s_mul_i32 s6, s33, s6
	s_mul_i32 s1, s33, s1
	s_add_i32 s20, s20, s6
	s_sub_u32 s1, s91, s1
	s_cselect_b32 s6, -1, 0
	s_cmp_lg_u32 s6, 0
	s_subb_u32 s6, s59, s20
	s_sub_u32 s20, s1, s33
	s_cselect_b32 s21, -1, 0
	s_cmp_lg_u32 s21, 0
	s_subb_u32 s21, s6, 0
	;; [unrolled: 4-line block ×3, first 2 shown]
	s_cmp_ge_u32 s20, s33
	s_cselect_b32 s24, -1, 0
	s_cmp_eq_u32 s21, 0
	s_cselect_b32 s24, s24, -1
	s_cmp_lg_u32 s24, 0
	s_cselect_b32 s21, s23, s21
	s_cselect_b32 s20, s22, s20
	s_cmp_ge_u32 s1, s33
	s_cselect_b32 s22, -1, 0
	s_cmp_eq_u32 s6, 0
	s_cselect_b32 s22, s22, -1
	s_cmp_lg_u32 s22, 0
	s_cselect_b32 s21, s21, s6
	s_cselect_b32 s20, s20, s1
	s_cbranch_execnz .LBB141_216
.LBB141_215:                            ;   in Loop: Header=BB141_31 Depth=1
	v_cvt_f32_u32_e32 v4, s33
	s_sub_i32 s6, 0, s33
	v_rcp_iflag_f32_e32 v4, v4
	v_mul_f32_e32 v4, 0x4f7ffffe, v4
	v_cvt_u32_f32_e32 v4, v4
	v_readfirstlane_b32 s1, v4
	s_mul_i32 s6, s6, s1
	s_mul_hi_u32 s6, s1, s6
	s_add_i32 s1, s1, s6
	s_mul_hi_u32 s1, s91, s1
	s_mul_i32 s1, s1, s33
	s_sub_i32 s1, s91, s1
	s_sub_i32 s6, s1, s33
	s_cmp_ge_u32 s1, s33
	s_cselect_b32 s1, s6, s1
	s_sub_i32 s6, s1, s33
	s_cmp_ge_u32 s1, s33
	s_cselect_b32 s54, s6, s1
	s_mov_b64 s[20:21], s[54:55]
.LBB141_216:                            ;   in Loop: Header=BB141_31 Depth=1
	s_sub_u32 s20, s91, s20
	s_subb_u32 s21, s59, s21
	s_mov_b32 s22, exec_lo
                                        ; implicit-def: $vgpr8
	v_cmpx_gt_u64_e64 s[20:21], v[0:1]
	s_cbranch_execz .LBB141_225
; %bb.217:                              ;   in Loop: Header=BB141_31 Depth=1
	v_mov_b32_e32 v4, v26
	v_mov_b32_e32 v9, v1
	;; [unrolled: 1-line block ×4, first 2 shown]
	s_mov_b32 s23, 0
                                        ; implicit-def: $sgpr24
	s_inst_prefetch 0x1
	s_branch .LBB141_220
	.p2align	6
.LBB141_218:                            ;   in Loop: Header=BB141_220 Depth=2
	s_or_b32 exec_lo, exec_lo, s6
	s_waitcnt lgkmcnt(0)
	s_barrier
	buffer_gl0_inv
	ds_read_u16 v30, v3 offset:3072
	s_mov_b32 s6, -1
	s_mov_b32 s25, -1
	s_waitcnt lgkmcnt(0)
	s_barrier
	buffer_gl0_inv
	v_cmp_eq_u32_sdwa s1, v30, v3 src0_sel:BYTE_0 src1_sel:DWORD
	s_and_b32 vcc_lo, exec_lo, s1
	s_cbranch_vccnz .LBB141_223
.LBB141_219:                            ;   in Loop: Header=BB141_220 Depth=2
	s_and_b32 s1, exec_lo, s6
	s_or_b32 s23, s1, s23
	s_andn2_b32 s1, s24, exec_lo
	s_and_b32 s6, s25, exec_lo
	s_or_b32 s24, s1, s6
	s_andn2_b32 exec_lo, exec_lo, s23
	s_cbranch_execz .LBB141_224
.LBB141_220:                            ;   Parent Loop BB141_31 Depth=1
                                        ; =>  This Inner Loop Header: Depth=2
	s_mov_b32 s6, exec_lo
	v_cmpx_gt_u64_e64 s[36:37], v[8:9]
	s_cbranch_execz .LBB141_218
; %bb.221:                              ;   in Loop: Header=BB141_220 Depth=2
	global_load_ubyte v30, v[4:5], off
	s_waitcnt vmcnt(0)
	v_add_nc_u32_sdwa v31, sext(v30), v40 dst_sel:DWORD dst_unused:UNUSED_PAD src0_sel:BYTE_0 src1_sel:DWORD
	v_and_b32_e32 v31, v31, v11
	v_cmp_eq_u32_e32 vcc_lo, v31, v10
	s_and_b32 exec_lo, exec_lo, vcc_lo
	s_cbranch_execz .LBB141_218
; %bb.222:                              ;   in Loop: Header=BB141_220 Depth=2
	v_lshlrev_b16 v30, 8, v30
	v_or_b32_e32 v30, 1, v30
	ds_write_b16 v3, v30 offset:3072
	s_branch .LBB141_218
.LBB141_223:                            ;   in Loop: Header=BB141_220 Depth=2
	v_add_co_u32 v8, vcc_lo, v8, s33
	v_add_co_ci_u32_e64 v9, null, 0, v9, vcc_lo
	v_add_co_u32 v4, s6, v4, s81
	v_add_co_ci_u32_e64 v5, null, s80, v5, s6
	v_cmp_le_u64_e32 vcc_lo, s[20:21], v[8:9]
	s_mov_b32 s25, 0
	s_orn2_b32 s6, vcc_lo, exec_lo
	s_branch .LBB141_219
.LBB141_224:                            ;   in Loop: Header=BB141_31 Depth=1
	s_inst_prefetch 0x2
	s_or_b32 exec_lo, exec_lo, s23
	v_lshrrev_b32_sdwa v8, v41, v30 dst_sel:DWORD dst_unused:UNUSED_PAD src0_sel:DWORD src1_sel:WORD_0
	s_andn2_b32 s1, s2, exec_lo
	s_and_b32 s2, s24, exec_lo
	s_or_b32 s2, s1, s2
.LBB141_225:                            ;   in Loop: Header=BB141_31 Depth=1
	s_or_b32 exec_lo, exec_lo, s22
	s_mov_b32 s75, 0
	s_mov_b32 s76, -1
.LBB141_226:                            ;   in Loop: Header=BB141_31 Depth=1
	s_orn2_b32 s2, s2, exec_lo
.LBB141_227:                            ;   in Loop: Header=BB141_31 Depth=1
	s_or_b32 exec_lo, exec_lo, s77
	s_mov_b32 s6, 0
	s_and_saveexec_b32 s77, s2
	s_cbranch_execz .LBB141_289
; %bb.228:                              ;   in Loop: Header=BB141_31 Depth=1
	v_mov_b32_e32 v4, 1
	v_mov_b32_e32 v5, 0
	v_mov_b32_e32 v2, 1
	s_xor_b32 s1, s78, -1
	s_mov_b32 s20, 0
	s_and_saveexec_b32 s2, s1
	s_cbranch_execz .LBB141_237
; %bb.229:                              ;   in Loop: Header=BB141_31 Depth=1
	s_mov_b32 s1, exec_lo
	v_cmpx_ge_u64_e64 s[16:17], v[6:7]
	s_xor_b32 s6, exec_lo, s1
	s_cbranch_execz .LBB141_234
; %bb.230:                              ;   in Loop: Header=BB141_31 Depth=1
	ds_read_b64 v[4:5], v3 offset:5120
	s_lshl_b32 s1, 2, vcc_hi
	v_or_b32_e32 v11, s11, v11
	v_and_or_b32 v10, v10, s26, s1
	s_waitcnt lgkmcnt(0)
	v_cmp_ne_u64_e32 vcc_lo, 0, v[4:5]
	s_cbranch_vccnz .LBB141_234
; %bb.231:                              ;   in Loop: Header=BB141_31 Depth=1
	s_and_saveexec_b32 s1, s3
; %bb.232:                              ;   in Loop: Header=BB141_31 Depth=1
	v_mov_b32_e32 v4, s16
	v_mov_b32_e32 v5, s17
	ds_write_b64 v3, v[4:5] offset:5128
; %bb.233:                              ;   in Loop: Header=BB141_31 Depth=1
	s_or_b32 exec_lo, exec_lo, s1
	s_waitcnt lgkmcnt(0)
	s_barrier
	buffer_gl0_inv
.LBB141_234:                            ;   in Loop: Header=BB141_31 Depth=1
	s_or_saveexec_b32 s6, s6
	v_mov_b32_e32 v2, 8
	s_xor_b32 exec_lo, exec_lo, s6
; %bb.235:                              ;   in Loop: Header=BB141_31 Depth=1
	v_sub_co_u32 v6, vcc_lo, v6, s16
	v_subrev_co_ci_u32_e64 v7, null, s17, v7, vcc_lo
	v_mov_b32_e32 v2, 0
	s_mov_b32 s20, exec_lo
; %bb.236:                              ;   in Loop: Header=BB141_31 Depth=1
	s_or_b32 exec_lo, exec_lo, s6
	v_mov_b32_e32 v4, v6
	v_mov_b32_e32 v5, v7
	s_and_b32 s20, s20, exec_lo
.LBB141_237:                            ;   in Loop: Header=BB141_31 Depth=1
	s_or_b32 exec_lo, exec_lo, s2
	s_mov_b32 s2, -1
                                        ; implicit-def: $sgpr58
                                        ; implicit-def: $sgpr6
	s_and_saveexec_b32 s78, s20
	s_cbranch_execz .LBB141_288
; %bb.238:                              ;   in Loop: Header=BB141_31 Depth=1
	v_cmp_eq_u64_e32 vcc_lo, 1, v[4:5]
	s_cmp_eq_u64 s[18:19], 1
	s_mov_b32 s20, -1
	s_cselect_b32 s1, -1, 0
                                        ; implicit-def: $sgpr58
                                        ; implicit-def: $sgpr6
	s_and_b32 s62, s1, vcc_lo
	s_and_saveexec_b32 s2, s62
	s_cbranch_execz .LBB141_276
; %bb.239:                              ;   in Loop: Header=BB141_31 Depth=1
	ds_read_b64 v[6:7], v3 offset:5120
	s_waitcnt lgkmcnt(0)
	s_barrier
	buffer_gl0_inv
	v_readfirstlane_b32 s20, v6
	v_readfirstlane_b32 s21, v7
	s_and_saveexec_b32 s1, s10
; %bb.240:                              ;   in Loop: Header=BB141_31 Depth=1
	ds_write_b8 v0, v3 offset:3072
; %bb.241:                              ;   in Loop: Header=BB141_31 Depth=1
	s_or_b32 exec_lo, exec_lo, s1
	v_or_b32_e32 v10, s11, v10
	v_or_b32_e32 v11, s11, v11
	s_mov_b32 s6, -1
	s_mov_b32 s58, 0
	s_cmp_eq_u64 s[20:21], 0
	s_mov_b32 s24, 0
	s_mov_b32 s25, -1
	s_waitcnt lgkmcnt(0)
	s_barrier
	buffer_gl0_inv
                                        ; implicit-def: $vgpr8
	s_cbranch_scc1 .LBB141_259
; %bb.242:                              ;   in Loop: Header=BB141_31 Depth=1
	v_writelane_b32 v60, s62, 14
	s_add_u32 s42, s20, s89
	s_addc_u32 s23, s21, s90
	s_mov_b32 s22, s55
	s_cmp_lg_u64 s[22:23], 0
	v_writelane_b32 v60, s98, 15
	s_cbranch_scc0 .LBB141_246
; %bb.243:                              ;   in Loop: Header=BB141_31 Depth=1
	v_cvt_f32_u32_e32 v6, s33
	s_sub_u32 s24, 0, s33
	s_subb_u32 s25, 0, 0
	v_fmac_f32_e64 v6, 0x4f800000, 0
	v_rcp_f32_e32 v6, v6
	v_mul_f32_e32 v6, 0x5f7ffffc, v6
	v_mul_f32_e32 v7, 0x2f800000, v6
	v_trunc_f32_e32 v7, v7
	v_fmac_f32_e32 v6, 0xcf800000, v7
	v_cvt_u32_f32_e32 v7, v7
	v_cvt_u32_f32_e32 v6, v6
	v_readfirstlane_b32 s1, v7
	v_readfirstlane_b32 s22, v6
	s_mul_i32 s43, s24, s1
	s_mul_hi_u32 vcc_lo, s24, s22
	s_mul_i32 s54, s25, s22
	s_add_i32 s43, vcc_lo, s43
	s_mul_i32 s98, s24, s22
	s_add_i32 s43, s43, s54
	s_mul_hi_u32 vcc_lo, s22, s98
	s_mul_i32 s62, s22, s43
	s_mul_hi_u32 s79, s1, s98
	s_mul_i32 s54, s1, s98
	s_mul_hi_u32 s98, s22, s43
	s_add_u32 s62, vcc_lo, s62
	s_addc_u32 s98, 0, s98
	s_mul_hi_u32 s63, s1, s43
	s_add_u32 s54, s62, s54
	s_mul_i32 s43, s1, s43
	s_addc_u32 s54, s98, s79
	s_addc_u32 s62, s63, 0
	s_add_u32 s43, s54, s43
	s_addc_u32 s54, 0, s62
	s_add_u32 s22, s22, s43
	s_cselect_b32 s43, -1, 0
	s_mul_hi_u32 s62, s24, s22
	s_cmp_lg_u32 s43, 0
	s_mul_i32 s43, s24, s22
	s_addc_u32 s1, s1, s54
	s_mul_i32 s25, s25, s22
	s_mul_i32 s24, s24, s1
	s_mul_hi_u32 s54, s22, s43
	s_add_i32 s24, s62, s24
	s_mul_hi_u32 s62, s1, s43
	s_add_i32 s24, s24, s25
	s_mul_i32 s25, s1, s43
	s_mul_i32 s79, s22, s24
	s_mul_hi_u32 s63, s22, s24
	s_add_u32 s54, s54, s79
	s_addc_u32 s63, 0, s63
	s_mul_hi_u32 s43, s1, s24
	s_add_u32 s25, s54, s25
	s_mul_i32 s24, s1, s24
	s_addc_u32 s25, s63, s62
	s_addc_u32 s43, s43, 0
	s_add_u32 s24, s25, s24
	s_addc_u32 s25, 0, s43
	s_add_u32 s22, s22, s24
	s_cselect_b32 s24, -1, 0
	s_mul_hi_u32 s43, s42, s22
	s_cmp_lg_u32 s24, 0
	s_mul_hi_u32 s24, s23, s22
	s_addc_u32 s1, s1, s25
	s_mul_i32 s22, s23, s22
	s_mul_i32 s54, s42, s1
	s_mul_hi_u32 s25, s42, s1
	s_add_u32 s43, s43, s54
	s_addc_u32 s25, 0, s25
	s_mul_hi_u32 s62, s23, s1
	s_add_u32 s22, s43, s22
	s_mul_i32 s1, s23, s1
	s_addc_u32 s22, s25, s24
	s_addc_u32 s24, s62, 0
	s_add_u32 s1, s22, s1
	s_addc_u32 s22, 0, s24
	s_mul_hi_u32 s24, s33, s1
	s_mul_i32 s22, s33, s22
	s_mul_i32 s1, s33, s1
	s_add_i32 s24, s24, s22
	s_sub_u32 s1, s42, s1
	s_cselect_b32 s22, -1, 0
	s_cmp_lg_u32 s22, 0
	s_subb_u32 s22, s23, s24
	s_sub_u32 s24, s1, s33
	s_cselect_b32 s25, -1, 0
	s_cmp_lg_u32 s25, 0
	s_subb_u32 s25, s22, 0
	;; [unrolled: 4-line block ×3, first 2 shown]
	s_cmp_ge_u32 s24, s33
	s_cselect_b32 s62, -1, 0
	s_cmp_eq_u32 s25, 0
	s_cselect_b32 s62, s62, -1
	s_cmp_lg_u32 s62, 0
	s_cselect_b32 s25, s54, s25
	s_cselect_b32 s24, s43, s24
	s_cmp_ge_u32 s1, s33
	s_cselect_b32 s43, -1, 0
	s_cmp_eq_u32 s22, 0
	s_cselect_b32 s43, s43, -1
	s_cmp_lg_u32 s43, 0
	s_cselect_b32 s25, s25, s22
	s_cselect_b32 s24, s24, s1
	s_mov_b32 s1, 0
	s_branch .LBB141_247
.LBB141_244:                            ;   in Loop: Header=BB141_31 Depth=1
                                        ; implicit-def: $sgpr24_sgpr25
	s_branch .LBB141_199
.LBB141_245:                            ;   in Loop: Header=BB141_31 Depth=1
                                        ; implicit-def: $sgpr20_sgpr21
	s_branch .LBB141_215
.LBB141_246:                            ;   in Loop: Header=BB141_31 Depth=1
	s_mov_b32 s1, -1
                                        ; implicit-def: $sgpr24_sgpr25
.LBB141_247:                            ;   in Loop: Header=BB141_31 Depth=1
	s_andn2_b32 vcc_lo, exec_lo, s1
	s_cbranch_vccnz .LBB141_249
; %bb.248:                              ;   in Loop: Header=BB141_31 Depth=1
	v_cvt_f32_u32_e32 v6, s33
	s_sub_i32 s22, 0, s33
	v_rcp_iflag_f32_e32 v6, v6
	v_mul_f32_e32 v6, 0x4f7ffffe, v6
	v_cvt_u32_f32_e32 v6, v6
	v_readfirstlane_b32 s1, v6
	s_mul_i32 s22, s22, s1
	s_mul_hi_u32 s22, s1, s22
	s_add_i32 s1, s1, s22
	s_mul_hi_u32 s1, s42, s1
	s_mul_i32 s1, s1, s33
	s_sub_i32 s1, s42, s1
	s_sub_i32 s22, s1, s33
	s_cmp_ge_u32 s1, s33
	s_cselect_b32 s1, s22, s1
	s_sub_i32 s22, s1, s33
	s_cmp_ge_u32 s1, s33
	s_cselect_b32 s54, s22, s1
	s_mov_b64 s[24:25], s[54:55]
.LBB141_249:                            ;   in Loop: Header=BB141_31 Depth=1
	s_sub_u32 s22, s42, s24
	s_subb_u32 s23, s23, s25
	s_mov_b32 s25, 0
	s_mov_b32 s24, 0
	s_mov_b32 s42, exec_lo
                                        ; implicit-def: $vgpr8
	v_cmpx_gt_u64_e64 s[22:23], v[0:1]
	v_readlane_b32 s98, v60, 15
	v_readlane_b32 s62, v60, 14
	s_cbranch_execz .LBB141_258
; %bb.250:                              ;   in Loop: Header=BB141_31 Depth=1
	v_mov_b32_e32 v7, v1
	v_mov_b32_e32 v8, v0
	;; [unrolled: 1-line block ×3, first 2 shown]
                                        ; implicit-def: $sgpr43
	s_inst_prefetch 0x1
	s_branch .LBB141_253
	.p2align	6
.LBB141_251:                            ;   in Loop: Header=BB141_253 Depth=2
	s_or_b32 exec_lo, exec_lo, s54
	s_waitcnt lgkmcnt(0)
	s_barrier
	buffer_gl0_inv
	ds_read_u16 v9, v3 offset:3072
	s_mov_b32 s54, -1
	s_waitcnt lgkmcnt(0)
	s_barrier
	buffer_gl0_inv
	v_cmp_ne_u32_sdwa s1, v9, v3 src0_sel:BYTE_0 src1_sel:DWORD
	s_and_b32 vcc_lo, exec_lo, s1
	s_mov_b32 s1, -1
	s_cbranch_vccz .LBB141_256
.LBB141_252:                            ;   in Loop: Header=BB141_253 Depth=2
	s_and_b32 s54, exec_lo, s54
	s_or_b32 s24, s54, s24
	s_andn2_b32 s43, s43, exec_lo
	s_and_b32 s1, s1, exec_lo
	s_or_b32 s43, s43, s1
	s_andn2_b32 exec_lo, exec_lo, s24
	s_cbranch_execz .LBB141_257
.LBB141_253:                            ;   Parent Loop BB141_31 Depth=1
                                        ; =>  This Inner Loop Header: Depth=2
	s_mov_b32 s54, exec_lo
	v_cmpx_gt_u64_e64 s[20:21], v[6:7]
	s_cbranch_execz .LBB141_251
; %bb.254:                              ;   in Loop: Header=BB141_253 Depth=2
	ds_read_u8 v9, v8
	s_waitcnt lgkmcnt(0)
	v_add_nc_u32_sdwa v30, sext(v9), v40 dst_sel:DWORD dst_unused:UNUSED_PAD src0_sel:BYTE_0 src1_sel:DWORD
	v_and_b32_e32 v30, v30, v11
	v_cmp_eq_u32_e32 vcc_lo, v30, v10
	s_and_b32 exec_lo, exec_lo, vcc_lo
	s_cbranch_execz .LBB141_251
; %bb.255:                              ;   in Loop: Header=BB141_253 Depth=2
	v_lshlrev_b16 v9, 8, v9
	v_or_b32_e32 v9, 1, v9
	ds_write_b16 v3, v9 offset:3072
	s_branch .LBB141_251
.LBB141_256:                            ;   in Loop: Header=BB141_253 Depth=2
	v_add_co_u32 v6, vcc_lo, v6, s33
	v_add_co_ci_u32_e64 v7, null, 0, v7, vcc_lo
	v_add_nc_u32_e32 v8, s33, v8
	s_mov_b32 s1, 0
	v_cmp_le_u64_e32 vcc_lo, s[22:23], v[6:7]
	s_orn2_b32 s54, vcc_lo, exec_lo
	s_branch .LBB141_252
.LBB141_257:                            ;   in Loop: Header=BB141_31 Depth=1
	s_inst_prefetch 0x2
	s_or_b32 exec_lo, exec_lo, s24
	v_lshrrev_b32_sdwa v8, v41, v9 dst_sel:DWORD dst_unused:UNUSED_PAD src0_sel:DWORD src1_sel:WORD_0
	s_and_b32 s24, s43, exec_lo
.LBB141_258:                            ;   in Loop: Header=BB141_31 Depth=1
	s_or_b32 exec_lo, exec_lo, s42
.LBB141_259:                            ;   in Loop: Header=BB141_31 Depth=1
	s_and_b32 vcc_lo, exec_lo, s25
	s_cbranch_vccz .LBB141_275
; %bb.260:                              ;   in Loop: Header=BB141_31 Depth=1
	s_mov_b32 s58, s55
	s_cmp_lg_u64 s[58:59], 0
	s_cbranch_scc0 .LBB141_262
; %bb.261:                              ;   in Loop: Header=BB141_31 Depth=1
	v_cvt_f32_u32_e32 v6, s33
	s_sub_u32 s20, 0, s33
	s_subb_u32 s21, 0, 0
	v_fmac_f32_e64 v6, 0x4f800000, 0
	v_rcp_f32_e32 v6, v6
	v_mul_f32_e32 v6, 0x5f7ffffc, v6
	v_mul_f32_e32 v7, 0x2f800000, v6
	v_trunc_f32_e32 v7, v7
	v_fmac_f32_e32 v6, 0xcf800000, v7
	v_cvt_u32_f32_e32 v7, v7
	v_cvt_u32_f32_e32 v6, v6
	v_readfirstlane_b32 s1, v7
	v_readfirstlane_b32 s6, v6
	s_mul_i32 s22, s20, s1
	s_mul_hi_u32 s25, s20, s6
	s_mul_i32 s23, s21, s6
	s_add_i32 s22, s25, s22
	s_mul_i32 s42, s20, s6
	s_add_i32 s22, s22, s23
	s_mul_hi_u32 s25, s6, s42
	s_mul_i32 s54, s6, s22
	s_mul_hi_u32 s43, s1, s42
	s_mul_i32 s23, s1, s42
	s_mul_hi_u32 s42, s6, s22
	s_add_u32 s25, s25, s54
	s_addc_u32 s42, 0, s42
	s_mul_hi_u32 s58, s1, s22
	s_add_u32 s23, s25, s23
	s_mul_i32 s22, s1, s22
	s_addc_u32 s23, s42, s43
	s_addc_u32 s25, s58, 0
	s_add_u32 s22, s23, s22
	s_addc_u32 s23, 0, s25
	s_add_u32 s6, s6, s22
	s_cselect_b32 s22, -1, 0
	s_mul_hi_u32 s25, s20, s6
	s_cmp_lg_u32 s22, 0
	s_mul_i32 s22, s20, s6
	s_addc_u32 s1, s1, s23
	s_mul_i32 s21, s21, s6
	s_mul_i32 s20, s20, s1
	s_mul_hi_u32 s23, s6, s22
	s_add_i32 s20, s25, s20
	s_mul_hi_u32 s25, s1, s22
	s_add_i32 s20, s20, s21
	s_mul_i32 s21, s1, s22
	s_mul_i32 s43, s6, s20
	s_mul_hi_u32 s42, s6, s20
	s_add_u32 s23, s23, s43
	s_addc_u32 s42, 0, s42
	s_mul_hi_u32 s22, s1, s20
	s_add_u32 s21, s23, s21
	s_mul_i32 s20, s1, s20
	s_addc_u32 s21, s42, s25
	s_addc_u32 s22, s22, 0
	s_add_u32 s20, s21, s20
	s_addc_u32 s21, 0, s22
	s_add_u32 s6, s6, s20
	s_cselect_b32 s20, -1, 0
	s_mul_hi_u32 s22, s91, s6
	s_cmp_lg_u32 s20, 0
	s_mul_hi_u32 s20, s59, s6
	s_addc_u32 s1, s1, s21
	s_mul_i32 s6, s59, s6
	s_mul_i32 s23, s91, s1
	s_mul_hi_u32 s21, s91, s1
	s_add_u32 s22, s22, s23
	s_addc_u32 s21, 0, s21
	s_mul_hi_u32 s25, s59, s1
	s_add_u32 s6, s22, s6
	s_mul_i32 s1, s59, s1
	s_addc_u32 s6, s21, s20
	s_addc_u32 s20, s25, 0
	s_add_u32 s1, s6, s1
	s_addc_u32 s6, 0, s20
	s_mul_hi_u32 s20, s33, s1
	s_mul_i32 s6, s33, s6
	s_mul_i32 s1, s33, s1
	s_add_i32 s20, s20, s6
	s_sub_u32 s1, s91, s1
	s_cselect_b32 s6, -1, 0
	s_cmp_lg_u32 s6, 0
	s_subb_u32 s6, s59, s20
	s_sub_u32 s20, s1, s33
	s_cselect_b32 s21, -1, 0
	s_cmp_lg_u32 s21, 0
	s_subb_u32 s21, s6, 0
	;; [unrolled: 4-line block ×3, first 2 shown]
	s_cmp_ge_u32 s20, s33
	s_cselect_b32 s25, -1, 0
	s_cmp_eq_u32 s21, 0
	s_cselect_b32 s25, s25, -1
	s_cmp_lg_u32 s25, 0
	s_cselect_b32 s21, s23, s21
	s_cselect_b32 s20, s22, s20
	s_cmp_ge_u32 s1, s33
	s_cselect_b32 s22, -1, 0
	s_cmp_eq_u32 s6, 0
	s_cselect_b32 s22, s22, -1
	s_cmp_lg_u32 s22, 0
	s_cselect_b32 s21, s21, s6
	s_cselect_b32 s20, s20, s1
	s_mov_b32 s1, 0
	s_branch .LBB141_263
.LBB141_262:                            ;   in Loop: Header=BB141_31 Depth=1
	s_mov_b32 s1, -1
                                        ; implicit-def: $sgpr20_sgpr21
.LBB141_263:                            ;   in Loop: Header=BB141_31 Depth=1
	s_andn2_b32 vcc_lo, exec_lo, s1
	s_cbranch_vccnz .LBB141_265
; %bb.264:                              ;   in Loop: Header=BB141_31 Depth=1
	v_cvt_f32_u32_e32 v6, s33
	s_sub_i32 s6, 0, s33
	v_rcp_iflag_f32_e32 v6, v6
	v_mul_f32_e32 v6, 0x4f7ffffe, v6
	v_cvt_u32_f32_e32 v6, v6
	v_readfirstlane_b32 s1, v6
	s_mul_i32 s6, s6, s1
	s_mul_hi_u32 s6, s1, s6
	s_add_i32 s1, s1, s6
	s_mul_hi_u32 s1, s91, s1
	s_mul_i32 s1, s1, s33
	s_sub_i32 s1, s91, s1
	s_sub_i32 s6, s1, s33
	s_cmp_ge_u32 s1, s33
	s_cselect_b32 s1, s6, s1
	s_sub_i32 s6, s1, s33
	s_cmp_ge_u32 s1, s33
	s_cselect_b32 s54, s6, s1
	s_mov_b64 s[20:21], s[54:55]
.LBB141_265:                            ;   in Loop: Header=BB141_31 Depth=1
	s_sub_u32 s20, s91, s20
	s_subb_u32 s21, s59, s21
	s_mov_b32 s22, exec_lo
                                        ; implicit-def: $vgpr8
	v_cmpx_gt_u64_e64 s[20:21], v[0:1]
	s_cbranch_execz .LBB141_274
; %bb.266:                              ;   in Loop: Header=BB141_31 Depth=1
	v_mov_b32_e32 v6, v26
	v_mov_b32_e32 v9, v1
	;; [unrolled: 1-line block ×4, first 2 shown]
	s_mov_b32 s23, 0
                                        ; implicit-def: $sgpr25
	s_inst_prefetch 0x1
	s_branch .LBB141_269
	.p2align	6
.LBB141_267:                            ;   in Loop: Header=BB141_269 Depth=2
	s_or_b32 exec_lo, exec_lo, s6
	s_waitcnt lgkmcnt(0)
	s_barrier
	buffer_gl0_inv
	ds_read_u16 v30, v3 offset:3072
	s_mov_b32 s1, -1
	s_waitcnt lgkmcnt(0)
	s_barrier
	buffer_gl0_inv
	v_cmp_eq_u32_sdwa s6, v30, v3 src0_sel:BYTE_0 src1_sel:DWORD
	s_and_b32 vcc_lo, exec_lo, s6
	s_mov_b32 s6, -1
	s_cbranch_vccnz .LBB141_272
.LBB141_268:                            ;   in Loop: Header=BB141_269 Depth=2
	s_and_b32 s1, exec_lo, s1
	s_or_b32 s23, s1, s23
	s_andn2_b32 s1, s25, exec_lo
	s_and_b32 s6, s6, exec_lo
	s_or_b32 s25, s1, s6
	s_andn2_b32 exec_lo, exec_lo, s23
	s_cbranch_execz .LBB141_273
.LBB141_269:                            ;   Parent Loop BB141_31 Depth=1
                                        ; =>  This Inner Loop Header: Depth=2
	s_mov_b32 s6, exec_lo
	v_cmpx_gt_u64_e64 s[36:37], v[8:9]
	s_cbranch_execz .LBB141_267
; %bb.270:                              ;   in Loop: Header=BB141_269 Depth=2
	global_load_ubyte v30, v[6:7], off
	s_waitcnt vmcnt(0)
	v_add_nc_u32_sdwa v31, sext(v30), v40 dst_sel:DWORD dst_unused:UNUSED_PAD src0_sel:BYTE_0 src1_sel:DWORD
	v_and_b32_e32 v31, v31, v11
	v_cmp_eq_u32_e32 vcc_lo, v31, v10
	s_and_b32 exec_lo, exec_lo, vcc_lo
	s_cbranch_execz .LBB141_267
; %bb.271:                              ;   in Loop: Header=BB141_269 Depth=2
	v_lshlrev_b16 v30, 8, v30
	v_or_b32_e32 v30, 1, v30
	ds_write_b16 v3, v30 offset:3072
	s_branch .LBB141_267
.LBB141_272:                            ;   in Loop: Header=BB141_269 Depth=2
	v_add_co_u32 v8, vcc_lo, v8, s33
	v_add_co_ci_u32_e64 v9, null, 0, v9, vcc_lo
	v_add_co_u32 v6, s6, v6, s81
	v_add_co_ci_u32_e64 v7, null, s80, v7, s6
	v_cmp_le_u64_e32 vcc_lo, s[20:21], v[8:9]
	s_mov_b32 s6, 0
	s_orn2_b32 s1, vcc_lo, exec_lo
	s_branch .LBB141_268
.LBB141_273:                            ;   in Loop: Header=BB141_31 Depth=1
	s_inst_prefetch 0x2
	s_or_b32 exec_lo, exec_lo, s23
	v_lshrrev_b32_sdwa v8, v41, v30 dst_sel:DWORD dst_unused:UNUSED_PAD src0_sel:DWORD src1_sel:WORD_0
	s_andn2_b32 s1, s24, exec_lo
	s_and_b32 s6, s25, exec_lo
	s_or_b32 s24, s1, s6
.LBB141_274:                            ;   in Loop: Header=BB141_31 Depth=1
	s_or_b32 exec_lo, exec_lo, s22
	s_mov_b32 s6, 0
	s_mov_b32 s58, -1
.LBB141_275:                            ;   in Loop: Header=BB141_31 Depth=1
	s_orn2_b32 s20, s24, exec_lo
.LBB141_276:                            ;   in Loop: Header=BB141_31 Depth=1
	s_or_b32 exec_lo, exec_lo, s2
	s_mov_b32 s21, 0
	s_and_saveexec_b32 s2, s20
	s_cbranch_execz .LBB141_287
; %bb.277:                              ;   in Loop: Header=BB141_31 Depth=1
	v_mov_b32_e32 v6, 1
	v_mov_b32_e32 v7, 0
	;; [unrolled: 1-line block ×3, first 2 shown]
	s_xor_b32 s1, s62, -1
	s_and_saveexec_b32 s20, s1
	s_cbranch_execz .LBB141_286
; %bb.278:                              ;   in Loop: Header=BB141_31 Depth=1
	s_mov_b32 s1, exec_lo
	v_cmpx_ge_u64_e64 s[18:19], v[4:5]
	s_xor_b32 s21, exec_lo, s1
	s_cbranch_execz .LBB141_283
; %bb.279:                              ;   in Loop: Header=BB141_31 Depth=1
	ds_read_b64 v[6:7], v3 offset:5120
	v_or_b32_e32 v10, s11, v10
	v_or_b32_e32 v11, s11, v11
	s_waitcnt lgkmcnt(0)
	v_cmp_ne_u64_e32 vcc_lo, 0, v[6:7]
	s_cbranch_vccnz .LBB141_283
; %bb.280:                              ;   in Loop: Header=BB141_31 Depth=1
	s_and_saveexec_b32 s1, s3
; %bb.281:                              ;   in Loop: Header=BB141_31 Depth=1
	v_mov_b32_e32 v6, s18
	v_mov_b32_e32 v7, s19
	ds_write_b64 v3, v[6:7] offset:5128
; %bb.282:                              ;   in Loop: Header=BB141_31 Depth=1
	s_or_b32 exec_lo, exec_lo, s1
	s_waitcnt lgkmcnt(0)
	s_barrier
	buffer_gl0_inv
.LBB141_283:                            ;   in Loop: Header=BB141_31 Depth=1
	s_andn2_saveexec_b32 s21, s21
; %bb.284:                              ;   in Loop: Header=BB141_31 Depth=1
	v_sub_co_u32 v4, vcc_lo, v4, s18
	v_subrev_co_ci_u32_e64 v5, null, s19, v5, vcc_lo
; %bb.285:                              ;   in Loop: Header=BB141_31 Depth=1
	s_or_b32 exec_lo, exec_lo, s21
	v_mov_b32_e32 v7, v5
	v_mov_b32_e32 v2, 8
	;; [unrolled: 1-line block ×3, first 2 shown]
.LBB141_286:                            ;   in Loop: Header=BB141_31 Depth=1
	s_or_b32 exec_lo, exec_lo, s20
	v_mov_b32_e32 v4, v6
	v_mov_b32_e32 v5, v7
	s_mov_b32 s21, exec_lo
.LBB141_287:                            ;   in Loop: Header=BB141_31 Depth=1
	s_or_b32 exec_lo, exec_lo, s2
	s_orn2_b32 s2, s21, exec_lo
.LBB141_288:                            ;   in Loop: Header=BB141_31 Depth=1
	s_or_b32 exec_lo, exec_lo, s78
	v_mov_b32_e32 v7, v5
	v_mov_b32_e32 v6, v4
	s_andn2_b32 s1, s76, exec_lo
	s_and_b32 s20, s58, exec_lo
	s_andn2_b32 s21, s75, exec_lo
	s_and_b32 s6, s6, exec_lo
	s_or_b32 s76, s1, s20
	s_or_b32 s75, s21, s6
	s_and_b32 s6, s2, exec_lo
.LBB141_289:                            ;   in Loop: Header=BB141_31 Depth=1
	s_or_b32 exec_lo, exec_lo, s77
	s_orn2_b32 s2, s6, exec_lo
.LBB141_290:                            ;   in Loop: Header=BB141_31 Depth=1
	s_or_b32 exec_lo, exec_lo, s74
	v_mov_b32_e32 v4, v6
	v_mov_b32_e32 v5, v7
	s_andn2_b32 s1, s72, exec_lo
	s_and_b32 s6, s76, exec_lo
	s_andn2_b32 s20, s67, exec_lo
	s_and_b32 s21, s75, exec_lo
	s_or_b32 s72, s1, s6
	s_or_b32 s67, s20, s21
	s_and_b32 s6, s2, exec_lo
.LBB141_291:                            ;   in Loop: Header=BB141_31 Depth=1
	s_or_b32 exec_lo, exec_lo, s73
	s_orn2_b32 s2, s6, exec_lo
.LBB141_292:                            ;   in Loop: Header=BB141_31 Depth=1
	s_or_b32 exec_lo, exec_lo, s66
	s_mov_b32 s6, 0
	s_mov_b32 s20, 0
	s_and_saveexec_b32 s1, s2
	s_xor_b32 s1, exec_lo, s1
; %bb.293:                              ;   in Loop: Header=BB141_31 Depth=1
	v_cmp_ne_u32_e32 vcc_lo, 8, v2
	v_cmp_eq_u32_e64 s6, 8, v2
	s_and_b32 s20, vcc_lo, exec_lo
	s_and_b32 s6, s6, exec_lo
; %bb.294:                              ;   in Loop: Header=BB141_31 Depth=1
	s_or_b32 exec_lo, exec_lo, s1
	s_andn2_b32 s1, s69, exec_lo
	s_and_b32 s2, s72, exec_lo
	s_andn2_b32 s21, s68, exec_lo
	s_and_b32 s22, s67, exec_lo
	s_or_b32 s69, s1, s2
	s_or_b32 s68, s21, s22
	s_and_b32 s66, s20, exec_lo
	s_and_b32 s67, s6, exec_lo
.LBB141_295:                            ;   in Loop: Header=BB141_31 Depth=1
	s_or_b32 exec_lo, exec_lo, s71
.LBB141_296:                            ;   in Loop: Header=BB141_31 Depth=1
	s_and_b32 vcc_lo, exec_lo, s70
	s_cbranch_vccz .LBB141_312
; %bb.297:                              ;   in Loop: Header=BB141_31 Depth=1
	s_cmp_eq_u64 s[18:19], 1
	s_mov_b32 s6, -1
	s_cselect_b32 s1, -1, 0
                                        ; implicit-def: $sgpr27
	s_and_b32 s68, s1, s9
                                        ; implicit-def: $sgpr9
	s_and_saveexec_b32 s2, s68
	s_cbranch_execz .LBB141_330
; %bb.298:                              ;   in Loop: Header=BB141_31 Depth=1
	ds_read_b64 v[4:5], v3 offset:5120
	s_waitcnt lgkmcnt(0)
	s_barrier
	buffer_gl0_inv
	v_readfirstlane_b32 s20, v4
	v_readfirstlane_b32 s21, v5
	s_and_saveexec_b32 s1, s10
; %bb.299:                              ;   in Loop: Header=BB141_31 Depth=1
	ds_write_b8 v0, v3 offset:3072
; %bb.300:                              ;   in Loop: Header=BB141_31 Depth=1
	s_or_b32 exec_lo, exec_lo, s1
	v_or_b32_e32 v20, s11, v20
	v_or_b32_e32 v42, s11, v42
	s_mov_b32 s27, -1
	s_mov_b32 s9, 0
	s_cmp_eq_u64 s[20:21], 0
	s_mov_b32 s24, 0
	s_waitcnt lgkmcnt(0)
	s_barrier
	buffer_gl0_inv
                                        ; implicit-def: $vgpr43
	s_cbranch_scc1 .LBB141_315
; %bb.301:                              ;   in Loop: Header=BB141_31 Depth=1
	s_add_u32 s6, s20, s89
	s_addc_u32 s23, s21, s90
	s_mov_b32 s22, s55
	s_cmp_lg_u64 s[22:23], 0
	s_cbranch_scc0 .LBB141_356
; %bb.302:                              ;   in Loop: Header=BB141_31 Depth=1
	v_cvt_f32_u32_e32 v2, s33
	s_sub_u32 s24, 0, s33
	s_subb_u32 s25, 0, 0
	v_fmac_f32_e64 v2, 0x4f800000, 0
	v_rcp_f32_e32 v2, v2
	v_mul_f32_e32 v2, 0x5f7ffffc, v2
	v_mul_f32_e32 v4, 0x2f800000, v2
	v_trunc_f32_e32 v4, v4
	v_fmac_f32_e32 v2, 0xcf800000, v4
	v_cvt_u32_f32_e32 v4, v4
	v_cvt_u32_f32_e32 v2, v2
	v_readfirstlane_b32 s1, v4
	v_readfirstlane_b32 s22, v2
	s_mul_i32 s42, s24, s1
	s_mul_hi_u32 s54, s24, s22
	s_mul_i32 s43, s25, s22
	s_add_i32 s42, s54, s42
	s_mul_i32 s58, s24, s22
	s_add_i32 s42, s42, s43
	s_mul_hi_u32 s54, s22, s58
	s_mul_i32 s70, s22, s42
	s_mul_hi_u32 s69, s1, s58
	s_mul_i32 s43, s1, s58
	s_mul_hi_u32 s58, s22, s42
	s_add_u32 s54, s54, s70
	s_addc_u32 s58, 0, s58
	s_mul_hi_u32 s71, s1, s42
	s_add_u32 s43, s54, s43
	s_mul_i32 s42, s1, s42
	s_addc_u32 s43, s58, s69
	s_addc_u32 s54, s71, 0
	s_add_u32 s42, s43, s42
	s_addc_u32 s43, 0, s54
	s_add_u32 s22, s22, s42
	s_cselect_b32 s42, -1, 0
	s_mul_hi_u32 s54, s24, s22
	s_cmp_lg_u32 s42, 0
	s_mul_i32 s42, s24, s22
	s_addc_u32 s1, s1, s43
	s_mul_i32 s25, s25, s22
	s_mul_i32 s24, s24, s1
	s_mul_hi_u32 s43, s22, s42
	s_add_i32 s24, s54, s24
	s_mul_hi_u32 s54, s1, s42
	s_add_i32 s24, s24, s25
	s_mul_i32 s25, s1, s42
	s_mul_i32 s69, s22, s24
	s_mul_hi_u32 s58, s22, s24
	s_add_u32 s43, s43, s69
	s_addc_u32 s58, 0, s58
	s_mul_hi_u32 s42, s1, s24
	s_add_u32 s25, s43, s25
	s_mul_i32 s24, s1, s24
	s_addc_u32 s25, s58, s54
	s_addc_u32 s42, s42, 0
	s_add_u32 s24, s25, s24
	s_addc_u32 s25, 0, s42
	s_add_u32 s22, s22, s24
	s_cselect_b32 s24, -1, 0
	s_mul_hi_u32 s42, s6, s22
	s_cmp_lg_u32 s24, 0
	s_mul_hi_u32 s24, s23, s22
	s_addc_u32 s1, s1, s25
	s_mul_i32 s22, s23, s22
	s_mul_i32 s43, s6, s1
	s_mul_hi_u32 s25, s6, s1
	s_add_u32 s42, s42, s43
	s_addc_u32 s25, 0, s25
	s_mul_hi_u32 s54, s23, s1
	s_add_u32 s22, s42, s22
	s_mul_i32 s1, s23, s1
	s_addc_u32 s22, s25, s24
	s_addc_u32 s24, s54, 0
	s_add_u32 s1, s22, s1
	s_addc_u32 s22, 0, s24
	s_mul_hi_u32 s24, s33, s1
	s_mul_i32 s22, s33, s22
	s_mul_i32 s1, s33, s1
	s_add_i32 s24, s24, s22
	s_sub_u32 s1, s6, s1
	s_cselect_b32 s22, -1, 0
	s_cmp_lg_u32 s22, 0
	s_subb_u32 s22, s23, s24
	s_sub_u32 s24, s1, s33
	s_cselect_b32 s25, -1, 0
	s_cmp_lg_u32 s25, 0
	s_subb_u32 s25, s22, 0
	s_sub_u32 s42, s24, s33
	s_cselect_b32 s43, -1, 0
	s_cmp_lg_u32 s43, 0
	s_subb_u32 s43, s25, 0
	s_cmp_ge_u32 s24, s33
	s_cselect_b32 s54, -1, 0
	s_cmp_eq_u32 s25, 0
	s_cselect_b32 s54, s54, -1
	s_cmp_lg_u32 s54, 0
	s_cselect_b32 s25, s43, s25
	s_cselect_b32 s24, s42, s24
	s_cmp_ge_u32 s1, s33
	s_cselect_b32 s42, -1, 0
	s_cmp_eq_u32 s22, 0
	s_cselect_b32 s42, s42, -1
	s_cmp_lg_u32 s42, 0
	s_cselect_b32 s25, s25, s22
	s_cselect_b32 s24, s24, s1
	s_cbranch_execnz .LBB141_304
.LBB141_303:                            ;   in Loop: Header=BB141_31 Depth=1
	v_cvt_f32_u32_e32 v2, s33
	s_sub_i32 s22, 0, s33
	v_rcp_iflag_f32_e32 v2, v2
	v_mul_f32_e32 v2, 0x4f7ffffe, v2
	v_cvt_u32_f32_e32 v2, v2
	v_readfirstlane_b32 s1, v2
	s_mul_i32 s22, s22, s1
	s_mul_hi_u32 s22, s1, s22
	s_add_i32 s1, s1, s22
	s_mul_hi_u32 s1, s6, s1
	s_mul_i32 s1, s1, s33
	s_sub_i32 s1, s6, s1
	s_sub_i32 s22, s1, s33
	s_cmp_ge_u32 s1, s33
	s_cselect_b32 s1, s22, s1
	s_sub_i32 s22, s1, s33
	s_cmp_ge_u32 s1, s33
	s_cselect_b32 s54, s22, s1
	s_mov_b64 s[24:25], s[54:55]
.LBB141_304:                            ;   in Loop: Header=BB141_31 Depth=1
	s_sub_u32 s22, s6, s24
	s_subb_u32 s23, s23, s25
	s_mov_b32 s6, 0
	s_mov_b32 s24, 0
	s_mov_b32 s25, exec_lo
                                        ; implicit-def: $vgpr43
	v_cmpx_gt_u64_e64 s[22:23], v[0:1]
	s_cbranch_execz .LBB141_314
; %bb.305:                              ;   in Loop: Header=BB141_31 Depth=1
	v_mov_b32_e32 v5, v1
	v_mov_b32_e32 v2, v0
	;; [unrolled: 1-line block ×3, first 2 shown]
                                        ; implicit-def: $sgpr42
	s_inst_prefetch 0x1
	s_branch .LBB141_308
	.p2align	6
.LBB141_306:                            ;   in Loop: Header=BB141_308 Depth=2
	s_or_b32 exec_lo, exec_lo, s43
	s_waitcnt lgkmcnt(0)
	s_barrier
	buffer_gl0_inv
	ds_read_u16 v6, v3 offset:3072
	s_mov_b32 s1, -1
	s_waitcnt lgkmcnt(0)
	s_barrier
	buffer_gl0_inv
	v_cmp_ne_u32_sdwa s43, v6, v3 src0_sel:BYTE_0 src1_sel:DWORD
	s_and_b32 vcc_lo, exec_lo, s43
	s_mov_b32 s43, -1
	s_cbranch_vccz .LBB141_311
.LBB141_307:                            ;   in Loop: Header=BB141_308 Depth=2
	s_and_b32 s1, exec_lo, s1
	s_or_b32 s24, s1, s24
	s_andn2_b32 s1, s42, exec_lo
	s_and_b32 s42, s43, exec_lo
	s_or_b32 s42, s1, s42
	s_andn2_b32 exec_lo, exec_lo, s24
	s_cbranch_execz .LBB141_313
.LBB141_308:                            ;   Parent Loop BB141_31 Depth=1
                                        ; =>  This Inner Loop Header: Depth=2
	s_mov_b32 s43, exec_lo
	v_cmpx_gt_u64_e64 s[20:21], v[4:5]
	s_cbranch_execz .LBB141_306
; %bb.309:                              ;   in Loop: Header=BB141_308 Depth=2
	ds_read_u8 v6, v2
	s_waitcnt lgkmcnt(0)
	v_add_nc_u32_sdwa v7, sext(v6), v40 dst_sel:DWORD dst_unused:UNUSED_PAD src0_sel:BYTE_0 src1_sel:DWORD
	v_and_b32_e32 v7, v7, v42
	v_cmp_eq_u32_e32 vcc_lo, v7, v20
	s_and_b32 exec_lo, exec_lo, vcc_lo
	s_cbranch_execz .LBB141_306
; %bb.310:                              ;   in Loop: Header=BB141_308 Depth=2
	v_lshlrev_b16 v6, 8, v6
	v_or_b32_e32 v6, 1, v6
	ds_write_b16 v3, v6 offset:3072
	s_branch .LBB141_306
.LBB141_311:                            ;   in Loop: Header=BB141_308 Depth=2
	v_add_co_u32 v4, vcc_lo, v4, s33
	v_add_co_ci_u32_e64 v5, null, 0, v5, vcc_lo
	v_add_nc_u32_e32 v2, s33, v2
	s_mov_b32 s43, 0
	v_cmp_le_u64_e32 vcc_lo, s[22:23], v[4:5]
	s_orn2_b32 s1, vcc_lo, exec_lo
	s_branch .LBB141_307
.LBB141_312:                            ;   in Loop: Header=BB141_31 Depth=1
	v_mov_b32_e32 v20, v10
	v_mov_b32_e32 v42, v11
	;; [unrolled: 1-line block ×3, first 2 shown]
	s_mov_b32 s9, 0
	s_and_saveexec_b32 s1, s67
	s_cbranch_execnz .LBB141_489
	s_branch .LBB141_490
.LBB141_313:                            ;   in Loop: Header=BB141_31 Depth=1
	s_inst_prefetch 0x2
	s_or_b32 exec_lo, exec_lo, s24
	v_lshrrev_b32_sdwa v43, v41, v6 dst_sel:DWORD dst_unused:UNUSED_PAD src0_sel:DWORD src1_sel:WORD_0
	s_and_b32 s24, s42, exec_lo
.LBB141_314:                            ;   in Loop: Header=BB141_31 Depth=1
	s_or_b32 exec_lo, exec_lo, s25
.LBB141_315:                            ;   in Loop: Header=BB141_31 Depth=1
	s_and_b32 vcc_lo, exec_lo, s6
	s_cbranch_vccz .LBB141_329
; %bb.316:                              ;   in Loop: Header=BB141_31 Depth=1
	s_mov_b32 s58, s55
	s_cmp_lg_u64 s[58:59], 0
	s_cbranch_scc0 .LBB141_357
; %bb.317:                              ;   in Loop: Header=BB141_31 Depth=1
	v_cvt_f32_u32_e32 v2, s33
	s_sub_u32 s9, 0, s33
	s_subb_u32 s20, 0, 0
	v_fmac_f32_e64 v2, 0x4f800000, 0
	v_rcp_f32_e32 v2, v2
	v_mul_f32_e32 v2, 0x5f7ffffc, v2
	v_mul_f32_e32 v4, 0x2f800000, v2
	v_trunc_f32_e32 v4, v4
	v_fmac_f32_e32 v2, 0xcf800000, v4
	v_cvt_u32_f32_e32 v4, v4
	v_cvt_u32_f32_e32 v2, v2
	v_readfirstlane_b32 s1, v4
	v_readfirstlane_b32 s6, v2
	s_mul_i32 s21, s9, s1
	s_mul_hi_u32 s23, s9, s6
	s_mul_i32 s22, s20, s6
	s_add_i32 s21, s23, s21
	s_mul_i32 s25, s9, s6
	s_add_i32 s21, s21, s22
	s_mul_hi_u32 s23, s6, s25
	s_mul_i32 s42, s6, s21
	s_mul_hi_u32 s27, s1, s25
	s_mul_i32 s22, s1, s25
	s_mul_hi_u32 s25, s6, s21
	s_add_u32 s23, s23, s42
	s_addc_u32 s25, 0, s25
	s_mul_hi_u32 s43, s1, s21
	s_add_u32 s22, s23, s22
	s_mul_i32 s21, s1, s21
	s_addc_u32 s22, s25, s27
	s_addc_u32 s23, s43, 0
	s_add_u32 s21, s22, s21
	s_addc_u32 s22, 0, s23
	s_add_u32 s6, s6, s21
	s_cselect_b32 s21, -1, 0
	s_mul_hi_u32 s23, s9, s6
	s_cmp_lg_u32 s21, 0
	s_mul_i32 s21, s9, s6
	s_addc_u32 s1, s1, s22
	s_mul_i32 s20, s20, s6
	s_mul_i32 s9, s9, s1
	s_mul_hi_u32 s22, s6, s21
	s_add_i32 s9, s23, s9
	s_mul_hi_u32 s23, s1, s21
	s_add_i32 s9, s9, s20
	s_mul_i32 s20, s1, s21
	s_mul_i32 s27, s6, s9
	s_mul_hi_u32 s25, s6, s9
	s_add_u32 s22, s22, s27
	s_addc_u32 s25, 0, s25
	s_mul_hi_u32 s21, s1, s9
	s_add_u32 s20, s22, s20
	s_mul_i32 s9, s1, s9
	s_addc_u32 s20, s25, s23
	s_addc_u32 s21, s21, 0
	s_add_u32 s9, s20, s9
	s_addc_u32 s20, 0, s21
	s_add_u32 s6, s6, s9
	s_cselect_b32 s9, -1, 0
	s_mul_hi_u32 s21, s91, s6
	s_cmp_lg_u32 s9, 0
	s_mul_hi_u32 s9, s59, s6
	s_addc_u32 s1, s1, s20
	s_mul_i32 s6, s59, s6
	s_mul_i32 s22, s91, s1
	s_mul_hi_u32 s20, s91, s1
	s_add_u32 s21, s21, s22
	s_addc_u32 s20, 0, s20
	s_mul_hi_u32 s23, s59, s1
	s_add_u32 s6, s21, s6
	s_mul_i32 s1, s59, s1
	s_addc_u32 s6, s20, s9
	s_addc_u32 s9, s23, 0
	s_add_u32 s1, s6, s1
	s_addc_u32 s6, 0, s9
	s_mul_hi_u32 s9, s33, s1
	s_mul_i32 s6, s33, s6
	s_mul_i32 s1, s33, s1
	s_add_i32 s9, s9, s6
	s_sub_u32 s1, s91, s1
	s_cselect_b32 s6, -1, 0
	s_cmp_lg_u32 s6, 0
	s_subb_u32 s6, s59, s9
	s_sub_u32 s9, s1, s33
	s_cselect_b32 s20, -1, 0
	s_cmp_lg_u32 s20, 0
	s_subb_u32 s20, s6, 0
	;; [unrolled: 4-line block ×3, first 2 shown]
	s_cmp_ge_u32 s9, s33
	s_cselect_b32 s23, -1, 0
	s_cmp_eq_u32 s20, 0
	s_cselect_b32 s23, s23, -1
	s_cmp_lg_u32 s23, 0
	s_cselect_b32 s20, s22, s20
	s_cselect_b32 s9, s21, s9
	s_cmp_ge_u32 s1, s33
	s_cselect_b32 s21, -1, 0
	s_cmp_eq_u32 s6, 0
	s_cselect_b32 s21, s21, -1
	s_cmp_lg_u32 s21, 0
	s_cselect_b32 s21, s20, s6
	s_cselect_b32 s20, s9, s1
	s_cbranch_execnz .LBB141_319
.LBB141_318:                            ;   in Loop: Header=BB141_31 Depth=1
	v_cvt_f32_u32_e32 v2, s33
	s_sub_i32 s6, 0, s33
	v_rcp_iflag_f32_e32 v2, v2
	v_mul_f32_e32 v2, 0x4f7ffffe, v2
	v_cvt_u32_f32_e32 v2, v2
	v_readfirstlane_b32 s1, v2
	s_mul_i32 s6, s6, s1
	s_mul_hi_u32 s6, s1, s6
	s_add_i32 s1, s1, s6
	s_mul_hi_u32 s1, s91, s1
	s_mul_i32 s1, s1, s33
	s_sub_i32 s1, s91, s1
	s_sub_i32 s6, s1, s33
	s_cmp_ge_u32 s1, s33
	s_cselect_b32 s1, s6, s1
	s_sub_i32 s6, s1, s33
	s_cmp_ge_u32 s1, s33
	s_cselect_b32 s54, s6, s1
	s_mov_b64 s[20:21], s[54:55]
.LBB141_319:                            ;   in Loop: Header=BB141_31 Depth=1
	s_sub_u32 s20, s91, s20
	s_subb_u32 s21, s59, s21
	s_mov_b32 s9, exec_lo
                                        ; implicit-def: $vgpr43
	v_cmpx_gt_u64_e64 s[20:21], v[0:1]
	s_cbranch_execz .LBB141_328
; %bb.320:                              ;   in Loop: Header=BB141_31 Depth=1
	v_mov_b32_e32 v4, v26
	v_mov_b32_e32 v7, v1
	;; [unrolled: 1-line block ×4, first 2 shown]
	s_mov_b32 s22, 0
                                        ; implicit-def: $sgpr23
	s_inst_prefetch 0x1
	s_branch .LBB141_323
	.p2align	6
.LBB141_321:                            ;   in Loop: Header=BB141_323 Depth=2
	s_or_b32 exec_lo, exec_lo, s6
	s_waitcnt lgkmcnt(0)
	s_barrier
	buffer_gl0_inv
	ds_read_u16 v2, v3 offset:3072
	s_mov_b32 s1, -1
	s_waitcnt lgkmcnt(0)
	s_barrier
	buffer_gl0_inv
	v_cmp_ne_u32_sdwa s6, v2, v3 src0_sel:BYTE_0 src1_sel:DWORD
	s_and_b32 vcc_lo, exec_lo, s6
	s_mov_b32 s6, -1
	s_cbranch_vccz .LBB141_326
.LBB141_322:                            ;   in Loop: Header=BB141_323 Depth=2
	s_and_b32 s1, exec_lo, s1
	s_or_b32 s22, s1, s22
	s_andn2_b32 s1, s23, exec_lo
	s_and_b32 s6, s6, exec_lo
	s_or_b32 s23, s1, s6
	s_andn2_b32 exec_lo, exec_lo, s22
	s_cbranch_execz .LBB141_327
.LBB141_323:                            ;   Parent Loop BB141_31 Depth=1
                                        ; =>  This Inner Loop Header: Depth=2
	s_mov_b32 s6, exec_lo
	v_cmpx_gt_u64_e64 s[36:37], v[6:7]
	s_cbranch_execz .LBB141_321
; %bb.324:                              ;   in Loop: Header=BB141_323 Depth=2
	global_load_ubyte v2, v[4:5], off
	s_waitcnt vmcnt(0)
	v_add_nc_u32_sdwa v8, sext(v2), v40 dst_sel:DWORD dst_unused:UNUSED_PAD src0_sel:BYTE_0 src1_sel:DWORD
	v_and_b32_e32 v8, v8, v42
	v_cmp_eq_u32_e32 vcc_lo, v8, v20
	s_and_b32 exec_lo, exec_lo, vcc_lo
	s_cbranch_execz .LBB141_321
; %bb.325:                              ;   in Loop: Header=BB141_323 Depth=2
	v_lshlrev_b16 v2, 8, v2
	v_or_b32_e32 v2, 1, v2
	ds_write_b16 v3, v2 offset:3072
	s_branch .LBB141_321
.LBB141_326:                            ;   in Loop: Header=BB141_323 Depth=2
	v_add_co_u32 v6, vcc_lo, v6, s33
	v_add_co_ci_u32_e64 v7, null, 0, v7, vcc_lo
	v_add_co_u32 v4, s6, v4, s81
	v_add_co_ci_u32_e64 v5, null, s80, v5, s6
	v_cmp_le_u64_e32 vcc_lo, s[20:21], v[6:7]
	s_mov_b32 s6, 0
	s_orn2_b32 s1, vcc_lo, exec_lo
	s_branch .LBB141_322
.LBB141_327:                            ;   in Loop: Header=BB141_31 Depth=1
	s_inst_prefetch 0x2
	s_or_b32 exec_lo, exec_lo, s22
	v_lshrrev_b32_sdwa v43, v41, v2 dst_sel:DWORD dst_unused:UNUSED_PAD src0_sel:DWORD src1_sel:WORD_0
	s_andn2_b32 s1, s24, exec_lo
	s_and_b32 s6, s23, exec_lo
	s_or_b32 s24, s1, s6
.LBB141_328:                            ;   in Loop: Header=BB141_31 Depth=1
	s_or_b32 exec_lo, exec_lo, s9
	s_mov_b32 s27, 0
	s_mov_b32 s9, -1
.LBB141_329:                            ;   in Loop: Header=BB141_31 Depth=1
	s_orn2_b32 s6, s24, exec_lo
.LBB141_330:                            ;   in Loop: Header=BB141_31 Depth=1
	s_or_b32 exec_lo, exec_lo, s2
                                        ; implicit-def: $vgpr4_vgpr5
                                        ; implicit-def: $vgpr2
	s_and_saveexec_b32 s24, s6
	s_cbranch_execz .LBB141_488
; %bb.331:                              ;   in Loop: Header=BB141_31 Depth=1
	v_mov_b32_e32 v4, 1
	v_mov_b32_e32 v5, 0
	;; [unrolled: 1-line block ×3, first 2 shown]
	s_xor_b32 s1, s68, -1
	s_mov_b32 s6, 0
	s_and_saveexec_b32 s2, s1
	s_cbranch_execz .LBB141_340
; %bb.332:                              ;   in Loop: Header=BB141_31 Depth=1
	s_mov_b32 s1, exec_lo
	v_cmpx_ge_u64_e64 s[18:19], v[28:29]
	s_xor_b32 s6, exec_lo, s1
	s_cbranch_execz .LBB141_337
; %bb.333:                              ;   in Loop: Header=BB141_31 Depth=1
	ds_read_b64 v[4:5], v3 offset:5120
	v_or_b32_e32 v20, s11, v20
	v_or_b32_e32 v42, s11, v42
	s_waitcnt lgkmcnt(0)
	v_cmp_ne_u64_e32 vcc_lo, 0, v[4:5]
	s_cbranch_vccnz .LBB141_337
; %bb.334:                              ;   in Loop: Header=BB141_31 Depth=1
	s_and_saveexec_b32 s1, s3
; %bb.335:                              ;   in Loop: Header=BB141_31 Depth=1
	v_mov_b32_e32 v4, s18
	v_mov_b32_e32 v5, s19
	ds_write_b64 v3, v[4:5] offset:5128
; %bb.336:                              ;   in Loop: Header=BB141_31 Depth=1
	s_or_b32 exec_lo, exec_lo, s1
	s_waitcnt lgkmcnt(0)
	s_barrier
	buffer_gl0_inv
.LBB141_337:                            ;   in Loop: Header=BB141_31 Depth=1
	s_or_saveexec_b32 s6, s6
	v_mov_b32_e32 v2, 5
	s_mov_b32 s20, 0
	s_xor_b32 exec_lo, exec_lo, s6
; %bb.338:                              ;   in Loop: Header=BB141_31 Depth=1
	v_sub_co_u32 v28, vcc_lo, v28, s18
	v_subrev_co_ci_u32_e64 v29, null, s19, v29, vcc_lo
	v_mov_b32_e32 v2, 0
	s_mov_b32 s20, exec_lo
; %bb.339:                              ;   in Loop: Header=BB141_31 Depth=1
	s_or_b32 exec_lo, exec_lo, s6
	v_mov_b32_e32 v4, v28
	v_mov_b32_e32 v5, v29
	s_and_b32 s6, s20, exec_lo
.LBB141_340:                            ;   in Loop: Header=BB141_31 Depth=1
	s_or_b32 exec_lo, exec_lo, s2
	s_mov_b32 s2, -1
                                        ; implicit-def: $sgpr68
                                        ; implicit-def: $sgpr69
	s_and_saveexec_b32 s1, s6
	s_xor_b32 s25, exec_lo, s1
	s_cbranch_execz .LBB141_485
; %bb.341:                              ;   in Loop: Header=BB141_31 Depth=1
	v_cmp_eq_u64_e32 vcc_lo, 1, v[4:5]
	s_cmp_eq_u64 s[16:17], 1
                                        ; implicit-def: $sgpr69
                                        ; implicit-def: $sgpr68
	s_cselect_b32 s1, -1, 0
	s_and_b32 s70, s1, vcc_lo
	s_and_saveexec_b32 s71, s70
	s_cbranch_execz .LBB141_375
; %bb.342:                              ;   in Loop: Header=BB141_31 Depth=1
	ds_read_b64 v[6:7], v3 offset:5120
	s_waitcnt lgkmcnt(0)
	s_barrier
	buffer_gl0_inv
	v_readfirstlane_b32 s18, v6
	v_readfirstlane_b32 s19, v7
	s_and_saveexec_b32 s1, s10
; %bb.343:                              ;   in Loop: Header=BB141_31 Depth=1
	ds_write_b8 v0, v3 offset:3072
; %bb.344:                              ;   in Loop: Header=BB141_31 Depth=1
	s_or_b32 exec_lo, exec_lo, s1
	s_lshl_b32 s1, 2, vcc_hi
	v_or_b32_e32 v42, s11, v42
	v_and_or_b32 v20, v20, s26, s1
	s_mov_b32 s68, -1
	s_mov_b32 s69, 0
	s_cmp_eq_u64 s[18:19], 0
	s_mov_b32 s2, 0
	s_mov_b32 s6, -1
	s_waitcnt lgkmcnt(0)
	s_barrier
	buffer_gl0_inv
                                        ; implicit-def: $vgpr43
	s_cbranch_scc1 .LBB141_360
; %bb.345:                              ;   in Loop: Header=BB141_31 Depth=1
	s_add_u32 s2, s18, s89
	s_addc_u32 s21, s19, s90
	s_mov_b32 s20, s55
	s_cmp_lg_u64 s[20:21], 0
	s_cbranch_scc0 .LBB141_401
; %bb.346:                              ;   in Loop: Header=BB141_31 Depth=1
	v_cvt_f32_u32_e32 v6, s33
	s_sub_u32 s20, 0, s33
	s_subb_u32 s22, 0, 0
	v_fmac_f32_e64 v6, 0x4f800000, 0
	v_rcp_f32_e32 v6, v6
	v_mul_f32_e32 v6, 0x5f7ffffc, v6
	v_mul_f32_e32 v7, 0x2f800000, v6
	v_trunc_f32_e32 v7, v7
	v_fmac_f32_e32 v6, 0xcf800000, v7
	v_cvt_u32_f32_e32 v7, v7
	v_cvt_u32_f32_e32 v6, v6
	v_readfirstlane_b32 s1, v7
	v_readfirstlane_b32 s6, v6
	s_mul_i32 s23, s20, s1
	s_mul_hi_u32 s43, s20, s6
	s_mul_i32 s42, s22, s6
	s_add_i32 s23, s43, s23
	s_mul_i32 s54, s20, s6
	s_add_i32 s23, s23, s42
	s_mul_hi_u32 s43, s6, s54
	s_mul_i32 s72, s6, s23
	s_mul_hi_u32 s58, s1, s54
	s_mul_i32 s42, s1, s54
	s_mul_hi_u32 s54, s6, s23
	s_add_u32 s43, s43, s72
	s_addc_u32 s54, 0, s54
	s_mul_hi_u32 s73, s1, s23
	s_add_u32 s42, s43, s42
	s_mul_i32 s23, s1, s23
	s_addc_u32 s42, s54, s58
	s_addc_u32 s43, s73, 0
	s_add_u32 s23, s42, s23
	s_addc_u32 s42, 0, s43
	s_add_u32 s6, s6, s23
	s_cselect_b32 s23, -1, 0
	s_mul_hi_u32 s43, s20, s6
	s_cmp_lg_u32 s23, 0
	s_mul_i32 s23, s20, s6
	s_addc_u32 s1, s1, s42
	s_mul_i32 s22, s22, s6
	s_mul_i32 s20, s20, s1
	s_mul_hi_u32 s42, s6, s23
	s_add_i32 s20, s43, s20
	s_mul_hi_u32 s43, s1, s23
	s_add_i32 s20, s20, s22
	s_mul_i32 s22, s1, s23
	s_mul_i32 s58, s6, s20
	s_mul_hi_u32 s54, s6, s20
	s_add_u32 s42, s42, s58
	s_addc_u32 s54, 0, s54
	s_mul_hi_u32 s23, s1, s20
	s_add_u32 s22, s42, s22
	s_mul_i32 s20, s1, s20
	s_addc_u32 s22, s54, s43
	s_addc_u32 s23, s23, 0
	s_add_u32 s20, s22, s20
	s_addc_u32 s22, 0, s23
	s_add_u32 s6, s6, s20
	s_cselect_b32 s20, -1, 0
	s_mul_hi_u32 s23, s2, s6
	s_cmp_lg_u32 s20, 0
	s_mul_hi_u32 s20, s21, s6
	s_addc_u32 s1, s1, s22
	s_mul_i32 s6, s21, s6
	s_mul_i32 s42, s2, s1
	s_mul_hi_u32 s22, s2, s1
	s_add_u32 s23, s23, s42
	s_addc_u32 s22, 0, s22
	s_mul_hi_u32 s43, s21, s1
	s_add_u32 s6, s23, s6
	s_mul_i32 s1, s21, s1
	s_addc_u32 s6, s22, s20
	s_addc_u32 s20, s43, 0
	s_add_u32 s1, s6, s1
	s_addc_u32 s6, 0, s20
	s_mul_hi_u32 s20, s33, s1
	s_mul_i32 s6, s33, s6
	s_mul_i32 s1, s33, s1
	s_add_i32 s20, s20, s6
	s_sub_u32 s1, s2, s1
	s_cselect_b32 s6, -1, 0
	s_cmp_lg_u32 s6, 0
	s_subb_u32 s6, s21, s20
	s_sub_u32 s20, s1, s33
	s_cselect_b32 s22, -1, 0
	s_cmp_lg_u32 s22, 0
	s_subb_u32 s22, s6, 0
	;; [unrolled: 4-line block ×3, first 2 shown]
	s_cmp_ge_u32 s20, s33
	s_cselect_b32 s43, -1, 0
	s_cmp_eq_u32 s22, 0
	s_cselect_b32 s43, s43, -1
	s_cmp_lg_u32 s43, 0
	s_cselect_b32 s22, s42, s22
	s_cselect_b32 s20, s23, s20
	s_cmp_ge_u32 s1, s33
	s_cselect_b32 s23, -1, 0
	s_cmp_eq_u32 s6, 0
	s_cselect_b32 s23, s23, -1
	s_cmp_lg_u32 s23, 0
	s_cselect_b32 s23, s22, s6
	s_cselect_b32 s22, s20, s1
	s_cbranch_execnz .LBB141_348
.LBB141_347:                            ;   in Loop: Header=BB141_31 Depth=1
	v_cvt_f32_u32_e32 v6, s33
	s_sub_i32 s6, 0, s33
	v_rcp_iflag_f32_e32 v6, v6
	v_mul_f32_e32 v6, 0x4f7ffffe, v6
	v_cvt_u32_f32_e32 v6, v6
	v_readfirstlane_b32 s1, v6
	s_mul_i32 s6, s6, s1
	s_mul_hi_u32 s6, s1, s6
	s_add_i32 s1, s1, s6
	s_mul_hi_u32 s1, s2, s1
	s_mul_i32 s1, s1, s33
	s_sub_i32 s1, s2, s1
	s_sub_i32 s6, s1, s33
	s_cmp_ge_u32 s1, s33
	s_cselect_b32 s1, s6, s1
	s_sub_i32 s6, s1, s33
	s_cmp_ge_u32 s1, s33
	s_cselect_b32 s54, s6, s1
	s_mov_b64 s[22:23], s[54:55]
.LBB141_348:                            ;   in Loop: Header=BB141_31 Depth=1
	s_sub_u32 s20, s2, s22
	s_subb_u32 s21, s21, s23
	s_mov_b32 s6, 0
	s_mov_b32 s2, 0
	s_mov_b32 s22, exec_lo
                                        ; implicit-def: $vgpr43
	v_cmpx_gt_u64_e64 s[20:21], v[0:1]
	s_cbranch_execz .LBB141_359
; %bb.349:                              ;   in Loop: Header=BB141_31 Depth=1
	v_mov_b32_e32 v7, v1
	v_mov_b32_e32 v8, v0
	;; [unrolled: 1-line block ×3, first 2 shown]
                                        ; implicit-def: $sgpr23
	s_inst_prefetch 0x1
	s_branch .LBB141_352
	.p2align	6
.LBB141_350:                            ;   in Loop: Header=BB141_352 Depth=2
	s_or_b32 exec_lo, exec_lo, s42
	s_waitcnt lgkmcnt(0)
	s_barrier
	buffer_gl0_inv
	ds_read_u16 v9, v3 offset:3072
	s_mov_b32 s1, -1
	s_waitcnt lgkmcnt(0)
	s_barrier
	buffer_gl0_inv
	v_cmp_ne_u32_sdwa s42, v9, v3 src0_sel:BYTE_0 src1_sel:DWORD
	s_and_b32 vcc_lo, exec_lo, s42
	s_mov_b32 s42, -1
	s_cbranch_vccz .LBB141_355
.LBB141_351:                            ;   in Loop: Header=BB141_352 Depth=2
	s_and_b32 s1, exec_lo, s1
	s_or_b32 s2, s1, s2
	s_andn2_b32 s1, s23, exec_lo
	s_and_b32 s23, s42, exec_lo
	s_or_b32 s23, s1, s23
	s_andn2_b32 exec_lo, exec_lo, s2
	s_cbranch_execz .LBB141_358
.LBB141_352:                            ;   Parent Loop BB141_31 Depth=1
                                        ; =>  This Inner Loop Header: Depth=2
	s_mov_b32 s42, exec_lo
	v_cmpx_gt_u64_e64 s[18:19], v[6:7]
	s_cbranch_execz .LBB141_350
; %bb.353:                              ;   in Loop: Header=BB141_352 Depth=2
	ds_read_u8 v9, v8
	s_waitcnt lgkmcnt(0)
	v_add_nc_u32_sdwa v10, sext(v9), v40 dst_sel:DWORD dst_unused:UNUSED_PAD src0_sel:BYTE_0 src1_sel:DWORD
	v_and_b32_e32 v10, v10, v42
	v_cmp_eq_u32_e32 vcc_lo, v10, v20
	s_and_b32 exec_lo, exec_lo, vcc_lo
	s_cbranch_execz .LBB141_350
; %bb.354:                              ;   in Loop: Header=BB141_352 Depth=2
	v_lshlrev_b16 v9, 8, v9
	v_or_b32_e32 v9, 1, v9
	ds_write_b16 v3, v9 offset:3072
	s_branch .LBB141_350
.LBB141_355:                            ;   in Loop: Header=BB141_352 Depth=2
	v_add_co_u32 v6, vcc_lo, v6, s33
	v_add_co_ci_u32_e64 v7, null, 0, v7, vcc_lo
	v_add_nc_u32_e32 v8, s33, v8
	s_mov_b32 s42, 0
	v_cmp_le_u64_e32 vcc_lo, s[20:21], v[6:7]
	s_orn2_b32 s1, vcc_lo, exec_lo
	s_branch .LBB141_351
.LBB141_356:                            ;   in Loop: Header=BB141_31 Depth=1
                                        ; implicit-def: $sgpr24_sgpr25
	s_branch .LBB141_303
.LBB141_357:                            ;   in Loop: Header=BB141_31 Depth=1
                                        ; implicit-def: $sgpr20_sgpr21
	s_branch .LBB141_318
.LBB141_358:                            ;   in Loop: Header=BB141_31 Depth=1
	s_inst_prefetch 0x2
	s_or_b32 exec_lo, exec_lo, s2
	v_lshrrev_b32_sdwa v43, v41, v9 dst_sel:DWORD dst_unused:UNUSED_PAD src0_sel:DWORD src1_sel:WORD_0
	s_and_b32 s2, s23, exec_lo
.LBB141_359:                            ;   in Loop: Header=BB141_31 Depth=1
	s_or_b32 exec_lo, exec_lo, s22
.LBB141_360:                            ;   in Loop: Header=BB141_31 Depth=1
	s_and_b32 vcc_lo, exec_lo, s6
	s_cbranch_vccz .LBB141_374
; %bb.361:                              ;   in Loop: Header=BB141_31 Depth=1
	s_mov_b32 s58, s55
	s_cmp_lg_u64 s[58:59], 0
	s_cbranch_scc0 .LBB141_402
; %bb.362:                              ;   in Loop: Header=BB141_31 Depth=1
	v_cvt_f32_u32_e32 v6, s33
	s_sub_u32 s18, 0, s33
	s_subb_u32 s19, 0, 0
	v_fmac_f32_e64 v6, 0x4f800000, 0
	v_rcp_f32_e32 v6, v6
	v_mul_f32_e32 v6, 0x5f7ffffc, v6
	v_mul_f32_e32 v7, 0x2f800000, v6
	v_trunc_f32_e32 v7, v7
	v_fmac_f32_e32 v6, 0xcf800000, v7
	v_cvt_u32_f32_e32 v7, v7
	v_cvt_u32_f32_e32 v6, v6
	v_readfirstlane_b32 s1, v7
	v_readfirstlane_b32 s6, v6
	s_mul_i32 s20, s18, s1
	s_mul_hi_u32 s22, s18, s6
	s_mul_i32 s21, s19, s6
	s_add_i32 s20, s22, s20
	s_mul_i32 s23, s18, s6
	s_add_i32 s20, s20, s21
	s_mul_hi_u32 s22, s6, s23
	s_mul_i32 s43, s6, s20
	s_mul_hi_u32 s42, s1, s23
	s_mul_i32 s21, s1, s23
	s_mul_hi_u32 s23, s6, s20
	s_add_u32 s22, s22, s43
	s_addc_u32 s23, 0, s23
	s_mul_hi_u32 s54, s1, s20
	s_add_u32 s21, s22, s21
	s_mul_i32 s20, s1, s20
	s_addc_u32 s21, s23, s42
	s_addc_u32 s22, s54, 0
	s_add_u32 s20, s21, s20
	s_addc_u32 s21, 0, s22
	s_add_u32 s6, s6, s20
	s_cselect_b32 s20, -1, 0
	s_mul_hi_u32 s22, s18, s6
	s_cmp_lg_u32 s20, 0
	s_mul_i32 s20, s18, s6
	s_addc_u32 s1, s1, s21
	s_mul_i32 s19, s19, s6
	s_mul_i32 s18, s18, s1
	s_mul_hi_u32 s21, s6, s20
	s_add_i32 s18, s22, s18
	s_mul_hi_u32 s22, s1, s20
	s_add_i32 s18, s18, s19
	s_mul_i32 s19, s1, s20
	s_mul_i32 s42, s6, s18
	s_mul_hi_u32 s23, s6, s18
	s_add_u32 s21, s21, s42
	s_addc_u32 s23, 0, s23
	s_mul_hi_u32 s20, s1, s18
	s_add_u32 s19, s21, s19
	s_mul_i32 s18, s1, s18
	s_addc_u32 s19, s23, s22
	s_addc_u32 s20, s20, 0
	s_add_u32 s18, s19, s18
	s_addc_u32 s19, 0, s20
	s_add_u32 s6, s6, s18
	s_cselect_b32 s18, -1, 0
	s_mul_hi_u32 s20, s91, s6
	s_cmp_lg_u32 s18, 0
	s_mul_hi_u32 s18, s59, s6
	s_addc_u32 s1, s1, s19
	s_mul_i32 s6, s59, s6
	s_mul_i32 s21, s91, s1
	s_mul_hi_u32 s19, s91, s1
	s_add_u32 s20, s20, s21
	s_addc_u32 s19, 0, s19
	s_mul_hi_u32 s22, s59, s1
	s_add_u32 s6, s20, s6
	s_mul_i32 s1, s59, s1
	s_addc_u32 s6, s19, s18
	s_addc_u32 s18, s22, 0
	s_add_u32 s1, s6, s1
	s_addc_u32 s6, 0, s18
	s_mul_hi_u32 s18, s33, s1
	s_mul_i32 s6, s33, s6
	s_mul_i32 s1, s33, s1
	s_add_i32 s18, s18, s6
	s_sub_u32 s1, s91, s1
	s_cselect_b32 s6, -1, 0
	s_cmp_lg_u32 s6, 0
	s_subb_u32 s6, s59, s18
	s_sub_u32 s18, s1, s33
	s_cselect_b32 s19, -1, 0
	s_cmp_lg_u32 s19, 0
	s_subb_u32 s19, s6, 0
	s_sub_u32 s20, s18, s33
	s_cselect_b32 s21, -1, 0
	s_cmp_lg_u32 s21, 0
	s_subb_u32 s21, s19, 0
	s_cmp_ge_u32 s18, s33
	s_cselect_b32 s22, -1, 0
	s_cmp_eq_u32 s19, 0
	s_cselect_b32 s22, s22, -1
	s_cmp_lg_u32 s22, 0
	s_cselect_b32 s19, s21, s19
	s_cselect_b32 s18, s20, s18
	s_cmp_ge_u32 s1, s33
	s_cselect_b32 s20, -1, 0
	s_cmp_eq_u32 s6, 0
	s_cselect_b32 s20, s20, -1
	s_cmp_lg_u32 s20, 0
	s_cselect_b32 s19, s19, s6
	s_cselect_b32 s18, s18, s1
	s_cbranch_execnz .LBB141_364
.LBB141_363:                            ;   in Loop: Header=BB141_31 Depth=1
	v_cvt_f32_u32_e32 v6, s33
	s_sub_i32 s6, 0, s33
	v_rcp_iflag_f32_e32 v6, v6
	v_mul_f32_e32 v6, 0x4f7ffffe, v6
	v_cvt_u32_f32_e32 v6, v6
	v_readfirstlane_b32 s1, v6
	s_mul_i32 s6, s6, s1
	s_mul_hi_u32 s6, s1, s6
	s_add_i32 s1, s1, s6
	s_mul_hi_u32 s1, s91, s1
	s_mul_i32 s1, s1, s33
	s_sub_i32 s1, s91, s1
	s_sub_i32 s6, s1, s33
	s_cmp_ge_u32 s1, s33
	s_cselect_b32 s1, s6, s1
	s_sub_i32 s6, s1, s33
	s_cmp_ge_u32 s1, s33
	s_cselect_b32 s54, s6, s1
	s_mov_b64 s[18:19], s[54:55]
.LBB141_364:                            ;   in Loop: Header=BB141_31 Depth=1
	s_sub_u32 s18, s91, s18
	s_subb_u32 s19, s59, s19
	s_mov_b32 s20, exec_lo
                                        ; implicit-def: $vgpr43
	v_cmpx_gt_u64_e64 s[18:19], v[0:1]
	s_cbranch_execz .LBB141_373
; %bb.365:                              ;   in Loop: Header=BB141_31 Depth=1
	v_mov_b32_e32 v6, v26
	v_mov_b32_e32 v9, v1
	;; [unrolled: 1-line block ×4, first 2 shown]
	s_mov_b32 s21, 0
                                        ; implicit-def: $sgpr22
	s_inst_prefetch 0x1
	s_branch .LBB141_368
	.p2align	6
.LBB141_366:                            ;   in Loop: Header=BB141_368 Depth=2
	s_or_b32 exec_lo, exec_lo, s6
	s_waitcnt lgkmcnt(0)
	s_barrier
	buffer_gl0_inv
	ds_read_u16 v10, v3 offset:3072
	s_mov_b32 s1, -1
	s_waitcnt lgkmcnt(0)
	s_barrier
	buffer_gl0_inv
	v_cmp_eq_u32_sdwa s6, v10, v3 src0_sel:BYTE_0 src1_sel:DWORD
	s_and_b32 vcc_lo, exec_lo, s6
	s_mov_b32 s6, -1
	s_cbranch_vccnz .LBB141_371
.LBB141_367:                            ;   in Loop: Header=BB141_368 Depth=2
	s_and_b32 s1, exec_lo, s1
	s_or_b32 s21, s1, s21
	s_andn2_b32 s1, s22, exec_lo
	s_and_b32 s6, s6, exec_lo
	s_or_b32 s22, s1, s6
	s_andn2_b32 exec_lo, exec_lo, s21
	s_cbranch_execz .LBB141_372
.LBB141_368:                            ;   Parent Loop BB141_31 Depth=1
                                        ; =>  This Inner Loop Header: Depth=2
	s_mov_b32 s6, exec_lo
	v_cmpx_gt_u64_e64 s[36:37], v[8:9]
	s_cbranch_execz .LBB141_366
; %bb.369:                              ;   in Loop: Header=BB141_368 Depth=2
	global_load_ubyte v10, v[6:7], off
	s_waitcnt vmcnt(0)
	v_add_nc_u32_sdwa v11, sext(v10), v40 dst_sel:DWORD dst_unused:UNUSED_PAD src0_sel:BYTE_0 src1_sel:DWORD
	v_and_b32_e32 v11, v11, v42
	v_cmp_eq_u32_e32 vcc_lo, v11, v20
	s_and_b32 exec_lo, exec_lo, vcc_lo
	s_cbranch_execz .LBB141_366
; %bb.370:                              ;   in Loop: Header=BB141_368 Depth=2
	v_lshlrev_b16 v10, 8, v10
	v_or_b32_e32 v10, 1, v10
	ds_write_b16 v3, v10 offset:3072
	s_branch .LBB141_366
.LBB141_371:                            ;   in Loop: Header=BB141_368 Depth=2
	v_add_co_u32 v8, vcc_lo, v8, s33
	v_add_co_ci_u32_e64 v9, null, 0, v9, vcc_lo
	v_add_co_u32 v6, s6, v6, s81
	v_add_co_ci_u32_e64 v7, null, s80, v7, s6
	v_cmp_le_u64_e32 vcc_lo, s[18:19], v[8:9]
	s_mov_b32 s6, 0
	s_orn2_b32 s1, vcc_lo, exec_lo
	s_branch .LBB141_367
.LBB141_372:                            ;   in Loop: Header=BB141_31 Depth=1
	s_inst_prefetch 0x2
	s_or_b32 exec_lo, exec_lo, s21
	v_lshrrev_b32_sdwa v43, v41, v10 dst_sel:DWORD dst_unused:UNUSED_PAD src0_sel:DWORD src1_sel:WORD_0
	s_andn2_b32 s1, s2, exec_lo
	s_and_b32 s2, s22, exec_lo
	s_or_b32 s2, s1, s2
.LBB141_373:                            ;   in Loop: Header=BB141_31 Depth=1
	s_or_b32 exec_lo, exec_lo, s20
	s_mov_b32 s68, 0
	s_mov_b32 s69, -1
.LBB141_374:                            ;   in Loop: Header=BB141_31 Depth=1
	s_orn2_b32 s2, s2, exec_lo
.LBB141_375:                            ;   in Loop: Header=BB141_31 Depth=1
	s_or_b32 exec_lo, exec_lo, s71
	s_mov_b32 s6, 0
	s_and_saveexec_b32 s22, s2
	s_cbranch_execz .LBB141_484
; %bb.376:                              ;   in Loop: Header=BB141_31 Depth=1
	v_mov_b32_e32 v6, 1
	v_mov_b32_e32 v7, 0
	;; [unrolled: 1-line block ×3, first 2 shown]
	s_xor_b32 s1, s70, -1
	s_and_saveexec_b32 s2, s1
	s_cbranch_execz .LBB141_385
; %bb.377:                              ;   in Loop: Header=BB141_31 Depth=1
	s_mov_b32 s1, exec_lo
	v_cmpx_ge_u64_e64 s[16:17], v[4:5]
	s_xor_b32 s6, exec_lo, s1
	s_cbranch_execz .LBB141_382
; %bb.378:                              ;   in Loop: Header=BB141_31 Depth=1
	ds_read_b64 v[6:7], v3 offset:5120
	s_lshl_b32 s1, 2, vcc_hi
	v_or_b32_e32 v42, s11, v42
	v_and_or_b32 v20, v20, s26, s1
	s_waitcnt lgkmcnt(0)
	v_cmp_ne_u64_e32 vcc_lo, 0, v[6:7]
	s_cbranch_vccnz .LBB141_382
; %bb.379:                              ;   in Loop: Header=BB141_31 Depth=1
	s_and_saveexec_b32 s1, s3
; %bb.380:                              ;   in Loop: Header=BB141_31 Depth=1
	v_mov_b32_e32 v6, s16
	v_mov_b32_e32 v7, s17
	ds_write_b64 v3, v[6:7] offset:5128
; %bb.381:                              ;   in Loop: Header=BB141_31 Depth=1
	s_or_b32 exec_lo, exec_lo, s1
	s_waitcnt lgkmcnt(0)
	s_barrier
	buffer_gl0_inv
.LBB141_382:                            ;   in Loop: Header=BB141_31 Depth=1
	s_or_saveexec_b32 s6, s6
	v_mov_b32_e32 v2, 5
	s_mov_b32 s18, 0
	s_xor_b32 exec_lo, exec_lo, s6
; %bb.383:                              ;   in Loop: Header=BB141_31 Depth=1
	v_sub_co_u32 v4, vcc_lo, v4, s16
	v_subrev_co_ci_u32_e64 v5, null, s17, v5, vcc_lo
	v_mov_b32_e32 v2, 0
	s_mov_b32 s18, exec_lo
; %bb.384:                              ;   in Loop: Header=BB141_31 Depth=1
	s_or_b32 exec_lo, exec_lo, s6
	v_mov_b32_e32 v7, v5
	v_mov_b32_e32 v6, v4
	s_and_b32 s6, s18, exec_lo
.LBB141_385:                            ;   in Loop: Header=BB141_31 Depth=1
	s_or_b32 exec_lo, exec_lo, s2
	s_mov_b32 s2, -1
                                        ; implicit-def: $sgpr70
                                        ; implicit-def: $sgpr71
	s_and_saveexec_b32 s23, s6
	s_cbranch_execz .LBB141_483
; %bb.386:                              ;   in Loop: Header=BB141_31 Depth=1
	v_cmp_eq_u64_e32 vcc_lo, 1, v[6:7]
	s_cmp_eq_u64 s[14:15], 1
                                        ; implicit-def: $sgpr71
                                        ; implicit-def: $sgpr70
	s_cselect_b32 s1, -1, 0
	s_and_b32 s72, s1, vcc_lo
	s_and_saveexec_b32 s73, s72
	s_cbranch_execz .LBB141_420
; %bb.387:                              ;   in Loop: Header=BB141_31 Depth=1
	ds_read_b64 v[4:5], v3 offset:5120
	s_waitcnt lgkmcnt(0)
	s_barrier
	buffer_gl0_inv
	v_readfirstlane_b32 s16, v4
	v_readfirstlane_b32 s17, v5
	s_and_saveexec_b32 s1, s10
; %bb.388:                              ;   in Loop: Header=BB141_31 Depth=1
	ds_write_b8 v0, v3 offset:3072
; %bb.389:                              ;   in Loop: Header=BB141_31 Depth=1
	s_or_b32 exec_lo, exec_lo, s1
	s_lshl_b32 s1, 1, vcc_hi
	v_or_b32_e32 v42, s11, v42
	v_and_or_b32 v20, v20, s26, s1
	s_mov_b32 s70, -1
	s_mov_b32 s71, 0
	s_cmp_eq_u64 s[16:17], 0
	s_mov_b32 s2, 0
	s_mov_b32 s6, -1
	s_waitcnt lgkmcnt(0)
	s_barrier
	buffer_gl0_inv
                                        ; implicit-def: $vgpr43
	s_cbranch_scc1 .LBB141_405
; %bb.390:                              ;   in Loop: Header=BB141_31 Depth=1
	s_add_u32 s2, s16, s89
	s_addc_u32 s19, s17, s90
	s_mov_b32 s18, s55
	s_cmp_lg_u64 s[18:19], 0
	s_cbranch_scc0 .LBB141_437
; %bb.391:                              ;   in Loop: Header=BB141_31 Depth=1
	v_cvt_f32_u32_e32 v4, s33
	s_sub_u32 s18, 0, s33
	s_subb_u32 s20, 0, 0
	v_fmac_f32_e64 v4, 0x4f800000, 0
	v_rcp_f32_e32 v4, v4
	v_mul_f32_e32 v4, 0x5f7ffffc, v4
	v_mul_f32_e32 v5, 0x2f800000, v4
	v_trunc_f32_e32 v5, v5
	v_fmac_f32_e32 v4, 0xcf800000, v5
	v_cvt_u32_f32_e32 v5, v5
	v_cvt_u32_f32_e32 v4, v4
	v_readfirstlane_b32 s1, v5
	v_readfirstlane_b32 s6, v4
	s_mul_i32 s21, s18, s1
	s_mul_hi_u32 s43, s18, s6
	s_mul_i32 s42, s20, s6
	s_add_i32 s21, s43, s21
	s_mul_i32 s54, s18, s6
	s_add_i32 s21, s21, s42
	s_mul_hi_u32 s43, s6, s54
	s_mul_i32 s74, s6, s21
	s_mul_hi_u32 s58, s1, s54
	s_mul_i32 s42, s1, s54
	s_mul_hi_u32 s54, s6, s21
	s_add_u32 s43, s43, s74
	s_addc_u32 s54, 0, s54
	s_mul_hi_u32 s75, s1, s21
	s_add_u32 s42, s43, s42
	s_mul_i32 s21, s1, s21
	s_addc_u32 s42, s54, s58
	s_addc_u32 s43, s75, 0
	s_add_u32 s21, s42, s21
	s_addc_u32 s42, 0, s43
	s_add_u32 s6, s6, s21
	s_cselect_b32 s21, -1, 0
	s_mul_hi_u32 s43, s18, s6
	s_cmp_lg_u32 s21, 0
	s_mul_i32 s21, s18, s6
	s_addc_u32 s1, s1, s42
	s_mul_i32 s20, s20, s6
	s_mul_i32 s18, s18, s1
	s_mul_hi_u32 s42, s6, s21
	s_add_i32 s18, s43, s18
	s_mul_hi_u32 s43, s1, s21
	s_add_i32 s18, s18, s20
	s_mul_i32 s20, s1, s21
	s_mul_i32 s58, s6, s18
	s_mul_hi_u32 s54, s6, s18
	s_add_u32 s42, s42, s58
	s_addc_u32 s54, 0, s54
	s_mul_hi_u32 s21, s1, s18
	s_add_u32 s20, s42, s20
	s_mul_i32 s18, s1, s18
	s_addc_u32 s20, s54, s43
	s_addc_u32 s21, s21, 0
	s_add_u32 s18, s20, s18
	s_addc_u32 s20, 0, s21
	s_add_u32 s6, s6, s18
	s_cselect_b32 s18, -1, 0
	s_mul_hi_u32 s21, s2, s6
	s_cmp_lg_u32 s18, 0
	s_mul_hi_u32 s18, s19, s6
	s_addc_u32 s1, s1, s20
	s_mul_i32 s6, s19, s6
	s_mul_i32 s42, s2, s1
	s_mul_hi_u32 s20, s2, s1
	s_add_u32 s21, s21, s42
	s_addc_u32 s20, 0, s20
	s_mul_hi_u32 s43, s19, s1
	s_add_u32 s6, s21, s6
	s_mul_i32 s1, s19, s1
	s_addc_u32 s6, s20, s18
	s_addc_u32 s18, s43, 0
	s_add_u32 s1, s6, s1
	s_addc_u32 s6, 0, s18
	s_mul_hi_u32 s18, s33, s1
	s_mul_i32 s6, s33, s6
	s_mul_i32 s1, s33, s1
	s_add_i32 s18, s18, s6
	s_sub_u32 s1, s2, s1
	s_cselect_b32 s6, -1, 0
	s_cmp_lg_u32 s6, 0
	s_subb_u32 s6, s19, s18
	s_sub_u32 s18, s1, s33
	s_cselect_b32 s20, -1, 0
	s_cmp_lg_u32 s20, 0
	s_subb_u32 s20, s6, 0
	;; [unrolled: 4-line block ×3, first 2 shown]
	s_cmp_ge_u32 s18, s33
	s_cselect_b32 s43, -1, 0
	s_cmp_eq_u32 s20, 0
	s_cselect_b32 s43, s43, -1
	s_cmp_lg_u32 s43, 0
	s_cselect_b32 s20, s42, s20
	s_cselect_b32 s18, s21, s18
	s_cmp_ge_u32 s1, s33
	s_cselect_b32 s21, -1, 0
	s_cmp_eq_u32 s6, 0
	s_cselect_b32 s21, s21, -1
	s_cmp_lg_u32 s21, 0
	s_cselect_b32 s21, s20, s6
	s_cselect_b32 s20, s18, s1
	s_cbranch_execnz .LBB141_393
.LBB141_392:                            ;   in Loop: Header=BB141_31 Depth=1
	v_cvt_f32_u32_e32 v4, s33
	s_sub_i32 s6, 0, s33
	v_rcp_iflag_f32_e32 v4, v4
	v_mul_f32_e32 v4, 0x4f7ffffe, v4
	v_cvt_u32_f32_e32 v4, v4
	v_readfirstlane_b32 s1, v4
	s_mul_i32 s6, s6, s1
	s_mul_hi_u32 s6, s1, s6
	s_add_i32 s1, s1, s6
	s_mul_hi_u32 s1, s2, s1
	s_mul_i32 s1, s1, s33
	s_sub_i32 s1, s2, s1
	s_sub_i32 s6, s1, s33
	s_cmp_ge_u32 s1, s33
	s_cselect_b32 s1, s6, s1
	s_sub_i32 s6, s1, s33
	s_cmp_ge_u32 s1, s33
	s_cselect_b32 s54, s6, s1
	s_mov_b64 s[20:21], s[54:55]
.LBB141_393:                            ;   in Loop: Header=BB141_31 Depth=1
	s_sub_u32 s18, s2, s20
	s_subb_u32 s19, s19, s21
	s_mov_b32 s6, 0
	s_mov_b32 s2, 0
	s_mov_b32 s20, exec_lo
                                        ; implicit-def: $vgpr43
	v_cmpx_gt_u64_e64 s[18:19], v[0:1]
	s_cbranch_execz .LBB141_404
; %bb.394:                              ;   in Loop: Header=BB141_31 Depth=1
	v_mov_b32_e32 v5, v1
	v_mov_b32_e32 v8, v0
	v_mov_b32_e32 v4, v0
                                        ; implicit-def: $sgpr21
	s_inst_prefetch 0x1
	s_branch .LBB141_397
	.p2align	6
.LBB141_395:                            ;   in Loop: Header=BB141_397 Depth=2
	s_or_b32 exec_lo, exec_lo, s42
	s_waitcnt lgkmcnt(0)
	s_barrier
	buffer_gl0_inv
	ds_read_u16 v9, v3 offset:3072
	s_mov_b32 s1, -1
	s_waitcnt lgkmcnt(0)
	s_barrier
	buffer_gl0_inv
	v_cmp_ne_u32_sdwa s42, v9, v3 src0_sel:BYTE_0 src1_sel:DWORD
	s_and_b32 vcc_lo, exec_lo, s42
	s_mov_b32 s42, -1
	s_cbranch_vccz .LBB141_400
.LBB141_396:                            ;   in Loop: Header=BB141_397 Depth=2
	s_and_b32 s1, exec_lo, s1
	s_or_b32 s2, s1, s2
	s_andn2_b32 s1, s21, exec_lo
	s_and_b32 s21, s42, exec_lo
	s_or_b32 s21, s1, s21
	s_andn2_b32 exec_lo, exec_lo, s2
	s_cbranch_execz .LBB141_403
.LBB141_397:                            ;   Parent Loop BB141_31 Depth=1
                                        ; =>  This Inner Loop Header: Depth=2
	s_mov_b32 s42, exec_lo
	v_cmpx_gt_u64_e64 s[16:17], v[4:5]
	s_cbranch_execz .LBB141_395
; %bb.398:                              ;   in Loop: Header=BB141_397 Depth=2
	ds_read_u8 v9, v8
	s_waitcnt lgkmcnt(0)
	v_add_nc_u32_sdwa v10, sext(v9), v40 dst_sel:DWORD dst_unused:UNUSED_PAD src0_sel:BYTE_0 src1_sel:DWORD
	v_and_b32_e32 v10, v10, v42
	v_cmp_eq_u32_e32 vcc_lo, v10, v20
	s_and_b32 exec_lo, exec_lo, vcc_lo
	s_cbranch_execz .LBB141_395
; %bb.399:                              ;   in Loop: Header=BB141_397 Depth=2
	v_lshlrev_b16 v9, 8, v9
	v_or_b32_e32 v9, 1, v9
	ds_write_b16 v3, v9 offset:3072
	s_branch .LBB141_395
.LBB141_400:                            ;   in Loop: Header=BB141_397 Depth=2
	v_add_co_u32 v4, vcc_lo, v4, s33
	v_add_co_ci_u32_e64 v5, null, 0, v5, vcc_lo
	v_add_nc_u32_e32 v8, s33, v8
	s_mov_b32 s42, 0
	v_cmp_le_u64_e32 vcc_lo, s[18:19], v[4:5]
	s_orn2_b32 s1, vcc_lo, exec_lo
	s_branch .LBB141_396
.LBB141_401:                            ;   in Loop: Header=BB141_31 Depth=1
                                        ; implicit-def: $sgpr22_sgpr23
	s_branch .LBB141_347
.LBB141_402:                            ;   in Loop: Header=BB141_31 Depth=1
                                        ; implicit-def: $sgpr18_sgpr19
	s_branch .LBB141_363
.LBB141_403:                            ;   in Loop: Header=BB141_31 Depth=1
	s_inst_prefetch 0x2
	s_or_b32 exec_lo, exec_lo, s2
	v_lshrrev_b32_sdwa v43, v41, v9 dst_sel:DWORD dst_unused:UNUSED_PAD src0_sel:DWORD src1_sel:WORD_0
	s_and_b32 s2, s21, exec_lo
.LBB141_404:                            ;   in Loop: Header=BB141_31 Depth=1
	s_or_b32 exec_lo, exec_lo, s20
.LBB141_405:                            ;   in Loop: Header=BB141_31 Depth=1
	s_and_b32 vcc_lo, exec_lo, s6
	s_cbranch_vccz .LBB141_419
; %bb.406:                              ;   in Loop: Header=BB141_31 Depth=1
	s_mov_b32 s58, s55
	s_cmp_lg_u64 s[58:59], 0
	s_cbranch_scc0 .LBB141_438
; %bb.407:                              ;   in Loop: Header=BB141_31 Depth=1
	v_cvt_f32_u32_e32 v4, s33
	s_sub_u32 s16, 0, s33
	s_subb_u32 s17, 0, 0
	v_fmac_f32_e64 v4, 0x4f800000, 0
	v_rcp_f32_e32 v4, v4
	v_mul_f32_e32 v4, 0x5f7ffffc, v4
	v_mul_f32_e32 v5, 0x2f800000, v4
	v_trunc_f32_e32 v5, v5
	v_fmac_f32_e32 v4, 0xcf800000, v5
	v_cvt_u32_f32_e32 v5, v5
	v_cvt_u32_f32_e32 v4, v4
	v_readfirstlane_b32 s1, v5
	v_readfirstlane_b32 s6, v4
	s_mul_i32 s18, s16, s1
	s_mul_hi_u32 s20, s16, s6
	s_mul_i32 s19, s17, s6
	s_add_i32 s18, s20, s18
	s_mul_i32 s21, s16, s6
	s_add_i32 s18, s18, s19
	s_mul_hi_u32 s20, s6, s21
	s_mul_i32 s43, s6, s18
	s_mul_hi_u32 s42, s1, s21
	s_mul_i32 s19, s1, s21
	s_mul_hi_u32 s21, s6, s18
	s_add_u32 s20, s20, s43
	s_addc_u32 s21, 0, s21
	s_mul_hi_u32 s54, s1, s18
	s_add_u32 s19, s20, s19
	s_mul_i32 s18, s1, s18
	s_addc_u32 s19, s21, s42
	s_addc_u32 s20, s54, 0
	s_add_u32 s18, s19, s18
	s_addc_u32 s19, 0, s20
	s_add_u32 s6, s6, s18
	s_cselect_b32 s18, -1, 0
	s_mul_hi_u32 s20, s16, s6
	s_cmp_lg_u32 s18, 0
	s_mul_i32 s18, s16, s6
	s_addc_u32 s1, s1, s19
	s_mul_i32 s17, s17, s6
	s_mul_i32 s16, s16, s1
	s_mul_hi_u32 s19, s6, s18
	s_add_i32 s16, s20, s16
	s_mul_hi_u32 s20, s1, s18
	s_add_i32 s16, s16, s17
	s_mul_i32 s17, s1, s18
	s_mul_i32 s42, s6, s16
	s_mul_hi_u32 s21, s6, s16
	s_add_u32 s19, s19, s42
	s_addc_u32 s21, 0, s21
	s_mul_hi_u32 s18, s1, s16
	s_add_u32 s17, s19, s17
	s_mul_i32 s16, s1, s16
	s_addc_u32 s17, s21, s20
	s_addc_u32 s18, s18, 0
	s_add_u32 s16, s17, s16
	s_addc_u32 s17, 0, s18
	s_add_u32 s6, s6, s16
	s_cselect_b32 s16, -1, 0
	s_mul_hi_u32 s18, s91, s6
	s_cmp_lg_u32 s16, 0
	s_mul_hi_u32 s16, s59, s6
	s_addc_u32 s1, s1, s17
	s_mul_i32 s6, s59, s6
	s_mul_i32 s19, s91, s1
	s_mul_hi_u32 s17, s91, s1
	s_add_u32 s18, s18, s19
	s_addc_u32 s17, 0, s17
	s_mul_hi_u32 s20, s59, s1
	s_add_u32 s6, s18, s6
	s_mul_i32 s1, s59, s1
	s_addc_u32 s6, s17, s16
	s_addc_u32 s16, s20, 0
	s_add_u32 s1, s6, s1
	s_addc_u32 s6, 0, s16
	s_mul_hi_u32 s16, s33, s1
	s_mul_i32 s6, s33, s6
	s_mul_i32 s1, s33, s1
	s_add_i32 s16, s16, s6
	s_sub_u32 s1, s91, s1
	s_cselect_b32 s6, -1, 0
	s_cmp_lg_u32 s6, 0
	s_subb_u32 s6, s59, s16
	s_sub_u32 s16, s1, s33
	s_cselect_b32 s17, -1, 0
	s_cmp_lg_u32 s17, 0
	s_subb_u32 s17, s6, 0
	s_sub_u32 s18, s16, s33
	s_cselect_b32 s19, -1, 0
	s_cmp_lg_u32 s19, 0
	s_subb_u32 s19, s17, 0
	s_cmp_ge_u32 s16, s33
	s_cselect_b32 s20, -1, 0
	s_cmp_eq_u32 s17, 0
	s_cselect_b32 s20, s20, -1
	s_cmp_lg_u32 s20, 0
	s_cselect_b32 s17, s19, s17
	s_cselect_b32 s16, s18, s16
	s_cmp_ge_u32 s1, s33
	s_cselect_b32 s18, -1, 0
	s_cmp_eq_u32 s6, 0
	s_cselect_b32 s18, s18, -1
	s_cmp_lg_u32 s18, 0
	s_cselect_b32 s17, s17, s6
	s_cselect_b32 s16, s16, s1
	s_cbranch_execnz .LBB141_409
.LBB141_408:                            ;   in Loop: Header=BB141_31 Depth=1
	v_cvt_f32_u32_e32 v4, s33
	s_sub_i32 s6, 0, s33
	v_rcp_iflag_f32_e32 v4, v4
	v_mul_f32_e32 v4, 0x4f7ffffe, v4
	v_cvt_u32_f32_e32 v4, v4
	v_readfirstlane_b32 s1, v4
	s_mul_i32 s6, s6, s1
	s_mul_hi_u32 s6, s1, s6
	s_add_i32 s1, s1, s6
	s_mul_hi_u32 s1, s91, s1
	s_mul_i32 s1, s1, s33
	s_sub_i32 s1, s91, s1
	s_sub_i32 s6, s1, s33
	s_cmp_ge_u32 s1, s33
	s_cselect_b32 s1, s6, s1
	s_sub_i32 s6, s1, s33
	s_cmp_ge_u32 s1, s33
	s_cselect_b32 s54, s6, s1
	s_mov_b64 s[16:17], s[54:55]
.LBB141_409:                            ;   in Loop: Header=BB141_31 Depth=1
	s_sub_u32 s16, s91, s16
	s_subb_u32 s17, s59, s17
	s_mov_b32 s18, exec_lo
                                        ; implicit-def: $vgpr43
	v_cmpx_gt_u64_e64 s[16:17], v[0:1]
	s_cbranch_execz .LBB141_418
; %bb.410:                              ;   in Loop: Header=BB141_31 Depth=1
	v_mov_b32_e32 v4, v26
	v_mov_b32_e32 v9, v1
	;; [unrolled: 1-line block ×4, first 2 shown]
	s_mov_b32 s19, 0
                                        ; implicit-def: $sgpr20
	s_inst_prefetch 0x1
	s_branch .LBB141_413
	.p2align	6
.LBB141_411:                            ;   in Loop: Header=BB141_413 Depth=2
	s_or_b32 exec_lo, exec_lo, s6
	s_waitcnt lgkmcnt(0)
	s_barrier
	buffer_gl0_inv
	ds_read_u16 v10, v3 offset:3072
	s_mov_b32 s1, -1
	s_waitcnt lgkmcnt(0)
	s_barrier
	buffer_gl0_inv
	v_cmp_eq_u32_sdwa s6, v10, v3 src0_sel:BYTE_0 src1_sel:DWORD
	s_and_b32 vcc_lo, exec_lo, s6
	s_mov_b32 s6, -1
	s_cbranch_vccnz .LBB141_416
.LBB141_412:                            ;   in Loop: Header=BB141_413 Depth=2
	s_and_b32 s1, exec_lo, s1
	s_or_b32 s19, s1, s19
	s_andn2_b32 s1, s20, exec_lo
	s_and_b32 s6, s6, exec_lo
	s_or_b32 s20, s1, s6
	s_andn2_b32 exec_lo, exec_lo, s19
	s_cbranch_execz .LBB141_417
.LBB141_413:                            ;   Parent Loop BB141_31 Depth=1
                                        ; =>  This Inner Loop Header: Depth=2
	s_mov_b32 s6, exec_lo
	v_cmpx_gt_u64_e64 s[36:37], v[8:9]
	s_cbranch_execz .LBB141_411
; %bb.414:                              ;   in Loop: Header=BB141_413 Depth=2
	global_load_ubyte v10, v[4:5], off
	s_waitcnt vmcnt(0)
	v_add_nc_u32_sdwa v11, sext(v10), v40 dst_sel:DWORD dst_unused:UNUSED_PAD src0_sel:BYTE_0 src1_sel:DWORD
	v_and_b32_e32 v11, v11, v42
	v_cmp_eq_u32_e32 vcc_lo, v11, v20
	s_and_b32 exec_lo, exec_lo, vcc_lo
	s_cbranch_execz .LBB141_411
; %bb.415:                              ;   in Loop: Header=BB141_413 Depth=2
	v_lshlrev_b16 v10, 8, v10
	v_or_b32_e32 v10, 1, v10
	ds_write_b16 v3, v10 offset:3072
	s_branch .LBB141_411
.LBB141_416:                            ;   in Loop: Header=BB141_413 Depth=2
	v_add_co_u32 v8, vcc_lo, v8, s33
	v_add_co_ci_u32_e64 v9, null, 0, v9, vcc_lo
	v_add_co_u32 v4, s6, v4, s81
	v_add_co_ci_u32_e64 v5, null, s80, v5, s6
	v_cmp_le_u64_e32 vcc_lo, s[16:17], v[8:9]
	s_mov_b32 s6, 0
	s_orn2_b32 s1, vcc_lo, exec_lo
	s_branch .LBB141_412
.LBB141_417:                            ;   in Loop: Header=BB141_31 Depth=1
	s_inst_prefetch 0x2
	s_or_b32 exec_lo, exec_lo, s19
	v_lshrrev_b32_sdwa v43, v41, v10 dst_sel:DWORD dst_unused:UNUSED_PAD src0_sel:DWORD src1_sel:WORD_0
	s_andn2_b32 s1, s2, exec_lo
	s_and_b32 s2, s20, exec_lo
	s_or_b32 s2, s1, s2
.LBB141_418:                            ;   in Loop: Header=BB141_31 Depth=1
	s_or_b32 exec_lo, exec_lo, s18
	s_mov_b32 s70, 0
	s_mov_b32 s71, -1
.LBB141_419:                            ;   in Loop: Header=BB141_31 Depth=1
	s_orn2_b32 s2, s2, exec_lo
.LBB141_420:                            ;   in Loop: Header=BB141_31 Depth=1
	s_or_b32 exec_lo, exec_lo, s73
	s_mov_b32 s6, 0
	s_and_saveexec_b32 s20, s2
	s_cbranch_execz .LBB141_482
; %bb.421:                              ;   in Loop: Header=BB141_31 Depth=1
	v_mov_b32_e32 v4, 1
	v_mov_b32_e32 v5, 0
	;; [unrolled: 1-line block ×3, first 2 shown]
	s_xor_b32 s1, s72, -1
	s_mov_b32 s16, 0
	s_and_saveexec_b32 s2, s1
	s_cbranch_execz .LBB141_430
; %bb.422:                              ;   in Loop: Header=BB141_31 Depth=1
	s_mov_b32 s1, exec_lo
	v_cmpx_ge_u64_e64 s[14:15], v[6:7]
	s_xor_b32 s6, exec_lo, s1
	s_cbranch_execz .LBB141_427
; %bb.423:                              ;   in Loop: Header=BB141_31 Depth=1
	ds_read_b64 v[4:5], v3 offset:5120
	s_lshl_b32 s1, 1, vcc_hi
	v_or_b32_e32 v42, s11, v42
	v_and_or_b32 v20, v20, s26, s1
	s_waitcnt lgkmcnt(0)
	v_cmp_ne_u64_e32 vcc_lo, 0, v[4:5]
	s_cbranch_vccnz .LBB141_427
; %bb.424:                              ;   in Loop: Header=BB141_31 Depth=1
	s_and_saveexec_b32 s1, s3
; %bb.425:                              ;   in Loop: Header=BB141_31 Depth=1
	v_mov_b32_e32 v4, s14
	v_mov_b32_e32 v5, s15
	ds_write_b64 v3, v[4:5] offset:5128
; %bb.426:                              ;   in Loop: Header=BB141_31 Depth=1
	s_or_b32 exec_lo, exec_lo, s1
	s_waitcnt lgkmcnt(0)
	s_barrier
	buffer_gl0_inv
.LBB141_427:                            ;   in Loop: Header=BB141_31 Depth=1
	s_or_saveexec_b32 s6, s6
	v_mov_b32_e32 v2, 5
	s_xor_b32 exec_lo, exec_lo, s6
; %bb.428:                              ;   in Loop: Header=BB141_31 Depth=1
	v_sub_co_u32 v6, vcc_lo, v6, s14
	v_subrev_co_ci_u32_e64 v7, null, s15, v7, vcc_lo
	v_mov_b32_e32 v2, 0
	s_mov_b32 s16, exec_lo
; %bb.429:                              ;   in Loop: Header=BB141_31 Depth=1
	s_or_b32 exec_lo, exec_lo, s6
	v_mov_b32_e32 v4, v6
	v_mov_b32_e32 v5, v7
	s_and_b32 s16, s16, exec_lo
.LBB141_430:                            ;   in Loop: Header=BB141_31 Depth=1
	s_or_b32 exec_lo, exec_lo, s2
	s_mov_b32 s2, -1
                                        ; implicit-def: $sgpr58
                                        ; implicit-def: $sgpr6
	s_and_saveexec_b32 s21, s16
	s_cbranch_execz .LBB141_481
; %bb.431:                              ;   in Loop: Header=BB141_31 Depth=1
	v_cmp_eq_u64_e32 vcc_lo, 1, v[4:5]
	s_cmp_eq_u64 s[12:13], 1
	s_mov_b32 s14, -1
	s_cselect_b32 s1, -1, 0
                                        ; implicit-def: $sgpr58
                                        ; implicit-def: $sgpr6
	s_and_b32 s72, s1, vcc_lo
	s_and_saveexec_b32 s2, s72
	s_cbranch_execz .LBB141_469
; %bb.432:                              ;   in Loop: Header=BB141_31 Depth=1
	ds_read_b64 v[6:7], v3 offset:5120
	s_waitcnt lgkmcnt(0)
	s_barrier
	buffer_gl0_inv
	v_readfirstlane_b32 s14, v6
	v_readfirstlane_b32 s15, v7
	s_and_saveexec_b32 s1, s10
; %bb.433:                              ;   in Loop: Header=BB141_31 Depth=1
	ds_write_b8 v0, v3 offset:3072
; %bb.434:                              ;   in Loop: Header=BB141_31 Depth=1
	s_or_b32 exec_lo, exec_lo, s1
	v_and_b32_e32 v20, s26, v20
	v_or_b32_e32 v42, s11, v42
	s_mov_b32 s6, -1
	s_mov_b32 s58, 0
	s_cmp_eq_u64 s[14:15], 0
	s_mov_b32 s18, 0
	s_mov_b32 s19, -1
	s_waitcnt lgkmcnt(0)
	s_barrier
	buffer_gl0_inv
                                        ; implicit-def: $vgpr43
	s_cbranch_scc1 .LBB141_452
; %bb.435:                              ;   in Loop: Header=BB141_31 Depth=1
	s_add_u32 s73, s14, s89
	s_addc_u32 s17, s15, s90
	s_mov_b32 s16, s55
	s_cmp_lg_u64 s[16:17], 0
	s_cbranch_scc0 .LBB141_439
; %bb.436:                              ;   in Loop: Header=BB141_31 Depth=1
	v_cvt_f32_u32_e32 v6, s33
	s_sub_u32 s18, 0, s33
	s_subb_u32 s19, 0, 0
	v_fmac_f32_e64 v6, 0x4f800000, 0
	v_rcp_f32_e32 v6, v6
	v_mul_f32_e32 v6, 0x5f7ffffc, v6
	v_mul_f32_e32 v7, 0x2f800000, v6
	v_trunc_f32_e32 v7, v7
	v_fmac_f32_e32 v6, 0xcf800000, v7
	v_cvt_u32_f32_e32 v7, v7
	v_cvt_u32_f32_e32 v6, v6
	v_readfirstlane_b32 s1, v7
	v_readfirstlane_b32 s16, v6
	s_mul_i32 s42, s18, s1
	s_mul_hi_u32 s54, s18, s16
	s_mul_i32 s43, s19, s16
	s_add_i32 s42, s54, s42
	s_mul_i32 s74, s18, s16
	s_add_i32 s42, s42, s43
	s_mul_hi_u32 s54, s16, s74
	s_mul_i32 s76, s16, s42
	s_mul_hi_u32 s75, s1, s74
	s_mul_i32 s43, s1, s74
	s_mul_hi_u32 s74, s16, s42
	s_add_u32 s54, s54, s76
	s_addc_u32 s74, 0, s74
	s_mul_hi_u32 s77, s1, s42
	s_add_u32 s43, s54, s43
	s_mul_i32 s42, s1, s42
	s_addc_u32 s43, s74, s75
	s_addc_u32 s54, s77, 0
	s_add_u32 s42, s43, s42
	s_addc_u32 s43, 0, s54
	s_add_u32 s16, s16, s42
	s_cselect_b32 s42, -1, 0
	s_mul_hi_u32 s54, s18, s16
	s_cmp_lg_u32 s42, 0
	s_mul_i32 s42, s18, s16
	s_addc_u32 s1, s1, s43
	s_mul_i32 s19, s19, s16
	s_mul_i32 s18, s18, s1
	s_mul_hi_u32 s43, s16, s42
	s_add_i32 s18, s54, s18
	s_mul_hi_u32 s54, s1, s42
	s_add_i32 s18, s18, s19
	s_mul_i32 s19, s1, s42
	s_mul_i32 s75, s16, s18
	s_mul_hi_u32 s74, s16, s18
	s_add_u32 s43, s43, s75
	s_addc_u32 s74, 0, s74
	s_mul_hi_u32 s42, s1, s18
	s_add_u32 s19, s43, s19
	s_mul_i32 s18, s1, s18
	s_addc_u32 s19, s74, s54
	s_addc_u32 s42, s42, 0
	s_add_u32 s18, s19, s18
	s_addc_u32 s19, 0, s42
	s_add_u32 s16, s16, s18
	s_cselect_b32 s18, -1, 0
	s_mul_hi_u32 s42, s73, s16
	s_cmp_lg_u32 s18, 0
	s_mul_hi_u32 s18, s17, s16
	s_addc_u32 s1, s1, s19
	s_mul_i32 s16, s17, s16
	s_mul_i32 s43, s73, s1
	s_mul_hi_u32 s19, s73, s1
	s_add_u32 s42, s42, s43
	s_addc_u32 s19, 0, s19
	s_mul_hi_u32 s54, s17, s1
	s_add_u32 s16, s42, s16
	s_mul_i32 s1, s17, s1
	s_addc_u32 s16, s19, s18
	s_addc_u32 s18, s54, 0
	s_add_u32 s1, s16, s1
	s_addc_u32 s16, 0, s18
	s_mul_hi_u32 s18, s33, s1
	s_mul_i32 s16, s33, s16
	s_mul_i32 s1, s33, s1
	s_add_i32 s18, s18, s16
	s_sub_u32 s1, s73, s1
	s_cselect_b32 s16, -1, 0
	s_cmp_lg_u32 s16, 0
	s_subb_u32 s16, s17, s18
	s_sub_u32 s18, s1, s33
	s_cselect_b32 s19, -1, 0
	s_cmp_lg_u32 s19, 0
	s_subb_u32 s19, s16, 0
	;; [unrolled: 4-line block ×3, first 2 shown]
	s_cmp_ge_u32 s18, s33
	s_cselect_b32 s54, -1, 0
	s_cmp_eq_u32 s19, 0
	s_cselect_b32 s54, s54, -1
	s_cmp_lg_u32 s54, 0
	s_cselect_b32 s19, s43, s19
	s_cselect_b32 s18, s42, s18
	s_cmp_ge_u32 s1, s33
	s_cselect_b32 s42, -1, 0
	s_cmp_eq_u32 s16, 0
	s_cselect_b32 s42, s42, -1
	s_cmp_lg_u32 s42, 0
	s_cselect_b32 s19, s19, s16
	s_cselect_b32 s18, s18, s1
	s_mov_b32 s1, 0
	s_branch .LBB141_440
.LBB141_437:                            ;   in Loop: Header=BB141_31 Depth=1
                                        ; implicit-def: $sgpr20_sgpr21
	s_branch .LBB141_392
.LBB141_438:                            ;   in Loop: Header=BB141_31 Depth=1
                                        ; implicit-def: $sgpr16_sgpr17
	s_branch .LBB141_408
.LBB141_439:                            ;   in Loop: Header=BB141_31 Depth=1
	s_mov_b32 s1, -1
                                        ; implicit-def: $sgpr18_sgpr19
.LBB141_440:                            ;   in Loop: Header=BB141_31 Depth=1
	s_andn2_b32 vcc_lo, exec_lo, s1
	s_cbranch_vccnz .LBB141_442
; %bb.441:                              ;   in Loop: Header=BB141_31 Depth=1
	v_cvt_f32_u32_e32 v6, s33
	s_sub_i32 s16, 0, s33
	v_rcp_iflag_f32_e32 v6, v6
	v_mul_f32_e32 v6, 0x4f7ffffe, v6
	v_cvt_u32_f32_e32 v6, v6
	v_readfirstlane_b32 s1, v6
	s_mul_i32 s16, s16, s1
	s_mul_hi_u32 s16, s1, s16
	s_add_i32 s1, s1, s16
	s_mul_hi_u32 s1, s73, s1
	s_mul_i32 s1, s1, s33
	s_sub_i32 s1, s73, s1
	s_sub_i32 s16, s1, s33
	s_cmp_ge_u32 s1, s33
	s_cselect_b32 s1, s16, s1
	s_sub_i32 s16, s1, s33
	s_cmp_ge_u32 s1, s33
	s_cselect_b32 s54, s16, s1
	s_mov_b64 s[18:19], s[54:55]
.LBB141_442:                            ;   in Loop: Header=BB141_31 Depth=1
	s_sub_u32 s16, s73, s18
	s_subb_u32 s17, s17, s19
	s_mov_b32 s19, 0
	s_mov_b32 s18, 0
	s_mov_b32 s42, exec_lo
                                        ; implicit-def: $vgpr43
	v_cmpx_gt_u64_e64 s[16:17], v[0:1]
	s_cbranch_execz .LBB141_451
; %bb.443:                              ;   in Loop: Header=BB141_31 Depth=1
	v_mov_b32_e32 v7, v1
	v_mov_b32_e32 v8, v0
	;; [unrolled: 1-line block ×3, first 2 shown]
                                        ; implicit-def: $sgpr43
	s_inst_prefetch 0x1
	s_branch .LBB141_446
	.p2align	6
.LBB141_444:                            ;   in Loop: Header=BB141_446 Depth=2
	s_or_b32 exec_lo, exec_lo, s54
	s_waitcnt lgkmcnt(0)
	s_barrier
	buffer_gl0_inv
	ds_read_u16 v9, v3 offset:3072
	s_mov_b32 s1, -1
	s_waitcnt lgkmcnt(0)
	s_barrier
	buffer_gl0_inv
	v_cmp_ne_u32_sdwa s54, v9, v3 src0_sel:BYTE_0 src1_sel:DWORD
	s_and_b32 vcc_lo, exec_lo, s54
	s_mov_b32 s54, -1
	s_cbranch_vccz .LBB141_449
.LBB141_445:                            ;   in Loop: Header=BB141_446 Depth=2
	s_and_b32 s1, exec_lo, s1
	s_or_b32 s18, s1, s18
	s_andn2_b32 s1, s43, exec_lo
	s_and_b32 s43, s54, exec_lo
	s_or_b32 s43, s1, s43
	s_andn2_b32 exec_lo, exec_lo, s18
	s_cbranch_execz .LBB141_450
.LBB141_446:                            ;   Parent Loop BB141_31 Depth=1
                                        ; =>  This Inner Loop Header: Depth=2
	s_mov_b32 s54, exec_lo
	v_cmpx_gt_u64_e64 s[14:15], v[6:7]
	s_cbranch_execz .LBB141_444
; %bb.447:                              ;   in Loop: Header=BB141_446 Depth=2
	ds_read_u8 v9, v8
	s_waitcnt lgkmcnt(0)
	v_add_nc_u32_sdwa v10, sext(v9), v40 dst_sel:DWORD dst_unused:UNUSED_PAD src0_sel:BYTE_0 src1_sel:DWORD
	v_and_b32_e32 v10, v10, v42
	v_cmp_eq_u32_e32 vcc_lo, v10, v20
	s_and_b32 exec_lo, exec_lo, vcc_lo
	s_cbranch_execz .LBB141_444
; %bb.448:                              ;   in Loop: Header=BB141_446 Depth=2
	v_lshlrev_b16 v9, 8, v9
	v_or_b32_e32 v9, 1, v9
	ds_write_b16 v3, v9 offset:3072
	s_branch .LBB141_444
.LBB141_449:                            ;   in Loop: Header=BB141_446 Depth=2
	v_add_co_u32 v6, vcc_lo, v6, s33
	v_add_co_ci_u32_e64 v7, null, 0, v7, vcc_lo
	v_add_nc_u32_e32 v8, s33, v8
	s_mov_b32 s54, 0
	v_cmp_le_u64_e32 vcc_lo, s[16:17], v[6:7]
	s_orn2_b32 s1, vcc_lo, exec_lo
	s_branch .LBB141_445
.LBB141_450:                            ;   in Loop: Header=BB141_31 Depth=1
	s_inst_prefetch 0x2
	s_or_b32 exec_lo, exec_lo, s18
	v_lshrrev_b32_sdwa v43, v41, v9 dst_sel:DWORD dst_unused:UNUSED_PAD src0_sel:DWORD src1_sel:WORD_0
	s_and_b32 s18, s43, exec_lo
.LBB141_451:                            ;   in Loop: Header=BB141_31 Depth=1
	s_or_b32 exec_lo, exec_lo, s42
.LBB141_452:                            ;   in Loop: Header=BB141_31 Depth=1
	s_and_b32 vcc_lo, exec_lo, s19
	s_cbranch_vccz .LBB141_468
; %bb.453:                              ;   in Loop: Header=BB141_31 Depth=1
	s_mov_b32 s58, s55
	s_cmp_lg_u64 s[58:59], 0
	s_cbranch_scc0 .LBB141_455
; %bb.454:                              ;   in Loop: Header=BB141_31 Depth=1
	v_cvt_f32_u32_e32 v6, s33
	s_sub_u32 s14, 0, s33
	s_subb_u32 s15, 0, 0
	v_fmac_f32_e64 v6, 0x4f800000, 0
	v_rcp_f32_e32 v6, v6
	v_mul_f32_e32 v6, 0x5f7ffffc, v6
	v_mul_f32_e32 v7, 0x2f800000, v6
	v_trunc_f32_e32 v7, v7
	v_fmac_f32_e32 v6, 0xcf800000, v7
	v_cvt_u32_f32_e32 v7, v7
	v_cvt_u32_f32_e32 v6, v6
	v_readfirstlane_b32 s1, v7
	v_readfirstlane_b32 s6, v6
	s_mul_i32 s16, s14, s1
	s_mul_hi_u32 s19, s14, s6
	s_mul_i32 s17, s15, s6
	s_add_i32 s16, s19, s16
	s_mul_i32 s42, s14, s6
	s_add_i32 s16, s16, s17
	s_mul_hi_u32 s19, s6, s42
	s_mul_i32 s54, s6, s16
	s_mul_hi_u32 s43, s1, s42
	s_mul_i32 s17, s1, s42
	s_mul_hi_u32 s42, s6, s16
	s_add_u32 s19, s19, s54
	s_addc_u32 s42, 0, s42
	s_mul_hi_u32 s58, s1, s16
	s_add_u32 s17, s19, s17
	s_mul_i32 s16, s1, s16
	s_addc_u32 s17, s42, s43
	s_addc_u32 s19, s58, 0
	s_add_u32 s16, s17, s16
	s_addc_u32 s17, 0, s19
	s_add_u32 s6, s6, s16
	s_cselect_b32 s16, -1, 0
	s_mul_hi_u32 s19, s14, s6
	s_cmp_lg_u32 s16, 0
	s_mul_i32 s16, s14, s6
	s_addc_u32 s1, s1, s17
	s_mul_i32 s15, s15, s6
	s_mul_i32 s14, s14, s1
	s_mul_hi_u32 s17, s6, s16
	s_add_i32 s14, s19, s14
	s_mul_hi_u32 s19, s1, s16
	s_add_i32 s14, s14, s15
	s_mul_i32 s15, s1, s16
	s_mul_i32 s43, s6, s14
	s_mul_hi_u32 s42, s6, s14
	s_add_u32 s17, s17, s43
	s_addc_u32 s42, 0, s42
	s_mul_hi_u32 s16, s1, s14
	s_add_u32 s15, s17, s15
	s_mul_i32 s14, s1, s14
	s_addc_u32 s15, s42, s19
	s_addc_u32 s16, s16, 0
	s_add_u32 s14, s15, s14
	s_addc_u32 s15, 0, s16
	s_add_u32 s6, s6, s14
	s_cselect_b32 s14, -1, 0
	s_mul_hi_u32 s16, s91, s6
	s_cmp_lg_u32 s14, 0
	s_mul_hi_u32 s14, s59, s6
	s_addc_u32 s1, s1, s15
	s_mul_i32 s6, s59, s6
	s_mul_i32 s17, s91, s1
	s_mul_hi_u32 s15, s91, s1
	s_add_u32 s16, s16, s17
	s_addc_u32 s15, 0, s15
	s_mul_hi_u32 s19, s59, s1
	s_add_u32 s6, s16, s6
	s_mul_i32 s1, s59, s1
	s_addc_u32 s6, s15, s14
	s_addc_u32 s14, s19, 0
	s_add_u32 s1, s6, s1
	s_addc_u32 s6, 0, s14
	s_mul_hi_u32 s14, s33, s1
	s_mul_i32 s6, s33, s6
	s_mul_i32 s1, s33, s1
	s_add_i32 s14, s14, s6
	s_sub_u32 s1, s91, s1
	s_cselect_b32 s6, -1, 0
	s_cmp_lg_u32 s6, 0
	s_subb_u32 s6, s59, s14
	s_sub_u32 s14, s1, s33
	s_cselect_b32 s15, -1, 0
	s_cmp_lg_u32 s15, 0
	s_subb_u32 s15, s6, 0
	;; [unrolled: 4-line block ×3, first 2 shown]
	s_cmp_ge_u32 s14, s33
	s_cselect_b32 s19, -1, 0
	s_cmp_eq_u32 s15, 0
	s_cselect_b32 s19, s19, -1
	s_cmp_lg_u32 s19, 0
	s_cselect_b32 s15, s17, s15
	s_cselect_b32 s14, s16, s14
	s_cmp_ge_u32 s1, s33
	s_cselect_b32 s16, -1, 0
	s_cmp_eq_u32 s6, 0
	s_cselect_b32 s16, s16, -1
	s_cmp_lg_u32 s16, 0
	s_cselect_b32 s15, s15, s6
	s_cselect_b32 s14, s14, s1
	s_mov_b32 s1, 0
	s_branch .LBB141_456
.LBB141_455:                            ;   in Loop: Header=BB141_31 Depth=1
	s_mov_b32 s1, -1
                                        ; implicit-def: $sgpr14_sgpr15
.LBB141_456:                            ;   in Loop: Header=BB141_31 Depth=1
	s_andn2_b32 vcc_lo, exec_lo, s1
	s_cbranch_vccnz .LBB141_458
; %bb.457:                              ;   in Loop: Header=BB141_31 Depth=1
	v_cvt_f32_u32_e32 v6, s33
	s_sub_i32 s6, 0, s33
	v_rcp_iflag_f32_e32 v6, v6
	v_mul_f32_e32 v6, 0x4f7ffffe, v6
	v_cvt_u32_f32_e32 v6, v6
	v_readfirstlane_b32 s1, v6
	s_mul_i32 s6, s6, s1
	s_mul_hi_u32 s6, s1, s6
	s_add_i32 s1, s1, s6
	s_mul_hi_u32 s1, s91, s1
	s_mul_i32 s1, s1, s33
	s_sub_i32 s1, s91, s1
	s_sub_i32 s6, s1, s33
	s_cmp_ge_u32 s1, s33
	s_cselect_b32 s1, s6, s1
	s_sub_i32 s6, s1, s33
	s_cmp_ge_u32 s1, s33
	s_cselect_b32 s54, s6, s1
	s_mov_b64 s[14:15], s[54:55]
.LBB141_458:                            ;   in Loop: Header=BB141_31 Depth=1
	s_sub_u32 s14, s91, s14
	s_subb_u32 s15, s59, s15
	s_mov_b32 s16, exec_lo
                                        ; implicit-def: $vgpr43
	v_cmpx_gt_u64_e64 s[14:15], v[0:1]
	s_cbranch_execz .LBB141_467
; %bb.459:                              ;   in Loop: Header=BB141_31 Depth=1
	v_mov_b32_e32 v6, v26
	v_mov_b32_e32 v9, v1
	;; [unrolled: 1-line block ×4, first 2 shown]
	s_mov_b32 s17, 0
                                        ; implicit-def: $sgpr19
	s_inst_prefetch 0x1
	s_branch .LBB141_462
	.p2align	6
.LBB141_460:                            ;   in Loop: Header=BB141_462 Depth=2
	s_or_b32 exec_lo, exec_lo, s6
	s_waitcnt lgkmcnt(0)
	s_barrier
	buffer_gl0_inv
	ds_read_u16 v10, v3 offset:3072
	s_mov_b32 s1, -1
	s_waitcnt lgkmcnt(0)
	s_barrier
	buffer_gl0_inv
	v_cmp_eq_u32_sdwa s6, v10, v3 src0_sel:BYTE_0 src1_sel:DWORD
	s_and_b32 vcc_lo, exec_lo, s6
	s_mov_b32 s6, -1
	s_cbranch_vccnz .LBB141_465
.LBB141_461:                            ;   in Loop: Header=BB141_462 Depth=2
	s_and_b32 s1, exec_lo, s1
	s_or_b32 s17, s1, s17
	s_andn2_b32 s1, s19, exec_lo
	s_and_b32 s6, s6, exec_lo
	s_or_b32 s19, s1, s6
	s_andn2_b32 exec_lo, exec_lo, s17
	s_cbranch_execz .LBB141_466
.LBB141_462:                            ;   Parent Loop BB141_31 Depth=1
                                        ; =>  This Inner Loop Header: Depth=2
	s_mov_b32 s6, exec_lo
	v_cmpx_gt_u64_e64 s[36:37], v[8:9]
	s_cbranch_execz .LBB141_460
; %bb.463:                              ;   in Loop: Header=BB141_462 Depth=2
	global_load_ubyte v10, v[6:7], off
	s_waitcnt vmcnt(0)
	v_add_nc_u32_sdwa v11, sext(v10), v40 dst_sel:DWORD dst_unused:UNUSED_PAD src0_sel:BYTE_0 src1_sel:DWORD
	v_and_b32_e32 v11, v11, v42
	v_cmp_eq_u32_e32 vcc_lo, v11, v20
	s_and_b32 exec_lo, exec_lo, vcc_lo
	s_cbranch_execz .LBB141_460
; %bb.464:                              ;   in Loop: Header=BB141_462 Depth=2
	v_lshlrev_b16 v10, 8, v10
	v_or_b32_e32 v10, 1, v10
	ds_write_b16 v3, v10 offset:3072
	s_branch .LBB141_460
.LBB141_465:                            ;   in Loop: Header=BB141_462 Depth=2
	v_add_co_u32 v8, vcc_lo, v8, s33
	v_add_co_ci_u32_e64 v9, null, 0, v9, vcc_lo
	v_add_co_u32 v6, s6, v6, s81
	v_add_co_ci_u32_e64 v7, null, s80, v7, s6
	v_cmp_le_u64_e32 vcc_lo, s[14:15], v[8:9]
	s_mov_b32 s6, 0
	s_orn2_b32 s1, vcc_lo, exec_lo
	s_branch .LBB141_461
.LBB141_466:                            ;   in Loop: Header=BB141_31 Depth=1
	s_inst_prefetch 0x2
	s_or_b32 exec_lo, exec_lo, s17
	v_lshrrev_b32_sdwa v43, v41, v10 dst_sel:DWORD dst_unused:UNUSED_PAD src0_sel:DWORD src1_sel:WORD_0
	s_andn2_b32 s1, s18, exec_lo
	s_and_b32 s6, s19, exec_lo
	s_or_b32 s18, s1, s6
.LBB141_467:                            ;   in Loop: Header=BB141_31 Depth=1
	s_or_b32 exec_lo, exec_lo, s16
	s_mov_b32 s6, 0
	s_mov_b32 s58, -1
.LBB141_468:                            ;   in Loop: Header=BB141_31 Depth=1
	s_orn2_b32 s14, s18, exec_lo
.LBB141_469:                            ;   in Loop: Header=BB141_31 Depth=1
	s_or_b32 exec_lo, exec_lo, s2
	s_mov_b32 s15, 0
	s_and_saveexec_b32 s2, s14
	s_cbranch_execz .LBB141_480
; %bb.470:                              ;   in Loop: Header=BB141_31 Depth=1
	v_mov_b32_e32 v6, 1
	v_mov_b32_e32 v7, 0
	;; [unrolled: 1-line block ×3, first 2 shown]
	s_xor_b32 s1, s72, -1
	s_and_saveexec_b32 s14, s1
	s_cbranch_execz .LBB141_479
; %bb.471:                              ;   in Loop: Header=BB141_31 Depth=1
	s_mov_b32 s1, exec_lo
	v_cmpx_ge_u64_e64 s[12:13], v[4:5]
	s_xor_b32 s15, exec_lo, s1
	s_cbranch_execz .LBB141_476
; %bb.472:                              ;   in Loop: Header=BB141_31 Depth=1
	ds_read_b64 v[6:7], v3 offset:5120
	v_and_b32_e32 v20, s26, v20
	v_or_b32_e32 v42, s11, v42
	s_waitcnt lgkmcnt(0)
	v_cmp_ne_u64_e32 vcc_lo, 0, v[6:7]
	s_cbranch_vccnz .LBB141_476
; %bb.473:                              ;   in Loop: Header=BB141_31 Depth=1
	s_and_saveexec_b32 s1, s3
; %bb.474:                              ;   in Loop: Header=BB141_31 Depth=1
	v_mov_b32_e32 v6, s12
	v_mov_b32_e32 v7, s13
	ds_write_b64 v3, v[6:7] offset:5128
; %bb.475:                              ;   in Loop: Header=BB141_31 Depth=1
	s_or_b32 exec_lo, exec_lo, s1
	s_waitcnt lgkmcnt(0)
	s_barrier
	buffer_gl0_inv
.LBB141_476:                            ;   in Loop: Header=BB141_31 Depth=1
	s_andn2_saveexec_b32 s11, s15
; %bb.477:                              ;   in Loop: Header=BB141_31 Depth=1
	v_sub_co_u32 v4, vcc_lo, v4, s12
	v_subrev_co_ci_u32_e64 v5, null, s13, v5, vcc_lo
; %bb.478:                              ;   in Loop: Header=BB141_31 Depth=1
	s_or_b32 exec_lo, exec_lo, s11
	v_mov_b32_e32 v7, v5
	v_mov_b32_e32 v2, 5
	;; [unrolled: 1-line block ×3, first 2 shown]
.LBB141_479:                            ;   in Loop: Header=BB141_31 Depth=1
	s_or_b32 exec_lo, exec_lo, s14
	v_mov_b32_e32 v4, v6
	v_mov_b32_e32 v5, v7
	s_mov_b32 s15, exec_lo
.LBB141_480:                            ;   in Loop: Header=BB141_31 Depth=1
	s_or_b32 exec_lo, exec_lo, s2
	s_orn2_b32 s2, s15, exec_lo
.LBB141_481:                            ;   in Loop: Header=BB141_31 Depth=1
	s_or_b32 exec_lo, exec_lo, s21
	v_mov_b32_e32 v7, v5
	v_mov_b32_e32 v6, v4
	s_andn2_b32 s1, s71, exec_lo
	s_and_b32 s11, s58, exec_lo
	s_andn2_b32 s12, s70, exec_lo
	s_and_b32 s6, s6, exec_lo
	s_or_b32 s71, s1, s11
	s_or_b32 s70, s12, s6
	s_and_b32 s6, s2, exec_lo
.LBB141_482:                            ;   in Loop: Header=BB141_31 Depth=1
	s_or_b32 exec_lo, exec_lo, s20
	s_orn2_b32 s2, s6, exec_lo
.LBB141_483:                            ;   in Loop: Header=BB141_31 Depth=1
	s_or_b32 exec_lo, exec_lo, s23
	v_mov_b32_e32 v4, v6
	v_mov_b32_e32 v5, v7
	s_andn2_b32 s1, s69, exec_lo
	s_and_b32 s6, s71, exec_lo
	s_andn2_b32 s11, s68, exec_lo
	s_and_b32 s12, s70, exec_lo
	s_or_b32 s69, s1, s6
	s_or_b32 s68, s11, s12
	s_and_b32 s6, s2, exec_lo
.LBB141_484:                            ;   in Loop: Header=BB141_31 Depth=1
	s_or_b32 exec_lo, exec_lo, s22
	s_orn2_b32 s2, s6, exec_lo
.LBB141_485:                            ;   in Loop: Header=BB141_31 Depth=1
	s_or_b32 exec_lo, exec_lo, s25
	s_mov_b32 s6, s67
	s_mov_b32 s11, s66
	s_and_saveexec_b32 s12, s2
; %bb.486:                              ;   in Loop: Header=BB141_31 Depth=1
	v_cmp_ne_u32_e32 vcc_lo, 5, v2
	v_cmp_eq_u32_e64 s6, 5, v2
	s_andn2_b32 s1, s66, exec_lo
	s_andn2_b32 s2, s67, exec_lo
	s_and_b32 s11, vcc_lo, exec_lo
	s_and_b32 s6, s6, exec_lo
	s_or_b32 s11, s1, s11
	s_or_b32 s6, s2, s6
; %bb.487:                              ;   in Loop: Header=BB141_31 Depth=1
	s_or_b32 exec_lo, exec_lo, s12
	s_andn2_b32 s1, s9, exec_lo
	s_and_b32 s2, s69, exec_lo
	s_andn2_b32 s12, s27, exec_lo
	s_and_b32 s13, s68, exec_lo
	s_or_b32 s9, s1, s2
	s_andn2_b32 s1, s66, exec_lo
	s_and_b32 s2, s11, exec_lo
	s_andn2_b32 s11, s67, exec_lo
	s_and_b32 s6, s6, exec_lo
	s_or_b32 s27, s12, s13
	s_or_b32 s66, s1, s2
	;; [unrolled: 1-line block ×3, first 2 shown]
.LBB141_488:                            ;   in Loop: Header=BB141_31 Depth=1
	s_or_b32 exec_lo, exec_lo, s24
	s_mov_b32 s68, 0
	s_mov_b32 s69, 0
	s_and_saveexec_b32 s1, s67
.LBB141_489:                            ;   in Loop: Header=BB141_31 Depth=1
	v_mov_b32_e32 v2, 0
	s_or_b32 s66, s66, exec_lo
.LBB141_490:                            ;   in Loop: Header=BB141_31 Depth=1
	s_or_b32 exec_lo, exec_lo, s1
	s_andn2_b32 s1, s82, exec_lo
	s_and_b32 s2, s9, exec_lo
	s_andn2_b32 s9, s53, exec_lo
	s_and_b32 s11, s27, exec_lo
	v_mov_b32_e32 v29, v5
	v_mov_b32_e32 v28, v4
	s_or_b32 s82, s1, s2
	s_or_b32 s53, s9, s11
	s_andn2_b32 s1, s7, exec_lo
	s_and_b32 s2, s69, exec_lo
	s_andn2_b32 s9, s83, exec_lo
	s_and_b32 s11, s68, exec_lo
	s_mov_b32 s6, -1
	s_andn2_b32 s8, s8, exec_lo
	s_or_b32 s7, s1, s2
	s_or_b32 s83, s9, s11
	s_and_saveexec_b32 s1, s66
	s_xor_b32 s2, exec_lo, s1
	s_cbranch_execz .LBB141_30
; %bb.491:                              ;   in Loop: Header=BB141_31 Depth=1
	s_mov_b32 s9, -1
	s_mov_b32 s1, exec_lo
	v_cmpx_eq_u32_e32 0, v2
	s_cbranch_execz .LBB141_29
; %bb.492:                              ;   in Loop: Header=BB141_31 Depth=1
	s_xor_b32 s50, s50, 1
	s_add_i32 s11, vcc_hi, -2
	s_cmp_eq_u32 vcc_hi, 0
	s_mov_b32 vcc_hi, s11
	s_cselect_b32 s6, -1, 0
	s_xor_b32 s9, exec_lo, -1
	s_orn2_b32 s6, s6, exec_lo
	s_branch .LBB141_29
.LBB141_493:
	s_or_b32 exec_lo, exec_lo, s48
	s_xor_b32 s7, s52, -1
	s_xor_b32 s9, s44, -1
	;; [unrolled: 1-line block ×5, first 2 shown]
	s_mov_b32 s2, 0
	s_and_saveexec_b32 s10, s8
	s_xor_b32 s14, exec_lo, s10
	s_cbranch_execnz .LBB141_498
; %bb.494:
	s_andn2_saveexec_b32 s0, s14
	s_cbranch_execnz .LBB141_517
.LBB141_495:
	s_or_b32 exec_lo, exec_lo, s0
	s_and_saveexec_b32 s0, s2
.LBB141_496:
	; divergent unreachable
.LBB141_497:
	s_endpgm
.LBB141_498:
	s_and_saveexec_b32 s8, s1
	s_xor_b32 s15, exec_lo, s8
	s_cbranch_execz .LBB141_515
; %bb.499:
	s_mov_b32 s8, 0
	s_and_saveexec_b32 s1, s9
	s_xor_b32 s2, exec_lo, s1
	s_cbranch_execz .LBB141_513
; %bb.500:
	s_and_saveexec_b32 s1, s7
	s_xor_b32 s16, exec_lo, s1
	s_cbranch_execz .LBB141_511
; %bb.501:
	s_and_saveexec_b32 s1, s6
	s_xor_b32 s1, exec_lo, s1
; %bb.502:
	v_xor_b32_e32 v43, 0xffffff80, v20
; %bb.503:
	s_or_b32 exec_lo, exec_lo, s1
	s_and_saveexec_b32 s1, s3
	s_load_dwordx2 s[42:43], s[4:5], 0x0
	v_readlane_b32 s44, v60, 6
; %bb.504:
	v_mov_b32_e32 v2, 0
	v_mov_b32_e32 v3, v2
	ds_write_b64 v2, v[2:3] offset:5136
; %bb.505:
	s_or_b32 exec_lo, exec_lo, s1
	v_mov_b32_e32 v16, 0
	s_waitcnt lgkmcnt(0)
	s_barrier
	buffer_gl0_inv
	s_and_saveexec_b32 s1, s98
	s_cbranch_execz .LBB141_507
; %bb.506:
	global_load_ubyte v16, v[12:13], off
.LBB141_507:
	s_or_b32 exec_lo, exec_lo, s1
	s_load_dwordx2 s[18:19], s[4:5], 0x440
	v_readlane_b32 s10, v60, 0
	v_readlane_b32 s11, v60, 1
	s_add_u32 s1, s36, 31
	s_addc_u32 s7, s37, 0
	s_mov_b32 s20, -1
	s_mul_i32 s3, s10, s35
	s_mul_hi_u32 s6, s10, s34
	s_mul_i32 s8, s11, s34
	s_add_i32 s3, s6, s3
	s_and_b32 s6, s1, 0xffffffe0
	s_add_i32 s3, s3, s8
	s_mul_i32 s12, s10, s34
	v_cmp_gt_u64_e32 vcc_lo, s[6:7], v[0:1]
	s_waitcnt lgkmcnt(0)
	s_mul_i32 s1, s18, s47
	s_mul_hi_u32 s8, s18, s46
	s_mul_i32 s13, s19, s46
	s_add_i32 s1, s8, s1
	s_clause 0x1
	s_load_dwordx2 s[8:9], s[4:5], 0x368
	s_load_dwordx2 s[10:11], s[4:5], 0x510
	s_mul_i32 s4, s18, s46
	v_readlane_b32 s18, v60, 2
	v_readlane_b32 s19, v60, 3
	s_add_i32 s5, s1, s13
	s_add_u32 s1, s18, s12
	s_addc_u32 s3, s19, s3
	v_readlane_b32 s18, v60, 4
	v_readlane_b32 s19, v60, 5
	s_add_u32 s12, s1, s28
	s_addc_u32 s13, s3, s29
	s_lshl_b64 s[4:5], s[4:5], 3
	s_add_u32 s1, s18, s4
	s_addc_u32 s3, s19, s5
	s_lshl_b64 s[18:19], s[40:41], 3
	s_add_u32 s5, s1, s18
	s_addc_u32 s17, s3, s19
	s_mov_b32 s18, 0
	s_mov_b32 s3, 0
	s_and_saveexec_b32 s19, vcc_lo
	s_cbranch_execnz .LBB141_518
; %bb.508:
	s_or_b32 exec_lo, exec_lo, s19
	s_and_saveexec_b32 s4, s20
	s_cbranch_execnz .LBB141_533
.LBB141_509:
	s_or_b32 exec_lo, exec_lo, s4
	s_and_saveexec_b32 s0, s3
	s_xor_b32 s0, exec_lo, s0
	s_cbranch_execnz .LBB141_556
.LBB141_510:
	s_or_b32 exec_lo, exec_lo, s0
	s_waitcnt lgkmcnt(0)
	s_and_b32 s8, s18, exec_lo
.LBB141_511:
	s_andn2_saveexec_b32 s0, s16
	s_cbranch_execnz .LBB141_558
.LBB141_512:
	s_or_b32 exec_lo, exec_lo, s0
	s_and_b32 s8, s8, exec_lo
.LBB141_513:
	s_andn2_saveexec_b32 s0, s2
	s_cbranch_execnz .LBB141_557
.LBB141_514:
	s_or_b32 exec_lo, exec_lo, s0
	s_and_b32 s2, s8, exec_lo
.LBB141_515:
	s_andn2_saveexec_b32 s0, s15
	s_cbranch_execnz .LBB141_552
.LBB141_516:
	s_or_b32 exec_lo, exec_lo, s0
	s_and_b32 s2, s2, exec_lo
	s_andn2_saveexec_b32 s0, s14
	s_cbranch_execz .LBB141_495
.LBB141_517:
	s_or_b32 s2, s2, exec_lo
	s_trap 2
	s_or_b32 exec_lo, exec_lo, s0
	s_and_saveexec_b32 s0, s2
	s_cbranch_execnz .LBB141_496
	s_branch .LBB141_497
.LBB141_518:
	v_add_co_u32 v4, s1, v0, s33
	v_add_co_ci_u32_e64 v5, null, 0, 0, s1
	v_readlane_b32 s1, v60, 10
	v_mov_b32_e32 v17, 0x80
	v_mov_b32_e32 v11, v1
	v_mul_lo_u32 v6, s30, v5
	v_mov_b32_e32 v5, 0
	s_add_u32 s20, s42, s1
	v_readlane_b32 s1, v60, 11
	v_add_nc_u32_sdwa v18, sext(v43), v17 dst_sel:DWORD dst_unused:UNUSED_PAD src0_sel:BYTE_0 src1_sel:DWORD
	v_mov_b32_e32 v10, v0
                                        ; implicit-def: $vgpr8_vgpr9
	s_addc_u32 s21, s43, s1
	v_mad_u64_u32 v[2:3], null, s30, v4, s[20:21]
	v_mul_lo_u32 v4, s31, v4
	s_mov_b32 s20, 0
                                        ; implicit-def: $sgpr21
	v_add3_u32 v3, v4, v3, v6
	s_branch .LBB141_520
.LBB141_519:                            ;   in Loop: Header=BB141_520 Depth=1
	s_or_b32 exec_lo, exec_lo, s22
	s_xor_b32 s1, s1, -1
	s_and_b32 s3, exec_lo, s4
	v_mov_b32_e32 v11, v7
	v_mov_b32_e32 v16, v19
	s_or_b32 s20, s3, s20
	v_mov_b32_e32 v10, v6
	s_andn2_b32 s3, s21, exec_lo
	s_and_b32 s1, s1, exec_lo
	s_or_b32 s21, s3, s1
	s_andn2_b32 exec_lo, exec_lo, s20
	s_cbranch_execz .LBB141_532
.LBB141_520:                            ; =>This Inner Loop Header: Depth=1
	v_add_co_u32 v6, s3, v10, s33
	v_add_co_ci_u32_e64 v7, null, 0, v11, s3
	v_mov_b32_e32 v19, 0
	s_mov_b32 s1, exec_lo
	v_cmpx_gt_u64_e64 s[36:37], v[6:7]
	s_cbranch_execz .LBB141_522
; %bb.521:                              ;   in Loop: Header=BB141_520 Depth=1
	global_load_ubyte v19, v[2:3], off
.LBB141_522:                            ;   in Loop: Header=BB141_520 Depth=1
	s_or_b32 exec_lo, exec_lo, s1
	s_waitcnt vmcnt(0)
	v_add_nc_u32_sdwa v4, sext(v16), v17 dst_sel:DWORD dst_unused:UNUSED_PAD src0_sel:BYTE_0 src1_sel:DWORD
	v_cmp_gt_u32_e64 s3, v4, v18
	v_cndmask_b32_e64 v14, 0, 1, s3
	v_cmp_lt_u32_e64 s3, v4, v18
	v_cndmask_b32_e64 v4, 0, 1, s3
	v_cmp_gt_u64_e64 s3, s[36:37], v[10:11]
	v_cndmask_b32_e64 v4, v4, v14, s44
	v_and_b32_e32 v4, 1, v4
	v_cmp_eq_u32_e64 s4, 1, v4
	s_and_b32 s22, s3, s4
	v_cndmask_b32_e64 v4, 0, 1, s22
	v_cmp_ne_u32_e64 s3, 0, v4
	s_cmp_lg_u32 s3, 0
	s_cselect_b32 s1, -1, 0
	s_and_b32 s1, s0, s1
	s_and_saveexec_b32 s23, s1
	s_cbranch_execz .LBB141_526
; %bb.523:                              ;   in Loop: Header=BB141_520 Depth=1
	s_mov_b32 s25, exec_lo
	s_bcnt1_i32_b32 s24, s3
	v_mbcnt_lo_u32_b32 v14, s25, 0
	s_mov_b32 s1, exec_lo
                                        ; implicit-def: $vgpr8_vgpr9
	v_cmpx_eq_u32_e32 0, v14
	s_cbranch_execz .LBB141_525
; %bb.524:                              ;   in Loop: Header=BB141_520 Depth=1
	s_bcnt1_i32_b32 s4, s25
	s_mul_i32 s4, s24, s4
	v_mov_b32_e32 v4, s4
	s_waitcnt lgkmcnt(0)
	ds_add_rtn_u64 v[8:9], v5, v[4:5] offset:5136
.LBB141_525:                            ;   in Loop: Header=BB141_520 Depth=1
	s_or_b32 exec_lo, exec_lo, s1
	s_waitcnt lgkmcnt(0)
	v_readfirstlane_b32 s27, v9
	v_readfirstlane_b32 s26, v8
	v_mad_u64_u32 v[8:9], null, s24, v14, s[26:27]
.LBB141_526:                            ;   in Loop: Header=BB141_520 Depth=1
	s_or_b32 exec_lo, exec_lo, s23
	s_waitcnt lgkmcnt(0)
	ds_bpermute_b32 v8, v5, v8
	ds_bpermute_b32 v9, v5, v9
	s_mov_b32 s4, -1
	s_mov_b32 s24, -1
	s_and_saveexec_b32 s23, s22
	s_cbranch_execz .LBB141_530
; %bb.527:                              ;   in Loop: Header=BB141_520 Depth=1
	v_and_b32_e32 v4, s3, v34
	s_mov_b32 s22, 0
	s_mov_b32 s24, exec_lo
	v_bcnt_u32_b32 v4, v4, 0
	s_waitcnt lgkmcnt(0)
	v_add_co_u32 v14, s3, v8, v4
	v_add_co_ci_u32_e64 v15, null, 0, v9, s3
	v_cmpx_gt_u64_e64 s[38:39], v[14:15]
; %bb.528:                              ;   in Loop: Header=BB141_520 Depth=1
	v_mul_lo_u32 v4, v15, s10
	v_mul_lo_u32 v24, v14, s11
	v_mad_u64_u32 v[20:21], null, v14, s10, 0
	v_mad_u64_u32 v[22:23], null, v14, s8, s[12:13]
	v_mul_lo_u32 v25, v14, s9
	s_mov_b32 s22, exec_lo
	v_add3_u32 v21, v21, v24, v4
	v_mul_lo_u32 v4, v15, s8
	v_lshlrev_b64 v[14:15], 3, v[20:21]
	v_add3_u32 v23, v4, v23, v25
	v_add_co_u32 v14, s3, s5, v14
	v_add_co_ci_u32_e64 v15, null, s17, v15, s3
	global_store_byte v[22:23], v16, off
	global_store_dwordx2 v[14:15], v[10:11], off
; %bb.529:                              ;   in Loop: Header=BB141_520 Depth=1
	s_or_b32 exec_lo, exec_lo, s24
	s_orn2_b32 s24, s22, exec_lo
.LBB141_530:                            ;   in Loop: Header=BB141_520 Depth=1
	s_or_b32 exec_lo, exec_lo, s23
	s_mov_b32 s1, -1
	s_and_saveexec_b32 s22, s24
	s_cbranch_execz .LBB141_519
; %bb.531:                              ;   in Loop: Header=BB141_520 Depth=1
	v_cmp_le_u64_e64 s3, s[6:7], v[6:7]
	v_add_co_u32 v2, s4, v2, s81
	v_add_co_ci_u32_e64 v3, null, s80, v3, s4
	s_xor_b32 s1, exec_lo, -1
	s_orn2_b32 s4, s3, exec_lo
	s_branch .LBB141_519
.LBB141_532:
	s_or_b32 exec_lo, exec_lo, s20
	s_mov_b32 s3, exec_lo
	s_orn2_b32 s20, s21, exec_lo
	s_or_b32 exec_lo, exec_lo, s19
	s_and_saveexec_b32 s4, s20
	s_cbranch_execz .LBB141_509
.LBB141_533:
	v_mov_b32_e32 v4, 0
	s_waitcnt vmcnt(0) lgkmcnt(0)
	s_waitcnt_vscnt null, 0x0
	s_barrier
	buffer_gl0_inv
	s_and_saveexec_b32 s1, s98
	s_cbranch_execz .LBB141_535
; %bb.534:
	global_load_ubyte v4, v[12:13], off
.LBB141_535:
	s_or_b32 exec_lo, exec_lo, s1
	s_mov_b32 s1, 0
	s_and_saveexec_b32 s18, vcc_lo
	s_cbranch_execz .LBB141_555
; %bb.536:
	v_add_co_u32 v5, s1, v0, s33
	v_add_co_ci_u32_e64 v6, null, 0, 0, s1
	v_readlane_b32 s1, v60, 10
	s_mov_b32 s19, 0
                                        ; implicit-def: $vgpr8_vgpr9
	v_mul_lo_u32 v6, s30, v6
	s_add_u32 s20, s42, s1
	v_readlane_b32 s1, v60, 11
	s_addc_u32 s21, s43, s1
	v_mad_u64_u32 v[2:3], null, s30, v5, s[20:21]
	v_mul_lo_u32 v5, s31, v5
                                        ; implicit-def: $sgpr20
	v_add3_u32 v3, v5, v3, v6
	v_mov_b32_e32 v5, 0
	s_branch .LBB141_539
.LBB141_537:                            ;   in Loop: Header=BB141_539 Depth=1
	s_or_b32 exec_lo, exec_lo, s22
	s_orn2_b32 s24, s23, exec_lo
	s_orn2_b32 s23, s1, exec_lo
.LBB141_538:                            ;   in Loop: Header=BB141_539 Depth=1
	s_or_b32 exec_lo, exec_lo, s21
	s_xor_b32 s1, s24, -1
	s_and_b32 s21, exec_lo, s23
	v_mov_b32_e32 v0, v6
	v_mov_b32_e32 v1, v7
	s_or_b32 s19, s21, s19
	v_mov_b32_e32 v4, v12
	s_andn2_b32 s20, s20, exec_lo
	s_and_b32 s1, s1, exec_lo
	s_or_b32 s20, s20, s1
	s_andn2_b32 exec_lo, exec_lo, s19
	s_cbranch_execz .LBB141_553
.LBB141_539:                            ; =>This Inner Loop Header: Depth=1
	v_add_co_u32 v6, vcc_lo, v0, s33
	v_add_co_ci_u32_e64 v7, null, 0, v1, vcc_lo
	v_mov_b32_e32 v12, 0
	s_mov_b32 s1, exec_lo
	v_cmpx_gt_u64_e64 s[36:37], v[6:7]
	s_cbranch_execz .LBB141_541
; %bb.540:                              ;   in Loop: Header=BB141_539 Depth=1
	global_load_ubyte v12, v[2:3], off
.LBB141_541:                            ;   in Loop: Header=BB141_539 Depth=1
	s_or_b32 exec_lo, exec_lo, s1
	v_cmp_gt_u64_e32 vcc_lo, s[36:37], v[0:1]
	s_waitcnt vmcnt(0)
	v_cmp_eq_u16_sdwa s1, v4, v43 src0_sel:BYTE_0 src1_sel:BYTE_0
	s_and_b32 s22, vcc_lo, s1
	v_cndmask_b32_e64 v4, 0, 1, s22
	v_cmp_ne_u32_e32 vcc_lo, 0, v4
	s_cmp_lg_u32 vcc_lo, 0
	s_cselect_b32 s1, -1, 0
	s_and_b32 s1, s0, s1
	s_and_saveexec_b32 s21, s1
	s_cbranch_execz .LBB141_545
; %bb.542:                              ;   in Loop: Header=BB141_539 Depth=1
	s_mov_b32 s25, exec_lo
	s_bcnt1_i32_b32 s23, vcc_lo
	v_mbcnt_lo_u32_b32 v10, s25, 0
	s_mov_b32 s24, exec_lo
                                        ; implicit-def: $vgpr8_vgpr9
	v_cmpx_eq_u32_e32 0, v10
; %bb.543:                              ;   in Loop: Header=BB141_539 Depth=1
	s_bcnt1_i32_b32 s1, s25
	s_mul_i32 s1, s23, s1
	v_mov_b32_e32 v4, s1
	ds_add_rtn_u64 v[8:9], v5, v[4:5] offset:5136
; %bb.544:                              ;   in Loop: Header=BB141_539 Depth=1
	s_or_b32 exec_lo, exec_lo, s24
	s_waitcnt lgkmcnt(0)
	v_readfirstlane_b32 s25, v9
	v_readfirstlane_b32 s24, v8
	v_mad_u64_u32 v[8:9], null, s23, v10, s[24:25]
.LBB141_545:                            ;   in Loop: Header=BB141_539 Depth=1
	s_or_b32 exec_lo, exec_lo, s21
	ds_bpermute_b32 v8, v5, v8
	ds_bpermute_b32 v9, v5, v9
	s_cmp_eq_u32 vcc_lo, 0
	s_mov_b32 s23, -1
	s_cselect_b32 s21, -1, 0
	s_mov_b32 s24, -1
	s_waitcnt lgkmcnt(0)
	v_cmp_gt_u64_e64 s1, s[38:39], v[8:9]
	s_or_b32 s1, s21, s1
	s_and_saveexec_b32 s21, s1
	s_cbranch_execz .LBB141_538
; %bb.546:                              ;   in Loop: Header=BB141_539 Depth=1
	v_and_b32_e32 v4, vcc_lo, v34
	v_sub_co_u32 v10, vcc_lo, s38, v8
	v_sub_co_ci_u32_e64 v11, null, s39, v9, vcc_lo
	v_bcnt_u32_b32 v4, v4, 0
	s_mov_b32 s1, -1
	v_bcnt_u32_b32 v4, 0, v4
	v_cmp_gt_u64_e32 vcc_lo, v[10:11], v[4:5]
	s_and_b32 s25, s22, vcc_lo
	s_and_saveexec_b32 s22, s25
	s_cbranch_execz .LBB141_550
; %bb.547:                              ;   in Loop: Header=BB141_539 Depth=1
	v_add_co_u32 v10, vcc_lo, v8, v4
	v_add_co_ci_u32_e64 v11, null, 0, v9, vcc_lo
	s_mov_b32 s24, 0
	s_mov_b32 s23, exec_lo
	v_cmpx_gt_u64_e64 s[38:39], v[10:11]
; %bb.548:                              ;   in Loop: Header=BB141_539 Depth=1
	v_mul_lo_u32 v4, v11, s10
	v_mul_lo_u32 v17, v10, s11
	v_mad_u64_u32 v[13:14], null, v10, s10, 0
	v_mad_u64_u32 v[15:16], null, v10, s8, s[12:13]
	v_mul_lo_u32 v18, v10, s9
	s_mov_b32 s24, exec_lo
	v_add3_u32 v14, v14, v17, v4
	v_mul_lo_u32 v4, v11, s8
	v_lshlrev_b64 v[10:11], 3, v[13:14]
	v_add3_u32 v16, v4, v16, v18
	v_add_co_u32 v10, vcc_lo, s5, v10
	v_add_co_ci_u32_e64 v11, null, s17, v11, vcc_lo
	global_store_byte v[15:16], v43, off
	global_store_dwordx2 v[10:11], v[0:1], off
; %bb.549:                              ;   in Loop: Header=BB141_539 Depth=1
	s_or_b32 exec_lo, exec_lo, s23
	s_xor_b32 s23, exec_lo, -1
	s_orn2_b32 s24, s24, exec_lo
.LBB141_550:                            ;   in Loop: Header=BB141_539 Depth=1
	s_or_b32 exec_lo, exec_lo, s22
	s_and_saveexec_b32 s22, s24
	s_cbranch_execz .LBB141_537
; %bb.551:                              ;   in Loop: Header=BB141_539 Depth=1
	v_cmp_le_u64_e32 vcc_lo, s[6:7], v[6:7]
	v_add_co_u32 v2, s1, v2, s81
	v_add_co_ci_u32_e64 v3, null, s80, v3, s1
	s_or_b32 s23, s23, exec_lo
	s_orn2_b32 s1, vcc_lo, exec_lo
	s_branch .LBB141_537
.LBB141_552:
	s_or_b32 s2, s2, exec_lo
	s_trap 2
	s_branch .LBB141_516
.LBB141_553:
	s_or_b32 exec_lo, exec_lo, s19
	s_mov_b32 s0, 0
	s_and_saveexec_b32 s1, s20
	s_xor_b32 s1, exec_lo, s1
	s_cbranch_execnz .LBB141_559
.LBB141_554:
	s_or_b32 exec_lo, exec_lo, s1
	s_and_b32 s1, s0, exec_lo
.LBB141_555:
	s_or_b32 exec_lo, exec_lo, s18
	s_and_b32 s18, s1, exec_lo
	s_andn2_b32 s3, s3, exec_lo
	s_or_b32 exec_lo, exec_lo, s4
	s_and_saveexec_b32 s0, s3
	s_xor_b32 s0, exec_lo, s0
	s_cbranch_execz .LBB141_510
.LBB141_556:
	s_or_b32 s18, s18, exec_lo
	s_trap 2
	s_branch .LBB141_510
.LBB141_557:
	s_or_b32 s8, s8, exec_lo
	s_trap 2
	s_branch .LBB141_514
.LBB141_558:
	s_or_b32 s8, s8, exec_lo
	s_trap 2
	s_branch .LBB141_512
.LBB141_559:
	s_mov_b32 s0, exec_lo
	s_trap 2
	s_branch .LBB141_554
	.section	.rodata,"a",@progbits
	.p2align	6, 0x0
	.amdhsa_kernel _ZN2at6native6sbtopk10gatherTopKIamLin1ELb0EEEvNS_4cuda6detail10TensorInfoIKT_T0_EES8_S8_bS8_S8_NS5_IS6_S8_EES8_NS5_IlS8_EES8_PS6_
		.amdhsa_group_segment_fixed_size 5152
		.amdhsa_private_segment_fixed_size 0
		.amdhsa_kernarg_size 1568
		.amdhsa_user_sgpr_count 6
		.amdhsa_user_sgpr_private_segment_buffer 1
		.amdhsa_user_sgpr_dispatch_ptr 0
		.amdhsa_user_sgpr_queue_ptr 0
		.amdhsa_user_sgpr_kernarg_segment_ptr 1
		.amdhsa_user_sgpr_dispatch_id 0
		.amdhsa_user_sgpr_flat_scratch_init 0
		.amdhsa_user_sgpr_private_segment_size 0
		.amdhsa_wavefront_size32 1
		.amdhsa_uses_dynamic_stack 0
		.amdhsa_system_sgpr_private_segment_wavefront_offset 0
		.amdhsa_system_sgpr_workgroup_id_x 1
		.amdhsa_system_sgpr_workgroup_id_y 1
		.amdhsa_system_sgpr_workgroup_id_z 1
		.amdhsa_system_sgpr_workgroup_info 0
		.amdhsa_system_vgpr_workitem_id 0
		.amdhsa_next_free_vgpr 61
		.amdhsa_next_free_sgpr 105
		.amdhsa_reserve_vcc 1
		.amdhsa_reserve_flat_scratch 0
		.amdhsa_float_round_mode_32 0
		.amdhsa_float_round_mode_16_64 0
		.amdhsa_float_denorm_mode_32 3
		.amdhsa_float_denorm_mode_16_64 3
		.amdhsa_dx10_clamp 1
		.amdhsa_ieee_mode 1
		.amdhsa_fp16_overflow 0
		.amdhsa_workgroup_processor_mode 1
		.amdhsa_memory_ordered 1
		.amdhsa_forward_progress 1
		.amdhsa_shared_vgpr_count 0
		.amdhsa_exception_fp_ieee_invalid_op 0
		.amdhsa_exception_fp_denorm_src 0
		.amdhsa_exception_fp_ieee_div_zero 0
		.amdhsa_exception_fp_ieee_overflow 0
		.amdhsa_exception_fp_ieee_underflow 0
		.amdhsa_exception_fp_ieee_inexact 0
		.amdhsa_exception_int_div_zero 0
	.end_amdhsa_kernel
	.section	.text._ZN2at6native6sbtopk10gatherTopKIamLin1ELb0EEEvNS_4cuda6detail10TensorInfoIKT_T0_EES8_S8_bS8_S8_NS5_IS6_S8_EES8_NS5_IlS8_EES8_PS6_,"axG",@progbits,_ZN2at6native6sbtopk10gatherTopKIamLin1ELb0EEEvNS_4cuda6detail10TensorInfoIKT_T0_EES8_S8_bS8_S8_NS5_IS6_S8_EES8_NS5_IlS8_EES8_PS6_,comdat
.Lfunc_end141:
	.size	_ZN2at6native6sbtopk10gatherTopKIamLin1ELb0EEEvNS_4cuda6detail10TensorInfoIKT_T0_EES8_S8_bS8_S8_NS5_IS6_S8_EES8_NS5_IlS8_EES8_PS6_, .Lfunc_end141-_ZN2at6native6sbtopk10gatherTopKIamLin1ELb0EEEvNS_4cuda6detail10TensorInfoIKT_T0_EES8_S8_bS8_S8_NS5_IS6_S8_EES8_NS5_IlS8_EES8_PS6_
                                        ; -- End function
	.set _ZN2at6native6sbtopk10gatherTopKIamLin1ELb0EEEvNS_4cuda6detail10TensorInfoIKT_T0_EES8_S8_bS8_S8_NS5_IS6_S8_EES8_NS5_IlS8_EES8_PS6_.num_vgpr, 61
	.set _ZN2at6native6sbtopk10gatherTopKIamLin1ELb0EEEvNS_4cuda6detail10TensorInfoIKT_T0_EES8_S8_bS8_S8_NS5_IS6_S8_EES8_NS5_IlS8_EES8_PS6_.num_agpr, 0
	.set _ZN2at6native6sbtopk10gatherTopKIamLin1ELb0EEEvNS_4cuda6detail10TensorInfoIKT_T0_EES8_S8_bS8_S8_NS5_IS6_S8_EES8_NS5_IlS8_EES8_PS6_.numbered_sgpr, 105
	.set _ZN2at6native6sbtopk10gatherTopKIamLin1ELb0EEEvNS_4cuda6detail10TensorInfoIKT_T0_EES8_S8_bS8_S8_NS5_IS6_S8_EES8_NS5_IlS8_EES8_PS6_.num_named_barrier, 0
	.set _ZN2at6native6sbtopk10gatherTopKIamLin1ELb0EEEvNS_4cuda6detail10TensorInfoIKT_T0_EES8_S8_bS8_S8_NS5_IS6_S8_EES8_NS5_IlS8_EES8_PS6_.private_seg_size, 0
	.set _ZN2at6native6sbtopk10gatherTopKIamLin1ELb0EEEvNS_4cuda6detail10TensorInfoIKT_T0_EES8_S8_bS8_S8_NS5_IS6_S8_EES8_NS5_IlS8_EES8_PS6_.uses_vcc, 1
	.set _ZN2at6native6sbtopk10gatherTopKIamLin1ELb0EEEvNS_4cuda6detail10TensorInfoIKT_T0_EES8_S8_bS8_S8_NS5_IS6_S8_EES8_NS5_IlS8_EES8_PS6_.uses_flat_scratch, 0
	.set _ZN2at6native6sbtopk10gatherTopKIamLin1ELb0EEEvNS_4cuda6detail10TensorInfoIKT_T0_EES8_S8_bS8_S8_NS5_IS6_S8_EES8_NS5_IlS8_EES8_PS6_.has_dyn_sized_stack, 0
	.set _ZN2at6native6sbtopk10gatherTopKIamLin1ELb0EEEvNS_4cuda6detail10TensorInfoIKT_T0_EES8_S8_bS8_S8_NS5_IS6_S8_EES8_NS5_IlS8_EES8_PS6_.has_recursion, 0
	.set _ZN2at6native6sbtopk10gatherTopKIamLin1ELb0EEEvNS_4cuda6detail10TensorInfoIKT_T0_EES8_S8_bS8_S8_NS5_IS6_S8_EES8_NS5_IlS8_EES8_PS6_.has_indirect_call, 0
	.section	.AMDGPU.csdata,"",@progbits
; Kernel info:
; codeLenInByte = 28400
; TotalNumSgprs: 107
; NumVgprs: 61
; ScratchSize: 0
; MemoryBound: 0
; FloatMode: 240
; IeeeMode: 1
; LDSByteSize: 5152 bytes/workgroup (compile time only)
; SGPRBlocks: 0
; VGPRBlocks: 7
; NumSGPRsForWavesPerEU: 107
; NumVGPRsForWavesPerEU: 61
; Occupancy: 16
; WaveLimiterHint : 1
; COMPUTE_PGM_RSRC2:SCRATCH_EN: 0
; COMPUTE_PGM_RSRC2:USER_SGPR: 6
; COMPUTE_PGM_RSRC2:TRAP_HANDLER: 0
; COMPUTE_PGM_RSRC2:TGID_X_EN: 1
; COMPUTE_PGM_RSRC2:TGID_Y_EN: 1
; COMPUTE_PGM_RSRC2:TGID_Z_EN: 1
; COMPUTE_PGM_RSRC2:TIDIG_COMP_CNT: 0
	.section	.text._ZN2at6native6mbtopk23computeBlockDigitCountsIimjLi1EEEvNS_4cuda6detail10TensorInfoIKT_T0_EEjPjjS8_iijT1_PSB_Ps,"axG",@progbits,_ZN2at6native6mbtopk23computeBlockDigitCountsIimjLi1EEEvNS_4cuda6detail10TensorInfoIKT_T0_EEjPjjS8_iijT1_PSB_Ps,comdat
	.protected	_ZN2at6native6mbtopk23computeBlockDigitCountsIimjLi1EEEvNS_4cuda6detail10TensorInfoIKT_T0_EEjPjjS8_iijT1_PSB_Ps ; -- Begin function _ZN2at6native6mbtopk23computeBlockDigitCountsIimjLi1EEEvNS_4cuda6detail10TensorInfoIKT_T0_EEjPjjS8_iijT1_PSB_Ps
	.globl	_ZN2at6native6mbtopk23computeBlockDigitCountsIimjLi1EEEvNS_4cuda6detail10TensorInfoIKT_T0_EEjPjjS8_iijT1_PSB_Ps
	.p2align	8
	.type	_ZN2at6native6mbtopk23computeBlockDigitCountsIimjLi1EEEvNS_4cuda6detail10TensorInfoIKT_T0_EEjPjjS8_iijT1_PSB_Ps,@function
_ZN2at6native6mbtopk23computeBlockDigitCountsIimjLi1EEEvNS_4cuda6detail10TensorInfoIKT_T0_EEjPjjS8_iijT1_PSB_Ps: ; @_ZN2at6native6mbtopk23computeBlockDigitCountsIimjLi1EEEvNS_4cuda6detail10TensorInfoIKT_T0_EEjPjjS8_iijT1_PSB_Ps
; %bb.0:
	s_clause 0x2
	s_load_dwordx4 s[12:15], s[4:5], 0x1c0
	s_load_dword s3, s[4:5], 0x1b0
	s_load_dwordx2 s[0:1], s[4:5], 0x1e0
	s_mov_b32 s9, 0
	s_waitcnt lgkmcnt(0)
	v_cvt_f32_u32_e32 v1, s14
	s_mul_i32 s1, s1, s8
	s_sub_i32 s8, 0, s14
	s_add_i32 s1, s1, s7
	v_rcp_iflag_f32_e32 v1, v1
	s_mul_i32 s10, s1, s0
	s_add_i32 s10, s10, s6
	v_mul_f32_e32 v1, 0x4f7ffffe, v1
	v_cvt_u32_f32_e32 v1, v1
	v_readfirstlane_b32 s2, v1
	s_mul_i32 s8, s8, s2
	s_mul_hi_u32 s0, s2, s8
	s_add_i32 s2, s2, s0
	s_mul_hi_u32 s0, s10, s2
	s_mul_i32 s1, s0, s14
	s_add_i32 s2, s0, 1
	s_sub_i32 s1, s10, s1
	s_sub_i32 s6, s1, s14
	s_cmp_ge_u32 s1, s14
	s_cselect_b32 s0, s2, s0
	s_cselect_b32 s1, s6, s1
	s_add_i32 s2, s0, 1
	s_cmp_ge_u32 s1, s14
	s_cselect_b32 s8, s2, s0
	s_cmp_ge_u32 s8, s3
	s_cbranch_scc1 .LBB142_21
; %bb.1:
	s_load_dwordx4 s[0:3], s[4:5], 0x1d0
	s_lshl_b64 s[6:7], s[8:9], 2
	v_cmp_gt_u32_e32 vcc_lo, 0x100, v0
	v_lshlrev_b32_e32 v1, 2, v0
	s_waitcnt lgkmcnt(0)
	s_add_u32 s0, s0, s6
	s_addc_u32 s1, s1, s7
	s_and_saveexec_b32 s6, vcc_lo
; %bb.2:
	v_mov_b32_e32 v2, 0
	ds_write_b32 v1, v2
; %bb.3:
	s_or_b32 exec_lo, exec_lo, s6
	s_load_dword s9, s[4:5], 0x1a0
	s_mul_i32 s6, s8, s14
	s_waitcnt lgkmcnt(0)
	s_sub_i32 s6, s10, s6
	s_barrier
	s_mul_i32 s7, s13, s6
	s_add_i32 s11, s6, 1
	s_lshl_b32 s16, s7, 8
	buffer_gl0_inv
	s_sub_i32 s7, s9, s16
	s_add_u32 s6, s7, 0xff
	s_addc_u32 s7, 0, 0
	s_lshr_b64 s[6:7], s[6:7], 8
	s_cmp_lt_u32 s11, s14
	s_cselect_b32 s11, s13, s6
	s_mov_b32 s13, 0
	s_cmp_lt_i32 s11, 1
	s_cbranch_scc1 .LBB142_19
; %bb.4:
	s_clause 0x2
	s_load_dwordx2 s[18:19], s[4:5], 0xd0
	s_load_dwordx2 s[6:7], s[4:5], 0x1b8
	;; [unrolled: 1-line block ×3, first 2 shown]
	s_load_dword s1, s[0:1], 0x0
	v_add_nc_u32_e32 v2, s16, v0
	s_waitcnt lgkmcnt(0)
	s_mul_i32 s0, s19, s8
	s_mul_hi_u32 s5, s18, s8
	s_mul_i32 s4, s18, s8
	s_add_i32 s5, s5, s0
	s_lshl_b64 s[18:19], s[4:5], 2
	s_add_u32 s5, s20, s18
	s_addc_u32 s8, s21, s19
	s_and_b32 s4, s12, 0xff
	s_cmp_eq_u32 s11, 1
	s_cbranch_scc1 .LBB142_14
; %bb.5:
	v_mov_b32_e32 v3, 1
	v_mov_b32_e32 v4, v2
	s_and_b32 s12, s11, 0x7ffffffe
	s_branch .LBB142_7
.LBB142_6:                              ;   in Loop: Header=BB142_7 Depth=1
	s_or_b32 exec_lo, exec_lo, s14
	v_add_nc_u32_e32 v4, 0x200, v4
	s_add_i32 s13, s13, 2
	s_cmp_eq_u32 s12, s13
	s_cbranch_scc1 .LBB142_13
.LBB142_7:                              ; =>This Inner Loop Header: Depth=1
	s_mov_b32 s14, exec_lo
	v_cmpx_gt_u32_e64 s9, v4
	s_cbranch_execz .LBB142_10
; %bb.8:                                ;   in Loop: Header=BB142_7 Depth=1
	v_mad_u64_u32 v[5:6], null, s6, v4, 0
	v_mad_u64_u32 v[6:7], null, s7, v4, v[6:7]
	v_lshlrev_b64 v[5:6], 2, v[5:6]
	v_add_co_u32 v5, s0, s5, v5
	v_add_co_ci_u32_e64 v6, null, s8, v6, s0
	global_load_dword v5, v[5:6], off
	s_waitcnt vmcnt(0)
	v_xor_b32_e32 v5, 0x80000000, v5
	v_xor_b32_e32 v6, s1, v5
	v_and_b32_e32 v6, s15, v6
	v_cmp_eq_u32_e64 s0, 0, v6
	s_and_b32 exec_lo, exec_lo, s0
; %bb.9:                                ;   in Loop: Header=BB142_7 Depth=1
	v_bfe_u32 v5, v5, s4, 8
	v_lshlrev_b32_e32 v5, 2, v5
	ds_add_u32 v5, v3
.LBB142_10:                             ;   in Loop: Header=BB142_7 Depth=1
	s_or_b32 exec_lo, exec_lo, s14
	v_add_nc_u32_e32 v5, 0x100, v4
	s_mov_b32 s14, exec_lo
	v_cmpx_gt_u32_e64 s9, v5
	s_cbranch_execz .LBB142_6
; %bb.11:                               ;   in Loop: Header=BB142_7 Depth=1
	v_mad_u64_u32 v[6:7], null, s6, v5, 0
	v_mad_u64_u32 v[7:8], null, s7, v5, v[7:8]
	v_lshlrev_b64 v[5:6], 2, v[6:7]
	v_add_co_u32 v5, s0, s5, v5
	v_add_co_ci_u32_e64 v6, null, s8, v6, s0
	global_load_dword v5, v[5:6], off
	s_waitcnt vmcnt(0)
	v_xor_b32_e32 v5, 0x80000000, v5
	v_xor_b32_e32 v6, s1, v5
	v_and_b32_e32 v6, s15, v6
	v_cmp_eq_u32_e64 s0, 0, v6
	s_and_b32 exec_lo, exec_lo, s0
	s_cbranch_execz .LBB142_6
; %bb.12:                               ;   in Loop: Header=BB142_7 Depth=1
	v_bfe_u32 v5, v5, s4, 8
	v_lshlrev_b32_e32 v5, 2, v5
	ds_add_u32 v5, v3
	s_branch .LBB142_6
.LBB142_13:
	s_lshl_b32 s13, s12, 8
.LBB142_14:
	s_bitcmp0_b32 s11, 0
	s_cbranch_scc1 .LBB142_19
; %bb.15:
	v_add_nc_u32_e32 v2, s13, v2
	v_cmp_gt_u32_e64 s0, s9, v2
	s_and_saveexec_b32 s9, s0
	s_cbranch_execz .LBB142_18
; %bb.16:
	v_mad_u64_u32 v[3:4], null, s6, v2, 0
	v_mad_u64_u32 v[4:5], null, s7, v2, v[4:5]
	v_lshlrev_b64 v[2:3], 2, v[3:4]
	v_add_co_u32 v2, s0, s5, v2
	v_add_co_ci_u32_e64 v3, null, s8, v3, s0
	global_load_dword v2, v[2:3], off
	s_waitcnt vmcnt(0)
	v_xor_b32_e32 v2, 0x80000000, v2
	v_xor_b32_e32 v3, s1, v2
	v_and_b32_e32 v3, s15, v3
	v_cmp_eq_u32_e64 s0, 0, v3
	s_and_b32 exec_lo, exec_lo, s0
	s_cbranch_execz .LBB142_18
; %bb.17:
	v_bfe_u32 v2, v2, s4, 8
	v_mov_b32_e32 v3, 1
	v_lshlrev_b32_e32 v2, 2, v2
	ds_add_u32 v2, v3
.LBB142_18:
	s_or_b32 exec_lo, exec_lo, s9
.LBB142_19:
	s_waitcnt lgkmcnt(0)
	s_barrier
	buffer_gl0_inv
	s_and_saveexec_b32 s0, vcc_lo
	s_cbranch_execz .LBB142_21
; %bb.20:
	ds_read_b32 v2, v1
	v_lshl_or_b32 v0, s10, 8, v0
	v_mov_b32_e32 v1, 0
	v_lshlrev_b64 v[0:1], 1, v[0:1]
	v_add_co_u32 v0, vcc_lo, s2, v0
	v_add_co_ci_u32_e64 v1, null, s3, v1, vcc_lo
	s_waitcnt lgkmcnt(0)
	global_store_short v[0:1], v2, off
.LBB142_21:
	s_endpgm
	.section	.rodata,"a",@progbits
	.p2align	6, 0x0
	.amdhsa_kernel _ZN2at6native6mbtopk23computeBlockDigitCountsIimjLi1EEEvNS_4cuda6detail10TensorInfoIKT_T0_EEjPjjS8_iijT1_PSB_Ps
		.amdhsa_group_segment_fixed_size 1024
		.amdhsa_private_segment_fixed_size 0
		.amdhsa_kernarg_size 736
		.amdhsa_user_sgpr_count 6
		.amdhsa_user_sgpr_private_segment_buffer 1
		.amdhsa_user_sgpr_dispatch_ptr 0
		.amdhsa_user_sgpr_queue_ptr 0
		.amdhsa_user_sgpr_kernarg_segment_ptr 1
		.amdhsa_user_sgpr_dispatch_id 0
		.amdhsa_user_sgpr_flat_scratch_init 0
		.amdhsa_user_sgpr_private_segment_size 0
		.amdhsa_wavefront_size32 1
		.amdhsa_uses_dynamic_stack 0
		.amdhsa_system_sgpr_private_segment_wavefront_offset 0
		.amdhsa_system_sgpr_workgroup_id_x 1
		.amdhsa_system_sgpr_workgroup_id_y 1
		.amdhsa_system_sgpr_workgroup_id_z 1
		.amdhsa_system_sgpr_workgroup_info 0
		.amdhsa_system_vgpr_workitem_id 0
		.amdhsa_next_free_vgpr 9
		.amdhsa_next_free_sgpr 22
		.amdhsa_reserve_vcc 1
		.amdhsa_reserve_flat_scratch 0
		.amdhsa_float_round_mode_32 0
		.amdhsa_float_round_mode_16_64 0
		.amdhsa_float_denorm_mode_32 3
		.amdhsa_float_denorm_mode_16_64 3
		.amdhsa_dx10_clamp 1
		.amdhsa_ieee_mode 1
		.amdhsa_fp16_overflow 0
		.amdhsa_workgroup_processor_mode 1
		.amdhsa_memory_ordered 1
		.amdhsa_forward_progress 1
		.amdhsa_shared_vgpr_count 0
		.amdhsa_exception_fp_ieee_invalid_op 0
		.amdhsa_exception_fp_denorm_src 0
		.amdhsa_exception_fp_ieee_div_zero 0
		.amdhsa_exception_fp_ieee_overflow 0
		.amdhsa_exception_fp_ieee_underflow 0
		.amdhsa_exception_fp_ieee_inexact 0
		.amdhsa_exception_int_div_zero 0
	.end_amdhsa_kernel
	.section	.text._ZN2at6native6mbtopk23computeBlockDigitCountsIimjLi1EEEvNS_4cuda6detail10TensorInfoIKT_T0_EEjPjjS8_iijT1_PSB_Ps,"axG",@progbits,_ZN2at6native6mbtopk23computeBlockDigitCountsIimjLi1EEEvNS_4cuda6detail10TensorInfoIKT_T0_EEjPjjS8_iijT1_PSB_Ps,comdat
.Lfunc_end142:
	.size	_ZN2at6native6mbtopk23computeBlockDigitCountsIimjLi1EEEvNS_4cuda6detail10TensorInfoIKT_T0_EEjPjjS8_iijT1_PSB_Ps, .Lfunc_end142-_ZN2at6native6mbtopk23computeBlockDigitCountsIimjLi1EEEvNS_4cuda6detail10TensorInfoIKT_T0_EEjPjjS8_iijT1_PSB_Ps
                                        ; -- End function
	.set _ZN2at6native6mbtopk23computeBlockDigitCountsIimjLi1EEEvNS_4cuda6detail10TensorInfoIKT_T0_EEjPjjS8_iijT1_PSB_Ps.num_vgpr, 9
	.set _ZN2at6native6mbtopk23computeBlockDigitCountsIimjLi1EEEvNS_4cuda6detail10TensorInfoIKT_T0_EEjPjjS8_iijT1_PSB_Ps.num_agpr, 0
	.set _ZN2at6native6mbtopk23computeBlockDigitCountsIimjLi1EEEvNS_4cuda6detail10TensorInfoIKT_T0_EEjPjjS8_iijT1_PSB_Ps.numbered_sgpr, 22
	.set _ZN2at6native6mbtopk23computeBlockDigitCountsIimjLi1EEEvNS_4cuda6detail10TensorInfoIKT_T0_EEjPjjS8_iijT1_PSB_Ps.num_named_barrier, 0
	.set _ZN2at6native6mbtopk23computeBlockDigitCountsIimjLi1EEEvNS_4cuda6detail10TensorInfoIKT_T0_EEjPjjS8_iijT1_PSB_Ps.private_seg_size, 0
	.set _ZN2at6native6mbtopk23computeBlockDigitCountsIimjLi1EEEvNS_4cuda6detail10TensorInfoIKT_T0_EEjPjjS8_iijT1_PSB_Ps.uses_vcc, 1
	.set _ZN2at6native6mbtopk23computeBlockDigitCountsIimjLi1EEEvNS_4cuda6detail10TensorInfoIKT_T0_EEjPjjS8_iijT1_PSB_Ps.uses_flat_scratch, 0
	.set _ZN2at6native6mbtopk23computeBlockDigitCountsIimjLi1EEEvNS_4cuda6detail10TensorInfoIKT_T0_EEjPjjS8_iijT1_PSB_Ps.has_dyn_sized_stack, 0
	.set _ZN2at6native6mbtopk23computeBlockDigitCountsIimjLi1EEEvNS_4cuda6detail10TensorInfoIKT_T0_EEjPjjS8_iijT1_PSB_Ps.has_recursion, 0
	.set _ZN2at6native6mbtopk23computeBlockDigitCountsIimjLi1EEEvNS_4cuda6detail10TensorInfoIKT_T0_EEjPjjS8_iijT1_PSB_Ps.has_indirect_call, 0
	.section	.AMDGPU.csdata,"",@progbits
; Kernel info:
; codeLenInByte = 896
; TotalNumSgprs: 24
; NumVgprs: 9
; ScratchSize: 0
; MemoryBound: 0
; FloatMode: 240
; IeeeMode: 1
; LDSByteSize: 1024 bytes/workgroup (compile time only)
; SGPRBlocks: 0
; VGPRBlocks: 1
; NumSGPRsForWavesPerEU: 24
; NumVGPRsForWavesPerEU: 9
; Occupancy: 16
; WaveLimiterHint : 1
; COMPUTE_PGM_RSRC2:SCRATCH_EN: 0
; COMPUTE_PGM_RSRC2:USER_SGPR: 6
; COMPUTE_PGM_RSRC2:TRAP_HANDLER: 0
; COMPUTE_PGM_RSRC2:TGID_X_EN: 1
; COMPUTE_PGM_RSRC2:TGID_Y_EN: 1
; COMPUTE_PGM_RSRC2:TGID_Z_EN: 1
; COMPUTE_PGM_RSRC2:TIDIG_COMP_CNT: 0
	.section	.text._ZN2at6native6mbtopk10gatherTopKIimLi1EEEvNS_4cuda6detail10TensorInfoIKT_T0_EES8_S8_bjS8_NS5_IS6_S8_EES8_NS5_IlS8_EES8_jjPS6_PjSD_j,"axG",@progbits,_ZN2at6native6mbtopk10gatherTopKIimLi1EEEvNS_4cuda6detail10TensorInfoIKT_T0_EES8_S8_bjS8_NS5_IS6_S8_EES8_NS5_IlS8_EES8_jjPS6_PjSD_j,comdat
	.protected	_ZN2at6native6mbtopk10gatherTopKIimLi1EEEvNS_4cuda6detail10TensorInfoIKT_T0_EES8_S8_bjS8_NS5_IS6_S8_EES8_NS5_IlS8_EES8_jjPS6_PjSD_j ; -- Begin function _ZN2at6native6mbtopk10gatherTopKIimLi1EEEvNS_4cuda6detail10TensorInfoIKT_T0_EES8_S8_bjS8_NS5_IS6_S8_EES8_NS5_IlS8_EES8_jjPS6_PjSD_j
	.globl	_ZN2at6native6mbtopk10gatherTopKIimLi1EEEvNS_4cuda6detail10TensorInfoIKT_T0_EES8_S8_bjS8_NS5_IS6_S8_EES8_NS5_IlS8_EES8_jjPS6_PjSD_j
	.p2align	8
	.type	_ZN2at6native6mbtopk10gatherTopKIimLi1EEEvNS_4cuda6detail10TensorInfoIKT_T0_EES8_S8_bjS8_NS5_IS6_S8_EES8_NS5_IlS8_EES8_jjPS6_PjSD_j,@function
_ZN2at6native6mbtopk10gatherTopKIimLi1EEEvNS_4cuda6detail10TensorInfoIKT_T0_EES8_S8_bjS8_NS5_IS6_S8_EES8_NS5_IlS8_EES8_jjPS6_PjSD_j: ; @_ZN2at6native6mbtopk10gatherTopKIimLi1EEEvNS_4cuda6detail10TensorInfoIKT_T0_EES8_S8_bjS8_NS5_IS6_S8_EES8_NS5_IlS8_EES8_jjPS6_PjSD_j
; %bb.0:
	s_clause 0x1
	s_load_dwordx2 s[0:1], s[4:5], 0x538
	s_load_dword s2, s[4:5], 0x530
	s_waitcnt lgkmcnt(0)
	s_mul_i32 s1, s1, s8
	s_add_i32 s1, s1, s7
	s_mul_i32 s0, s1, s0
	s_add_i32 s0, s0, s6
	s_cmp_ge_u32 s0, s2
	s_cbranch_scc1 .LBB143_42
; %bb.1:
	s_clause 0x1
	s_load_dwordx2 s[6:7], s[4:5], 0x510
	s_load_dwordx4 s[8:11], s[4:5], 0x1a0
	s_mov_b32 s21, 0
	s_waitcnt lgkmcnt(0)
	v_cvt_f32_u32_e32 v1, s7
	s_sub_i32 s2, 0, s7
	s_lshl_b32 s33, s6, 8
	v_rcp_iflag_f32_e32 v1, v1
	v_mul_f32_e32 v1, 0x4f7ffffe, v1
	v_cvt_u32_f32_e32 v1, v1
	v_readfirstlane_b32 s1, v1
	s_mul_i32 s2, s2, s1
	s_mul_hi_u32 s2, s1, s2
	s_add_i32 s1, s1, s2
	s_mul_hi_u32 s1, s0, s1
	s_mul_i32 s2, s1, s7
	s_add_i32 s3, s1, 1
	s_sub_i32 s2, s0, s2
	s_sub_i32 s12, s2, s7
	s_cmp_ge_u32 s2, s7
	s_cselect_b32 s1, s3, s1
	s_cselect_b32 s2, s12, s2
	s_add_i32 s3, s1, 1
	s_cmp_ge_u32 s2, s7
	s_cselect_b32 s20, s3, s1
	s_mul_i32 s16, s20, s7
	s_sub_i32 s36, s0, s16
	s_add_i32 s0, s36, 1
	s_cmp_lt_u32 s0, s7
	s_cbranch_scc1 .LBB143_3
; %bb.2:
	s_mul_i32 s0, s36, s33
	s_sub_u32 s0, s8, s0
	s_subb_u32 s1, s9, 0
	s_add_u32 s0, s0, 0xff
	s_addc_u32 s1, s1, 0
	s_ashr_i32 s2, s1, 31
	s_lshr_b32 s2, s2, 24
	s_add_u32 s0, s0, s2
	s_addc_u32 s1, s1, 0
	s_lshr_b64 s[0:1], s[0:1], 8
	s_mov_b32 s6, s0
.LBB143_3:
	s_load_dwordx4 s[0:3], s[4:5], 0x518
	s_lshl_b64 s[12:13], s[20:21], 2
	s_waitcnt lgkmcnt(0)
	s_add_u32 s0, s0, s12
	s_addc_u32 s1, s1, s13
	s_clause 0x3
	s_load_dwordx2 s[22:23], s[4:5], 0x0
	s_load_dwordx2 s[28:29], s[4:5], 0xd0
	s_load_dwordx2 s[26:27], s[4:5], 0x290
	s_load_dwordx2 s[24:25], s[4:5], 0x438
	s_load_dword s21, s[0:1], 0x0
	v_cmp_ne_u32_e64 s0, 0, v0
	v_cmp_eq_u32_e64 s1, 0, v0
	s_and_saveexec_b32 s37, s1
	s_cbranch_execz .LBB143_19
; %bb.4:
	s_load_dwordx2 s[18:19], s[4:5], 0x528
	s_mov_b32 s17, 0
	s_mov_b32 s38, 0
	s_lshl_b64 s[30:31], s[16:17], 2
	s_mov_b32 s16, 0
	s_add_u32 s12, s2, s30
	s_addc_u32 s13, s3, s31
	s_waitcnt lgkmcnt(0)
	s_add_u32 s14, s18, s30
	s_addc_u32 s15, s19, s31
	s_cmp_lt_u32 s7, 4
	s_cbranch_scc1 .LBB143_16
; %bb.5:
	s_mov_b32 s39, 0
.LBB143_6:                              ; =>This Inner Loop Header: Depth=1
	s_add_u32 s12, s2, s30
	s_addc_u32 s13, s3, s31
	s_add_u32 s34, s18, s30
	s_load_dwordx4 s[12:15], s[12:13], 0x0
	s_addc_u32 s35, s19, s31
	s_cmp_ge_u32 s39, s36
	s_cbranch_scc0 .LBB143_13
; %bb.7:                                ;   in Loop: Header=BB143_6 Depth=1
	s_add_i32 s40, s39, 1
	s_cmp_ge_u32 s40, s36
	s_cbranch_scc0 .LBB143_14
.LBB143_8:                              ;   in Loop: Header=BB143_6 Depth=1
	s_add_i32 s40, s40, 1
	s_cmp_ge_u32 s40, s36
	s_cbranch_scc0 .LBB143_15
.LBB143_9:                              ;   in Loop: Header=BB143_6 Depth=1
	s_add_i32 s40, s40, 1
	s_cmp_ge_u32 s40, s36
	s_cbranch_scc1 .LBB143_11
.LBB143_10:                             ;   in Loop: Header=BB143_6 Depth=1
	s_load_dword s34, s[34:35], 0xc
	s_waitcnt lgkmcnt(0)
	s_add_i32 s17, s17, s15
	s_add_i32 s16, s34, s16
.LBB143_11:                             ;   in Loop: Header=BB143_6 Depth=1
	s_waitcnt lgkmcnt(0)
	s_add_i32 s12, s12, s38
	s_add_i32 s12, s12, s13
	s_add_i32 s12, s12, s14
	s_add_i32 s38, s12, s15
	s_add_u32 s2, s2, 16
	s_addc_u32 s3, s3, 0
	s_add_u32 s18, s18, 16
	s_addc_u32 s19, s19, 0
	s_add_i32 s35, s40, 4
	s_add_u32 s14, s18, s30
	s_addc_u32 s15, s19, s31
	s_add_u32 s12, s2, s30
	s_addc_u32 s13, s3, s31
	s_add_i32 s34, s40, 1
	s_cmp_ge_u32 s35, s7
	s_cbranch_scc1 .LBB143_17
; %bb.12:                               ;   in Loop: Header=BB143_6 Depth=1
	s_mov_b32 s39, s34
	s_branch .LBB143_6
.LBB143_13:                             ;   in Loop: Header=BB143_6 Depth=1
	s_load_dword s40, s[34:35], 0x0
	s_waitcnt lgkmcnt(0)
	s_add_i32 s17, s12, s17
	s_add_i32 s16, s40, s16
	;; [unrolled: 1-line block ×3, first 2 shown]
	s_cmp_ge_u32 s40, s36
	s_cbranch_scc1 .LBB143_8
.LBB143_14:                             ;   in Loop: Header=BB143_6 Depth=1
	s_load_dword s41, s[34:35], 0x4
	s_waitcnt lgkmcnt(0)
	s_add_i32 s17, s17, s13
	s_add_i32 s16, s41, s16
	;; [unrolled: 1-line block ×3, first 2 shown]
	s_cmp_ge_u32 s40, s36
	s_cbranch_scc1 .LBB143_9
.LBB143_15:                             ;   in Loop: Header=BB143_6 Depth=1
	s_load_dword s41, s[34:35], 0x8
	s_waitcnt lgkmcnt(0)
	s_add_i32 s17, s17, s14
	s_add_i32 s16, s41, s16
	;; [unrolled: 1-line block ×3, first 2 shown]
	s_cmp_ge_u32 s40, s36
	s_cbranch_scc0 .LBB143_10
	s_branch .LBB143_11
.LBB143_16:
	s_mov_b32 s2, 0
	s_cmp_ge_u32 s2, s7
	s_cbranch_scc0 .LBB143_40
	s_branch .LBB143_18
.LBB143_17:
	s_add_i32 s2, s39, 4
	s_cmp_ge_u32 s2, s7
	s_cbranch_scc0 .LBB143_40
.LBB143_18:
	v_mov_b32_e32 v1, s16
	v_mov_b32_e32 v2, s38
	;; [unrolled: 1-line block ×4, first 2 shown]
	ds_write_b96 v4, v[1:3] offset:1056
.LBB143_19:
	s_or_b32 exec_lo, exec_lo, s37
	s_clause 0x1
	s_load_dwordx4 s[12:15], s[4:5], 0x1b8
	s_load_dwordx4 s[16:19], s[4:5], 0x360
	s_cmp_eq_u32 s6, 0
	s_waitcnt lgkmcnt(0)
	s_barrier
	buffer_gl0_inv
	s_cbranch_scc1 .LBB143_42
; %bb.20:
	v_mov_b32_e32 v5, 0
	s_mul_i32 s2, s29, s20
	s_mul_hi_u32 s3, s28, s20
	s_mul_i32 s7, s27, s20
	s_mul_hi_u32 s27, s26, s20
	ds_read_b96 v[1:3], v5 offset:1056
	s_add_i32 s3, s3, s2
	s_mul_i32 s2, s28, s20
	s_add_i32 s27, s27, s7
	s_mul_i32 s7, s25, s20
	s_mul_hi_u32 s25, s24, s20
	s_lshl_b64 s[2:3], s[2:3], 2
	s_mul_i32 s26, s26, s20
	s_add_i32 s25, s25, s7
	s_add_u32 s7, s22, s2
	s_addc_u32 s22, s23, s3
	s_lshl_b64 s[2:3], s[26:27], 2
	s_mul_i32 s24, s24, s20
	s_add_u32 s14, s14, s2
	s_addc_u32 s15, s15, s3
	s_lshl_b64 s[2:3], s[24:25], 3
	v_add_nc_u32_e32 v4, -1, v0
	s_add_u32 s18, s18, s2
	s_addc_u32 s19, s19, s3
	s_clause 0x1
	s_load_dword s3, s[4:5], 0x1b0
	s_load_dwordx2 s[4:5], s[4:5], 0x508
	v_lshrrev_b32_e32 v6, 3, v0
	v_lshrrev_b32_e32 v7, 3, v4
	s_waitcnt lgkmcnt(0)
	v_add_nc_u32_e32 v1, v1, v2
	v_and_b32_e32 v10, 0xfc, v0
	v_lshlrev_b32_e32 v11, 5, v0
	v_and_b32_e32 v2, 28, v6
	v_and_b32_e32 v12, 0x1ffffffc, v7
	v_mad_u64_u32 v[6:7], null, s36, s33, v[0:1]
	v_mbcnt_lo_u32_b32 v8, -1, 0
	s_xor_b32 s20, s21, 0x80000000
	v_lshl_add_u32 v9, v0, 2, v2
	v_cmp_gt_u32_e64 s2, 32, v0
	v_lshl_add_u32 v0, v4, 2, v12
	v_add_nc_u32_e32 v10, v10, v11
	v_and_b32_e32 v11, 15, v8
	v_bfe_i32 v12, v8, 4, 1
	v_add_nc_u32_e32 v13, -1, v8
	v_mov_b32_e32 v4, v6
	s_bitcmp1_b32 s3, 0
                                        ; implicit-def: $vgpr14
	s_cselect_b32 s3, -1, 0
	s_branch .LBB143_23
.LBB143_21:                             ;   in Loop: Header=BB143_23 Depth=1
	s_or_b32 exec_lo, exec_lo, s23
	v_add_nc_u32_e32 v1, v2, v1
.LBB143_22:                             ;   in Loop: Header=BB143_23 Depth=1
	v_add_nc_u32_e32 v3, v15, v3
	v_add_nc_u32_e32 v4, 0x100, v4
	s_add_i32 s6, s6, -1
	s_cmp_lg_u32 s6, 0
	s_cbranch_scc0 .LBB143_42
.LBB143_23:                             ; =>This Inner Loop Header: Depth=1
	v_mov_b32_e32 v2, v5
	v_mov_b32_e32 v6, v5
	s_mov_b32 s23, exec_lo
	v_cmpx_gt_u64_e64 s[8:9], v[4:5]
	s_cbranch_execz .LBB143_25
; %bb.24:                               ;   in Loop: Header=BB143_23 Depth=1
	v_mad_u64_u32 v[6:7], null, s12, v4, 0
	v_mov_b32_e32 v2, v7
	v_mad_u64_u32 v[14:15], null, s13, v4, v[2:3]
	v_mov_b32_e32 v7, v14
	v_lshlrev_b64 v[6:7], 2, v[6:7]
	v_add_co_u32 v6, vcc_lo, s7, v6
	v_add_co_ci_u32_e64 v7, null, s22, v7, vcc_lo
	global_load_dword v14, v[6:7], off
	s_waitcnt vmcnt(0)
	v_xor_b32_e32 v2, 0x80000000, v14
	v_cmp_lt_u32_e32 vcc_lo, s20, v2
	v_cndmask_b32_e64 v6, 0, 1, vcc_lo
	v_cmp_gt_u32_e32 vcc_lo, s20, v2
	v_cndmask_b32_e64 v2, 0, 1, vcc_lo
	v_cmp_eq_u32_e32 vcc_lo, s21, v14
	v_cndmask_b32_e64 v2, v2, v6, s3
	v_cndmask_b32_e64 v6, 0, 1, vcc_lo
	v_and_b32_e32 v2, 1, v2
.LBB143_25:                             ;   in Loop: Header=BB143_23 Depth=1
	s_or_b32 exec_lo, exec_lo, s23
	ds_write_b32 v9, v2
	s_waitcnt lgkmcnt(0)
	s_barrier
	buffer_gl0_inv
	s_and_saveexec_b32 s23, s2
	s_cbranch_execz .LBB143_27
; %bb.26:                               ;   in Loop: Header=BB143_23 Depth=1
	ds_read2_b32 v[15:16], v10 offset1:1
	ds_read2_b32 v[17:18], v10 offset0:2 offset1:3
	ds_read2_b32 v[19:20], v10 offset0:4 offset1:5
	ds_read2_b32 v[21:22], v10 offset0:6 offset1:7
	v_cmp_ne_u32_e32 vcc_lo, 0, v11
	; wave barrier
	s_waitcnt lgkmcnt(3)
	v_add_nc_u32_e32 v7, v16, v15
	s_waitcnt lgkmcnt(2)
	v_add3_u32 v7, v7, v17, v18
	s_waitcnt lgkmcnt(1)
	v_add3_u32 v7, v7, v19, v20
	;; [unrolled: 2-line block ×3, first 2 shown]
	v_mov_b32_dpp v16, v7 row_shr:1 row_mask:0xf bank_mask:0xf
	v_cndmask_b32_e32 v16, 0, v16, vcc_lo
	v_cmp_lt_u32_e32 vcc_lo, 1, v11
	v_add_nc_u32_e32 v7, v16, v7
	v_mov_b32_dpp v16, v7 row_shr:2 row_mask:0xf bank_mask:0xf
	v_cndmask_b32_e32 v16, 0, v16, vcc_lo
	v_cmp_lt_u32_e32 vcc_lo, 3, v11
	v_add_nc_u32_e32 v7, v7, v16
	v_mov_b32_dpp v16, v7 row_shr:4 row_mask:0xf bank_mask:0xf
	v_cndmask_b32_e32 v16, 0, v16, vcc_lo
	v_cmp_lt_u32_e32 vcc_lo, 7, v11
	v_add_nc_u32_e32 v7, v7, v16
	v_mov_b32_dpp v16, v7 row_shr:8 row_mask:0xf bank_mask:0xf
	v_cndmask_b32_e32 v16, 0, v16, vcc_lo
	v_cmp_gt_i32_e32 vcc_lo, 0, v13
	v_add_nc_u32_e32 v7, v7, v16
	v_cndmask_b32_e32 v17, v13, v8, vcc_lo
	ds_swizzle_b32 v16, v7 offset:swizzle(BROADCAST,32,15)
	v_lshlrev_b32_e32 v17, 2, v17
	s_waitcnt lgkmcnt(0)
	v_and_b32_e32 v16, v12, v16
	v_add_nc_u32_e32 v7, v7, v16
	ds_bpermute_b32 v7, v17, v7
	s_waitcnt lgkmcnt(0)
	v_add_nc_u32_e32 v7, v7, v15
	v_cndmask_b32_e64 v7, v7, v2, s1
	ds_write_b32 v10, v7
	; wave barrier
	ds_read2_b32 v[15:16], v10 offset0:1 offset1:2
	ds_read2_b32 v[17:18], v10 offset0:3 offset1:4
	;; [unrolled: 1-line block ×3, first 2 shown]
	ds_read_b32 v21, v10 offset:28
	s_waitcnt lgkmcnt(3)
	v_add_nc_u32_e32 v7, v15, v7
	v_add_nc_u32_e32 v15, v16, v7
	s_waitcnt lgkmcnt(2)
	v_add_nc_u32_e32 v16, v17, v15
	v_add_nc_u32_e32 v17, v18, v16
	;; [unrolled: 3-line block ×3, first 2 shown]
	s_waitcnt lgkmcnt(0)
	v_add_nc_u32_e32 v20, v21, v19
	ds_write2_b32 v10, v7, v15 offset0:1 offset1:2
	ds_write2_b32 v10, v16, v17 offset0:3 offset1:4
	;; [unrolled: 1-line block ×3, first 2 shown]
	ds_write_b32 v10, v20 offset:28
.LBB143_27:                             ;   in Loop: Header=BB143_23 Depth=1
	s_or_b32 exec_lo, exec_lo, s23
	v_mov_b32_e32 v7, 0
	s_waitcnt lgkmcnt(0)
	s_barrier
	buffer_gl0_inv
	s_and_saveexec_b32 s23, s0
; %bb.28:                               ;   in Loop: Header=BB143_23 Depth=1
	ds_read_b32 v7, v0
; %bb.29:                               ;   in Loop: Header=BB143_23 Depth=1
	s_or_b32 exec_lo, exec_lo, s23
	ds_read_b32 v15, v5 offset:1048
	s_mov_b32 s23, exec_lo
	s_waitcnt lgkmcnt(0)
	s_barrier
	buffer_gl0_inv
	v_cmpx_ne_u32_e32 0, v2
	s_cbranch_execz .LBB143_31
; %bb.30:                               ;   in Loop: Header=BB143_23 Depth=1
	v_add_nc_u32_e32 v21, v7, v3
	v_mad_u64_u32 v[16:17], null, s16, v21, 0
	v_mad_u64_u32 v[18:19], null, s4, v21, 0
	v_mov_b32_e32 v2, v17
	v_mov_b32_e32 v7, v19
	v_mad_u64_u32 v[19:20], null, s17, v21, v[2:3]
	v_mad_u64_u32 v[20:21], null, s5, v21, v[7:8]
	v_mov_b32_e32 v17, v19
	v_mov_b32_e32 v19, v20
	v_lshlrev_b64 v[16:17], 2, v[16:17]
	v_lshlrev_b64 v[18:19], 3, v[18:19]
	v_add_co_u32 v16, vcc_lo, s14, v16
	v_add_co_ci_u32_e64 v17, null, s15, v17, vcc_lo
	v_add_co_u32 v18, vcc_lo, s18, v18
	v_add_co_ci_u32_e64 v19, null, s19, v19, vcc_lo
	global_store_dword v[16:17], v14, off
	global_store_dwordx2 v[18:19], v[4:5], off
.LBB143_31:                             ;   in Loop: Header=BB143_23 Depth=1
	s_or_b32 exec_lo, exec_lo, s23
	v_mov_b32_e32 v2, v5
	v_cmp_le_u64_e32 vcc_lo, s[10:11], v[1:2]
	s_cbranch_vccnz .LBB143_22
; %bb.32:                               ;   in Loop: Header=BB143_23 Depth=1
	ds_write_b32 v9, v6
	s_waitcnt lgkmcnt(0)
	s_waitcnt_vscnt null, 0x0
	s_barrier
	buffer_gl0_inv
	s_and_saveexec_b32 s23, s2
	s_cbranch_execz .LBB143_34
; %bb.33:                               ;   in Loop: Header=BB143_23 Depth=1
	ds_read2_b32 v[16:17], v10 offset1:1
	ds_read2_b32 v[18:19], v10 offset0:2 offset1:3
	ds_read2_b32 v[20:21], v10 offset0:4 offset1:5
	;; [unrolled: 1-line block ×3, first 2 shown]
	v_cmp_ne_u32_e32 vcc_lo, 0, v11
	; wave barrier
	s_waitcnt lgkmcnt(3)
	v_add_nc_u32_e32 v2, v17, v16
	s_waitcnt lgkmcnt(2)
	v_add3_u32 v2, v2, v18, v19
	s_waitcnt lgkmcnt(1)
	v_add3_u32 v2, v2, v20, v21
	;; [unrolled: 2-line block ×3, first 2 shown]
	v_mov_b32_dpp v7, v2 row_shr:1 row_mask:0xf bank_mask:0xf
	v_cndmask_b32_e32 v7, 0, v7, vcc_lo
	v_cmp_lt_u32_e32 vcc_lo, 1, v11
	v_add_nc_u32_e32 v2, v7, v2
	v_mov_b32_dpp v7, v2 row_shr:2 row_mask:0xf bank_mask:0xf
	v_cndmask_b32_e32 v7, 0, v7, vcc_lo
	v_cmp_lt_u32_e32 vcc_lo, 3, v11
	v_add_nc_u32_e32 v2, v2, v7
	;; [unrolled: 4-line block ×3, first 2 shown]
	v_mov_b32_dpp v7, v2 row_shr:8 row_mask:0xf bank_mask:0xf
	v_cndmask_b32_e32 v7, 0, v7, vcc_lo
	v_cmp_gt_i32_e32 vcc_lo, 0, v13
	v_add_nc_u32_e32 v2, v2, v7
	v_cndmask_b32_e32 v17, v13, v8, vcc_lo
	ds_swizzle_b32 v7, v2 offset:swizzle(BROADCAST,32,15)
	v_lshlrev_b32_e32 v17, 2, v17
	s_waitcnt lgkmcnt(0)
	v_and_b32_e32 v7, v12, v7
	v_add_nc_u32_e32 v2, v2, v7
	ds_bpermute_b32 v2, v17, v2
	s_waitcnt lgkmcnt(0)
	v_add_nc_u32_e32 v2, v2, v16
	v_cndmask_b32_e64 v2, v2, v6, s1
	ds_write_b32 v10, v2
	; wave barrier
	ds_read2_b32 v[16:17], v10 offset0:1 offset1:2
	ds_read2_b32 v[18:19], v10 offset0:3 offset1:4
	;; [unrolled: 1-line block ×3, first 2 shown]
	ds_read_b32 v7, v10 offset:28
	s_waitcnt lgkmcnt(3)
	v_add_nc_u32_e32 v2, v16, v2
	v_add_nc_u32_e32 v16, v17, v2
	s_waitcnt lgkmcnt(2)
	v_add_nc_u32_e32 v17, v18, v16
	v_add_nc_u32_e32 v18, v19, v17
	;; [unrolled: 3-line block ×3, first 2 shown]
	s_waitcnt lgkmcnt(0)
	v_add_nc_u32_e32 v7, v7, v20
	ds_write2_b32 v10, v2, v16 offset0:1 offset1:2
	ds_write2_b32 v10, v17, v18 offset0:3 offset1:4
	;; [unrolled: 1-line block ×3, first 2 shown]
	ds_write_b32 v10, v7 offset:28
.LBB143_34:                             ;   in Loop: Header=BB143_23 Depth=1
	s_or_b32 exec_lo, exec_lo, s23
	v_mov_b32_e32 v7, 0
	s_waitcnt lgkmcnt(0)
	s_barrier
	buffer_gl0_inv
	s_and_saveexec_b32 s23, s0
; %bb.35:                               ;   in Loop: Header=BB143_23 Depth=1
	ds_read_b32 v7, v0
; %bb.36:                               ;   in Loop: Header=BB143_23 Depth=1
	s_or_b32 exec_lo, exec_lo, s23
	ds_read_b32 v2, v5 offset:1048
	s_mov_b32 s23, exec_lo
	s_waitcnt lgkmcnt(0)
	s_barrier
	buffer_gl0_inv
	v_cmpx_ne_u32_e32 0, v6
	s_cbranch_execz .LBB143_21
; %bb.37:                               ;   in Loop: Header=BB143_23 Depth=1
	v_add_nc_u32_e32 v6, v7, v1
	v_mov_b32_e32 v7, v5
	v_cmp_gt_u64_e32 vcc_lo, s[10:11], v[6:7]
	s_and_b32 exec_lo, exec_lo, vcc_lo
	s_cbranch_execz .LBB143_21
; %bb.38:                               ;   in Loop: Header=BB143_23 Depth=1
	v_mad_u64_u32 v[16:17], null, s16, v6, 0
	v_mad_u64_u32 v[18:19], null, s4, v6, 0
	v_mov_b32_e32 v7, v17
	v_mov_b32_e32 v17, v19
	v_mad_u64_u32 v[19:20], null, s17, v6, v[7:8]
	v_mad_u64_u32 v[6:7], null, s5, v6, v[17:18]
	v_mov_b32_e32 v17, v19
	v_mov_b32_e32 v19, v6
	v_lshlrev_b64 v[6:7], 2, v[16:17]
	v_lshlrev_b64 v[16:17], 3, v[18:19]
	v_add_co_u32 v6, vcc_lo, s14, v6
	v_add_co_ci_u32_e64 v7, null, s15, v7, vcc_lo
	v_add_co_u32 v16, vcc_lo, s18, v16
	v_add_co_ci_u32_e64 v17, null, s19, v17, vcc_lo
	global_store_dword v[6:7], v14, off
	global_store_dwordx2 v[16:17], v[4:5], off
	s_branch .LBB143_21
	.p2align	6
.LBB143_39:                             ;   in Loop: Header=BB143_40 Depth=1
	s_add_u32 s12, s12, 4
	s_addc_u32 s13, s13, 0
	s_waitcnt lgkmcnt(0)
	s_add_i32 s38, s3, s38
	s_add_u32 s14, s14, 4
	s_addc_u32 s15, s15, 0
	s_add_i32 s2, s2, 1
	s_cmp_lt_u32 s2, s7
	s_cbranch_scc0 .LBB143_18
.LBB143_40:                             ; =>This Inner Loop Header: Depth=1
	s_load_dword s3, s[12:13], 0x0
	s_cmp_ge_u32 s2, s36
	s_cbranch_scc1 .LBB143_39
; %bb.41:                               ;   in Loop: Header=BB143_40 Depth=1
	s_load_dword s18, s[14:15], 0x0
	s_waitcnt lgkmcnt(0)
	s_add_i32 s17, s3, s17
	s_add_i32 s16, s18, s16
	s_branch .LBB143_39
.LBB143_42:
	s_endpgm
	.section	.rodata,"a",@progbits
	.p2align	6, 0x0
	.amdhsa_kernel _ZN2at6native6mbtopk10gatherTopKIimLi1EEEvNS_4cuda6detail10TensorInfoIKT_T0_EES8_S8_bjS8_NS5_IS6_S8_EES8_NS5_IlS8_EES8_jjPS6_PjSD_j
		.amdhsa_group_segment_fixed_size 1068
		.amdhsa_private_segment_fixed_size 0
		.amdhsa_kernarg_size 1592
		.amdhsa_user_sgpr_count 6
		.amdhsa_user_sgpr_private_segment_buffer 1
		.amdhsa_user_sgpr_dispatch_ptr 0
		.amdhsa_user_sgpr_queue_ptr 0
		.amdhsa_user_sgpr_kernarg_segment_ptr 1
		.amdhsa_user_sgpr_dispatch_id 0
		.amdhsa_user_sgpr_flat_scratch_init 0
		.amdhsa_user_sgpr_private_segment_size 0
		.amdhsa_wavefront_size32 1
		.amdhsa_uses_dynamic_stack 0
		.amdhsa_system_sgpr_private_segment_wavefront_offset 0
		.amdhsa_system_sgpr_workgroup_id_x 1
		.amdhsa_system_sgpr_workgroup_id_y 1
		.amdhsa_system_sgpr_workgroup_id_z 1
		.amdhsa_system_sgpr_workgroup_info 0
		.amdhsa_system_vgpr_workitem_id 0
		.amdhsa_next_free_vgpr 24
		.amdhsa_next_free_sgpr 42
		.amdhsa_reserve_vcc 1
		.amdhsa_reserve_flat_scratch 0
		.amdhsa_float_round_mode_32 0
		.amdhsa_float_round_mode_16_64 0
		.amdhsa_float_denorm_mode_32 3
		.amdhsa_float_denorm_mode_16_64 3
		.amdhsa_dx10_clamp 1
		.amdhsa_ieee_mode 1
		.amdhsa_fp16_overflow 0
		.amdhsa_workgroup_processor_mode 1
		.amdhsa_memory_ordered 1
		.amdhsa_forward_progress 1
		.amdhsa_shared_vgpr_count 0
		.amdhsa_exception_fp_ieee_invalid_op 0
		.amdhsa_exception_fp_denorm_src 0
		.amdhsa_exception_fp_ieee_div_zero 0
		.amdhsa_exception_fp_ieee_overflow 0
		.amdhsa_exception_fp_ieee_underflow 0
		.amdhsa_exception_fp_ieee_inexact 0
		.amdhsa_exception_int_div_zero 0
	.end_amdhsa_kernel
	.section	.text._ZN2at6native6mbtopk10gatherTopKIimLi1EEEvNS_4cuda6detail10TensorInfoIKT_T0_EES8_S8_bjS8_NS5_IS6_S8_EES8_NS5_IlS8_EES8_jjPS6_PjSD_j,"axG",@progbits,_ZN2at6native6mbtopk10gatherTopKIimLi1EEEvNS_4cuda6detail10TensorInfoIKT_T0_EES8_S8_bjS8_NS5_IS6_S8_EES8_NS5_IlS8_EES8_jjPS6_PjSD_j,comdat
.Lfunc_end143:
	.size	_ZN2at6native6mbtopk10gatherTopKIimLi1EEEvNS_4cuda6detail10TensorInfoIKT_T0_EES8_S8_bjS8_NS5_IS6_S8_EES8_NS5_IlS8_EES8_jjPS6_PjSD_j, .Lfunc_end143-_ZN2at6native6mbtopk10gatherTopKIimLi1EEEvNS_4cuda6detail10TensorInfoIKT_T0_EES8_S8_bjS8_NS5_IS6_S8_EES8_NS5_IlS8_EES8_jjPS6_PjSD_j
                                        ; -- End function
	.set _ZN2at6native6mbtopk10gatherTopKIimLi1EEEvNS_4cuda6detail10TensorInfoIKT_T0_EES8_S8_bjS8_NS5_IS6_S8_EES8_NS5_IlS8_EES8_jjPS6_PjSD_j.num_vgpr, 24
	.set _ZN2at6native6mbtopk10gatherTopKIimLi1EEEvNS_4cuda6detail10TensorInfoIKT_T0_EES8_S8_bjS8_NS5_IS6_S8_EES8_NS5_IlS8_EES8_jjPS6_PjSD_j.num_agpr, 0
	.set _ZN2at6native6mbtopk10gatherTopKIimLi1EEEvNS_4cuda6detail10TensorInfoIKT_T0_EES8_S8_bjS8_NS5_IS6_S8_EES8_NS5_IlS8_EES8_jjPS6_PjSD_j.numbered_sgpr, 42
	.set _ZN2at6native6mbtopk10gatherTopKIimLi1EEEvNS_4cuda6detail10TensorInfoIKT_T0_EES8_S8_bjS8_NS5_IS6_S8_EES8_NS5_IlS8_EES8_jjPS6_PjSD_j.num_named_barrier, 0
	.set _ZN2at6native6mbtopk10gatherTopKIimLi1EEEvNS_4cuda6detail10TensorInfoIKT_T0_EES8_S8_bjS8_NS5_IS6_S8_EES8_NS5_IlS8_EES8_jjPS6_PjSD_j.private_seg_size, 0
	.set _ZN2at6native6mbtopk10gatherTopKIimLi1EEEvNS_4cuda6detail10TensorInfoIKT_T0_EES8_S8_bjS8_NS5_IS6_S8_EES8_NS5_IlS8_EES8_jjPS6_PjSD_j.uses_vcc, 1
	.set _ZN2at6native6mbtopk10gatherTopKIimLi1EEEvNS_4cuda6detail10TensorInfoIKT_T0_EES8_S8_bjS8_NS5_IS6_S8_EES8_NS5_IlS8_EES8_jjPS6_PjSD_j.uses_flat_scratch, 0
	.set _ZN2at6native6mbtopk10gatherTopKIimLi1EEEvNS_4cuda6detail10TensorInfoIKT_T0_EES8_S8_bjS8_NS5_IS6_S8_EES8_NS5_IlS8_EES8_jjPS6_PjSD_j.has_dyn_sized_stack, 0
	.set _ZN2at6native6mbtopk10gatherTopKIimLi1EEEvNS_4cuda6detail10TensorInfoIKT_T0_EES8_S8_bjS8_NS5_IS6_S8_EES8_NS5_IlS8_EES8_jjPS6_PjSD_j.has_recursion, 0
	.set _ZN2at6native6mbtopk10gatherTopKIimLi1EEEvNS_4cuda6detail10TensorInfoIKT_T0_EES8_S8_bjS8_NS5_IS6_S8_EES8_NS5_IlS8_EES8_jjPS6_PjSD_j.has_indirect_call, 0
	.section	.AMDGPU.csdata,"",@progbits
; Kernel info:
; codeLenInByte = 2448
; TotalNumSgprs: 44
; NumVgprs: 24
; ScratchSize: 0
; MemoryBound: 0
; FloatMode: 240
; IeeeMode: 1
; LDSByteSize: 1068 bytes/workgroup (compile time only)
; SGPRBlocks: 0
; VGPRBlocks: 2
; NumSGPRsForWavesPerEU: 44
; NumVGPRsForWavesPerEU: 24
; Occupancy: 16
; WaveLimiterHint : 1
; COMPUTE_PGM_RSRC2:SCRATCH_EN: 0
; COMPUTE_PGM_RSRC2:USER_SGPR: 6
; COMPUTE_PGM_RSRC2:TRAP_HANDLER: 0
; COMPUTE_PGM_RSRC2:TGID_X_EN: 1
; COMPUTE_PGM_RSRC2:TGID_Y_EN: 1
; COMPUTE_PGM_RSRC2:TGID_Z_EN: 1
; COMPUTE_PGM_RSRC2:TIDIG_COMP_CNT: 0
	.section	.text._ZN2at6native6sbtopk10gatherTopKIimLi1ELb0EEEvNS_4cuda6detail10TensorInfoIKT_T0_EES8_S8_bS8_S8_NS5_IS6_S8_EES8_NS5_IlS8_EES8_PS6_,"axG",@progbits,_ZN2at6native6sbtopk10gatherTopKIimLi1ELb0EEEvNS_4cuda6detail10TensorInfoIKT_T0_EES8_S8_bS8_S8_NS5_IS6_S8_EES8_NS5_IlS8_EES8_PS6_,comdat
	.protected	_ZN2at6native6sbtopk10gatherTopKIimLi1ELb0EEEvNS_4cuda6detail10TensorInfoIKT_T0_EES8_S8_bS8_S8_NS5_IS6_S8_EES8_NS5_IlS8_EES8_PS6_ ; -- Begin function _ZN2at6native6sbtopk10gatherTopKIimLi1ELb0EEEvNS_4cuda6detail10TensorInfoIKT_T0_EES8_S8_bS8_S8_NS5_IS6_S8_EES8_NS5_IlS8_EES8_PS6_
	.globl	_ZN2at6native6sbtopk10gatherTopKIimLi1ELb0EEEvNS_4cuda6detail10TensorInfoIKT_T0_EES8_S8_bS8_S8_NS5_IS6_S8_EES8_NS5_IlS8_EES8_PS6_
	.p2align	8
	.type	_ZN2at6native6sbtopk10gatherTopKIimLi1ELb0EEEvNS_4cuda6detail10TensorInfoIKT_T0_EES8_S8_bS8_S8_NS5_IS6_S8_EES8_NS5_IlS8_EES8_PS6_,@function
_ZN2at6native6sbtopk10gatherTopKIimLi1ELb0EEEvNS_4cuda6detail10TensorInfoIKT_T0_EES8_S8_bS8_S8_NS5_IS6_S8_EES8_NS5_IlS8_EES8_PS6_: ; @_ZN2at6native6sbtopk10gatherTopKIimLi1ELb0EEEvNS_4cuda6detail10TensorInfoIKT_T0_EES8_S8_bS8_S8_NS5_IS6_S8_EES8_NS5_IlS8_EES8_PS6_
; %bb.0:
	s_clause 0x1
	s_load_dwordx2 s[12:13], s[4:5], 0x520
	s_load_dwordx4 s[36:39], s[4:5], 0x1b8
	s_add_u32 s10, s4, 0x520
	s_addc_u32 s11, s5, 0
	s_mov_b32 s43, 0
	s_waitcnt lgkmcnt(0)
	s_mul_i32 s0, s13, s8
	s_add_i32 s0, s0, s7
	s_mul_i32 s0, s0, s12
	s_add_i32 s42, s0, s6
	v_cmp_le_u64_e64 s0, s[36:37], s[42:43]
	s_and_b32 vcc_lo, exec_lo, s0
	s_cbranch_vccnz .LBB144_467
; %bb.1:
	s_load_dwordx2 s[0:1], s[4:5], 0x440
                                        ; implicit-def: $vgpr47 : SGPR spill to VGPR lane
	v_cmp_eq_u32_e64 s3, 0, v0
	s_waitcnt lgkmcnt(0)
	v_writelane_b32 v47, s0, 0
	v_writelane_b32 v47, s1, 1
	s_load_dwordx2 s[0:1], s[4:5], 0x370
	s_waitcnt lgkmcnt(0)
	v_writelane_b32 v47, s0, 2
	v_writelane_b32 v47, s1, 3
	s_clause 0x2
	s_load_dwordx2 s[50:51], s[4:5], 0x298
	s_load_dwordx4 s[28:31], s[4:5], 0x1a0
	s_load_dwordx2 s[0:1], s[4:5], 0x1c8
	s_waitcnt lgkmcnt(0)
	v_writelane_b32 v47, s0, 4
	v_writelane_b32 v47, s1, 5
	s_clause 0x1
	s_load_dwordx2 s[0:1], s[4:5], 0xd0
	s_load_dwordx2 s[36:37], s[4:5], 0x0
	s_and_saveexec_b32 s2, s3
	s_cbranch_execz .LBB144_3
; %bb.2:
	v_mov_b32_e32 v1, 0
	v_mov_b32_e32 v3, s28
	v_mov_b32_e32 v4, s29
	v_mov_b32_e32 v2, v1
	ds_write_b32 v1, v1 offset:5144
	ds_write_b128 v1, v[1:4] offset:5120
.LBB144_3:
	s_or_b32 exec_lo, exec_lo, s2
	v_mad_u64_u32 v[2:3], null, s38, v0, 0
	s_load_dword s2, s[4:5], 0x1b0
	s_waitcnt lgkmcnt(0)
	s_mul_i32 s1, s1, s42
	s_mul_hi_u32 s7, s0, s42
	s_barrier
	buffer_gl0_inv
	v_mov_b32_e32 v1, v3
	s_add_i32 s1, s7, s1
	s_load_dword s7, s[10:11], 0xc
	v_mbcnt_lo_u32_b32 v31, -1, 0
	v_lshlrev_b32_e32 v33, 4, v0
	v_mad_u64_u32 v[3:4], null, s39, v0, v[1:2]
	s_mul_i32 s0, s0, s42
	v_cmp_gt_u32_e32 vcc_lo, 32, v0
	s_lshl_b64 s[40:41], s[0:1], 2
	v_cmp_gt_i32_e64 s1, 4, v31
	v_or_b32_e32 v7, 12, v33
	v_or_b32_e32 v9, 8, v33
	v_lshlrev_b64 v[4:5], 2, v[2:3]
	s_add_u32 s52, s36, s40
	s_addc_u32 s53, s37, s41
	s_bitcmp1_b32 s2, 0
	v_mad_u64_u32 v[16:17], null, s38, v7, 0
	s_cselect_b32 s2, -1, 0
	s_and_b32 s76, vcc_lo, s1
	v_add_co_u32 v10, vcc_lo, s52, v4
	v_mad_u64_u32 v[18:19], null, s38, v9, 0
	v_add_co_ci_u32_e64 v11, null, s53, v5, vcc_lo
	v_lshlrev_b64 v[4:5], v31, -1
	v_or_b32_e32 v12, 4, v33
	s_waitcnt lgkmcnt(0)
	s_and_b32 s33, s7, 0xffff
	s_xor_b32 s43, s2, -1
	s_bfe_u32 s9, s33, 0x80008
	v_mov_b32_e32 v5, v19
	v_mad_u64_u32 v[20:21], null, s38, v12, 0
	v_not_b32_e32 v30, v4
	v_mov_b32_e32 v4, v17
	s_lshl_b32 s78, s9, 3
	s_bfe_u32 s7, s7, 0xb0005
	s_cmp_gt_u32 s33, 31
	v_mov_b32_e32 v13, 0
	s_cselect_b32 s79, -1, 0
	s_add_u32 s80, s33, -1
	v_mad_u64_u32 v[7:8], null, s39, v7, v[4:5]
	s_addc_u32 s81, 0, -1
	s_add_u32 s82, s80, s28
	v_mov_b32_e32 v6, v21
	s_addc_u32 s55, s81, s29
	s_cmp_lt_u32 s6, s12
	v_mov_b32_e32 v1, v13
	s_cselect_b32 s6, 12, 18
	v_mad_u64_u32 v[4:5], null, s39, v9, v[5:6]
	s_add_u32 s56, s10, s6
	v_mad_u64_u32 v[5:6], null, s39, v12, v[6:7]
	s_addc_u32 s57, s11, 0
	s_add_i32 s7, s7, -1
	v_lshlrev_b32_e32 v14, 2, v0
	s_and_b32 s7, s7, 0xffff
	s_bfe_u32 s83, s33, 0x30005
	s_movk_i32 s6, 0x3e0
	s_cmp_gt_u32 s7, 6
	v_cmp_lt_u64_e64 s77, 0x300, s[28:29]
	v_cmp_gt_u64_e64 s1, s[28:29], v[0:1]
	s_cselect_b32 s84, -1, 0
	s_cmp_lg_u32 s83, 0
	v_and_or_b32 v19, v0, s6, 0xc00
	v_lshlrev_b64 v[21:22], 4, v[2:3]
	s_mul_i32 s6, s39, s33
	s_mul_hi_u32 s7, s38, s33
	v_mov_b32_e32 v26, s30
	v_cmp_eq_u32_e64 s0, 0, v31
	v_mov_b32_e32 v15, v13
	v_cmp_gt_u32_e64 s8, 2, v0
	v_add_nc_u32_e32 v32, 0xc00, v14
	v_mov_b32_e32 v34, v7
	v_mov_b32_e32 v35, v4
	;; [unrolled: 1-line block ×3, first 2 shown]
	v_lshl_or_b32 v37, v31, 3, 0xc00
	v_mov_b32_e32 v27, s31
	v_mov_b32_e32 v23, 1
	;; [unrolled: 1-line block ×5, first 2 shown]
	s_cselect_b32 s85, -1, 0
	s_add_i32 s7, s7, s6
	s_mul_i32 s6, s38, s33
	s_mov_b32 s27, 0
	s_lshl_b64 s[58:59], s[38:39], 2
	s_lshl_b64 s[60:61], s[38:39], 4
	s_lshl_b32 s86, s33, 2
	s_lshl_b64 s[34:35], s[6:7], 2
	s_mov_b32 s93, 30
	s_mov_b32 s87, 0
	;; [unrolled: 1-line block ×3, first 2 shown]
                                        ; implicit-def: $sgpr88
                                        ; implicit-def: $sgpr92
                                        ; implicit-def: $sgpr91
                                        ; implicit-def: $sgpr94
                                        ; implicit-def: $sgpr90
                                        ; implicit-def: $sgpr98
                                        ; implicit-def: $sgpr99
                                        ; implicit-def: $sgpr95
                                        ; implicit-def: $sgpr97
                                        ; implicit-def: $sgpr96
	s_branch .LBB144_6
.LBB144_4:                              ;   in Loop: Header=BB144_6 Depth=1
	s_or_b32 exec_lo, exec_lo, s10
	v_mov_b32_e32 v27, v3
	v_mov_b32_e32 v26, v2
	s_andn2_b32 s10, s96, exec_lo
	s_and_b32 s9, s9, exec_lo
	s_andn2_b32 s97, s97, exec_lo
	s_or_b32 s96, s10, s9
	s_andn2_b32 s95, s95, exec_lo
	s_andn2_b32 s99, s99, exec_lo
	;; [unrolled: 1-line block ×3, first 2 shown]
	s_orn2_b32 s7, s7, exec_lo
.LBB144_5:                              ;   in Loop: Header=BB144_6 Depth=1
	s_or_b32 exec_lo, exec_lo, s6
	s_and_b32 s6, exec_lo, s7
	s_or_b32 s87, s6, s87
	s_andn2_b32 s6, s90, exec_lo
	s_and_b32 s7, s96, exec_lo
	s_andn2_b32 s9, s94, exec_lo
	s_or_b32 s90, s6, s7
	s_and_b32 s6, s97, exec_lo
	s_andn2_b32 s7, s91, exec_lo
	s_and_b32 s10, s95, exec_lo
	s_or_b32 s94, s9, s6
	s_or_b32 s91, s7, s10
	s_andn2_b32 s6, s92, exec_lo
	s_and_b32 s7, s99, exec_lo
	s_andn2_b32 s9, s88, exec_lo
	s_and_b32 s10, s98, exec_lo
	s_or_b32 s92, s6, s7
	s_or_b32 s88, s9, s10
	s_andn2_b32 exec_lo, exec_lo, s87
	s_cbranch_execz .LBB144_463
.LBB144_6:                              ; =>This Loop Header: Depth=1
                                        ;     Child Loop BB144_12 Depth 2
                                        ;     Child Loop BB144_25 Depth 2
	;; [unrolled: 1-line block ×24, first 2 shown]
	ds_read_b128 v[2:5], v13 offset:5120
	s_waitcnt lgkmcnt(0)
	v_readfirstlane_b32 s63, v3
	v_readfirstlane_b32 s62, v2
	s_cmp_lg_u64 s[62:63], 0
	s_cbranch_scc1 .LBB144_33
; %bb.7:                                ;   in Loop: Header=BB144_6 Depth=1
	s_and_b32 vcc_lo, exec_lo, s77
	s_cbranch_vccz .LBB144_20
; %bb.8:                                ;   in Loop: Header=BB144_6 Depth=1
	v_cmp_gt_u64_e32 vcc_lo, 0x301, v[4:5]
	s_mov_b32 s9, 0
	s_mov_b32 s6, 0
	s_cbranch_vccz .LBB144_21
; %bb.9:                                ;   in Loop: Header=BB144_6 Depth=1
	s_and_saveexec_b32 s10, s1
	s_cbranch_execz .LBB144_87
; %bb.10:                               ;   in Loop: Header=BB144_6 Depth=1
	global_load_ushort v5, v13, s[56:57]
	global_load_dword v7, v[10:11], off
	s_mov_b32 s13, 0
	s_waitcnt vmcnt(1)
	v_readfirstlane_b32 s6, v5
	v_and_b32_e32 v6, 0xffff, v5
	s_and_b32 s6, 0xffff, s6
	v_add_nc_u32_e32 v4, s6, v0
	s_mul_i32 s7, s59, s6
	s_mul_hi_u32 s11, s58, s6
	s_mul_i32 s12, s58, s6
	s_add_i32 s11, s11, s7
	v_mad_u64_u32 v[2:3], null, s58, v4, s[52:53]
	v_mad_u64_u32 v[3:4], null, s59, v4, v[3:4]
	v_mov_b32_e32 v5, v1
	v_mov_b32_e32 v4, v0
	s_branch .LBB144_12
.LBB144_11:                             ;   in Loop: Header=BB144_12 Depth=2
	s_or_b32 exec_lo, exec_lo, s7
	v_add_co_u32 v2, vcc_lo, v2, s12
	v_add_co_ci_u32_e64 v3, null, s11, v3, vcc_lo
	v_mov_b32_e32 v7, v8
	s_andn2_b32 exec_lo, exec_lo, s13
	s_cbranch_execz .LBB144_87
.LBB144_12:                             ;   Parent Loop BB144_6 Depth=1
                                        ; =>  This Inner Loop Header: Depth=2
	v_add_co_u32 v4, vcc_lo, v4, v6
	v_add_co_ci_u32_e64 v5, null, 0, v5, vcc_lo
	s_waitcnt lgkmcnt(0)
	v_mov_b32_e32 v9, 0
	v_mov_b32_e32 v8, 0
	s_mov_b32 s7, exec_lo
	v_cmp_le_u64_e32 vcc_lo, s[28:29], v[4:5]
	v_cmpx_gt_u64_e64 s[28:29], v[4:5]
	s_cbranch_execz .LBB144_14
; %bb.13:                               ;   in Loop: Header=BB144_12 Depth=2
	global_load_dword v8, v[2:3], off
.LBB144_14:                             ;   in Loop: Header=BB144_12 Depth=2
	s_or_b32 exec_lo, exec_lo, s7
	s_waitcnt vmcnt(0)
	v_xor_b32_e32 v12, 0x80000000, v7
	v_and_b32_e32 v12, v12, v38
	v_cmp_eq_u32_e64 s6, v12, v17
	s_cmp_lg_u32 s6, 0
	s_cselect_b32 s7, -1, 0
	s_and_b32 s7, s0, s7
	s_and_saveexec_b32 s14, s7
	s_cbranch_execz .LBB144_18
; %bb.15:                               ;   in Loop: Header=BB144_12 Depth=2
	s_mov_b32 s17, exec_lo
	s_bcnt1_i32_b32 s15, s6
	v_mbcnt_lo_u32_b32 v9, s17, 0
	s_mov_b32 s16, exec_lo
                                        ; implicit-def: $vgpr12
	v_cmpx_eq_u32_e32 0, v9
; %bb.16:                               ;   in Loop: Header=BB144_12 Depth=2
	s_bcnt1_i32_b32 s7, s17
	s_mul_i32 s7, s15, s7
	v_mov_b32_e32 v12, s7
	ds_add_rtn_u32 v12, v13, v12 offset:5144
; %bb.17:                               ;   in Loop: Header=BB144_12 Depth=2
	s_or_b32 exec_lo, exec_lo, s16
	s_waitcnt lgkmcnt(0)
	v_readfirstlane_b32 s7, v12
	v_mad_u32_u24 v9, s15, v9, s7
.LBB144_18:                             ;   in Loop: Header=BB144_12 Depth=2
	s_or_b32 exec_lo, exec_lo, s14
	ds_bpermute_b32 v9, v13, v9
	s_and_b32 s7, exec_lo, vcc_lo
	s_or_b32 s13, s7, s13
	s_and_saveexec_b32 s7, s6
	s_cbranch_execz .LBB144_11
; %bb.19:                               ;   in Loop: Header=BB144_12 Depth=2
	v_and_b32_e32 v12, s6, v30
	v_bcnt_u32_b32 v12, v12, 0
	v_lshlrev_b32_e32 v12, 2, v12
	s_waitcnt lgkmcnt(0)
	v_lshl_add_u32 v9, v9, 2, v12
	ds_write_b32 v9, v7
	s_branch .LBB144_11
.LBB144_20:                             ;   in Loop: Header=BB144_6 Depth=1
	s_mov_b32 s9, -1
	s_mov_b32 s6, 0
.LBB144_21:                             ;   in Loop: Header=BB144_6 Depth=1
	s_and_b32 vcc_lo, exec_lo, s9
	s_cbranch_vccz .LBB144_31
.LBB144_22:                             ;   in Loop: Header=BB144_6 Depth=1
	s_and_saveexec_b32 s7, s1
	s_cbranch_execz .LBB144_28
; %bb.23:                               ;   in Loop: Header=BB144_6 Depth=1
	global_load_ushort v2, v13, s[56:57]
	global_load_dword v8, v[10:11], off
	s_mov_b32 s9, exec_lo
	s_waitcnt vmcnt(1)
	v_add_nc_u32_sdwa v12, v2, v0 dst_sel:DWORD dst_unused:UNUSED_PAD src0_sel:WORD_0 src1_sel:DWORD
	v_readfirstlane_b32 s6, v2
	v_mov_b32_e32 v2, v0
	v_cmpx_gt_u64_e64 s[28:29], v[12:13]
	s_cbranch_execz .LBB144_27
; %bb.24:                               ;   in Loop: Header=BB144_6 Depth=1
	v_mad_u64_u32 v[2:3], null, s58, v12, s[52:53]
	s_and_b32 s10, s6, 0xffff
	v_mov_b32_e32 v7, v1
	v_mov_b32_e32 v6, v0
	s_mul_i32 s6, s59, s10
	s_mul_hi_u32 s11, s58, s10
	s_mul_i32 s13, s58, s10
	v_mad_u64_u32 v[3:4], null, s59, v12, v[3:4]
	v_mov_b32_e32 v4, v12
	v_mov_b32_e32 v5, v13
	s_add_i32 s11, s11, s6
	s_mov_b32 s12, 0
	.p2align	6
.LBB144_25:                             ;   Parent Loop BB144_6 Depth=1
                                        ; =>  This Inner Loop Header: Depth=2
	global_load_dword v9, v[2:3], off
	v_mov_b32_e32 v29, v5
	v_mov_b32_e32 v28, v4
	v_lshlrev_b32_e32 v6, 2, v6
	v_add_co_u32 v4, vcc_lo, v28, s10
	v_add_co_ci_u32_e64 v5, null, 0, v29, vcc_lo
	v_add_co_u32 v2, vcc_lo, v2, s13
	v_add_co_ci_u32_e64 v3, null, s11, v3, vcc_lo
	v_cmp_le_u64_e64 s6, s[28:29], v[4:5]
	s_waitcnt vmcnt(1)
	ds_write_b32 v6, v8
	v_mov_b32_e32 v6, v28
	v_mov_b32_e32 v7, v29
	s_or_b32 s12, s6, s12
	s_waitcnt vmcnt(0)
	v_mov_b32_e32 v8, v9
	s_andn2_b32 exec_lo, exec_lo, s12
	s_cbranch_execnz .LBB144_25
; %bb.26:                               ;   in Loop: Header=BB144_6 Depth=1
	s_or_b32 exec_lo, exec_lo, s12
	v_subrev_nc_u32_e32 v2, s10, v4
	v_mov_b32_e32 v8, v9
.LBB144_27:                             ;   in Loop: Header=BB144_6 Depth=1
	s_or_b32 exec_lo, exec_lo, s9
	v_lshlrev_b32_e32 v2, 2, v2
	s_waitcnt vmcnt(0)
	ds_write_b32 v2, v8
.LBB144_28:                             ;   in Loop: Header=BB144_6 Depth=1
	s_or_b32 exec_lo, exec_lo, s7
	s_waitcnt lgkmcnt(0)
	s_barrier
	buffer_gl0_inv
	s_and_saveexec_b32 s6, s3
; %bb.29:                               ;   in Loop: Header=BB144_6 Depth=1
	v_mov_b32_e32 v2, s28
	v_mov_b32_e32 v3, s29
	ds_write_b64 v13, v[2:3] offset:5120
; %bb.30:                               ;   in Loop: Header=BB144_6 Depth=1
	s_or_b32 exec_lo, exec_lo, s6
	s_mov_b32 s6, -1
	s_waitcnt lgkmcnt(0)
	s_barrier
.LBB144_31:                             ;   in Loop: Header=BB144_6 Depth=1
	s_and_b32 vcc_lo, exec_lo, s6
	s_mov_b64 s[62:63], 0
	s_cbranch_vccz .LBB144_33
; %bb.32:                               ;   in Loop: Header=BB144_6 Depth=1
	buffer_gl0_inv
	ds_read_b64 v[2:3], v13 offset:5120
	s_waitcnt lgkmcnt(0)
	v_readfirstlane_b32 s62, v2
.LBB144_33:                             ;   in Loop: Header=BB144_6 Depth=1
	s_cmp_lt_i32 s62, 1
	s_mov_b32 s6, -1
                                        ; implicit-def: $vgpr2_vgpr3
                                        ; implicit-def: $vgpr6_vgpr7
	s_cbranch_scc1 .LBB144_43
; %bb.34:                               ;   in Loop: Header=BB144_6 Depth=1
	s_and_b32 vcc_lo, exec_lo, s6
	s_cbranch_vccnz .LBB144_57
.LBB144_35:                             ;   in Loop: Header=BB144_6 Depth=1
	s_lshl_b32 s6, s89, 7
	s_and_saveexec_b32 s7, s0
	s_cbranch_execz .LBB144_37
.LBB144_36:                             ;   in Loop: Header=BB144_6 Depth=1
	v_lshl_add_u32 v12, s6, 3, v19
	ds_write_b128 v12, v[2:5]
	ds_write_b128 v12, v[6:9] offset:16
.LBB144_37:                             ;   in Loop: Header=BB144_6 Depth=1
	s_or_b32 exec_lo, exec_lo, s7
	s_waitcnt lgkmcnt(0)
	s_barrier
	buffer_gl0_inv
	s_and_saveexec_b32 s7, s76
	s_cbranch_execz .LBB144_71
; %bb.38:                               ;   in Loop: Header=BB144_6 Depth=1
	v_mov_b32_e32 v2, 0
	v_mov_b32_e32 v3, 0
	s_andn2_b32 vcc_lo, exec_lo, s79
	s_cbranch_vccnz .LBB144_70
; %bb.39:                               ;   in Loop: Header=BB144_6 Depth=1
	v_mov_b32_e32 v2, 0
	v_mov_b32_e32 v3, 0
	s_andn2_b32 vcc_lo, exec_lo, s84
	s_cbranch_vccnz .LBB144_67
; %bb.40:                               ;   in Loop: Header=BB144_6 Depth=1
	v_lshl_add_u32 v4, s89, 10, v37
	s_mov_b32 s9, 0
	s_inst_prefetch 0x1
	.p2align	6
.LBB144_41:                             ;   Parent Loop BB144_6 Depth=1
                                        ; =>  This Inner Loop Header: Depth=2
	ds_read2_b64 v[5:8], v4 offset1:4
	ds_read2_b64 v[39:42], v4 offset0:8 offset1:12
	ds_read2_b64 v[43:46], v4 offset0:16 offset1:20
	s_add_i32 s9, s9, 8
	s_cmp_eq_u32 s78, s9
	s_waitcnt lgkmcnt(2)
	v_add_co_u32 v2, vcc_lo, v5, v2
	v_add_co_ci_u32_e64 v3, null, v6, v3, vcc_lo
	v_add_co_u32 v2, vcc_lo, v7, v2
	v_add_co_ci_u32_e64 v3, null, v8, v3, vcc_lo
	ds_read2_b64 v[5:8], v4 offset0:24 offset1:28
	s_waitcnt lgkmcnt(2)
	v_add_co_u32 v2, vcc_lo, v39, v2
	v_add_co_ci_u32_e64 v3, null, v40, v3, vcc_lo
	v_add_nc_u32_e32 v4, 0x100, v4
	v_add_co_u32 v2, vcc_lo, v41, v2
	v_add_co_ci_u32_e64 v3, null, v42, v3, vcc_lo
	s_waitcnt lgkmcnt(1)
	v_add_co_u32 v2, vcc_lo, v43, v2
	v_add_co_ci_u32_e64 v3, null, v44, v3, vcc_lo
	v_add_co_u32 v2, vcc_lo, v45, v2
	v_add_co_ci_u32_e64 v3, null, v46, v3, vcc_lo
	s_waitcnt lgkmcnt(0)
	v_add_co_u32 v2, vcc_lo, v5, v2
	v_add_co_ci_u32_e64 v3, null, v6, v3, vcc_lo
	v_add_co_u32 v2, vcc_lo, v7, v2
	v_add_co_ci_u32_e64 v3, null, v8, v3, vcc_lo
	s_cbranch_scc0 .LBB144_41
; %bb.42:                               ;   in Loop: Header=BB144_6 Depth=1
	s_inst_prefetch 0x2
	s_mov_b32 s9, s78
	s_andn2_b32 vcc_lo, exec_lo, s85
	s_cbranch_vccz .LBB144_68
	s_branch .LBB144_70
.LBB144_43:                             ;   in Loop: Header=BB144_6 Depth=1
	global_load_ushort v2, v13, s[56:57]
	s_mov_b32 s7, s29
	s_waitcnt vmcnt(0)
	v_readfirstlane_b32 s6, v2
	s_and_b32 s54, s6, 0xffff
	s_mov_b32 s6, s27
	s_lshl_b32 s63, s54, 2
	s_cmp_lg_u64 s[6:7], 0
	s_cbranch_scc0 .LBB144_66
; %bb.44:                               ;   in Loop: Header=BB144_6 Depth=1
	v_cvt_f32_u32_e32 v2, s63
	s_sub_u32 s9, 0, s63
	s_subb_u32 s10, 0, 0
	v_fmac_f32_e64 v2, 0x4f800000, 0
	v_rcp_f32_e32 v2, v2
	v_mul_f32_e32 v2, 0x5f7ffffc, v2
	v_mul_f32_e32 v3, 0x2f800000, v2
	v_trunc_f32_e32 v3, v3
	v_fmac_f32_e32 v2, 0xcf800000, v3
	v_cvt_u32_f32_e32 v3, v3
	v_cvt_u32_f32_e32 v2, v2
	v_readfirstlane_b32 s6, v3
	v_readfirstlane_b32 s7, v2
	s_mul_i32 s11, s9, s6
	s_mul_hi_u32 s13, s9, s7
	s_mul_i32 s12, s10, s7
	s_add_i32 s11, s13, s11
	s_mul_i32 s14, s9, s7
	s_add_i32 s11, s11, s12
	s_mul_hi_u32 s13, s7, s14
	s_mul_i32 s16, s7, s11
	s_mul_hi_u32 s15, s6, s14
	s_mul_i32 s12, s6, s14
	s_mul_hi_u32 s14, s7, s11
	s_add_u32 s13, s13, s16
	s_addc_u32 s14, 0, s14
	s_mul_hi_u32 s17, s6, s11
	s_add_u32 s12, s13, s12
	s_mul_i32 s11, s6, s11
	s_addc_u32 s12, s14, s15
	s_addc_u32 s13, s17, 0
	s_add_u32 s11, s12, s11
	s_addc_u32 s12, 0, s13
	s_add_u32 s7, s7, s11
	s_cselect_b32 s11, -1, 0
	s_mul_hi_u32 s13, s9, s7
	s_cmp_lg_u32 s11, 0
	s_mul_i32 s11, s9, s7
	s_addc_u32 s6, s6, s12
	s_mul_i32 s10, s10, s7
	s_mul_i32 s9, s9, s6
	s_mul_hi_u32 s12, s7, s11
	s_add_i32 s9, s13, s9
	s_mul_hi_u32 s13, s6, s11
	s_add_i32 s9, s9, s10
	s_mul_i32 s10, s6, s11
	s_mul_i32 s15, s7, s9
	s_mul_hi_u32 s14, s7, s9
	s_add_u32 s12, s12, s15
	s_addc_u32 s14, 0, s14
	s_mul_hi_u32 s11, s6, s9
	s_add_u32 s10, s12, s10
	s_mul_i32 s9, s6, s9
	s_addc_u32 s10, s14, s13
	s_addc_u32 s11, s11, 0
	s_add_u32 s9, s10, s9
	s_addc_u32 s10, 0, s11
	s_add_u32 s7, s7, s9
	s_cselect_b32 s9, -1, 0
	s_mul_hi_u32 s11, s28, s7
	s_cmp_lg_u32 s9, 0
	s_mul_hi_u32 s9, s29, s7
	s_addc_u32 s6, s6, s10
	s_mul_i32 s7, s29, s7
	s_mul_i32 s12, s28, s6
	s_mul_hi_u32 s10, s28, s6
	s_add_u32 s11, s11, s12
	s_addc_u32 s10, 0, s10
	s_mul_hi_u32 s13, s29, s6
	s_add_u32 s7, s11, s7
	s_mul_i32 s6, s29, s6
	s_addc_u32 s7, s10, s9
	s_addc_u32 s9, s13, 0
	s_add_u32 s6, s7, s6
	s_addc_u32 s7, 0, s9
	s_mul_hi_u32 s9, s63, s6
	s_mul_i32 s7, s63, s7
	s_mul_i32 s6, s63, s6
	s_add_i32 s9, s9, s7
	s_sub_u32 s6, s28, s6
	s_cselect_b32 s7, -1, 0
	s_cmp_lg_u32 s7, 0
	s_subb_u32 s7, s29, s9
	s_sub_u32 s9, s6, s63
	s_cselect_b32 s10, -1, 0
	s_cmp_lg_u32 s10, 0
	s_subb_u32 s10, s7, 0
	;; [unrolled: 4-line block ×3, first 2 shown]
	s_cmp_ge_u32 s9, s63
	s_cselect_b32 s13, -1, 0
	s_cmp_eq_u32 s10, 0
	s_cselect_b32 s13, s13, -1
	s_cmp_lg_u32 s13, 0
	s_cselect_b32 s10, s12, s10
	s_cselect_b32 s9, s11, s9
	s_cmp_ge_u32 s6, s63
	s_cselect_b32 s11, -1, 0
	s_cmp_eq_u32 s7, 0
	s_cselect_b32 s11, s11, -1
	s_cmp_lg_u32 s11, 0
	s_cselect_b32 s7, s10, s7
	s_cselect_b32 s6, s9, s6
	s_cbranch_execnz .LBB144_46
.LBB144_45:                             ;   in Loop: Header=BB144_6 Depth=1
	v_cvt_f32_u32_e32 v2, s63
	s_sub_i32 s7, 0, s63
	v_rcp_iflag_f32_e32 v2, v2
	v_mul_f32_e32 v2, 0x4f7ffffe, v2
	v_cvt_u32_f32_e32 v2, v2
	v_readfirstlane_b32 s6, v2
	s_mul_i32 s7, s7, s6
	s_mul_hi_u32 s7, s6, s7
	s_add_i32 s6, s6, s7
	s_mul_hi_u32 s6, s28, s6
	s_mul_i32 s6, s6, s63
	s_sub_i32 s6, s28, s6
	s_sub_i32 s7, s6, s63
	s_cmp_ge_u32 s6, s63
	s_cselect_b32 s6, s7, s6
	s_sub_i32 s7, s6, s63
	s_cmp_ge_u32 s6, s63
	s_cselect_b32 s26, s7, s6
	s_mov_b64 s[6:7], s[26:27]
.LBB144_46:                             ;   in Loop: Header=BB144_6 Depth=1
	v_mov_b32_e32 v2, 0
	v_mov_b32_e32 v4, 0
	;; [unrolled: 1-line block ×8, first 2 shown]
	s_sub_u32 s64, s28, s6
	s_subb_u32 s65, s29, s7
	s_mov_b32 s104, exec_lo
	v_cmpx_gt_u64_e64 s[64:65], v[14:15]
	s_cbranch_execz .LBB144_50
; %bb.47:                               ;   in Loop: Header=BB144_6 Depth=1
	v_mov_b32_e32 v29, v15
	v_mov_b32_e32 v28, v14
	s_mul_i32 s6, s61, s54
	s_mul_hi_u32 s7, s60, s54
	s_mul_i32 s44, s60, s54
	s_add_i32 vcc_hi, s7, s6
	s_mov_b64 s[66:67], 0
	s_mov_b32 s45, 0
	s_mov_b64 s[68:69], s[52:53]
	s_mov_b64 s[70:71], 0
	;; [unrolled: 1-line block ×4, first 2 shown]
.LBB144_48:                             ;   Parent Loop BB144_6 Depth=1
                                        ; =>  This Inner Loop Header: Depth=2
	v_add_co_u32 v2, vcc_lo, s68, v21
	v_add_co_ci_u32_e64 v3, null, s69, v22, vcc_lo
	v_add_co_u32 v4, vcc_lo, s68, v20
	v_add_co_ci_u32_e64 v5, null, s69, v36, vcc_lo
	;; [unrolled: 2-line block ×4, first 2 shown]
	s_clause 0x3
	global_load_dword v2, v[2:3], off
	global_load_dword v3, v[4:5], off
	;; [unrolled: 1-line block ×4, first 2 shown]
	v_add_co_u32 v28, vcc_lo, v28, s63
	v_add_co_ci_u32_e64 v29, null, 0, v29, vcc_lo
	v_cmp_le_u64_e32 vcc_lo, s[64:65], v[28:29]
	s_waitcnt vmcnt(3)
	v_xor_b32_e32 v2, 0x80000000, v2
	s_waitcnt vmcnt(2)
	v_xor_b32_e32 v3, 0x80000000, v3
	s_waitcnt vmcnt(1)
	v_xor_b32_e32 v4, 0x80000000, v4
	s_waitcnt vmcnt(0)
	v_xor_b32_e32 v5, 0x80000000, v5
	v_and_b32_e32 v6, v2, v38
	v_bfe_u32 v2, v2, s93, 2
	v_and_b32_e32 v7, v3, v38
	v_bfe_u32 v3, v3, s93, 2
	;; [unrolled: 2-line block ×3, first 2 shown]
	v_cmp_eq_u32_e64 s6, v6, v17
	v_cmp_eq_u32_e64 s11, 0, v2
	v_and_b32_e32 v9, v5, v38
	v_bfe_u32 v5, v5, s93, 2
	v_cmp_eq_u32_e64 s7, v7, v17
	v_cmp_eq_u32_e64 s12, 0, v3
	;; [unrolled: 1-line block ×4, first 2 shown]
	s_and_b32 s11, s6, s11
	v_cmp_eq_u32_e64 s10, v9, v17
	v_cmp_eq_u32_e64 s14, 0, v5
	;; [unrolled: 1-line block ×5, first 2 shown]
	v_cndmask_b32_e64 v2, 0, 1, s11
	s_and_b32 s11, s7, s12
	v_cmp_eq_u32_e64 s16, 1, v3
	v_cmp_eq_u32_e64 s20, 2, v3
	v_cmp_eq_u32_e64 s24, 3, v3
	v_cndmask_b32_e64 v3, 0, 1, s11
	s_and_b32 s11, s9, s13
	v_cmp_eq_u32_e64 s17, 1, v4
	v_cmp_eq_u32_e64 s21, 2, v4
	v_cmp_eq_u32_e64 s25, 3, v4
	;; [unrolled: 5-line block ×3, first 2 shown]
	v_cndmask_b32_e64 v5, 0, 1, s11
	v_cmp_ne_u32_e64 s11, 0, v2
	v_cmp_ne_u32_e64 s12, 0, v3
	;; [unrolled: 1-line block ×4, first 2 shown]
	s_bcnt1_i32_b32 s11, s11
	s_bcnt1_i32_b32 s12, s12
	;; [unrolled: 1-line block ×3, first 2 shown]
	s_add_i32 s11, s12, s11
	s_bcnt1_i32_b32 s14, s14
	s_add_i32 s11, s11, s13
	s_add_i32 s11, s11, s14
	s_add_u32 s74, s74, s11
	s_addc_u32 s75, s75, 0
	s_and_b32 s11, s6, s15
	v_mov_b32_e32 v2, s74
	v_cndmask_b32_e64 v4, 0, 1, s11
	s_and_b32 s11, s7, s16
	v_mov_b32_e32 v3, s75
	v_cndmask_b32_e64 v5, 0, 1, s11
	s_and_b32 s11, s9, s17
	v_cndmask_b32_e64 v6, 0, 1, s11
	s_and_b32 s11, s10, s18
	v_cmp_ne_u32_e64 s12, 0, v5
	v_cndmask_b32_e64 v7, 0, 1, s11
	v_cmp_ne_u32_e64 s11, 0, v4
	v_cmp_ne_u32_e64 s13, 0, v6
	s_bcnt1_i32_b32 s12, s12
	v_cmp_ne_u32_e64 s14, 0, v7
	s_bcnt1_i32_b32 s11, s11
	s_bcnt1_i32_b32 s13, s13
	s_add_i32 s11, s12, s11
	s_bcnt1_i32_b32 s14, s14
	s_add_i32 s11, s11, s13
	s_add_i32 s11, s11, s14
	s_add_u32 s72, s72, s11
	s_addc_u32 s73, s73, 0
	s_and_b32 s11, s6, s19
	v_cndmask_b32_e64 v4, 0, 1, s11
	s_and_b32 s11, s7, s20
	v_cndmask_b32_e64 v5, 0, 1, s11
	s_and_b32 s11, s9, s21
	v_cndmask_b32_e64 v6, 0, 1, s11
	s_and_b32 s11, s10, s22
	v_cmp_ne_u32_e64 s12, 0, v5
	v_cndmask_b32_e64 v7, 0, 1, s11
	v_cmp_ne_u32_e64 s11, 0, v4
	v_cmp_ne_u32_e64 s13, 0, v6
	s_bcnt1_i32_b32 s12, s12
	v_cmp_ne_u32_e64 s14, 0, v7
	s_bcnt1_i32_b32 s11, s11
	s_bcnt1_i32_b32 s13, s13
	s_add_i32 s11, s12, s11
	s_bcnt1_i32_b32 s14, s14
	s_add_i32 s11, s11, s13
	s_add_i32 s11, s11, s14
	s_add_u32 s70, s70, s11
	s_addc_u32 s71, s71, 0
	s_and_b32 s6, s6, s23
	v_cndmask_b32_e64 v4, 0, 1, s6
	s_and_b32 s6, s7, s24
	v_cndmask_b32_e64 v5, 0, 1, s6
	;; [unrolled: 2-line block ×3, first 2 shown]
	s_and_b32 s6, s10, s26
	v_cmp_ne_u32_e64 s7, 0, v5
	v_cndmask_b32_e64 v7, 0, 1, s6
	v_cmp_ne_u32_e64 s6, 0, v4
	v_cmp_ne_u32_e64 s9, 0, v6
	v_mov_b32_e32 v4, s72
	s_bcnt1_i32_b32 s7, s7
	v_cmp_ne_u32_e64 s10, 0, v7
	s_bcnt1_i32_b32 s6, s6
	s_bcnt1_i32_b32 s9, s9
	s_add_i32 s6, s7, s6
	v_mov_b32_e32 v6, s70
	s_bcnt1_i32_b32 s7, s10
	s_add_i32 s6, s6, s9
	v_mov_b32_e32 v5, s73
	s_add_i32 s6, s6, s7
	v_mov_b32_e32 v7, s71
	s_add_u32 s66, s66, s6
	s_addc_u32 s67, s67, 0
	v_mov_b32_e32 v8, s66
	v_mov_b32_e32 v9, s67
	s_add_u32 s68, s68, s44
	s_addc_u32 s69, s69, vcc_hi
	s_or_b32 s45, vcc_lo, s45
	s_andn2_b32 exec_lo, exec_lo, s45
	s_cbranch_execnz .LBB144_48
; %bb.49:                               ;   in Loop: Header=BB144_6 Depth=1
	s_or_b32 exec_lo, exec_lo, s45
.LBB144_50:                             ;   in Loop: Header=BB144_6 Depth=1
	s_or_b32 exec_lo, exec_lo, s104
	v_add_co_u32 v28, s6, s64, v0
	v_add_co_ci_u32_e64 v29, null, s65, 0, s6
	s_mov_b32 s10, exec_lo
	v_cmpx_gt_u64_e64 s[28:29], v[28:29]
	s_cbranch_execz .LBB144_56
; %bb.51:                               ;   in Loop: Header=BB144_6 Depth=1
	v_mul_lo_u32 v12, v29, s38
	v_mul_lo_u32 v24, v28, s39
	v_mad_u64_u32 v[39:40], null, v28, s38, 0
	s_mov_b32 s11, 0
	v_add3_u32 v40, v40, v24, v12
	v_lshlrev_b64 v[39:40], 2, v[39:40]
	v_add_co_u32 v39, vcc_lo, s52, v39
	v_add_co_ci_u32_e64 v40, null, s53, v40, vcc_lo
	global_load_dword v24, v[39:40], off
	s_branch .LBB144_53
.LBB144_52:                             ;   in Loop: Header=BB144_53 Depth=2
	s_or_b32 exec_lo, exec_lo, s7
	s_waitcnt vmcnt(0)
	v_xor_b32_e32 v24, 0x80000000, v24
	s_and_b32 s9, exec_lo, vcc_lo
	s_or_b32 s11, s9, s11
	v_and_b32_e32 v39, v24, v38
	v_bfe_u32 v24, v24, s93, 2
	v_cmp_eq_u32_e64 s6, v39, v17
	v_cmp_eq_u32_e64 s7, 0, v24
	v_cmp_eq_u32_e32 vcc_lo, 1, v24
	v_cmp_eq_u32_e64 s9, 2, v24
	s_and_b32 s7, s6, s7
	v_cndmask_b32_e64 v39, 0, 1, s7
	s_and_b32 s7, s6, vcc_lo
	v_cmp_eq_u32_e32 vcc_lo, 3, v24
	v_cndmask_b32_e64 v40, 0, 1, s7
	s_and_b32 s7, s6, s9
	v_cndmask_b32_e64 v24, 0, 1, s7
	v_cmp_ne_u32_e64 s7, 0, v39
	v_cmp_ne_u32_e64 s9, 0, v40
	s_and_b32 s6, s6, vcc_lo
	v_cndmask_b32_e64 v39, 0, 1, s6
	s_bcnt1_i32_b32 s6, s7
	v_cmp_ne_u32_e32 vcc_lo, 0, v24
	s_bcnt1_i32_b32 s7, s9
	v_add_co_u32 v2, s6, v2, s6
	v_add_co_ci_u32_e64 v3, null, 0, v3, s6
	v_add_co_u32 v4, s6, v4, s7
	v_add_co_ci_u32_e64 v5, null, 0, v5, s6
	s_bcnt1_i32_b32 s6, vcc_lo
	v_cmp_ne_u32_e32 vcc_lo, 0, v39
	v_add_co_u32 v6, s6, v6, s6
	v_add_co_ci_u32_e64 v7, null, 0, v7, s6
	s_bcnt1_i32_b32 s6, vcc_lo
	v_mov_b32_e32 v24, v12
	v_add_co_u32 v8, vcc_lo, v8, s6
	v_add_co_ci_u32_e64 v9, null, 0, v9, vcc_lo
	s_andn2_b32 exec_lo, exec_lo, s11
	s_cbranch_execz .LBB144_55
.LBB144_53:                             ;   Parent Loop BB144_6 Depth=1
                                        ; =>  This Inner Loop Header: Depth=2
	v_add_co_u32 v28, vcc_lo, v28, s54
	v_add_co_ci_u32_e64 v29, null, 0, v29, vcc_lo
	v_mov_b32_e32 v12, 0
	s_mov_b32 s7, exec_lo
	v_cmp_le_u64_e32 vcc_lo, s[28:29], v[28:29]
	v_cmpx_gt_u64_e64 s[28:29], v[28:29]
	s_cbranch_execz .LBB144_52
; %bb.54:                               ;   in Loop: Header=BB144_53 Depth=2
	v_mul_lo_u32 v12, v29, s38
	v_mul_lo_u32 v41, v28, s39
	v_mad_u64_u32 v[39:40], null, v28, s38, 0
	v_add3_u32 v40, v40, v41, v12
	v_lshlrev_b64 v[39:40], 2, v[39:40]
	v_add_co_u32 v39, s6, s52, v39
	v_add_co_ci_u32_e64 v40, null, s53, v40, s6
	global_load_dword v12, v[39:40], off
	s_branch .LBB144_52
.LBB144_55:                             ;   in Loop: Header=BB144_6 Depth=1
	s_or_b32 exec_lo, exec_lo, s11
.LBB144_56:                             ;   in Loop: Header=BB144_6 Depth=1
	s_or_b32 exec_lo, exec_lo, s10
	s_branch .LBB144_35
.LBB144_57:                             ;   in Loop: Header=BB144_6 Depth=1
	global_load_ushort v12, v13, s[56:57]
	v_mov_b32_e32 v4, 0
	v_mov_b32_e32 v6, 0
	;; [unrolled: 1-line block ×6, first 2 shown]
	s_mov_b32 s44, exec_lo
	s_waitcnt vmcnt(0)
	v_readfirstlane_b32 s6, v12
	s_and_b32 s6, 0xffff, s6
	s_lshl_b32 s54, s6, 2
	v_cvt_f32_u32_e32 v2, s54
	s_sub_i32 s9, 0, s54
	v_rcp_iflag_f32_e32 v2, v2
	v_mul_f32_e32 v2, 0x4f7ffffe, v2
	v_cvt_u32_f32_e32 v2, v2
	v_readfirstlane_b32 s7, v2
	v_mov_b32_e32 v2, 0
	v_mov_b32_e32 v3, 0
	s_mul_i32 s9, s9, s7
	s_mul_hi_u32 s9, s7, s9
	s_add_i32 s7, s7, s9
	s_mul_hi_u32 s7, s62, s7
	s_mul_i32 s9, s7, s54
	s_add_i32 s10, s7, 1
	s_sub_i32 s9, s62, s9
	s_sub_i32 s11, s9, s54
	s_cmp_ge_u32 s9, s54
	s_cselect_b32 s7, s10, s7
	s_cselect_b32 s9, s11, s9
	s_add_i32 s10, s7, 1
	s_cmp_ge_u32 s9, s54
	s_cselect_b32 s7, s10, s7
	s_mul_hi_u32 s65, s6, s7
	s_mul_i32 s64, s6, s7
	s_lshl_b64 s[66:67], s[64:65], 2
	v_cmpx_gt_u64_e64 s[66:67], v[14:15]
	s_cbranch_execz .LBB144_61
; %bb.58:                               ;   in Loop: Header=BB144_6 Depth=1
	v_mov_b32_e32 v29, v15
	v_mov_b32_e32 v24, v33
	;; [unrolled: 1-line block ×3, first 2 shown]
	s_lshl_b32 s45, s6, 4
	s_mov_b64 s[68:69], 0
	s_mov_b32 s63, 0
	s_mov_b64 s[70:71], 0
	s_mov_b64 s[72:73], 0
	;; [unrolled: 1-line block ×3, first 2 shown]
.LBB144_59:                             ;   Parent Loop BB144_6 Depth=1
                                        ; =>  This Inner Loop Header: Depth=2
	ds_read_b128 v[2:5], v24
	v_add_co_u32 v28, vcc_lo, v28, s54
	v_add_co_ci_u32_e64 v29, null, 0, v29, vcc_lo
	v_add_nc_u32_e32 v24, s45, v24
	v_cmp_le_u64_e32 vcc_lo, s[66:67], v[28:29]
	s_waitcnt lgkmcnt(0)
	v_xor_b32_e32 v2, 0x80000000, v2
	v_xor_b32_e32 v3, 0x80000000, v3
	;; [unrolled: 1-line block ×4, first 2 shown]
	v_and_b32_e32 v6, v2, v38
	v_bfe_u32 v2, v2, s93, 2
	v_and_b32_e32 v7, v3, v38
	v_bfe_u32 v3, v3, s93, 2
	v_and_b32_e32 v8, v4, v38
	v_bfe_u32 v4, v4, s93, 2
	v_cmp_eq_u32_e64 s6, v6, v17
	v_cmp_eq_u32_e64 s11, 0, v2
	v_and_b32_e32 v9, v5, v38
	v_bfe_u32 v5, v5, s93, 2
	v_cmp_eq_u32_e64 s7, v7, v17
	v_cmp_eq_u32_e64 s12, 0, v3
	;; [unrolled: 1-line block ×4, first 2 shown]
	s_and_b32 s11, s6, s11
	v_cmp_eq_u32_e64 s10, v9, v17
	v_cmp_eq_u32_e64 s14, 0, v5
	;; [unrolled: 1-line block ×5, first 2 shown]
	v_cndmask_b32_e64 v2, 0, 1, s11
	s_and_b32 s11, s7, s12
	v_cmp_eq_u32_e64 s16, 1, v3
	v_cmp_eq_u32_e64 s20, 2, v3
	v_cmp_eq_u32_e64 s24, 3, v3
	v_cndmask_b32_e64 v3, 0, 1, s11
	s_and_b32 s11, s9, s13
	v_cmp_eq_u32_e64 s17, 1, v4
	v_cmp_eq_u32_e64 s21, 2, v4
	v_cmp_eq_u32_e64 s25, 3, v4
	v_cndmask_b32_e64 v4, 0, 1, s11
	s_and_b32 s11, s10, s14
	v_cmp_eq_u32_e64 s18, 1, v5
	v_cmp_eq_u32_e64 s22, 2, v5
	v_cmp_eq_u32_e64 s26, 3, v5
	v_cndmask_b32_e64 v5, 0, 1, s11
	v_cmp_ne_u32_e64 s11, 0, v2
	v_cmp_ne_u32_e64 s12, 0, v3
	;; [unrolled: 1-line block ×4, first 2 shown]
	s_bcnt1_i32_b32 s11, s11
	s_bcnt1_i32_b32 s12, s12
	;; [unrolled: 1-line block ×3, first 2 shown]
	s_add_i32 s11, s12, s11
	s_bcnt1_i32_b32 s14, s14
	s_add_i32 s11, s11, s13
	s_add_i32 s11, s11, s14
	s_add_u32 s74, s74, s11
	s_addc_u32 s75, s75, 0
	s_and_b32 s11, s6, s15
	v_cndmask_b32_e64 v2, 0, 1, s11
	s_and_b32 s11, s7, s16
	v_cndmask_b32_e64 v3, 0, 1, s11
	;; [unrolled: 2-line block ×3, first 2 shown]
	s_and_b32 s11, s10, s18
	v_cmp_ne_u32_e64 s12, 0, v3
	v_cndmask_b32_e64 v5, 0, 1, s11
	v_cmp_ne_u32_e64 s11, 0, v2
	v_cmp_ne_u32_e64 s13, 0, v4
	s_bcnt1_i32_b32 s12, s12
	v_cmp_ne_u32_e64 s14, 0, v5
	s_bcnt1_i32_b32 s11, s11
	s_bcnt1_i32_b32 s13, s13
	s_add_i32 s11, s12, s11
	s_bcnt1_i32_b32 s14, s14
	s_add_i32 s11, s11, s13
	s_add_i32 s11, s11, s14
	s_add_u32 s72, s72, s11
	s_addc_u32 s73, s73, 0
	s_and_b32 s11, s6, s19
	v_cndmask_b32_e64 v2, 0, 1, s11
	s_and_b32 s11, s7, s20
	v_cndmask_b32_e64 v3, 0, 1, s11
	;; [unrolled: 2-line block ×3, first 2 shown]
	s_and_b32 s11, s10, s22
	v_cmp_ne_u32_e64 s12, 0, v3
	v_cndmask_b32_e64 v5, 0, 1, s11
	v_cmp_ne_u32_e64 s11, 0, v2
	v_cmp_ne_u32_e64 s13, 0, v4
	s_bcnt1_i32_b32 s12, s12
	v_cmp_ne_u32_e64 s14, 0, v5
	s_bcnt1_i32_b32 s11, s11
	s_bcnt1_i32_b32 s13, s13
	s_add_i32 s11, s12, s11
	s_bcnt1_i32_b32 s14, s14
	s_add_i32 s11, s11, s13
	s_add_i32 s11, s11, s14
	s_add_u32 s70, s70, s11
	s_addc_u32 s71, s71, 0
	s_and_b32 s6, s6, s23
	v_mov_b32_e32 v6, s70
	v_cndmask_b32_e64 v2, 0, 1, s6
	s_and_b32 s6, s7, s24
	v_mov_b32_e32 v7, s71
	v_cndmask_b32_e64 v3, 0, 1, s6
	s_and_b32 s6, s9, s25
	v_cndmask_b32_e64 v4, 0, 1, s6
	s_and_b32 s6, s10, s26
	v_cmp_ne_u32_e64 s7, 0, v3
	v_cndmask_b32_e64 v5, 0, 1, s6
	v_cmp_ne_u32_e64 s6, 0, v2
	v_cmp_ne_u32_e64 s9, 0, v4
	v_mov_b32_e32 v2, s74
	s_bcnt1_i32_b32 s7, s7
	v_cmp_ne_u32_e64 s10, 0, v5
	s_bcnt1_i32_b32 s6, s6
	s_bcnt1_i32_b32 s9, s9
	s_add_i32 s6, s7, s6
	v_mov_b32_e32 v4, s72
	s_bcnt1_i32_b32 s7, s10
	s_add_i32 s6, s6, s9
	v_mov_b32_e32 v3, s75
	s_add_i32 s6, s6, s7
	v_mov_b32_e32 v5, s73
	s_add_u32 s68, s68, s6
	s_addc_u32 s69, s69, 0
	v_mov_b32_e32 v8, s68
	v_mov_b32_e32 v9, s69
	s_or_b32 s63, vcc_lo, s63
	s_andn2_b32 exec_lo, exec_lo, s63
	s_cbranch_execnz .LBB144_59
; %bb.60:                               ;   in Loop: Header=BB144_6 Depth=1
	s_or_b32 exec_lo, exec_lo, s63
.LBB144_61:                             ;   in Loop: Header=BB144_6 Depth=1
	s_or_b32 exec_lo, exec_lo, s44
	v_add_co_u32 v28, s6, s66, v0
	v_and_b32_e32 v12, 0xffff, v12
	v_add_co_ci_u32_e64 v29, null, s67, 0, s6
	s_and_b32 s26, s62, 0x7fffffff
	s_mov_b32 s12, exec_lo
	v_cmpx_gt_u64_e64 s[26:27], v[28:29]
	s_cbranch_execz .LBB144_65
; %bb.62:                               ;   in Loop: Header=BB144_6 Depth=1
	v_lshl_add_u32 v24, s64, 4, v14
	s_mov_b32 s13, 0
.LBB144_63:                             ;   Parent Loop BB144_6 Depth=1
                                        ; =>  This Inner Loop Header: Depth=2
	ds_read_b32 v39, v24
	v_add_co_u32 v28, vcc_lo, v28, v12
	v_add_co_ci_u32_e64 v29, null, 0, v29, vcc_lo
	v_add_nc_u32_e32 v24, s54, v24
	v_cmp_le_u64_e32 vcc_lo, s[26:27], v[28:29]
	s_waitcnt lgkmcnt(0)
	v_xor_b32_e32 v39, 0x80000000, v39
	v_and_b32_e32 v40, v39, v38
	v_bfe_u32 v39, v39, s93, 2
	v_cmp_eq_u32_e64 s6, v40, v17
	v_cmp_eq_u32_e64 s7, 0, v39
	;; [unrolled: 1-line block ×5, first 2 shown]
	s_and_b32 s7, s6, s7
	v_cndmask_b32_e64 v39, 0, 1, s7
	s_and_b32 s7, s6, s9
	v_cndmask_b32_e64 v40, 0, 1, s7
	s_and_b32 s7, s6, s10
	s_and_b32 s6, s6, s11
	v_cndmask_b32_e64 v41, 0, 1, s7
	v_cndmask_b32_e64 v42, 0, 1, s6
	v_cmp_ne_u32_e64 s6, 0, v39
	v_cmp_ne_u32_e64 s7, 0, v40
	;; [unrolled: 1-line block ×4, first 2 shown]
	s_bcnt1_i32_b32 s6, s6
	s_bcnt1_i32_b32 s7, s7
	v_add_co_u32 v2, s6, v2, s6
	s_bcnt1_i32_b32 s9, s9
	v_add_co_ci_u32_e64 v3, null, 0, v3, s6
	v_add_co_u32 v4, s6, v4, s7
	s_bcnt1_i32_b32 s10, s10
	v_add_co_ci_u32_e64 v5, null, 0, v5, s6
	v_add_co_u32 v6, s6, v6, s9
	v_add_co_ci_u32_e64 v7, null, 0, v7, s6
	v_add_co_u32 v8, s6, v8, s10
	v_add_co_ci_u32_e64 v9, null, 0, v9, s6
	s_or_b32 s13, vcc_lo, s13
	s_andn2_b32 exec_lo, exec_lo, s13
	s_cbranch_execnz .LBB144_63
; %bb.64:                               ;   in Loop: Header=BB144_6 Depth=1
	s_or_b32 exec_lo, exec_lo, s13
.LBB144_65:                             ;   in Loop: Header=BB144_6 Depth=1
	s_or_b32 exec_lo, exec_lo, s12
	s_lshl_b32 s6, s89, 7
	s_and_saveexec_b32 s7, s0
	s_cbranch_execnz .LBB144_36
	s_branch .LBB144_37
.LBB144_66:                             ;   in Loop: Header=BB144_6 Depth=1
                                        ; implicit-def: $sgpr6_sgpr7
	s_branch .LBB144_45
.LBB144_67:                             ;   in Loop: Header=BB144_6 Depth=1
	s_mov_b32 s9, 0
	s_andn2_b32 vcc_lo, exec_lo, s85
	s_cbranch_vccnz .LBB144_70
.LBB144_68:                             ;   in Loop: Header=BB144_6 Depth=1
	s_lshl_b32 s10, s89, 10
	s_lshl_b32 s9, s9, 5
	v_add3_u32 v4, s10, s9, v37
	s_mov_b32 s9, s83
.LBB144_69:                             ;   Parent Loop BB144_6 Depth=1
                                        ; =>  This Inner Loop Header: Depth=2
	ds_read_b64 v[5:6], v4
	v_add_nc_u32_e32 v4, 32, v4
	s_add_i32 s9, s9, -1
	s_cmp_lg_u32 s9, 0
	s_waitcnt lgkmcnt(0)
	v_add_co_u32 v2, vcc_lo, v5, v2
	v_add_co_ci_u32_e64 v3, null, v6, v3, vcc_lo
	s_cbranch_scc1 .LBB144_69
.LBB144_70:                             ;   in Loop: Header=BB144_6 Depth=1
	v_add_lshl_u32 v4, s6, v31, 3
	ds_write_b64 v4, v[2:3] offset:3072
.LBB144_71:                             ;   in Loop: Header=BB144_6 Depth=1
	s_or_b32 exec_lo, exec_lo, s7
	s_lshl_b32 s6, s6, 3
	s_waitcnt lgkmcnt(0)
	v_mov_b32_e32 v6, s6
	s_barrier
	buffer_gl0_inv
	v_cmp_eq_u64_e64 s7, 1, v[26:27]
	s_lshl_b32 s9, 3, s93
	ds_read_b128 v[2:5], v6 offset:3072
	ds_read_b128 v[6:9], v6 offset:3088
	s_mov_b32 s64, -1
	s_not_b32 s24, s9
	s_mov_b32 s25, 0
	s_andn2_b32 vcc_lo, exec_lo, s43
	s_mov_b32 s23, 0
	s_mov_b32 s22, 0
                                        ; implicit-def: $sgpr62
                                        ; implicit-def: $sgpr63
                                        ; implicit-def: $vgpr12
                                        ; implicit-def: $vgpr28
                                        ; implicit-def: $vgpr29
	s_waitcnt lgkmcnt(1)
	v_readfirstlane_b32 s11, v3
	v_readfirstlane_b32 s10, v2
	;; [unrolled: 1-line block ×4, first 2 shown]
	s_waitcnt lgkmcnt(0)
	v_readfirstlane_b32 s15, v7
	v_readfirstlane_b32 s14, v6
	;; [unrolled: 1-line block ×4, first 2 shown]
                                        ; implicit-def: $vgpr2_vgpr3
                                        ; implicit-def: $vgpr5
	s_cbranch_vccnz .LBB144_266
; %bb.72:                               ;   in Loop: Header=BB144_6 Depth=1
	s_cmp_eq_u64 s[10:11], 1
	v_mov_b32_e32 v28, v17
	v_mov_b32_e32 v29, v38
	;; [unrolled: 1-line block ×3, first 2 shown]
	s_cselect_b32 s6, -1, 0
                                        ; implicit-def: $sgpr63
                                        ; implicit-def: $sgpr62
	s_and_b32 s66, s6, s7
	s_mov_b32 s6, -1
	s_and_saveexec_b32 s64, s66
	s_cbranch_execz .LBB144_107
; %bb.73:                               ;   in Loop: Header=BB144_6 Depth=1
	ds_read_b64 v[2:3], v13 offset:5120
	s_waitcnt lgkmcnt(0)
	s_barrier
	buffer_gl0_inv
	v_readfirstlane_b32 s18, v2
	v_readfirstlane_b32 s19, v3
	s_and_saveexec_b32 s6, s8
; %bb.74:                               ;   in Loop: Header=BB144_6 Depth=1
	ds_write_b32 v32, v13
; %bb.75:                               ;   in Loop: Header=BB144_6 Depth=1
	s_or_b32 exec_lo, exec_lo, s6
	v_and_b32_e32 v28, s24, v17
	v_or_b32_e32 v29, s9, v38
	s_mov_b32 s62, -1
	s_mov_b32 s63, 0
	s_cmp_eq_u64 s[18:19], 0
	s_mov_b32 s6, -1
	s_waitcnt lgkmcnt(0)
	s_barrier
	buffer_gl0_inv
                                        ; implicit-def: $vgpr5
	s_cbranch_scc1 .LBB144_92
; %bb.76:                               ;   in Loop: Header=BB144_6 Depth=1
	s_add_u32 s6, s18, s80
	s_addc_u32 s21, s19, s81
	s_mov_b32 s20, s27
	s_cmp_lg_u64 s[20:21], 0
	s_cbranch_scc0 .LBB144_133
; %bb.77:                               ;   in Loop: Header=BB144_6 Depth=1
	v_cvt_f32_u32_e32 v2, s33
	s_sub_u32 s23, 0, s33
	s_subb_u32 s26, 0, 0
	v_fmac_f32_e64 v2, 0x4f800000, 0
	v_rcp_f32_e32 v2, v2
	v_mul_f32_e32 v2, 0x5f7ffffc, v2
	v_mul_f32_e32 v3, 0x2f800000, v2
	v_trunc_f32_e32 v3, v3
	v_fmac_f32_e32 v2, 0xcf800000, v3
	v_cvt_u32_f32_e32 v3, v3
	v_cvt_u32_f32_e32 v2, v2
	v_readfirstlane_b32 s20, v3
	v_readfirstlane_b32 s22, v2
	s_mul_i32 s44, s23, s20
	s_mul_hi_u32 s46, s23, s22
	s_mul_i32 s45, s26, s22
	s_add_i32 s44, s46, s44
	s_mul_i32 s47, s23, s22
	s_add_i32 s44, s44, s45
	s_mul_hi_u32 s46, s22, s47
	s_mul_i32 s49, s22, s44
	s_mul_hi_u32 s48, s20, s47
	s_mul_i32 s45, s20, s47
	s_mul_hi_u32 s47, s22, s44
	s_add_u32 s46, s46, s49
	s_addc_u32 s47, 0, s47
	s_mul_hi_u32 s54, s20, s44
	s_add_u32 s45, s46, s45
	s_mul_i32 s44, s20, s44
	s_addc_u32 s45, s47, s48
	s_addc_u32 s46, s54, 0
	s_add_u32 s44, s45, s44
	s_addc_u32 s45, 0, s46
	s_add_u32 s22, s22, s44
	s_cselect_b32 s44, -1, 0
	s_mul_hi_u32 s46, s23, s22
	s_cmp_lg_u32 s44, 0
	s_mul_i32 s44, s23, s22
	s_addc_u32 s20, s20, s45
	s_mul_i32 s26, s26, s22
	s_mul_i32 s23, s23, s20
	s_mul_hi_u32 s45, s22, s44
	s_add_i32 s23, s46, s23
	s_mul_hi_u32 s46, s20, s44
	s_add_i32 s23, s23, s26
	s_mul_i32 s26, s20, s44
	s_mul_i32 s48, s22, s23
	s_mul_hi_u32 s47, s22, s23
	s_add_u32 s45, s45, s48
	s_addc_u32 s47, 0, s47
	s_mul_hi_u32 s44, s20, s23
	s_add_u32 s26, s45, s26
	s_mul_i32 s23, s20, s23
	s_addc_u32 s26, s47, s46
	s_addc_u32 s44, s44, 0
	s_add_u32 s23, s26, s23
	s_addc_u32 s26, 0, s44
	s_add_u32 s22, s22, s23
	s_cselect_b32 s23, -1, 0
	s_mul_hi_u32 s44, s6, s22
	s_cmp_lg_u32 s23, 0
	s_mul_hi_u32 s23, s21, s22
	s_addc_u32 s20, s20, s26
	s_mul_i32 s22, s21, s22
	s_mul_i32 s45, s6, s20
	s_mul_hi_u32 s26, s6, s20
	s_add_u32 s44, s44, s45
	s_addc_u32 s26, 0, s26
	s_mul_hi_u32 s46, s21, s20
	s_add_u32 s22, s44, s22
	s_mul_i32 s20, s21, s20
	s_addc_u32 s22, s26, s23
	s_addc_u32 s23, s46, 0
	s_add_u32 s20, s22, s20
	s_addc_u32 s22, 0, s23
	s_mul_hi_u32 s23, s33, s20
	s_mul_i32 s22, s33, s22
	s_mul_i32 s20, s33, s20
	s_add_i32 s23, s23, s22
	s_sub_u32 s20, s6, s20
	s_cselect_b32 s22, -1, 0
	s_cmp_lg_u32 s22, 0
	s_subb_u32 s22, s21, s23
	s_sub_u32 s23, s20, s33
	s_cselect_b32 s26, -1, 0
	s_cmp_lg_u32 s26, 0
	s_subb_u32 s26, s22, 0
	;; [unrolled: 4-line block ×3, first 2 shown]
	s_cmp_ge_u32 s23, s33
	s_cselect_b32 s46, -1, 0
	s_cmp_eq_u32 s26, 0
	s_cselect_b32 s46, s46, -1
	s_cmp_lg_u32 s46, 0
	s_cselect_b32 s26, s45, s26
	s_cselect_b32 s44, s44, s23
	s_cmp_ge_u32 s20, s33
	s_cselect_b32 s23, -1, 0
	s_cmp_eq_u32 s22, 0
	s_cselect_b32 s23, s23, -1
	s_cmp_lg_u32 s23, 0
	s_cselect_b32 s23, s26, s22
	s_cselect_b32 s22, s44, s20
	s_cbranch_execnz .LBB144_79
.LBB144_78:                             ;   in Loop: Header=BB144_6 Depth=1
	v_cvt_f32_u32_e32 v2, s33
	s_sub_i32 s22, 0, s33
	v_rcp_iflag_f32_e32 v2, v2
	v_mul_f32_e32 v2, 0x4f7ffffe, v2
	v_cvt_u32_f32_e32 v2, v2
	v_readfirstlane_b32 s20, v2
	s_mul_i32 s22, s22, s20
	s_mul_hi_u32 s22, s20, s22
	s_add_i32 s20, s20, s22
	s_mul_hi_u32 s20, s6, s20
	s_mul_i32 s20, s20, s33
	s_sub_i32 s20, s6, s20
	s_sub_i32 s22, s20, s33
	s_cmp_ge_u32 s20, s33
	s_cselect_b32 s20, s22, s20
	s_sub_i32 s22, s20, s33
	s_cmp_ge_u32 s20, s33
	s_cselect_b32 s26, s22, s20
	s_mov_b64 s[22:23], s[26:27]
.LBB144_79:                             ;   in Loop: Header=BB144_6 Depth=1
	s_sub_u32 s20, s6, s22
	s_subb_u32 s21, s21, s23
	s_mov_b32 s6, 0
	s_mov_b32 s22, 0
	s_mov_b32 s23, exec_lo
                                        ; implicit-def: $vgpr5
	v_cmpx_gt_u64_e64 s[20:21], v[0:1]
	s_cbranch_execz .LBB144_91
; %bb.80:                               ;   in Loop: Header=BB144_6 Depth=1
	v_mov_b32_e32 v3, v1
	v_mov_b32_e32 v6, v14
	;; [unrolled: 1-line block ×3, first 2 shown]
                                        ; implicit-def: $sgpr26
	s_inst_prefetch 0x1
	s_branch .LBB144_83
	.p2align	6
.LBB144_81:                             ;   in Loop: Header=BB144_83 Depth=2
	s_or_b32 exec_lo, exec_lo, s44
	s_waitcnt lgkmcnt(0)
	s_barrier
	buffer_gl0_inv
	ds_read_b64 v[4:5], v13 offset:3072
	s_mov_b32 s44, -1
	s_mov_b32 s45, -1
	s_waitcnt lgkmcnt(0)
	s_barrier
	buffer_gl0_inv
	v_cmp_ne_u32_e32 vcc_lo, 0, v4
	s_cbranch_vccz .LBB144_86
.LBB144_82:                             ;   in Loop: Header=BB144_83 Depth=2
	s_and_b32 s44, exec_lo, s44
	s_or_b32 s22, s44, s22
	s_andn2_b32 s26, s26, exec_lo
	s_and_b32 s44, s45, exec_lo
	s_or_b32 s26, s26, s44
	s_andn2_b32 exec_lo, exec_lo, s22
	s_cbranch_execz .LBB144_90
.LBB144_83:                             ;   Parent Loop BB144_6 Depth=1
                                        ; =>  This Inner Loop Header: Depth=2
	s_mov_b32 s44, exec_lo
	v_cmpx_gt_u64_e64 s[18:19], v[2:3]
	s_cbranch_execz .LBB144_81
; %bb.84:                               ;   in Loop: Header=BB144_83 Depth=2
	ds_read_b32 v24, v6
	s_waitcnt lgkmcnt(0)
	v_xor_b32_e32 v4, 0x80000000, v24
	v_and_b32_e32 v4, v4, v29
	v_cmp_eq_u32_e32 vcc_lo, v4, v28
	s_and_b32 exec_lo, exec_lo, vcc_lo
	s_cbranch_execz .LBB144_81
; %bb.85:                               ;   in Loop: Header=BB144_83 Depth=2
	ds_write_b64 v13, v[23:24] offset:3072
	s_branch .LBB144_81
.LBB144_86:                             ;   in Loop: Header=BB144_83 Depth=2
	v_add_co_u32 v2, vcc_lo, v2, s33
	v_add_co_ci_u32_e64 v3, null, 0, v3, vcc_lo
	v_add_nc_u32_e32 v6, s86, v6
	s_mov_b32 s45, 0
	v_cmp_le_u64_e32 vcc_lo, s[20:21], v[2:3]
	s_orn2_b32 s44, vcc_lo, exec_lo
	s_branch .LBB144_82
.LBB144_87:                             ;   in Loop: Header=BB144_6 Depth=1
	s_or_b32 exec_lo, exec_lo, s10
	s_waitcnt lgkmcnt(0)
	s_barrier
	buffer_gl0_inv
	s_and_saveexec_b32 s6, s3
	s_cbranch_execz .LBB144_89
; %bb.88:                               ;   in Loop: Header=BB144_6 Depth=1
	ds_read_b32 v2, v13 offset:5144
	s_waitcnt lgkmcnt(0)
	v_ashrrev_i32_e32 v3, 31, v2
	ds_write_b64 v13, v[2:3] offset:5120
.LBB144_89:                             ;   in Loop: Header=BB144_6 Depth=1
	s_or_b32 exec_lo, exec_lo, s6
	s_waitcnt lgkmcnt(0)
	s_mov_b32 s6, -1
	s_barrier
	s_and_b32 vcc_lo, exec_lo, s9
	s_cbranch_vccnz .LBB144_22
	s_branch .LBB144_31
.LBB144_90:                             ;   in Loop: Header=BB144_6 Depth=1
	s_inst_prefetch 0x2
	s_or_b32 exec_lo, exec_lo, s22
	s_and_b32 s22, s26, exec_lo
.LBB144_91:                             ;   in Loop: Header=BB144_6 Depth=1
	s_or_b32 exec_lo, exec_lo, s23
.LBB144_92:                             ;   in Loop: Header=BB144_6 Depth=1
	s_and_b32 vcc_lo, exec_lo, s6
	s_cbranch_vccz .LBB144_106
; %bb.93:                               ;   in Loop: Header=BB144_6 Depth=1
	s_mov_b32 s54, s27
	s_cmp_lg_u64 s[54:55], 0
	s_cbranch_scc0 .LBB144_134
; %bb.94:                               ;   in Loop: Header=BB144_6 Depth=1
	v_cvt_f32_u32_e32 v2, s33
	s_sub_u32 s19, 0, s33
	s_subb_u32 s20, 0, 0
	v_fmac_f32_e64 v2, 0x4f800000, 0
	v_rcp_f32_e32 v2, v2
	v_mul_f32_e32 v2, 0x5f7ffffc, v2
	v_mul_f32_e32 v3, 0x2f800000, v2
	v_trunc_f32_e32 v3, v3
	v_fmac_f32_e32 v2, 0xcf800000, v3
	v_cvt_u32_f32_e32 v3, v3
	v_cvt_u32_f32_e32 v2, v2
	v_readfirstlane_b32 s6, v3
	v_readfirstlane_b32 s18, v2
	s_mul_i32 s21, s19, s6
	s_mul_hi_u32 s26, s19, s18
	s_mul_i32 s23, s20, s18
	s_add_i32 s21, s26, s21
	s_mul_i32 s44, s19, s18
	s_add_i32 s21, s21, s23
	s_mul_hi_u32 s26, s18, s44
	s_mul_i32 s46, s18, s21
	s_mul_hi_u32 s45, s6, s44
	s_mul_i32 s23, s6, s44
	s_mul_hi_u32 s44, s18, s21
	s_add_u32 s26, s26, s46
	s_addc_u32 s44, 0, s44
	s_mul_hi_u32 s47, s6, s21
	s_add_u32 s23, s26, s23
	s_mul_i32 s21, s6, s21
	s_addc_u32 s23, s44, s45
	s_addc_u32 s26, s47, 0
	s_add_u32 s21, s23, s21
	s_addc_u32 s23, 0, s26
	s_add_u32 s18, s18, s21
	s_cselect_b32 s21, -1, 0
	s_mul_hi_u32 s26, s19, s18
	s_cmp_lg_u32 s21, 0
	s_mul_i32 s21, s19, s18
	s_addc_u32 s6, s6, s23
	s_mul_i32 s20, s20, s18
	s_mul_i32 s19, s19, s6
	s_mul_hi_u32 s23, s18, s21
	s_add_i32 s19, s26, s19
	s_mul_hi_u32 s26, s6, s21
	s_add_i32 s19, s19, s20
	s_mul_i32 s20, s6, s21
	s_mul_i32 s45, s18, s19
	s_mul_hi_u32 s44, s18, s19
	s_add_u32 s23, s23, s45
	s_addc_u32 s44, 0, s44
	s_mul_hi_u32 s21, s6, s19
	s_add_u32 s20, s23, s20
	s_mul_i32 s19, s6, s19
	s_addc_u32 s20, s44, s26
	s_addc_u32 s21, s21, 0
	s_add_u32 s19, s20, s19
	s_addc_u32 s20, 0, s21
	s_add_u32 s18, s18, s19
	s_cselect_b32 s19, -1, 0
	s_mul_hi_u32 s21, s82, s18
	s_cmp_lg_u32 s19, 0
	s_mul_hi_u32 s19, s55, s18
	s_addc_u32 s6, s6, s20
	s_mul_i32 s18, s55, s18
	s_mul_i32 s23, s82, s6
	s_mul_hi_u32 s20, s82, s6
	s_add_u32 s21, s21, s23
	s_addc_u32 s20, 0, s20
	s_mul_hi_u32 s26, s55, s6
	s_add_u32 s18, s21, s18
	s_mul_i32 s6, s55, s6
	s_addc_u32 s18, s20, s19
	s_addc_u32 s19, s26, 0
	s_add_u32 s6, s18, s6
	s_addc_u32 s18, 0, s19
	s_mul_hi_u32 s19, s33, s6
	s_mul_i32 s18, s33, s18
	s_mul_i32 s6, s33, s6
	s_add_i32 s19, s19, s18
	s_sub_u32 s6, s82, s6
	s_cselect_b32 s18, -1, 0
	s_cmp_lg_u32 s18, 0
	s_subb_u32 s18, s55, s19
	s_sub_u32 s19, s6, s33
	s_cselect_b32 s20, -1, 0
	s_cmp_lg_u32 s20, 0
	s_subb_u32 s20, s18, 0
	;; [unrolled: 4-line block ×3, first 2 shown]
	s_cmp_ge_u32 s19, s33
	s_cselect_b32 s26, -1, 0
	s_cmp_eq_u32 s20, 0
	s_cselect_b32 s26, s26, -1
	s_cmp_lg_u32 s26, 0
	s_cselect_b32 s20, s23, s20
	s_cselect_b32 s21, s21, s19
	s_cmp_ge_u32 s6, s33
	s_cselect_b32 s19, -1, 0
	s_cmp_eq_u32 s18, 0
	s_cselect_b32 s19, s19, -1
	s_cmp_lg_u32 s19, 0
	s_cselect_b32 s19, s20, s18
	s_cselect_b32 s18, s21, s6
	s_cbranch_execnz .LBB144_96
.LBB144_95:                             ;   in Loop: Header=BB144_6 Depth=1
	v_cvt_f32_u32_e32 v2, s33
	s_sub_i32 s18, 0, s33
	v_rcp_iflag_f32_e32 v2, v2
	v_mul_f32_e32 v2, 0x4f7ffffe, v2
	v_cvt_u32_f32_e32 v2, v2
	v_readfirstlane_b32 s6, v2
	s_mul_i32 s18, s18, s6
	s_mul_hi_u32 s18, s6, s18
	s_add_i32 s6, s6, s18
	s_mul_hi_u32 s6, s82, s6
	s_mul_i32 s6, s6, s33
	s_sub_i32 s6, s82, s6
	s_sub_i32 s18, s6, s33
	s_cmp_ge_u32 s6, s33
	s_cselect_b32 s6, s18, s6
	s_sub_i32 s18, s6, s33
	s_cmp_ge_u32 s6, s33
	s_cselect_b32 s26, s18, s6
	s_mov_b64 s[18:19], s[26:27]
.LBB144_96:                             ;   in Loop: Header=BB144_6 Depth=1
	s_sub_u32 s18, s82, s18
	s_subb_u32 s19, s55, s19
	s_mov_b32 s20, exec_lo
                                        ; implicit-def: $vgpr5
	v_cmpx_gt_u64_e64 s[18:19], v[0:1]
	s_cbranch_execz .LBB144_105
; %bb.97:                               ;   in Loop: Header=BB144_6 Depth=1
	v_mov_b32_e32 v2, v10
	v_mov_b32_e32 v7, v1
	;; [unrolled: 1-line block ×4, first 2 shown]
	s_mov_b32 s21, 0
                                        ; implicit-def: $sgpr23
	s_inst_prefetch 0x1
	s_branch .LBB144_100
	.p2align	6
.LBB144_98:                             ;   in Loop: Header=BB144_100 Depth=2
	s_or_b32 exec_lo, exec_lo, s6
	s_waitcnt lgkmcnt(0)
	s_barrier
	buffer_gl0_inv
	ds_read_b64 v[4:5], v13 offset:3072
	s_mov_b32 s6, -1
	s_mov_b32 s26, -1
	s_waitcnt lgkmcnt(0)
	s_barrier
	buffer_gl0_inv
	v_cmp_ne_u32_e32 vcc_lo, 0, v4
	s_cbranch_vccz .LBB144_103
.LBB144_99:                             ;   in Loop: Header=BB144_100 Depth=2
	s_and_b32 s6, exec_lo, s6
	s_or_b32 s21, s6, s21
	s_andn2_b32 s6, s23, exec_lo
	s_and_b32 s23, s26, exec_lo
	s_or_b32 s23, s6, s23
	s_andn2_b32 exec_lo, exec_lo, s21
	s_cbranch_execz .LBB144_104
.LBB144_100:                            ;   Parent Loop BB144_6 Depth=1
                                        ; =>  This Inner Loop Header: Depth=2
	s_mov_b32 s6, exec_lo
	v_cmpx_gt_u64_e64 s[28:29], v[6:7]
	s_cbranch_execz .LBB144_98
; %bb.101:                              ;   in Loop: Header=BB144_100 Depth=2
	global_load_dword v24, v[2:3], off
	s_waitcnt vmcnt(0)
	v_xor_b32_e32 v4, 0x80000000, v24
	v_and_b32_e32 v4, v4, v29
	v_cmp_eq_u32_e32 vcc_lo, v4, v28
	s_and_b32 exec_lo, exec_lo, vcc_lo
	s_cbranch_execz .LBB144_98
; %bb.102:                              ;   in Loop: Header=BB144_100 Depth=2
	ds_write_b64 v13, v[23:24] offset:3072
	s_branch .LBB144_98
.LBB144_103:                            ;   in Loop: Header=BB144_100 Depth=2
	v_add_co_u32 v6, vcc_lo, v6, s33
	v_add_co_ci_u32_e64 v7, null, 0, v7, vcc_lo
	v_add_co_u32 v2, s6, v2, s34
	v_add_co_ci_u32_e64 v3, null, s35, v3, s6
	v_cmp_le_u64_e32 vcc_lo, s[18:19], v[6:7]
	s_mov_b32 s26, 0
	s_orn2_b32 s6, vcc_lo, exec_lo
	s_branch .LBB144_99
.LBB144_104:                            ;   in Loop: Header=BB144_6 Depth=1
	s_inst_prefetch 0x2
	s_or_b32 exec_lo, exec_lo, s21
	s_andn2_b32 s6, s22, exec_lo
	s_and_b32 s18, s23, exec_lo
	s_or_b32 s22, s6, s18
.LBB144_105:                            ;   in Loop: Header=BB144_6 Depth=1
	s_or_b32 exec_lo, exec_lo, s20
	s_mov_b32 s62, 0
	s_mov_b32 s63, -1
.LBB144_106:                            ;   in Loop: Header=BB144_6 Depth=1
	s_orn2_b32 s6, s22, exec_lo
.LBB144_107:                            ;   in Loop: Header=BB144_6 Depth=1
	s_or_b32 exec_lo, exec_lo, s64
	s_mov_b32 s64, 0
	s_mov_b32 s23, 0
	;; [unrolled: 1-line block ×3, first 2 shown]
                                        ; implicit-def: $vgpr2_vgpr3
                                        ; implicit-def: $vgpr12
	s_and_saveexec_b32 s65, s6
	s_cbranch_execz .LBB144_265
; %bb.108:                              ;   in Loop: Header=BB144_6 Depth=1
	v_mov_b32_e32 v2, 1
	v_mov_b32_e32 v3, 0
	;; [unrolled: 1-line block ×3, first 2 shown]
	s_xor_b32 s19, s66, -1
	s_mov_b32 s18, 0
	s_and_saveexec_b32 s6, s19
	s_cbranch_execz .LBB144_117
; %bb.109:                              ;   in Loop: Header=BB144_6 Depth=1
	s_mov_b32 s18, exec_lo
	v_cmpx_ge_u64_e64 s[10:11], v[26:27]
	s_xor_b32 s18, exec_lo, s18
	s_cbranch_execz .LBB144_114
; %bb.110:                              ;   in Loop: Header=BB144_6 Depth=1
	ds_read_b64 v[2:3], v13 offset:5120
	v_and_b32_e32 v28, s24, v28
	v_or_b32_e32 v29, s9, v29
	s_waitcnt lgkmcnt(0)
	v_cmp_ne_u64_e32 vcc_lo, 0, v[2:3]
	s_cbranch_vccnz .LBB144_114
; %bb.111:                              ;   in Loop: Header=BB144_6 Depth=1
	s_and_saveexec_b32 s19, s3
; %bb.112:                              ;   in Loop: Header=BB144_6 Depth=1
	v_mov_b32_e32 v2, s10
	v_mov_b32_e32 v3, s11
	ds_write_b64 v13, v[2:3] offset:5128
; %bb.113:                              ;   in Loop: Header=BB144_6 Depth=1
	s_or_b32 exec_lo, exec_lo, s19
	s_waitcnt lgkmcnt(0)
	s_barrier
	buffer_gl0_inv
.LBB144_114:                            ;   in Loop: Header=BB144_6 Depth=1
	s_or_saveexec_b32 s18, s18
	v_mov_b32_e32 v2, v26
	v_mov_b32_e32 v12, 8
	v_mov_b32_e32 v3, v27
	s_mov_b32 s19, 0
	s_xor_b32 exec_lo, exec_lo, s18
; %bb.115:                              ;   in Loop: Header=BB144_6 Depth=1
	v_sub_co_u32 v2, vcc_lo, v26, s10
	v_subrev_co_ci_u32_e64 v3, null, s11, v27, vcc_lo
	v_mov_b32_e32 v12, 0
	s_mov_b32 s19, exec_lo
; %bb.116:                              ;   in Loop: Header=BB144_6 Depth=1
	s_or_b32 exec_lo, exec_lo, s18
	s_and_b32 s18, s19, exec_lo
.LBB144_117:                            ;   in Loop: Header=BB144_6 Depth=1
	s_or_b32 exec_lo, exec_lo, s6
	s_mov_b32 s6, -1
                                        ; implicit-def: $sgpr67
                                        ; implicit-def: $sgpr68
	s_and_saveexec_b32 s19, s18
	s_xor_b32 s66, exec_lo, s19
	s_cbranch_execz .LBB144_262
; %bb.118:                              ;   in Loop: Header=BB144_6 Depth=1
	v_cmp_eq_u64_e32 vcc_lo, 1, v[2:3]
	s_cmp_eq_u64 s[12:13], 1
                                        ; implicit-def: $sgpr68
                                        ; implicit-def: $sgpr67
	s_cselect_b32 s6, -1, 0
	s_and_b32 s70, s6, vcc_lo
	s_mov_b32 s6, -1
	s_and_saveexec_b32 s69, s70
	s_cbranch_execz .LBB144_152
; %bb.119:                              ;   in Loop: Header=BB144_6 Depth=1
	ds_read_b64 v[4:5], v13 offset:5120
	s_waitcnt lgkmcnt(0)
	s_barrier
	buffer_gl0_inv
	v_readfirstlane_b32 s18, v4
	v_readfirstlane_b32 s19, v5
	s_and_saveexec_b32 s6, s8
; %bb.120:                              ;   in Loop: Header=BB144_6 Depth=1
	ds_write_b32 v32, v13
; %bb.121:                              ;   in Loop: Header=BB144_6 Depth=1
	s_or_b32 exec_lo, exec_lo, s6
	s_lshl_b32 s6, 1, s93
	v_or_b32_e32 v29, s9, v29
	v_and_or_b32 v28, v28, s24, s6
	s_mov_b32 s67, -1
	s_mov_b32 s68, 0
	s_cmp_eq_u64 s[18:19], 0
	s_mov_b32 s6, -1
	s_waitcnt lgkmcnt(0)
	s_barrier
	buffer_gl0_inv
                                        ; implicit-def: $vgpr5
	s_cbranch_scc1 .LBB144_137
; %bb.122:                              ;   in Loop: Header=BB144_6 Depth=1
	s_add_u32 s6, s18, s80
	s_addc_u32 s21, s19, s81
	s_mov_b32 s20, s27
	s_cmp_lg_u64 s[20:21], 0
	s_cbranch_scc0 .LBB144_178
; %bb.123:                              ;   in Loop: Header=BB144_6 Depth=1
	v_cvt_f32_u32_e32 v4, s33
	s_sub_u32 s23, 0, s33
	s_subb_u32 s26, 0, 0
	v_fmac_f32_e64 v4, 0x4f800000, 0
	v_rcp_f32_e32 v4, v4
	v_mul_f32_e32 v4, 0x5f7ffffc, v4
	v_mul_f32_e32 v5, 0x2f800000, v4
	v_trunc_f32_e32 v5, v5
	v_fmac_f32_e32 v4, 0xcf800000, v5
	v_cvt_u32_f32_e32 v5, v5
	v_cvt_u32_f32_e32 v4, v4
	v_readfirstlane_b32 s20, v5
	v_readfirstlane_b32 s22, v4
	s_mul_i32 s44, s23, s20
	s_mul_hi_u32 s54, s23, s22
	s_mul_i32 s45, s26, s22
	s_add_i32 s44, s54, s44
	s_mul_i32 s71, s23, s22
	s_add_i32 s44, s44, s45
	s_mul_hi_u32 s54, s22, s71
	s_mul_i32 s73, s22, s44
	s_mul_hi_u32 s72, s20, s71
	s_mul_i32 s45, s20, s71
	s_mul_hi_u32 s71, s22, s44
	s_add_u32 s54, s54, s73
	s_addc_u32 s71, 0, s71
	s_mul_hi_u32 s74, s20, s44
	s_add_u32 s45, s54, s45
	s_mul_i32 s44, s20, s44
	s_addc_u32 s45, s71, s72
	s_addc_u32 s54, s74, 0
	s_add_u32 s44, s45, s44
	s_addc_u32 s45, 0, s54
	s_add_u32 s22, s22, s44
	s_cselect_b32 s44, -1, 0
	s_mul_hi_u32 s54, s23, s22
	s_cmp_lg_u32 s44, 0
	s_mul_i32 s44, s23, s22
	s_addc_u32 s20, s20, s45
	s_mul_i32 s26, s26, s22
	s_mul_i32 s23, s23, s20
	s_mul_hi_u32 s45, s22, s44
	s_add_i32 s23, s54, s23
	s_mul_hi_u32 s54, s20, s44
	s_add_i32 s23, s23, s26
	s_mul_i32 s26, s20, s44
	s_mul_i32 s72, s22, s23
	s_mul_hi_u32 s71, s22, s23
	s_add_u32 s45, s45, s72
	s_addc_u32 s71, 0, s71
	s_mul_hi_u32 s44, s20, s23
	s_add_u32 s26, s45, s26
	s_mul_i32 s23, s20, s23
	s_addc_u32 s26, s71, s54
	s_addc_u32 s44, s44, 0
	s_add_u32 s23, s26, s23
	s_addc_u32 s26, 0, s44
	s_add_u32 s22, s22, s23
	s_cselect_b32 s23, -1, 0
	s_mul_hi_u32 s44, s6, s22
	s_cmp_lg_u32 s23, 0
	s_mul_hi_u32 s23, s21, s22
	s_addc_u32 s20, s20, s26
	s_mul_i32 s22, s21, s22
	s_mul_i32 s45, s6, s20
	s_mul_hi_u32 s26, s6, s20
	s_add_u32 s44, s44, s45
	s_addc_u32 s26, 0, s26
	s_mul_hi_u32 s54, s21, s20
	s_add_u32 s22, s44, s22
	s_mul_i32 s20, s21, s20
	s_addc_u32 s22, s26, s23
	s_addc_u32 s23, s54, 0
	s_add_u32 s20, s22, s20
	s_addc_u32 s22, 0, s23
	s_mul_hi_u32 s23, s33, s20
	s_mul_i32 s22, s33, s22
	s_mul_i32 s20, s33, s20
	s_add_i32 s23, s23, s22
	s_sub_u32 s20, s6, s20
	s_cselect_b32 s22, -1, 0
	s_cmp_lg_u32 s22, 0
	s_subb_u32 s22, s21, s23
	s_sub_u32 s23, s20, s33
	s_cselect_b32 s26, -1, 0
	s_cmp_lg_u32 s26, 0
	s_subb_u32 s26, s22, 0
	;; [unrolled: 4-line block ×3, first 2 shown]
	s_cmp_ge_u32 s23, s33
	s_cselect_b32 s54, -1, 0
	s_cmp_eq_u32 s26, 0
	s_cselect_b32 s54, s54, -1
	s_cmp_lg_u32 s54, 0
	s_cselect_b32 s26, s45, s26
	s_cselect_b32 s44, s44, s23
	s_cmp_ge_u32 s20, s33
	s_cselect_b32 s23, -1, 0
	s_cmp_eq_u32 s22, 0
	s_cselect_b32 s23, s23, -1
	s_cmp_lg_u32 s23, 0
	s_cselect_b32 s23, s26, s22
	s_cselect_b32 s22, s44, s20
	s_cbranch_execnz .LBB144_125
.LBB144_124:                            ;   in Loop: Header=BB144_6 Depth=1
	v_cvt_f32_u32_e32 v4, s33
	s_sub_i32 s22, 0, s33
	v_rcp_iflag_f32_e32 v4, v4
	v_mul_f32_e32 v4, 0x4f7ffffe, v4
	v_cvt_u32_f32_e32 v4, v4
	v_readfirstlane_b32 s20, v4
	s_mul_i32 s22, s22, s20
	s_mul_hi_u32 s22, s20, s22
	s_add_i32 s20, s20, s22
	s_mul_hi_u32 s20, s6, s20
	s_mul_i32 s20, s20, s33
	s_sub_i32 s20, s6, s20
	s_sub_i32 s22, s20, s33
	s_cmp_ge_u32 s20, s33
	s_cselect_b32 s20, s22, s20
	s_sub_i32 s22, s20, s33
	s_cmp_ge_u32 s20, s33
	s_cselect_b32 s26, s22, s20
	s_mov_b64 s[22:23], s[26:27]
.LBB144_125:                            ;   in Loop: Header=BB144_6 Depth=1
	s_sub_u32 s20, s6, s22
	s_subb_u32 s21, s21, s23
	s_mov_b32 s6, 0
	s_mov_b32 s22, 0
	s_mov_b32 s23, exec_lo
                                        ; implicit-def: $vgpr5
	v_cmpx_gt_u64_e64 s[20:21], v[0:1]
	s_cbranch_execz .LBB144_136
; %bb.126:                              ;   in Loop: Header=BB144_6 Depth=1
	v_mov_b32_e32 v7, v1
	v_mov_b32_e32 v8, v14
	;; [unrolled: 1-line block ×3, first 2 shown]
                                        ; implicit-def: $sgpr26
	s_inst_prefetch 0x1
	s_branch .LBB144_129
	.p2align	6
.LBB144_127:                            ;   in Loop: Header=BB144_129 Depth=2
	s_or_b32 exec_lo, exec_lo, s44
	s_waitcnt lgkmcnt(0)
	s_barrier
	buffer_gl0_inv
	ds_read_b64 v[4:5], v13 offset:3072
	s_mov_b32 s44, -1
	s_mov_b32 s45, -1
	s_waitcnt lgkmcnt(0)
	s_barrier
	buffer_gl0_inv
	v_cmp_ne_u32_e32 vcc_lo, 0, v4
	s_cbranch_vccz .LBB144_132
.LBB144_128:                            ;   in Loop: Header=BB144_129 Depth=2
	s_and_b32 s44, exec_lo, s44
	s_or_b32 s22, s44, s22
	s_andn2_b32 s26, s26, exec_lo
	s_and_b32 s44, s45, exec_lo
	s_or_b32 s26, s26, s44
	s_andn2_b32 exec_lo, exec_lo, s22
	s_cbranch_execz .LBB144_135
.LBB144_129:                            ;   Parent Loop BB144_6 Depth=1
                                        ; =>  This Inner Loop Header: Depth=2
	s_mov_b32 s44, exec_lo
	v_cmpx_gt_u64_e64 s[18:19], v[6:7]
	s_cbranch_execz .LBB144_127
; %bb.130:                              ;   in Loop: Header=BB144_129 Depth=2
	ds_read_b32 v24, v8
	s_waitcnt lgkmcnt(0)
	v_xor_b32_e32 v4, 0x80000000, v24
	v_and_b32_e32 v4, v4, v29
	v_cmp_eq_u32_e32 vcc_lo, v4, v28
	s_and_b32 exec_lo, exec_lo, vcc_lo
	s_cbranch_execz .LBB144_127
; %bb.131:                              ;   in Loop: Header=BB144_129 Depth=2
	ds_write_b64 v13, v[23:24] offset:3072
	s_branch .LBB144_127
.LBB144_132:                            ;   in Loop: Header=BB144_129 Depth=2
	v_add_co_u32 v6, vcc_lo, v6, s33
	v_add_co_ci_u32_e64 v7, null, 0, v7, vcc_lo
	v_add_nc_u32_e32 v8, s86, v8
	s_mov_b32 s45, 0
	v_cmp_le_u64_e32 vcc_lo, s[20:21], v[6:7]
	s_orn2_b32 s44, vcc_lo, exec_lo
	s_branch .LBB144_128
.LBB144_133:                            ;   in Loop: Header=BB144_6 Depth=1
                                        ; implicit-def: $sgpr22_sgpr23
	s_branch .LBB144_78
.LBB144_134:                            ;   in Loop: Header=BB144_6 Depth=1
                                        ; implicit-def: $sgpr18_sgpr19
	s_branch .LBB144_95
.LBB144_135:                            ;   in Loop: Header=BB144_6 Depth=1
	s_inst_prefetch 0x2
	s_or_b32 exec_lo, exec_lo, s22
	s_and_b32 s22, s26, exec_lo
.LBB144_136:                            ;   in Loop: Header=BB144_6 Depth=1
	s_or_b32 exec_lo, exec_lo, s23
.LBB144_137:                            ;   in Loop: Header=BB144_6 Depth=1
	s_and_b32 vcc_lo, exec_lo, s6
	s_cbranch_vccz .LBB144_151
; %bb.138:                              ;   in Loop: Header=BB144_6 Depth=1
	s_mov_b32 s54, s27
	s_cmp_lg_u64 s[54:55], 0
	s_cbranch_scc0 .LBB144_179
; %bb.139:                              ;   in Loop: Header=BB144_6 Depth=1
	v_cvt_f32_u32_e32 v4, s33
	s_sub_u32 s19, 0, s33
	s_subb_u32 s20, 0, 0
	v_fmac_f32_e64 v4, 0x4f800000, 0
	v_rcp_f32_e32 v4, v4
	v_mul_f32_e32 v4, 0x5f7ffffc, v4
	v_mul_f32_e32 v5, 0x2f800000, v4
	v_trunc_f32_e32 v5, v5
	v_fmac_f32_e32 v4, 0xcf800000, v5
	v_cvt_u32_f32_e32 v5, v5
	v_cvt_u32_f32_e32 v4, v4
	v_readfirstlane_b32 s6, v5
	v_readfirstlane_b32 s18, v4
	s_mul_i32 s21, s19, s6
	s_mul_hi_u32 s26, s19, s18
	s_mul_i32 s23, s20, s18
	s_add_i32 s21, s26, s21
	s_mul_i32 s44, s19, s18
	s_add_i32 s21, s21, s23
	s_mul_hi_u32 s26, s18, s44
	s_mul_i32 s54, s18, s21
	s_mul_hi_u32 s45, s6, s44
	s_mul_i32 s23, s6, s44
	s_mul_hi_u32 s44, s18, s21
	s_add_u32 s26, s26, s54
	s_addc_u32 s44, 0, s44
	s_mul_hi_u32 s67, s6, s21
	s_add_u32 s23, s26, s23
	s_mul_i32 s21, s6, s21
	s_addc_u32 s23, s44, s45
	s_addc_u32 s26, s67, 0
	s_add_u32 s21, s23, s21
	s_addc_u32 s23, 0, s26
	s_add_u32 s18, s18, s21
	s_cselect_b32 s21, -1, 0
	s_mul_hi_u32 s26, s19, s18
	s_cmp_lg_u32 s21, 0
	s_mul_i32 s21, s19, s18
	s_addc_u32 s6, s6, s23
	s_mul_i32 s20, s20, s18
	s_mul_i32 s19, s19, s6
	s_mul_hi_u32 s23, s18, s21
	s_add_i32 s19, s26, s19
	s_mul_hi_u32 s26, s6, s21
	s_add_i32 s19, s19, s20
	s_mul_i32 s20, s6, s21
	s_mul_i32 s45, s18, s19
	s_mul_hi_u32 s44, s18, s19
	s_add_u32 s23, s23, s45
	s_addc_u32 s44, 0, s44
	s_mul_hi_u32 s21, s6, s19
	s_add_u32 s20, s23, s20
	s_mul_i32 s19, s6, s19
	s_addc_u32 s20, s44, s26
	s_addc_u32 s21, s21, 0
	s_add_u32 s19, s20, s19
	s_addc_u32 s20, 0, s21
	s_add_u32 s18, s18, s19
	s_cselect_b32 s19, -1, 0
	s_mul_hi_u32 s21, s82, s18
	s_cmp_lg_u32 s19, 0
	s_mul_hi_u32 s19, s55, s18
	s_addc_u32 s6, s6, s20
	s_mul_i32 s18, s55, s18
	s_mul_i32 s23, s82, s6
	s_mul_hi_u32 s20, s82, s6
	s_add_u32 s21, s21, s23
	s_addc_u32 s20, 0, s20
	s_mul_hi_u32 s26, s55, s6
	s_add_u32 s18, s21, s18
	s_mul_i32 s6, s55, s6
	s_addc_u32 s18, s20, s19
	s_addc_u32 s19, s26, 0
	s_add_u32 s6, s18, s6
	s_addc_u32 s18, 0, s19
	s_mul_hi_u32 s19, s33, s6
	s_mul_i32 s18, s33, s18
	s_mul_i32 s6, s33, s6
	s_add_i32 s19, s19, s18
	s_sub_u32 s6, s82, s6
	s_cselect_b32 s18, -1, 0
	s_cmp_lg_u32 s18, 0
	s_subb_u32 s18, s55, s19
	s_sub_u32 s19, s6, s33
	s_cselect_b32 s20, -1, 0
	s_cmp_lg_u32 s20, 0
	s_subb_u32 s20, s18, 0
	;; [unrolled: 4-line block ×3, first 2 shown]
	s_cmp_ge_u32 s19, s33
	s_cselect_b32 s26, -1, 0
	s_cmp_eq_u32 s20, 0
	s_cselect_b32 s26, s26, -1
	s_cmp_lg_u32 s26, 0
	s_cselect_b32 s20, s23, s20
	s_cselect_b32 s21, s21, s19
	s_cmp_ge_u32 s6, s33
	s_cselect_b32 s19, -1, 0
	s_cmp_eq_u32 s18, 0
	s_cselect_b32 s19, s19, -1
	s_cmp_lg_u32 s19, 0
	s_cselect_b32 s19, s20, s18
	s_cselect_b32 s18, s21, s6
	s_cbranch_execnz .LBB144_141
.LBB144_140:                            ;   in Loop: Header=BB144_6 Depth=1
	v_cvt_f32_u32_e32 v4, s33
	s_sub_i32 s18, 0, s33
	v_rcp_iflag_f32_e32 v4, v4
	v_mul_f32_e32 v4, 0x4f7ffffe, v4
	v_cvt_u32_f32_e32 v4, v4
	v_readfirstlane_b32 s6, v4
	s_mul_i32 s18, s18, s6
	s_mul_hi_u32 s18, s6, s18
	s_add_i32 s6, s6, s18
	s_mul_hi_u32 s6, s82, s6
	s_mul_i32 s6, s6, s33
	s_sub_i32 s6, s82, s6
	s_sub_i32 s18, s6, s33
	s_cmp_ge_u32 s6, s33
	s_cselect_b32 s6, s18, s6
	s_sub_i32 s18, s6, s33
	s_cmp_ge_u32 s6, s33
	s_cselect_b32 s26, s18, s6
	s_mov_b64 s[18:19], s[26:27]
.LBB144_141:                            ;   in Loop: Header=BB144_6 Depth=1
	s_sub_u32 s18, s82, s18
	s_subb_u32 s19, s55, s19
	s_mov_b32 s20, exec_lo
                                        ; implicit-def: $vgpr5
	v_cmpx_gt_u64_e64 s[18:19], v[0:1]
	s_cbranch_execz .LBB144_150
; %bb.142:                              ;   in Loop: Header=BB144_6 Depth=1
	v_mov_b32_e32 v6, v10
	v_mov_b32_e32 v9, v1
	;; [unrolled: 1-line block ×4, first 2 shown]
	s_mov_b32 s21, 0
                                        ; implicit-def: $sgpr23
	s_inst_prefetch 0x1
	s_branch .LBB144_145
	.p2align	6
.LBB144_143:                            ;   in Loop: Header=BB144_145 Depth=2
	s_or_b32 exec_lo, exec_lo, s6
	s_waitcnt lgkmcnt(0)
	s_barrier
	buffer_gl0_inv
	ds_read_b64 v[4:5], v13 offset:3072
	s_mov_b32 s6, -1
	s_mov_b32 s26, -1
	s_waitcnt lgkmcnt(0)
	s_barrier
	buffer_gl0_inv
	v_cmp_eq_u32_e32 vcc_lo, 0, v4
	s_cbranch_vccnz .LBB144_148
.LBB144_144:                            ;   in Loop: Header=BB144_145 Depth=2
	s_and_b32 s6, exec_lo, s6
	s_or_b32 s21, s6, s21
	s_andn2_b32 s6, s23, exec_lo
	s_and_b32 s23, s26, exec_lo
	s_or_b32 s23, s6, s23
	s_andn2_b32 exec_lo, exec_lo, s21
	s_cbranch_execz .LBB144_149
.LBB144_145:                            ;   Parent Loop BB144_6 Depth=1
                                        ; =>  This Inner Loop Header: Depth=2
	s_mov_b32 s6, exec_lo
	v_cmpx_gt_u64_e64 s[28:29], v[8:9]
	s_cbranch_execz .LBB144_143
; %bb.146:                              ;   in Loop: Header=BB144_145 Depth=2
	global_load_dword v24, v[6:7], off
	s_waitcnt vmcnt(0)
	v_xor_b32_e32 v4, 0x80000000, v24
	v_and_b32_e32 v4, v4, v29
	v_cmp_eq_u32_e32 vcc_lo, v4, v28
	s_and_b32 exec_lo, exec_lo, vcc_lo
	s_cbranch_execz .LBB144_143
; %bb.147:                              ;   in Loop: Header=BB144_145 Depth=2
	ds_write_b64 v13, v[23:24] offset:3072
	s_branch .LBB144_143
.LBB144_148:                            ;   in Loop: Header=BB144_145 Depth=2
	v_add_co_u32 v8, vcc_lo, v8, s33
	v_add_co_ci_u32_e64 v9, null, 0, v9, vcc_lo
	v_add_co_u32 v6, s6, v6, s34
	v_add_co_ci_u32_e64 v7, null, s35, v7, s6
	v_cmp_le_u64_e32 vcc_lo, s[18:19], v[8:9]
	s_mov_b32 s26, 0
	s_orn2_b32 s6, vcc_lo, exec_lo
	s_branch .LBB144_144
.LBB144_149:                            ;   in Loop: Header=BB144_6 Depth=1
	s_inst_prefetch 0x2
	s_or_b32 exec_lo, exec_lo, s21
	s_andn2_b32 s6, s22, exec_lo
	s_and_b32 s18, s23, exec_lo
	s_or_b32 s22, s6, s18
.LBB144_150:                            ;   in Loop: Header=BB144_6 Depth=1
	s_or_b32 exec_lo, exec_lo, s20
	s_mov_b32 s67, 0
	s_mov_b32 s68, -1
.LBB144_151:                            ;   in Loop: Header=BB144_6 Depth=1
	s_orn2_b32 s6, s22, exec_lo
.LBB144_152:                            ;   in Loop: Header=BB144_6 Depth=1
	s_or_b32 exec_lo, exec_lo, s69
	s_mov_b32 s18, 0
	s_and_saveexec_b32 s69, s6
	s_cbranch_execz .LBB144_261
; %bb.153:                              ;   in Loop: Header=BB144_6 Depth=1
	v_mov_b32_e32 v6, 1
	v_mov_b32_e32 v7, 0
	;; [unrolled: 1-line block ×3, first 2 shown]
	s_xor_b32 s19, s70, -1
	s_and_saveexec_b32 s6, s19
	s_cbranch_execz .LBB144_162
; %bb.154:                              ;   in Loop: Header=BB144_6 Depth=1
	s_mov_b32 s18, exec_lo
	v_cmpx_ge_u64_e64 s[12:13], v[2:3]
	s_xor_b32 s18, exec_lo, s18
	s_cbranch_execz .LBB144_159
; %bb.155:                              ;   in Loop: Header=BB144_6 Depth=1
	ds_read_b64 v[6:7], v13 offset:5120
	s_lshl_b32 s19, 1, s93
	v_or_b32_e32 v29, s9, v29
	v_and_or_b32 v28, v28, s24, s19
	s_waitcnt lgkmcnt(0)
	v_cmp_ne_u64_e32 vcc_lo, 0, v[6:7]
	s_cbranch_vccnz .LBB144_159
; %bb.156:                              ;   in Loop: Header=BB144_6 Depth=1
	s_and_saveexec_b32 s19, s3
; %bb.157:                              ;   in Loop: Header=BB144_6 Depth=1
	v_mov_b32_e32 v6, s12
	v_mov_b32_e32 v7, s13
	ds_write_b64 v13, v[6:7] offset:5128
; %bb.158:                              ;   in Loop: Header=BB144_6 Depth=1
	s_or_b32 exec_lo, exec_lo, s19
	s_waitcnt lgkmcnt(0)
	s_barrier
	buffer_gl0_inv
.LBB144_159:                            ;   in Loop: Header=BB144_6 Depth=1
	s_or_saveexec_b32 s18, s18
	v_mov_b32_e32 v12, 8
	s_mov_b32 s19, 0
	s_xor_b32 exec_lo, exec_lo, s18
; %bb.160:                              ;   in Loop: Header=BB144_6 Depth=1
	v_sub_co_u32 v2, vcc_lo, v2, s12
	v_subrev_co_ci_u32_e64 v3, null, s13, v3, vcc_lo
	v_mov_b32_e32 v12, 0
	s_mov_b32 s19, exec_lo
; %bb.161:                              ;   in Loop: Header=BB144_6 Depth=1
	s_or_b32 exec_lo, exec_lo, s18
	v_mov_b32_e32 v7, v3
	v_mov_b32_e32 v6, v2
	s_and_b32 s18, s19, exec_lo
.LBB144_162:                            ;   in Loop: Header=BB144_6 Depth=1
	s_or_b32 exec_lo, exec_lo, s6
	s_mov_b32 s6, -1
                                        ; implicit-def: $sgpr71
                                        ; implicit-def: $sgpr72
	s_and_saveexec_b32 s70, s18
	s_cbranch_execz .LBB144_260
; %bb.163:                              ;   in Loop: Header=BB144_6 Depth=1
	v_cmp_eq_u64_e32 vcc_lo, 1, v[6:7]
	s_cmp_eq_u64 s[14:15], 1
                                        ; implicit-def: $sgpr72
                                        ; implicit-def: $sgpr71
	s_cselect_b32 s6, -1, 0
	s_and_b32 s74, s6, vcc_lo
	s_mov_b32 s6, -1
	s_and_saveexec_b32 s73, s74
	s_cbranch_execz .LBB144_197
; %bb.164:                              ;   in Loop: Header=BB144_6 Depth=1
	ds_read_b64 v[2:3], v13 offset:5120
	s_waitcnt lgkmcnt(0)
	s_barrier
	buffer_gl0_inv
	v_readfirstlane_b32 s18, v2
	v_readfirstlane_b32 s19, v3
	s_and_saveexec_b32 s6, s8
; %bb.165:                              ;   in Loop: Header=BB144_6 Depth=1
	ds_write_b32 v32, v13
; %bb.166:                              ;   in Loop: Header=BB144_6 Depth=1
	s_or_b32 exec_lo, exec_lo, s6
	s_lshl_b32 s6, 2, s93
	v_or_b32_e32 v29, s9, v29
	v_and_or_b32 v28, v28, s24, s6
	s_mov_b32 s71, -1
	s_mov_b32 s72, 0
	s_cmp_eq_u64 s[18:19], 0
	s_mov_b32 s22, 0
	s_mov_b32 s6, -1
	s_waitcnt lgkmcnt(0)
	s_barrier
	buffer_gl0_inv
                                        ; implicit-def: $vgpr5
	s_cbranch_scc1 .LBB144_182
; %bb.167:                              ;   in Loop: Header=BB144_6 Depth=1
	s_add_u32 s6, s18, s80
	s_addc_u32 s21, s19, s81
	s_mov_b32 s20, s27
	s_cmp_lg_u64 s[20:21], 0
	s_cbranch_scc0 .LBB144_214
; %bb.168:                              ;   in Loop: Header=BB144_6 Depth=1
	v_cvt_f32_u32_e32 v2, s33
	s_sub_u32 s23, 0, s33
	s_subb_u32 s26, 0, 0
	v_fmac_f32_e64 v2, 0x4f800000, 0
	v_rcp_f32_e32 v2, v2
	v_mul_f32_e32 v2, 0x5f7ffffc, v2
	v_mul_f32_e32 v3, 0x2f800000, v2
	v_trunc_f32_e32 v3, v3
	v_fmac_f32_e32 v2, 0xcf800000, v3
	v_cvt_u32_f32_e32 v3, v3
	v_cvt_u32_f32_e32 v2, v2
	v_readfirstlane_b32 s20, v3
	v_readfirstlane_b32 s22, v2
	s_mul_i32 s44, s23, s20
	s_mul_hi_u32 s54, s23, s22
	s_mul_i32 s45, s26, s22
	s_add_i32 s44, s54, s44
	s_mul_i32 s75, s23, s22
	s_add_i32 s44, s44, s45
	s_mul_hi_u32 s54, s22, s75
	s_mul_i32 vcc_lo, s22, s44
	s_mul_hi_u32 s104, s20, s75
	s_mul_i32 s45, s20, s75
	s_mul_hi_u32 s75, s22, s44
	s_add_u32 s54, s54, vcc_lo
	s_addc_u32 s75, 0, s75
	s_mul_hi_u32 vcc_hi, s20, s44
	s_add_u32 s45, s54, s45
	s_mul_i32 s44, s20, s44
	s_addc_u32 s45, s75, s104
	s_addc_u32 s54, vcc_hi, 0
	s_add_u32 s44, s45, s44
	s_addc_u32 s45, 0, s54
	s_add_u32 s22, s22, s44
	s_cselect_b32 s44, -1, 0
	s_mul_hi_u32 s54, s23, s22
	s_cmp_lg_u32 s44, 0
	s_mul_i32 s44, s23, s22
	s_addc_u32 s20, s20, s45
	s_mul_i32 s26, s26, s22
	s_mul_i32 s23, s23, s20
	s_mul_hi_u32 s45, s22, s44
	s_add_i32 s23, s54, s23
	s_mul_hi_u32 s54, s20, s44
	s_add_i32 s23, s23, s26
	s_mul_i32 s26, s20, s44
	s_mul_i32 s104, s22, s23
	s_mul_hi_u32 s75, s22, s23
	s_add_u32 s45, s45, s104
	s_addc_u32 s75, 0, s75
	s_mul_hi_u32 s44, s20, s23
	s_add_u32 s26, s45, s26
	s_mul_i32 s23, s20, s23
	s_addc_u32 s26, s75, s54
	s_addc_u32 s44, s44, 0
	s_add_u32 s23, s26, s23
	s_addc_u32 s26, 0, s44
	s_add_u32 s22, s22, s23
	s_cselect_b32 s23, -1, 0
	s_mul_hi_u32 s44, s6, s22
	s_cmp_lg_u32 s23, 0
	s_mul_hi_u32 s23, s21, s22
	s_addc_u32 s20, s20, s26
	s_mul_i32 s22, s21, s22
	s_mul_i32 s45, s6, s20
	s_mul_hi_u32 s26, s6, s20
	s_add_u32 s44, s44, s45
	s_addc_u32 s26, 0, s26
	s_mul_hi_u32 s54, s21, s20
	s_add_u32 s22, s44, s22
	s_mul_i32 s20, s21, s20
	s_addc_u32 s22, s26, s23
	s_addc_u32 s23, s54, 0
	s_add_u32 s20, s22, s20
	s_addc_u32 s22, 0, s23
	s_mul_hi_u32 s23, s33, s20
	s_mul_i32 s22, s33, s22
	s_mul_i32 s20, s33, s20
	s_add_i32 s23, s23, s22
	s_sub_u32 s20, s6, s20
	s_cselect_b32 s22, -1, 0
	s_cmp_lg_u32 s22, 0
	s_subb_u32 s22, s21, s23
	s_sub_u32 s23, s20, s33
	s_cselect_b32 s26, -1, 0
	s_cmp_lg_u32 s26, 0
	s_subb_u32 s26, s22, 0
	;; [unrolled: 4-line block ×3, first 2 shown]
	s_cmp_ge_u32 s23, s33
	s_cselect_b32 s54, -1, 0
	s_cmp_eq_u32 s26, 0
	s_cselect_b32 s54, s54, -1
	s_cmp_lg_u32 s54, 0
	s_cselect_b32 s26, s45, s26
	s_cselect_b32 s44, s44, s23
	s_cmp_ge_u32 s20, s33
	s_cselect_b32 s23, -1, 0
	s_cmp_eq_u32 s22, 0
	s_cselect_b32 s23, s23, -1
	s_cmp_lg_u32 s23, 0
	s_cselect_b32 s23, s26, s22
	s_cselect_b32 s22, s44, s20
	s_cbranch_execnz .LBB144_170
.LBB144_169:                            ;   in Loop: Header=BB144_6 Depth=1
	v_cvt_f32_u32_e32 v2, s33
	s_sub_i32 s22, 0, s33
	v_rcp_iflag_f32_e32 v2, v2
	v_mul_f32_e32 v2, 0x4f7ffffe, v2
	v_cvt_u32_f32_e32 v2, v2
	v_readfirstlane_b32 s20, v2
	s_mul_i32 s22, s22, s20
	s_mul_hi_u32 s22, s20, s22
	s_add_i32 s20, s20, s22
	s_mul_hi_u32 s20, s6, s20
	s_mul_i32 s20, s20, s33
	s_sub_i32 s20, s6, s20
	s_sub_i32 s22, s20, s33
	s_cmp_ge_u32 s20, s33
	s_cselect_b32 s20, s22, s20
	s_sub_i32 s22, s20, s33
	s_cmp_ge_u32 s20, s33
	s_cselect_b32 s26, s22, s20
	s_mov_b64 s[22:23], s[26:27]
.LBB144_170:                            ;   in Loop: Header=BB144_6 Depth=1
	s_sub_u32 s20, s6, s22
	s_subb_u32 s21, s21, s23
	s_mov_b32 s6, 0
	s_mov_b32 s22, 0
	s_mov_b32 s23, exec_lo
                                        ; implicit-def: $vgpr5
	v_cmpx_gt_u64_e64 s[20:21], v[0:1]
	s_cbranch_execz .LBB144_181
; %bb.171:                              ;   in Loop: Header=BB144_6 Depth=1
	v_mov_b32_e32 v3, v1
	v_mov_b32_e32 v8, v14
	;; [unrolled: 1-line block ×3, first 2 shown]
                                        ; implicit-def: $sgpr26
	s_inst_prefetch 0x1
	s_branch .LBB144_174
	.p2align	6
.LBB144_172:                            ;   in Loop: Header=BB144_174 Depth=2
	s_or_b32 exec_lo, exec_lo, s44
	s_waitcnt lgkmcnt(0)
	s_barrier
	buffer_gl0_inv
	ds_read_b64 v[4:5], v13 offset:3072
	s_mov_b32 s44, -1
	s_mov_b32 s45, -1
	s_waitcnt lgkmcnt(0)
	s_barrier
	buffer_gl0_inv
	v_cmp_ne_u32_e32 vcc_lo, 0, v4
	s_cbranch_vccz .LBB144_177
.LBB144_173:                            ;   in Loop: Header=BB144_174 Depth=2
	s_and_b32 s44, exec_lo, s44
	s_or_b32 s22, s44, s22
	s_andn2_b32 s26, s26, exec_lo
	s_and_b32 s44, s45, exec_lo
	s_or_b32 s26, s26, s44
	s_andn2_b32 exec_lo, exec_lo, s22
	s_cbranch_execz .LBB144_180
.LBB144_174:                            ;   Parent Loop BB144_6 Depth=1
                                        ; =>  This Inner Loop Header: Depth=2
	s_mov_b32 s44, exec_lo
	v_cmpx_gt_u64_e64 s[18:19], v[2:3]
	s_cbranch_execz .LBB144_172
; %bb.175:                              ;   in Loop: Header=BB144_174 Depth=2
	ds_read_b32 v24, v8
	s_waitcnt lgkmcnt(0)
	v_xor_b32_e32 v4, 0x80000000, v24
	v_and_b32_e32 v4, v4, v29
	v_cmp_eq_u32_e32 vcc_lo, v4, v28
	s_and_b32 exec_lo, exec_lo, vcc_lo
	s_cbranch_execz .LBB144_172
; %bb.176:                              ;   in Loop: Header=BB144_174 Depth=2
	ds_write_b64 v13, v[23:24] offset:3072
	s_branch .LBB144_172
.LBB144_177:                            ;   in Loop: Header=BB144_174 Depth=2
	v_add_co_u32 v2, vcc_lo, v2, s33
	v_add_co_ci_u32_e64 v3, null, 0, v3, vcc_lo
	v_add_nc_u32_e32 v8, s86, v8
	s_mov_b32 s45, 0
	v_cmp_le_u64_e32 vcc_lo, s[20:21], v[2:3]
	s_orn2_b32 s44, vcc_lo, exec_lo
	s_branch .LBB144_173
.LBB144_178:                            ;   in Loop: Header=BB144_6 Depth=1
                                        ; implicit-def: $sgpr22_sgpr23
	s_branch .LBB144_124
.LBB144_179:                            ;   in Loop: Header=BB144_6 Depth=1
                                        ; implicit-def: $sgpr18_sgpr19
	s_branch .LBB144_140
.LBB144_180:                            ;   in Loop: Header=BB144_6 Depth=1
	s_inst_prefetch 0x2
	s_or_b32 exec_lo, exec_lo, s22
	s_and_b32 s22, s26, exec_lo
.LBB144_181:                            ;   in Loop: Header=BB144_6 Depth=1
	s_or_b32 exec_lo, exec_lo, s23
.LBB144_182:                            ;   in Loop: Header=BB144_6 Depth=1
	s_and_b32 vcc_lo, exec_lo, s6
	s_cbranch_vccz .LBB144_196
; %bb.183:                              ;   in Loop: Header=BB144_6 Depth=1
	s_mov_b32 s54, s27
	s_cmp_lg_u64 s[54:55], 0
	s_cbranch_scc0 .LBB144_215
; %bb.184:                              ;   in Loop: Header=BB144_6 Depth=1
	v_cvt_f32_u32_e32 v2, s33
	s_sub_u32 s19, 0, s33
	s_subb_u32 s20, 0, 0
	v_fmac_f32_e64 v2, 0x4f800000, 0
	v_rcp_f32_e32 v2, v2
	v_mul_f32_e32 v2, 0x5f7ffffc, v2
	v_mul_f32_e32 v3, 0x2f800000, v2
	v_trunc_f32_e32 v3, v3
	v_fmac_f32_e32 v2, 0xcf800000, v3
	v_cvt_u32_f32_e32 v3, v3
	v_cvt_u32_f32_e32 v2, v2
	v_readfirstlane_b32 s6, v3
	v_readfirstlane_b32 s18, v2
	s_mul_i32 s21, s19, s6
	s_mul_hi_u32 s26, s19, s18
	s_mul_i32 s23, s20, s18
	s_add_i32 s21, s26, s21
	s_mul_i32 s44, s19, s18
	s_add_i32 s21, s21, s23
	s_mul_hi_u32 s26, s18, s44
	s_mul_i32 s54, s18, s21
	s_mul_hi_u32 s45, s6, s44
	s_mul_i32 s23, s6, s44
	s_mul_hi_u32 s44, s18, s21
	s_add_u32 s26, s26, s54
	s_addc_u32 s44, 0, s44
	s_mul_hi_u32 s71, s6, s21
	s_add_u32 s23, s26, s23
	s_mul_i32 s21, s6, s21
	s_addc_u32 s23, s44, s45
	s_addc_u32 s26, s71, 0
	s_add_u32 s21, s23, s21
	s_addc_u32 s23, 0, s26
	s_add_u32 s18, s18, s21
	s_cselect_b32 s21, -1, 0
	s_mul_hi_u32 s26, s19, s18
	s_cmp_lg_u32 s21, 0
	s_mul_i32 s21, s19, s18
	s_addc_u32 s6, s6, s23
	s_mul_i32 s20, s20, s18
	s_mul_i32 s19, s19, s6
	s_mul_hi_u32 s23, s18, s21
	s_add_i32 s19, s26, s19
	s_mul_hi_u32 s26, s6, s21
	s_add_i32 s19, s19, s20
	s_mul_i32 s20, s6, s21
	s_mul_i32 s45, s18, s19
	s_mul_hi_u32 s44, s18, s19
	s_add_u32 s23, s23, s45
	s_addc_u32 s44, 0, s44
	s_mul_hi_u32 s21, s6, s19
	s_add_u32 s20, s23, s20
	s_mul_i32 s19, s6, s19
	s_addc_u32 s20, s44, s26
	s_addc_u32 s21, s21, 0
	s_add_u32 s19, s20, s19
	s_addc_u32 s20, 0, s21
	s_add_u32 s18, s18, s19
	s_cselect_b32 s19, -1, 0
	s_mul_hi_u32 s21, s82, s18
	s_cmp_lg_u32 s19, 0
	s_mul_hi_u32 s19, s55, s18
	s_addc_u32 s6, s6, s20
	s_mul_i32 s18, s55, s18
	s_mul_i32 s23, s82, s6
	s_mul_hi_u32 s20, s82, s6
	s_add_u32 s21, s21, s23
	s_addc_u32 s20, 0, s20
	s_mul_hi_u32 s26, s55, s6
	s_add_u32 s18, s21, s18
	s_mul_i32 s6, s55, s6
	s_addc_u32 s18, s20, s19
	s_addc_u32 s19, s26, 0
	s_add_u32 s6, s18, s6
	s_addc_u32 s18, 0, s19
	s_mul_hi_u32 s19, s33, s6
	s_mul_i32 s18, s33, s18
	s_mul_i32 s6, s33, s6
	s_add_i32 s19, s19, s18
	s_sub_u32 s6, s82, s6
	s_cselect_b32 s18, -1, 0
	s_cmp_lg_u32 s18, 0
	s_subb_u32 s18, s55, s19
	s_sub_u32 s19, s6, s33
	s_cselect_b32 s20, -1, 0
	s_cmp_lg_u32 s20, 0
	s_subb_u32 s20, s18, 0
	;; [unrolled: 4-line block ×3, first 2 shown]
	s_cmp_ge_u32 s19, s33
	s_cselect_b32 s26, -1, 0
	s_cmp_eq_u32 s20, 0
	s_cselect_b32 s26, s26, -1
	s_cmp_lg_u32 s26, 0
	s_cselect_b32 s20, s23, s20
	s_cselect_b32 s21, s21, s19
	s_cmp_ge_u32 s6, s33
	s_cselect_b32 s19, -1, 0
	s_cmp_eq_u32 s18, 0
	s_cselect_b32 s19, s19, -1
	s_cmp_lg_u32 s19, 0
	s_cselect_b32 s19, s20, s18
	s_cselect_b32 s18, s21, s6
	s_cbranch_execnz .LBB144_186
.LBB144_185:                            ;   in Loop: Header=BB144_6 Depth=1
	v_cvt_f32_u32_e32 v2, s33
	s_sub_i32 s18, 0, s33
	v_rcp_iflag_f32_e32 v2, v2
	v_mul_f32_e32 v2, 0x4f7ffffe, v2
	v_cvt_u32_f32_e32 v2, v2
	v_readfirstlane_b32 s6, v2
	s_mul_i32 s18, s18, s6
	s_mul_hi_u32 s18, s6, s18
	s_add_i32 s6, s6, s18
	s_mul_hi_u32 s6, s82, s6
	s_mul_i32 s6, s6, s33
	s_sub_i32 s6, s82, s6
	s_sub_i32 s18, s6, s33
	s_cmp_ge_u32 s6, s33
	s_cselect_b32 s6, s18, s6
	s_sub_i32 s18, s6, s33
	s_cmp_ge_u32 s6, s33
	s_cselect_b32 s26, s18, s6
	s_mov_b64 s[18:19], s[26:27]
.LBB144_186:                            ;   in Loop: Header=BB144_6 Depth=1
	s_sub_u32 s18, s82, s18
	s_subb_u32 s19, s55, s19
	s_mov_b32 s20, exec_lo
                                        ; implicit-def: $vgpr5
	v_cmpx_gt_u64_e64 s[18:19], v[0:1]
	s_cbranch_execz .LBB144_195
; %bb.187:                              ;   in Loop: Header=BB144_6 Depth=1
	v_mov_b32_e32 v2, v10
	v_mov_b32_e32 v9, v1
	;; [unrolled: 1-line block ×4, first 2 shown]
	s_mov_b32 s21, 0
                                        ; implicit-def: $sgpr23
	s_inst_prefetch 0x1
	s_branch .LBB144_190
	.p2align	6
.LBB144_188:                            ;   in Loop: Header=BB144_190 Depth=2
	s_or_b32 exec_lo, exec_lo, s6
	s_waitcnt lgkmcnt(0)
	s_barrier
	buffer_gl0_inv
	ds_read_b64 v[4:5], v13 offset:3072
	s_mov_b32 s6, -1
	s_mov_b32 s26, -1
	s_waitcnt lgkmcnt(0)
	s_barrier
	buffer_gl0_inv
	v_cmp_eq_u32_e32 vcc_lo, 0, v4
	s_cbranch_vccnz .LBB144_193
.LBB144_189:                            ;   in Loop: Header=BB144_190 Depth=2
	s_and_b32 s6, exec_lo, s6
	s_or_b32 s21, s6, s21
	s_andn2_b32 s6, s23, exec_lo
	s_and_b32 s23, s26, exec_lo
	s_or_b32 s23, s6, s23
	s_andn2_b32 exec_lo, exec_lo, s21
	s_cbranch_execz .LBB144_194
.LBB144_190:                            ;   Parent Loop BB144_6 Depth=1
                                        ; =>  This Inner Loop Header: Depth=2
	s_mov_b32 s6, exec_lo
	v_cmpx_gt_u64_e64 s[28:29], v[8:9]
	s_cbranch_execz .LBB144_188
; %bb.191:                              ;   in Loop: Header=BB144_190 Depth=2
	global_load_dword v24, v[2:3], off
	s_waitcnt vmcnt(0)
	v_xor_b32_e32 v4, 0x80000000, v24
	v_and_b32_e32 v4, v4, v29
	v_cmp_eq_u32_e32 vcc_lo, v4, v28
	s_and_b32 exec_lo, exec_lo, vcc_lo
	s_cbranch_execz .LBB144_188
; %bb.192:                              ;   in Loop: Header=BB144_190 Depth=2
	ds_write_b64 v13, v[23:24] offset:3072
	s_branch .LBB144_188
.LBB144_193:                            ;   in Loop: Header=BB144_190 Depth=2
	v_add_co_u32 v8, vcc_lo, v8, s33
	v_add_co_ci_u32_e64 v9, null, 0, v9, vcc_lo
	v_add_co_u32 v2, s6, v2, s34
	v_add_co_ci_u32_e64 v3, null, s35, v3, s6
	v_cmp_le_u64_e32 vcc_lo, s[18:19], v[8:9]
	s_mov_b32 s26, 0
	s_orn2_b32 s6, vcc_lo, exec_lo
	s_branch .LBB144_189
.LBB144_194:                            ;   in Loop: Header=BB144_6 Depth=1
	s_inst_prefetch 0x2
	s_or_b32 exec_lo, exec_lo, s21
	s_andn2_b32 s6, s22, exec_lo
	s_and_b32 s18, s23, exec_lo
	s_or_b32 s22, s6, s18
.LBB144_195:                            ;   in Loop: Header=BB144_6 Depth=1
	s_or_b32 exec_lo, exec_lo, s20
	s_mov_b32 s71, 0
	s_mov_b32 s72, -1
.LBB144_196:                            ;   in Loop: Header=BB144_6 Depth=1
	s_orn2_b32 s6, s22, exec_lo
.LBB144_197:                            ;   in Loop: Header=BB144_6 Depth=1
	s_or_b32 exec_lo, exec_lo, s73
	s_mov_b32 s18, 0
	s_and_saveexec_b32 s73, s6
	s_cbranch_execz .LBB144_259
; %bb.198:                              ;   in Loop: Header=BB144_6 Depth=1
	v_mov_b32_e32 v2, 1
	v_mov_b32_e32 v3, 0
	;; [unrolled: 1-line block ×3, first 2 shown]
	s_xor_b32 s18, s74, -1
	s_mov_b32 s19, 0
	s_and_saveexec_b32 s6, s18
	s_cbranch_execz .LBB144_207
; %bb.199:                              ;   in Loop: Header=BB144_6 Depth=1
	s_mov_b32 s18, exec_lo
	v_cmpx_ge_u64_e64 s[14:15], v[6:7]
	s_xor_b32 s18, exec_lo, s18
	s_cbranch_execz .LBB144_204
; %bb.200:                              ;   in Loop: Header=BB144_6 Depth=1
	ds_read_b64 v[2:3], v13 offset:5120
	s_lshl_b32 s19, 2, s93
	v_or_b32_e32 v29, s9, v29
	v_and_or_b32 v28, v28, s24, s19
	s_waitcnt lgkmcnt(0)
	v_cmp_ne_u64_e32 vcc_lo, 0, v[2:3]
	s_cbranch_vccnz .LBB144_204
; %bb.201:                              ;   in Loop: Header=BB144_6 Depth=1
	s_and_saveexec_b32 s19, s3
; %bb.202:                              ;   in Loop: Header=BB144_6 Depth=1
	v_mov_b32_e32 v2, s14
	v_mov_b32_e32 v3, s15
	ds_write_b64 v13, v[2:3] offset:5128
; %bb.203:                              ;   in Loop: Header=BB144_6 Depth=1
	s_or_b32 exec_lo, exec_lo, s19
	s_waitcnt lgkmcnt(0)
	s_barrier
	buffer_gl0_inv
.LBB144_204:                            ;   in Loop: Header=BB144_6 Depth=1
	s_or_saveexec_b32 s18, s18
	v_mov_b32_e32 v12, 8
	s_mov_b32 s19, 0
	s_xor_b32 exec_lo, exec_lo, s18
; %bb.205:                              ;   in Loop: Header=BB144_6 Depth=1
	v_sub_co_u32 v6, vcc_lo, v6, s14
	v_subrev_co_ci_u32_e64 v7, null, s15, v7, vcc_lo
	v_mov_b32_e32 v12, 0
	s_mov_b32 s19, exec_lo
; %bb.206:                              ;   in Loop: Header=BB144_6 Depth=1
	s_or_b32 exec_lo, exec_lo, s18
	v_mov_b32_e32 v2, v6
	v_mov_b32_e32 v3, v7
	s_and_b32 s19, s19, exec_lo
.LBB144_207:                            ;   in Loop: Header=BB144_6 Depth=1
	s_or_b32 exec_lo, exec_lo, s6
	s_mov_b32 s18, -1
                                        ; implicit-def: $sgpr54
                                        ; implicit-def: $sgpr6
	s_and_saveexec_b32 s74, s19
	s_cbranch_execz .LBB144_258
; %bb.208:                              ;   in Loop: Header=BB144_6 Depth=1
	v_cmp_eq_u64_e32 vcc_lo, 1, v[2:3]
	s_cmp_eq_u64 s[16:17], 1
	s_mov_b32 s19, -1
	s_cselect_b32 s6, -1, 0
                                        ; implicit-def: $sgpr54
	s_and_b32 s75, s6, vcc_lo
                                        ; implicit-def: $sgpr6
	s_and_saveexec_b32 s104, s75
	s_cbranch_execz .LBB144_246
; %bb.209:                              ;   in Loop: Header=BB144_6 Depth=1
	ds_read_b64 v[4:5], v13 offset:5120
	s_waitcnt lgkmcnt(0)
	s_barrier
	buffer_gl0_inv
	v_readfirstlane_b32 s18, v4
	v_readfirstlane_b32 s19, v5
	s_and_saveexec_b32 s6, s8
; %bb.210:                              ;   in Loop: Header=BB144_6 Depth=1
	ds_write_b32 v32, v13
; %bb.211:                              ;   in Loop: Header=BB144_6 Depth=1
	s_or_b32 exec_lo, exec_lo, s6
	v_or_b32_e32 v28, s9, v28
	v_or_b32_e32 v29, s9, v29
	s_mov_b32 s6, -1
	s_mov_b32 s54, 0
	s_cmp_eq_u64 s[18:19], 0
	s_mov_b32 s22, 0
	s_mov_b32 s23, -1
	s_waitcnt lgkmcnt(0)
	s_barrier
	buffer_gl0_inv
                                        ; implicit-def: $vgpr5
	s_cbranch_scc1 .LBB144_229
; %bb.212:                              ;   in Loop: Header=BB144_6 Depth=1
	s_add_u32 s44, s18, s80
	s_addc_u32 s21, s19, s81
	s_mov_b32 s20, s27
	s_cmp_lg_u64 s[20:21], 0
	s_cbranch_scc0 .LBB144_216
; %bb.213:                              ;   in Loop: Header=BB144_6 Depth=1
	v_cvt_f32_u32_e32 v4, s33
	s_sub_u32 s23, 0, s33
	s_subb_u32 s26, 0, 0
	v_fmac_f32_e64 v4, 0x4f800000, 0
	v_rcp_f32_e32 v4, v4
	v_mul_f32_e32 v4, 0x5f7ffffc, v4
	v_mul_f32_e32 v5, 0x2f800000, v4
	v_trunc_f32_e32 v5, v5
	v_fmac_f32_e32 v4, 0xcf800000, v5
	v_cvt_u32_f32_e32 v5, v5
	v_cvt_u32_f32_e32 v4, v4
	v_readfirstlane_b32 s20, v5
	v_readfirstlane_b32 s22, v4
	s_mul_i32 s45, s23, s20
	s_mul_hi_u32 vcc_hi, s23, s22
	s_mul_i32 vcc_lo, s26, s22
	s_add_i32 s45, vcc_hi, s45
	s_mul_i32 s48, s23, s22
	s_add_i32 s45, s45, vcc_lo
	s_mul_hi_u32 s49, s22, s48
	s_mul_i32 s46, s22, s45
	s_mul_hi_u32 vcc_lo, s22, s45
	s_mul_hi_u32 vcc_hi, s20, s48
	s_mul_i32 s48, s20, s48
	s_add_u32 s46, s49, s46
	s_addc_u32 s49, 0, vcc_lo
	s_mul_hi_u32 s47, s20, s45
	s_add_u32 s46, s46, s48
	s_mul_i32 s45, s20, s45
	s_addc_u32 s46, s49, vcc_hi
	s_addc_u32 s47, s47, 0
	s_add_u32 s45, s46, s45
	s_addc_u32 s46, 0, s47
	s_add_u32 s22, s22, s45
	s_cselect_b32 s45, -1, 0
	s_mul_hi_u32 s47, s23, s22
	s_cmp_lg_u32 s45, 0
	s_mul_i32 s45, s23, s22
	s_addc_u32 s20, s20, s46
	s_mul_i32 s26, s26, s22
	s_mul_i32 s23, s23, s20
	s_mul_hi_u32 s46, s22, s45
	s_add_i32 s23, s47, s23
	s_mul_hi_u32 s47, s20, s45
	s_add_i32 s23, s23, s26
	s_mul_i32 s26, s20, s45
	s_mul_i32 s49, s22, s23
	s_mul_hi_u32 s48, s22, s23
	s_add_u32 s46, s46, s49
	s_addc_u32 s48, 0, s48
	s_mul_hi_u32 s45, s20, s23
	s_add_u32 s26, s46, s26
	s_mul_i32 s23, s20, s23
	s_addc_u32 s26, s48, s47
	s_addc_u32 s45, s45, 0
	s_add_u32 s23, s26, s23
	s_addc_u32 s26, 0, s45
	s_add_u32 s22, s22, s23
	s_cselect_b32 s23, -1, 0
	s_mul_hi_u32 s45, s44, s22
	s_cmp_lg_u32 s23, 0
	s_mul_hi_u32 s23, s21, s22
	s_addc_u32 s20, s20, s26
	s_mul_i32 s22, s21, s22
	s_mul_i32 s46, s44, s20
	s_mul_hi_u32 s26, s44, s20
	s_add_u32 s45, s45, s46
	s_addc_u32 s26, 0, s26
	s_mul_hi_u32 s47, s21, s20
	s_add_u32 s22, s45, s22
	s_mul_i32 s20, s21, s20
	s_addc_u32 s22, s26, s23
	s_addc_u32 s23, s47, 0
	s_add_u32 s20, s22, s20
	s_addc_u32 s22, 0, s23
	s_mul_hi_u32 s23, s33, s20
	s_mul_i32 s22, s33, s22
	s_mul_i32 s20, s33, s20
	s_add_i32 s23, s23, s22
	s_sub_u32 s20, s44, s20
	s_cselect_b32 s22, -1, 0
	s_cmp_lg_u32 s22, 0
	s_subb_u32 s22, s21, s23
	s_sub_u32 s23, s20, s33
	s_cselect_b32 s26, -1, 0
	s_cmp_lg_u32 s26, 0
	s_subb_u32 s26, s22, 0
	;; [unrolled: 4-line block ×3, first 2 shown]
	s_cmp_ge_u32 s23, s33
	s_cselect_b32 s47, -1, 0
	s_cmp_eq_u32 s26, 0
	s_cselect_b32 s47, s47, -1
	s_cmp_lg_u32 s47, 0
	s_cselect_b32 s26, s46, s26
	s_cselect_b32 s45, s45, s23
	s_cmp_ge_u32 s20, s33
	s_cselect_b32 s23, -1, 0
	s_cmp_eq_u32 s22, 0
	s_cselect_b32 s23, s23, -1
	s_cmp_lg_u32 s23, 0
	s_cselect_b32 s23, s26, s22
	s_cselect_b32 s22, s45, s20
	s_mov_b32 s20, 0
	s_branch .LBB144_217
.LBB144_214:                            ;   in Loop: Header=BB144_6 Depth=1
                                        ; implicit-def: $sgpr22_sgpr23
	s_branch .LBB144_169
.LBB144_215:                            ;   in Loop: Header=BB144_6 Depth=1
                                        ; implicit-def: $sgpr18_sgpr19
	s_branch .LBB144_185
.LBB144_216:                            ;   in Loop: Header=BB144_6 Depth=1
	s_mov_b32 s20, -1
                                        ; implicit-def: $sgpr22_sgpr23
.LBB144_217:                            ;   in Loop: Header=BB144_6 Depth=1
	s_andn2_b32 vcc_lo, exec_lo, s20
	s_cbranch_vccnz .LBB144_219
; %bb.218:                              ;   in Loop: Header=BB144_6 Depth=1
	v_cvt_f32_u32_e32 v4, s33
	s_sub_i32 s22, 0, s33
	v_rcp_iflag_f32_e32 v4, v4
	v_mul_f32_e32 v4, 0x4f7ffffe, v4
	v_cvt_u32_f32_e32 v4, v4
	v_readfirstlane_b32 s20, v4
	s_mul_i32 s22, s22, s20
	s_mul_hi_u32 s22, s20, s22
	s_add_i32 s20, s20, s22
	s_mul_hi_u32 s20, s44, s20
	s_mul_i32 s20, s20, s33
	s_sub_i32 s20, s44, s20
	s_sub_i32 s22, s20, s33
	s_cmp_ge_u32 s20, s33
	s_cselect_b32 s20, s22, s20
	s_sub_i32 s22, s20, s33
	s_cmp_ge_u32 s20, s33
	s_cselect_b32 s26, s22, s20
	s_mov_b64 s[22:23], s[26:27]
.LBB144_219:                            ;   in Loop: Header=BB144_6 Depth=1
	s_sub_u32 s20, s44, s22
	s_subb_u32 s21, s21, s23
	s_mov_b32 s23, 0
	s_mov_b32 s22, 0
	s_mov_b32 s26, exec_lo
                                        ; implicit-def: $vgpr5
	v_cmpx_gt_u64_e64 s[20:21], v[0:1]
	s_cbranch_execz .LBB144_228
; %bb.220:                              ;   in Loop: Header=BB144_6 Depth=1
	v_mov_b32_e32 v7, v1
	v_mov_b32_e32 v8, v14
	v_mov_b32_e32 v6, v0
                                        ; implicit-def: $sgpr44
	s_inst_prefetch 0x1
	s_branch .LBB144_223
	.p2align	6
.LBB144_221:                            ;   in Loop: Header=BB144_223 Depth=2
	s_or_b32 exec_lo, exec_lo, s45
	s_waitcnt lgkmcnt(0)
	s_barrier
	buffer_gl0_inv
	ds_read_b64 v[4:5], v13 offset:3072
	s_mov_b32 s45, -1
	s_mov_b32 vcc_hi, -1
	s_waitcnt lgkmcnt(0)
	s_barrier
	buffer_gl0_inv
	v_cmp_ne_u32_e32 vcc_lo, 0, v4
	s_cbranch_vccz .LBB144_226
.LBB144_222:                            ;   in Loop: Header=BB144_223 Depth=2
	s_and_b32 s45, exec_lo, s45
	s_or_b32 s22, s45, s22
	s_andn2_b32 s44, s44, exec_lo
	s_and_b32 s45, vcc_hi, exec_lo
	s_or_b32 s44, s44, s45
	s_andn2_b32 exec_lo, exec_lo, s22
	s_cbranch_execz .LBB144_227
.LBB144_223:                            ;   Parent Loop BB144_6 Depth=1
                                        ; =>  This Inner Loop Header: Depth=2
	s_mov_b32 s45, exec_lo
	v_cmpx_gt_u64_e64 s[18:19], v[6:7]
	s_cbranch_execz .LBB144_221
; %bb.224:                              ;   in Loop: Header=BB144_223 Depth=2
	ds_read_b32 v24, v8
	s_waitcnt lgkmcnt(0)
	v_xor_b32_e32 v4, 0x80000000, v24
	v_and_b32_e32 v4, v4, v29
	v_cmp_eq_u32_e32 vcc_lo, v4, v28
	s_and_b32 exec_lo, exec_lo, vcc_lo
	s_cbranch_execz .LBB144_221
; %bb.225:                              ;   in Loop: Header=BB144_223 Depth=2
	ds_write_b64 v13, v[23:24] offset:3072
	s_branch .LBB144_221
.LBB144_226:                            ;   in Loop: Header=BB144_223 Depth=2
	v_add_co_u32 v6, vcc_lo, v6, s33
	v_add_co_ci_u32_e64 v7, null, 0, v7, vcc_lo
	v_add_nc_u32_e32 v8, s86, v8
	s_mov_b32 vcc_hi, 0
	v_cmp_le_u64_e32 vcc_lo, s[20:21], v[6:7]
	s_orn2_b32 s45, vcc_lo, exec_lo
	s_branch .LBB144_222
.LBB144_227:                            ;   in Loop: Header=BB144_6 Depth=1
	s_inst_prefetch 0x2
	s_or_b32 exec_lo, exec_lo, s22
	s_and_b32 s22, s44, exec_lo
.LBB144_228:                            ;   in Loop: Header=BB144_6 Depth=1
	s_or_b32 exec_lo, exec_lo, s26
.LBB144_229:                            ;   in Loop: Header=BB144_6 Depth=1
	s_and_b32 vcc_lo, exec_lo, s23
	s_cbranch_vccz .LBB144_245
; %bb.230:                              ;   in Loop: Header=BB144_6 Depth=1
	s_mov_b32 s54, s27
	s_cmp_lg_u64 s[54:55], 0
	s_cbranch_scc0 .LBB144_232
; %bb.231:                              ;   in Loop: Header=BB144_6 Depth=1
	v_cvt_f32_u32_e32 v4, s33
	s_sub_u32 s19, 0, s33
	s_subb_u32 s20, 0, 0
	v_fmac_f32_e64 v4, 0x4f800000, 0
	v_rcp_f32_e32 v4, v4
	v_mul_f32_e32 v4, 0x5f7ffffc, v4
	v_mul_f32_e32 v5, 0x2f800000, v4
	v_trunc_f32_e32 v5, v5
	v_fmac_f32_e32 v4, 0xcf800000, v5
	v_cvt_u32_f32_e32 v5, v5
	v_cvt_u32_f32_e32 v4, v4
	v_readfirstlane_b32 s6, v5
	v_readfirstlane_b32 s18, v4
	s_mul_i32 s21, s19, s6
	s_mul_hi_u32 s26, s19, s18
	s_mul_i32 s23, s20, s18
	s_add_i32 s21, s26, s21
	s_mul_i32 s44, s19, s18
	s_add_i32 s21, s21, s23
	s_mul_hi_u32 s26, s18, s44
	s_mul_i32 s46, s18, s21
	s_mul_hi_u32 s45, s6, s44
	s_mul_i32 s23, s6, s44
	s_mul_hi_u32 s44, s18, s21
	s_add_u32 s26, s26, s46
	s_addc_u32 s44, 0, s44
	s_mul_hi_u32 s47, s6, s21
	s_add_u32 s23, s26, s23
	s_mul_i32 s21, s6, s21
	s_addc_u32 s23, s44, s45
	s_addc_u32 s26, s47, 0
	s_add_u32 s21, s23, s21
	s_addc_u32 s23, 0, s26
	s_add_u32 s18, s18, s21
	s_cselect_b32 s21, -1, 0
	s_mul_hi_u32 s26, s19, s18
	s_cmp_lg_u32 s21, 0
	s_mul_i32 s21, s19, s18
	s_addc_u32 s6, s6, s23
	s_mul_i32 s20, s20, s18
	s_mul_i32 s19, s19, s6
	s_mul_hi_u32 s23, s18, s21
	s_add_i32 s19, s26, s19
	s_mul_hi_u32 s26, s6, s21
	s_add_i32 s19, s19, s20
	s_mul_i32 s20, s6, s21
	s_mul_i32 s45, s18, s19
	s_mul_hi_u32 s44, s18, s19
	s_add_u32 s23, s23, s45
	s_addc_u32 s44, 0, s44
	s_mul_hi_u32 s21, s6, s19
	s_add_u32 s20, s23, s20
	s_mul_i32 s19, s6, s19
	s_addc_u32 s20, s44, s26
	s_addc_u32 s21, s21, 0
	s_add_u32 s19, s20, s19
	s_addc_u32 s20, 0, s21
	s_add_u32 s18, s18, s19
	s_cselect_b32 s19, -1, 0
	s_mul_hi_u32 s21, s82, s18
	s_cmp_lg_u32 s19, 0
	s_mul_hi_u32 s19, s55, s18
	s_addc_u32 s6, s6, s20
	s_mul_i32 s18, s55, s18
	s_mul_i32 s23, s82, s6
	s_mul_hi_u32 s20, s82, s6
	s_add_u32 s21, s21, s23
	s_addc_u32 s20, 0, s20
	s_mul_hi_u32 s26, s55, s6
	s_add_u32 s18, s21, s18
	s_mul_i32 s6, s55, s6
	s_addc_u32 s18, s20, s19
	s_addc_u32 s19, s26, 0
	s_add_u32 s6, s18, s6
	s_addc_u32 s18, 0, s19
	s_mul_hi_u32 s19, s33, s6
	s_mul_i32 s18, s33, s18
	s_mul_i32 s6, s33, s6
	s_add_i32 s19, s19, s18
	s_sub_u32 s6, s82, s6
	s_cselect_b32 s18, -1, 0
	s_cmp_lg_u32 s18, 0
	s_subb_u32 s18, s55, s19
	s_sub_u32 s19, s6, s33
	s_cselect_b32 s20, -1, 0
	s_cmp_lg_u32 s20, 0
	s_subb_u32 s20, s18, 0
	;; [unrolled: 4-line block ×3, first 2 shown]
	s_cmp_ge_u32 s19, s33
	s_cselect_b32 s26, -1, 0
	s_cmp_eq_u32 s20, 0
	s_cselect_b32 s26, s26, -1
	s_cmp_lg_u32 s26, 0
	s_cselect_b32 s20, s23, s20
	s_cselect_b32 s21, s21, s19
	s_cmp_ge_u32 s6, s33
	s_cselect_b32 s19, -1, 0
	s_cmp_eq_u32 s18, 0
	s_cselect_b32 s19, s19, -1
	s_cmp_lg_u32 s19, 0
	s_cselect_b32 s19, s20, s18
	s_cselect_b32 s18, s21, s6
	s_mov_b32 s6, 0
	s_branch .LBB144_233
.LBB144_232:                            ;   in Loop: Header=BB144_6 Depth=1
	s_mov_b32 s6, -1
                                        ; implicit-def: $sgpr18_sgpr19
.LBB144_233:                            ;   in Loop: Header=BB144_6 Depth=1
	s_andn2_b32 vcc_lo, exec_lo, s6
	s_cbranch_vccnz .LBB144_235
; %bb.234:                              ;   in Loop: Header=BB144_6 Depth=1
	v_cvt_f32_u32_e32 v4, s33
	s_sub_i32 s18, 0, s33
	v_rcp_iflag_f32_e32 v4, v4
	v_mul_f32_e32 v4, 0x4f7ffffe, v4
	v_cvt_u32_f32_e32 v4, v4
	v_readfirstlane_b32 s6, v4
	s_mul_i32 s18, s18, s6
	s_mul_hi_u32 s18, s6, s18
	s_add_i32 s6, s6, s18
	s_mul_hi_u32 s6, s82, s6
	s_mul_i32 s6, s6, s33
	s_sub_i32 s6, s82, s6
	s_sub_i32 s18, s6, s33
	s_cmp_ge_u32 s6, s33
	s_cselect_b32 s6, s18, s6
	s_sub_i32 s18, s6, s33
	s_cmp_ge_u32 s6, s33
	s_cselect_b32 s26, s18, s6
	s_mov_b64 s[18:19], s[26:27]
.LBB144_235:                            ;   in Loop: Header=BB144_6 Depth=1
	s_sub_u32 s18, s82, s18
	s_subb_u32 s19, s55, s19
	s_mov_b32 s20, exec_lo
                                        ; implicit-def: $vgpr5
	v_cmpx_gt_u64_e64 s[18:19], v[0:1]
	s_cbranch_execz .LBB144_244
; %bb.236:                              ;   in Loop: Header=BB144_6 Depth=1
	v_mov_b32_e32 v6, v10
	v_mov_b32_e32 v9, v1
	;; [unrolled: 1-line block ×4, first 2 shown]
	s_mov_b32 s21, 0
                                        ; implicit-def: $sgpr23
	s_inst_prefetch 0x1
	s_branch .LBB144_239
	.p2align	6
.LBB144_237:                            ;   in Loop: Header=BB144_239 Depth=2
	s_or_b32 exec_lo, exec_lo, s6
	s_waitcnt lgkmcnt(0)
	s_barrier
	buffer_gl0_inv
	ds_read_b64 v[4:5], v13 offset:3072
	s_mov_b32 s6, -1
	s_mov_b32 s26, -1
	s_waitcnt lgkmcnt(0)
	s_barrier
	buffer_gl0_inv
	v_cmp_eq_u32_e32 vcc_lo, 0, v4
	s_cbranch_vccnz .LBB144_242
.LBB144_238:                            ;   in Loop: Header=BB144_239 Depth=2
	s_and_b32 s6, exec_lo, s6
	s_or_b32 s21, s6, s21
	s_andn2_b32 s6, s23, exec_lo
	s_and_b32 s23, s26, exec_lo
	s_or_b32 s23, s6, s23
	s_andn2_b32 exec_lo, exec_lo, s21
	s_cbranch_execz .LBB144_243
.LBB144_239:                            ;   Parent Loop BB144_6 Depth=1
                                        ; =>  This Inner Loop Header: Depth=2
	s_mov_b32 s6, exec_lo
	v_cmpx_gt_u64_e64 s[28:29], v[8:9]
	s_cbranch_execz .LBB144_237
; %bb.240:                              ;   in Loop: Header=BB144_239 Depth=2
	global_load_dword v24, v[6:7], off
	s_waitcnt vmcnt(0)
	v_xor_b32_e32 v4, 0x80000000, v24
	v_and_b32_e32 v4, v4, v29
	v_cmp_eq_u32_e32 vcc_lo, v4, v28
	s_and_b32 exec_lo, exec_lo, vcc_lo
	s_cbranch_execz .LBB144_237
; %bb.241:                              ;   in Loop: Header=BB144_239 Depth=2
	ds_write_b64 v13, v[23:24] offset:3072
	s_branch .LBB144_237
.LBB144_242:                            ;   in Loop: Header=BB144_239 Depth=2
	v_add_co_u32 v8, vcc_lo, v8, s33
	v_add_co_ci_u32_e64 v9, null, 0, v9, vcc_lo
	v_add_co_u32 v6, s6, v6, s34
	v_add_co_ci_u32_e64 v7, null, s35, v7, s6
	v_cmp_le_u64_e32 vcc_lo, s[18:19], v[8:9]
	s_mov_b32 s26, 0
	s_orn2_b32 s6, vcc_lo, exec_lo
	s_branch .LBB144_238
.LBB144_243:                            ;   in Loop: Header=BB144_6 Depth=1
	s_inst_prefetch 0x2
	s_or_b32 exec_lo, exec_lo, s21
	s_andn2_b32 s6, s22, exec_lo
	s_and_b32 s18, s23, exec_lo
	s_or_b32 s22, s6, s18
.LBB144_244:                            ;   in Loop: Header=BB144_6 Depth=1
	s_or_b32 exec_lo, exec_lo, s20
	s_mov_b32 s6, 0
	s_mov_b32 s54, -1
.LBB144_245:                            ;   in Loop: Header=BB144_6 Depth=1
	s_orn2_b32 s19, s22, exec_lo
.LBB144_246:                            ;   in Loop: Header=BB144_6 Depth=1
	s_or_b32 exec_lo, exec_lo, s104
	s_mov_b32 s20, 0
	s_and_saveexec_b32 s18, s19
	s_cbranch_execz .LBB144_257
; %bb.247:                              ;   in Loop: Header=BB144_6 Depth=1
	v_mov_b32_e32 v6, 1
	v_mov_b32_e32 v7, 0
	;; [unrolled: 1-line block ×3, first 2 shown]
	s_xor_b32 s20, s75, -1
	s_and_saveexec_b32 s19, s20
	s_cbranch_execz .LBB144_256
; %bb.248:                              ;   in Loop: Header=BB144_6 Depth=1
	s_mov_b32 s20, exec_lo
	v_cmpx_ge_u64_e64 s[16:17], v[2:3]
	s_xor_b32 s20, exec_lo, s20
	s_cbranch_execz .LBB144_253
; %bb.249:                              ;   in Loop: Header=BB144_6 Depth=1
	ds_read_b64 v[6:7], v13 offset:5120
	v_or_b32_e32 v28, s9, v28
	v_or_b32_e32 v29, s9, v29
	s_waitcnt lgkmcnt(0)
	v_cmp_ne_u64_e32 vcc_lo, 0, v[6:7]
	s_cbranch_vccnz .LBB144_253
; %bb.250:                              ;   in Loop: Header=BB144_6 Depth=1
	s_and_saveexec_b32 s21, s3
; %bb.251:                              ;   in Loop: Header=BB144_6 Depth=1
	v_mov_b32_e32 v6, s16
	v_mov_b32_e32 v7, s17
	ds_write_b64 v13, v[6:7] offset:5128
; %bb.252:                              ;   in Loop: Header=BB144_6 Depth=1
	s_or_b32 exec_lo, exec_lo, s21
	s_waitcnt lgkmcnt(0)
	s_barrier
	buffer_gl0_inv
.LBB144_253:                            ;   in Loop: Header=BB144_6 Depth=1
	s_andn2_saveexec_b32 s20, s20
; %bb.254:                              ;   in Loop: Header=BB144_6 Depth=1
	v_sub_co_u32 v2, vcc_lo, v2, s16
	v_subrev_co_ci_u32_e64 v3, null, s17, v3, vcc_lo
; %bb.255:                              ;   in Loop: Header=BB144_6 Depth=1
	s_or_b32 exec_lo, exec_lo, s20
	v_mov_b32_e32 v7, v3
	v_mov_b32_e32 v12, 8
	;; [unrolled: 1-line block ×3, first 2 shown]
.LBB144_256:                            ;   in Loop: Header=BB144_6 Depth=1
	s_or_b32 exec_lo, exec_lo, s19
	v_mov_b32_e32 v2, v6
	v_mov_b32_e32 v3, v7
	s_mov_b32 s20, exec_lo
.LBB144_257:                            ;   in Loop: Header=BB144_6 Depth=1
	s_or_b32 exec_lo, exec_lo, s18
	s_orn2_b32 s18, s20, exec_lo
.LBB144_258:                            ;   in Loop: Header=BB144_6 Depth=1
	s_or_b32 exec_lo, exec_lo, s74
	v_mov_b32_e32 v7, v3
	v_mov_b32_e32 v6, v2
	s_andn2_b32 s19, s72, exec_lo
	s_and_b32 s20, s54, exec_lo
	s_andn2_b32 s21, s71, exec_lo
	s_and_b32 s6, s6, exec_lo
	s_or_b32 s72, s19, s20
	s_or_b32 s71, s21, s6
	s_and_b32 s18, s18, exec_lo
.LBB144_259:                            ;   in Loop: Header=BB144_6 Depth=1
	s_or_b32 exec_lo, exec_lo, s73
	s_orn2_b32 s6, s18, exec_lo
.LBB144_260:                            ;   in Loop: Header=BB144_6 Depth=1
	s_or_b32 exec_lo, exec_lo, s70
	v_mov_b32_e32 v2, v6
	v_mov_b32_e32 v3, v7
	s_andn2_b32 s18, s68, exec_lo
	s_and_b32 s19, s72, exec_lo
	s_andn2_b32 s20, s67, exec_lo
	s_and_b32 s21, s71, exec_lo
	s_or_b32 s68, s18, s19
	s_or_b32 s67, s20, s21
	s_and_b32 s18, s6, exec_lo
.LBB144_261:                            ;   in Loop: Header=BB144_6 Depth=1
	s_or_b32 exec_lo, exec_lo, s69
	s_orn2_b32 s6, s18, exec_lo
.LBB144_262:                            ;   in Loop: Header=BB144_6 Depth=1
	s_or_b32 exec_lo, exec_lo, s66
	s_mov_b32 s18, 0
	s_mov_b32 s19, 0
	s_and_saveexec_b32 s20, s6
	s_xor_b32 s20, exec_lo, s20
; %bb.263:                              ;   in Loop: Header=BB144_6 Depth=1
	v_cmp_ne_u32_e32 vcc_lo, 8, v12
	v_cmp_eq_u32_e64 s6, 8, v12
	s_and_b32 s19, vcc_lo, exec_lo
	s_and_b32 s18, s6, exec_lo
; %bb.264:                              ;   in Loop: Header=BB144_6 Depth=1
	s_or_b32 exec_lo, exec_lo, s20
	s_andn2_b32 s6, s63, exec_lo
	s_and_b32 s20, s68, exec_lo
	s_andn2_b32 s21, s62, exec_lo
	s_and_b32 s22, s67, exec_lo
	s_or_b32 s63, s6, s20
	s_or_b32 s62, s21, s22
	s_and_b32 s22, s19, exec_lo
	s_and_b32 s23, s18, exec_lo
.LBB144_265:                            ;   in Loop: Header=BB144_6 Depth=1
	s_or_b32 exec_lo, exec_lo, s65
.LBB144_266:                            ;   in Loop: Header=BB144_6 Depth=1
	s_and_b32 vcc_lo, exec_lo, s64
	s_cbranch_vccz .LBB144_282
; %bb.267:                              ;   in Loop: Header=BB144_6 Depth=1
	s_cmp_eq_u64 s[16:17], 1
                                        ; implicit-def: $sgpr64
                                        ; implicit-def: $sgpr25
	s_cselect_b32 s6, -1, 0
	s_and_b32 s62, s6, s7
	s_mov_b32 s6, -1
	s_and_saveexec_b32 s63, s62
	s_cbranch_execz .LBB144_300
; %bb.268:                              ;   in Loop: Header=BB144_6 Depth=1
	ds_read_b64 v[2:3], v13 offset:5120
	s_waitcnt lgkmcnt(0)
	s_barrier
	buffer_gl0_inv
	v_readfirstlane_b32 s6, v2
	v_readfirstlane_b32 s7, v3
	s_and_saveexec_b32 s18, s8
; %bb.269:                              ;   in Loop: Header=BB144_6 Depth=1
	ds_write_b32 v32, v13
; %bb.270:                              ;   in Loop: Header=BB144_6 Depth=1
	s_or_b32 exec_lo, exec_lo, s18
	v_or_b32_e32 v17, s9, v17
	v_or_b32_e32 v38, s9, v38
	s_mov_b32 s25, -1
	s_mov_b32 s64, 0
	s_cmp_eq_u64 s[6:7], 0
	s_mov_b32 s20, 0
	s_mov_b32 s21, -1
	s_waitcnt lgkmcnt(0)
	s_barrier
	buffer_gl0_inv
                                        ; implicit-def: $vgpr25
	s_cbranch_scc1 .LBB144_285
; %bb.271:                              ;   in Loop: Header=BB144_6 Depth=1
	s_add_u32 s44, s6, s80
	s_addc_u32 s19, s7, s81
	s_mov_b32 s18, s27
	s_cmp_lg_u64 s[18:19], 0
	s_cbranch_scc0 .LBB144_326
; %bb.272:                              ;   in Loop: Header=BB144_6 Depth=1
	v_cvt_f32_u32_e32 v2, s33
	s_sub_u32 s21, 0, s33
	s_subb_u32 s26, 0, 0
	v_fmac_f32_e64 v2, 0x4f800000, 0
	v_rcp_f32_e32 v2, v2
	v_mul_f32_e32 v2, 0x5f7ffffc, v2
	v_mul_f32_e32 v3, 0x2f800000, v2
	v_trunc_f32_e32 v3, v3
	v_fmac_f32_e32 v2, 0xcf800000, v3
	v_cvt_u32_f32_e32 v3, v3
	v_cvt_u32_f32_e32 v2, v2
	v_readfirstlane_b32 s18, v3
	v_readfirstlane_b32 s20, v2
	s_mul_i32 s45, s21, s18
	s_mul_hi_u32 s65, s21, s20
	s_mul_i32 s54, s26, s20
	s_add_i32 s45, s65, s45
	s_mul_i32 s66, s21, s20
	s_add_i32 s45, s45, s54
	s_mul_hi_u32 s65, s20, s66
	s_mul_i32 s68, s20, s45
	s_mul_hi_u32 s67, s18, s66
	s_mul_i32 s54, s18, s66
	s_mul_hi_u32 s66, s20, s45
	s_add_u32 s65, s65, s68
	s_addc_u32 s66, 0, s66
	s_mul_hi_u32 s69, s18, s45
	s_add_u32 s54, s65, s54
	s_mul_i32 s45, s18, s45
	s_addc_u32 s54, s66, s67
	s_addc_u32 s65, s69, 0
	s_add_u32 s45, s54, s45
	s_addc_u32 s54, 0, s65
	s_add_u32 s20, s20, s45
	s_cselect_b32 s45, -1, 0
	s_mul_hi_u32 s65, s21, s20
	s_cmp_lg_u32 s45, 0
	s_mul_i32 s45, s21, s20
	s_addc_u32 s18, s18, s54
	s_mul_i32 s26, s26, s20
	s_mul_i32 s21, s21, s18
	s_mul_hi_u32 s54, s20, s45
	s_add_i32 s21, s65, s21
	s_mul_hi_u32 s65, s18, s45
	s_add_i32 s21, s21, s26
	s_mul_i32 s26, s18, s45
	s_mul_i32 s67, s20, s21
	s_mul_hi_u32 s66, s20, s21
	s_add_u32 s54, s54, s67
	s_addc_u32 s66, 0, s66
	s_mul_hi_u32 s45, s18, s21
	s_add_u32 s26, s54, s26
	s_mul_i32 s21, s18, s21
	s_addc_u32 s26, s66, s65
	s_addc_u32 s45, s45, 0
	s_add_u32 s21, s26, s21
	s_addc_u32 s26, 0, s45
	s_add_u32 s20, s20, s21
	s_cselect_b32 s21, -1, 0
	s_mul_hi_u32 s45, s44, s20
	s_cmp_lg_u32 s21, 0
	s_mul_hi_u32 s21, s19, s20
	s_addc_u32 s18, s18, s26
	s_mul_i32 s20, s19, s20
	s_mul_i32 s54, s44, s18
	s_mul_hi_u32 s26, s44, s18
	s_add_u32 s45, s45, s54
	s_addc_u32 s26, 0, s26
	s_mul_hi_u32 s65, s19, s18
	s_add_u32 s20, s45, s20
	s_mul_i32 s18, s19, s18
	s_addc_u32 s20, s26, s21
	s_addc_u32 s21, s65, 0
	s_add_u32 s18, s20, s18
	s_addc_u32 s20, 0, s21
	s_mul_hi_u32 s21, s33, s18
	s_mul_i32 s20, s33, s20
	s_mul_i32 s18, s33, s18
	s_add_i32 s21, s21, s20
	s_sub_u32 s18, s44, s18
	s_cselect_b32 s20, -1, 0
	s_cmp_lg_u32 s20, 0
	s_subb_u32 s20, s19, s21
	s_sub_u32 s21, s18, s33
	s_cselect_b32 s26, -1, 0
	s_cmp_lg_u32 s26, 0
	s_subb_u32 s26, s20, 0
	;; [unrolled: 4-line block ×3, first 2 shown]
	s_cmp_ge_u32 s21, s33
	s_cselect_b32 s65, -1, 0
	s_cmp_eq_u32 s26, 0
	s_cselect_b32 s65, s65, -1
	s_cmp_lg_u32 s65, 0
	s_cselect_b32 s26, s54, s26
	s_cselect_b32 s45, s45, s21
	s_cmp_ge_u32 s18, s33
	s_cselect_b32 s21, -1, 0
	s_cmp_eq_u32 s20, 0
	s_cselect_b32 s21, s21, -1
	s_cmp_lg_u32 s21, 0
	s_cselect_b32 s21, s26, s20
	s_cselect_b32 s20, s45, s18
	s_cbranch_execnz .LBB144_274
.LBB144_273:                            ;   in Loop: Header=BB144_6 Depth=1
	v_cvt_f32_u32_e32 v2, s33
	s_sub_i32 s20, 0, s33
	v_rcp_iflag_f32_e32 v2, v2
	v_mul_f32_e32 v2, 0x4f7ffffe, v2
	v_cvt_u32_f32_e32 v2, v2
	v_readfirstlane_b32 s18, v2
	s_mul_i32 s20, s20, s18
	s_mul_hi_u32 s20, s18, s20
	s_add_i32 s18, s18, s20
	s_mul_hi_u32 s18, s44, s18
	s_mul_i32 s18, s18, s33
	s_sub_i32 s18, s44, s18
	s_sub_i32 s20, s18, s33
	s_cmp_ge_u32 s18, s33
	s_cselect_b32 s18, s20, s18
	s_sub_i32 s20, s18, s33
	s_cmp_ge_u32 s18, s33
	s_cselect_b32 s26, s20, s18
	s_mov_b64 s[20:21], s[26:27]
.LBB144_274:                            ;   in Loop: Header=BB144_6 Depth=1
	s_sub_u32 s18, s44, s20
	s_subb_u32 s19, s19, s21
	s_mov_b32 s21, 0
	s_mov_b32 s20, 0
	s_mov_b32 s26, exec_lo
                                        ; implicit-def: $vgpr25
	v_cmpx_gt_u64_e64 s[18:19], v[0:1]
	s_cbranch_execz .LBB144_284
; %bb.275:                              ;   in Loop: Header=BB144_6 Depth=1
	v_mov_b32_e32 v3, v1
	v_mov_b32_e32 v4, v14
	;; [unrolled: 1-line block ×3, first 2 shown]
                                        ; implicit-def: $sgpr44
	s_inst_prefetch 0x1
	s_branch .LBB144_278
	.p2align	6
.LBB144_276:                            ;   in Loop: Header=BB144_278 Depth=2
	s_or_b32 exec_lo, exec_lo, s45
	s_waitcnt lgkmcnt(0)
	s_barrier
	buffer_gl0_inv
	ds_read_b64 v[24:25], v13 offset:3072
	s_mov_b32 s45, -1
	s_mov_b32 s54, -1
	s_waitcnt lgkmcnt(0)
	s_barrier
	buffer_gl0_inv
	v_cmp_ne_u32_e32 vcc_lo, 0, v24
	s_cbranch_vccz .LBB144_281
.LBB144_277:                            ;   in Loop: Header=BB144_278 Depth=2
	s_and_b32 s45, exec_lo, s45
	s_or_b32 s20, s45, s20
	s_andn2_b32 s44, s44, exec_lo
	s_and_b32 s45, s54, exec_lo
	s_or_b32 s44, s44, s45
	s_andn2_b32 exec_lo, exec_lo, s20
	s_cbranch_execz .LBB144_283
.LBB144_278:                            ;   Parent Loop BB144_6 Depth=1
                                        ; =>  This Inner Loop Header: Depth=2
	s_mov_b32 s45, exec_lo
	v_cmpx_gt_u64_e64 s[6:7], v[2:3]
	s_cbranch_execz .LBB144_276
; %bb.279:                              ;   in Loop: Header=BB144_278 Depth=2
	ds_read_b32 v24, v4
	s_waitcnt lgkmcnt(0)
	v_xor_b32_e32 v5, 0x80000000, v24
	v_and_b32_e32 v5, v5, v38
	v_cmp_eq_u32_e32 vcc_lo, v5, v17
	s_and_b32 exec_lo, exec_lo, vcc_lo
	s_cbranch_execz .LBB144_276
; %bb.280:                              ;   in Loop: Header=BB144_278 Depth=2
	ds_write_b64 v13, v[23:24] offset:3072
	s_branch .LBB144_276
.LBB144_281:                            ;   in Loop: Header=BB144_278 Depth=2
	v_add_co_u32 v2, vcc_lo, v2, s33
	v_add_co_ci_u32_e64 v3, null, 0, v3, vcc_lo
	v_add_nc_u32_e32 v4, s86, v4
	s_mov_b32 s54, 0
	v_cmp_le_u64_e32 vcc_lo, s[18:19], v[2:3]
	s_orn2_b32 s45, vcc_lo, exec_lo
	s_branch .LBB144_277
.LBB144_282:                            ;   in Loop: Header=BB144_6 Depth=1
	v_mov_b32_e32 v17, v28
	v_mov_b32_e32 v38, v29
	;; [unrolled: 1-line block ×3, first 2 shown]
	s_mov_b32 s64, 0
	s_and_saveexec_b32 s6, s23
	s_cbranch_execnz .LBB144_459
	s_branch .LBB144_460
.LBB144_283:                            ;   in Loop: Header=BB144_6 Depth=1
	s_inst_prefetch 0x2
	s_or_b32 exec_lo, exec_lo, s20
	s_and_b32 s20, s44, exec_lo
.LBB144_284:                            ;   in Loop: Header=BB144_6 Depth=1
	s_or_b32 exec_lo, exec_lo, s26
.LBB144_285:                            ;   in Loop: Header=BB144_6 Depth=1
	s_and_b32 vcc_lo, exec_lo, s21
	s_cbranch_vccz .LBB144_299
; %bb.286:                              ;   in Loop: Header=BB144_6 Depth=1
	s_mov_b32 s54, s27
	s_cmp_lg_u64 s[54:55], 0
	s_cbranch_scc0 .LBB144_327
; %bb.287:                              ;   in Loop: Header=BB144_6 Depth=1
	v_cvt_f32_u32_e32 v2, s33
	s_sub_u32 s18, 0, s33
	s_subb_u32 s19, 0, 0
	v_fmac_f32_e64 v2, 0x4f800000, 0
	v_rcp_f32_e32 v2, v2
	v_mul_f32_e32 v2, 0x5f7ffffc, v2
	v_mul_f32_e32 v3, 0x2f800000, v2
	v_trunc_f32_e32 v3, v3
	v_fmac_f32_e32 v2, 0xcf800000, v3
	v_cvt_u32_f32_e32 v3, v3
	v_cvt_u32_f32_e32 v2, v2
	v_readfirstlane_b32 s6, v3
	v_readfirstlane_b32 s7, v2
	s_mul_i32 s21, s18, s6
	s_mul_hi_u32 s26, s18, s7
	s_mul_i32 s25, s19, s7
	s_add_i32 s21, s26, s21
	s_mul_i32 s44, s18, s7
	s_add_i32 s21, s21, s25
	s_mul_hi_u32 s26, s7, s44
	s_mul_i32 s54, s7, s21
	s_mul_hi_u32 s45, s6, s44
	s_mul_i32 s25, s6, s44
	s_mul_hi_u32 s44, s7, s21
	s_add_u32 s26, s26, s54
	s_addc_u32 s44, 0, s44
	s_mul_hi_u32 s64, s6, s21
	s_add_u32 s25, s26, s25
	s_mul_i32 s21, s6, s21
	s_addc_u32 s25, s44, s45
	s_addc_u32 s26, s64, 0
	s_add_u32 s21, s25, s21
	s_addc_u32 s25, 0, s26
	s_add_u32 s7, s7, s21
	s_cselect_b32 s21, -1, 0
	s_mul_hi_u32 s26, s18, s7
	s_cmp_lg_u32 s21, 0
	s_mul_i32 s21, s18, s7
	s_addc_u32 s6, s6, s25
	s_mul_i32 s19, s19, s7
	s_mul_i32 s18, s18, s6
	s_mul_hi_u32 s25, s7, s21
	s_add_i32 s18, s26, s18
	s_mul_hi_u32 s26, s6, s21
	s_add_i32 s18, s18, s19
	s_mul_i32 s19, s6, s21
	s_mul_i32 s45, s7, s18
	s_mul_hi_u32 s44, s7, s18
	s_add_u32 s25, s25, s45
	s_addc_u32 s44, 0, s44
	s_mul_hi_u32 s21, s6, s18
	s_add_u32 s19, s25, s19
	s_mul_i32 s18, s6, s18
	s_addc_u32 s19, s44, s26
	s_addc_u32 s21, s21, 0
	s_add_u32 s18, s19, s18
	s_addc_u32 s19, 0, s21
	s_add_u32 s7, s7, s18
	s_cselect_b32 s18, -1, 0
	s_mul_hi_u32 s21, s82, s7
	s_cmp_lg_u32 s18, 0
	s_mul_hi_u32 s18, s55, s7
	s_addc_u32 s6, s6, s19
	s_mul_i32 s7, s55, s7
	s_mul_i32 s25, s82, s6
	s_mul_hi_u32 s19, s82, s6
	s_add_u32 s21, s21, s25
	s_addc_u32 s19, 0, s19
	s_mul_hi_u32 s26, s55, s6
	s_add_u32 s7, s21, s7
	s_mul_i32 s6, s55, s6
	s_addc_u32 s7, s19, s18
	s_addc_u32 s18, s26, 0
	s_add_u32 s6, s7, s6
	s_addc_u32 s7, 0, s18
	s_mul_hi_u32 s18, s33, s6
	s_mul_i32 s7, s33, s7
	s_mul_i32 s6, s33, s6
	s_add_i32 s18, s18, s7
	s_sub_u32 s6, s82, s6
	s_cselect_b32 s7, -1, 0
	s_cmp_lg_u32 s7, 0
	s_subb_u32 s7, s55, s18
	s_sub_u32 s18, s6, s33
	s_cselect_b32 s19, -1, 0
	s_cmp_lg_u32 s19, 0
	s_subb_u32 s19, s7, 0
	;; [unrolled: 4-line block ×3, first 2 shown]
	s_cmp_ge_u32 s18, s33
	s_cselect_b32 s26, -1, 0
	s_cmp_eq_u32 s19, 0
	s_cselect_b32 s26, s26, -1
	s_cmp_lg_u32 s26, 0
	s_cselect_b32 s19, s25, s19
	s_cselect_b32 s18, s21, s18
	s_cmp_ge_u32 s6, s33
	s_cselect_b32 s21, -1, 0
	s_cmp_eq_u32 s7, 0
	s_cselect_b32 s21, s21, -1
	s_cmp_lg_u32 s21, 0
	s_cselect_b32 s7, s19, s7
	s_cselect_b32 s6, s18, s6
	s_cbranch_execnz .LBB144_289
.LBB144_288:                            ;   in Loop: Header=BB144_6 Depth=1
	v_cvt_f32_u32_e32 v2, s33
	s_sub_i32 s7, 0, s33
	v_rcp_iflag_f32_e32 v2, v2
	v_mul_f32_e32 v2, 0x4f7ffffe, v2
	v_cvt_u32_f32_e32 v2, v2
	v_readfirstlane_b32 s6, v2
	s_mul_i32 s7, s7, s6
	s_mul_hi_u32 s7, s6, s7
	s_add_i32 s6, s6, s7
	s_mul_hi_u32 s6, s82, s6
	s_mul_i32 s6, s6, s33
	s_sub_i32 s6, s82, s6
	s_sub_i32 s7, s6, s33
	s_cmp_ge_u32 s6, s33
	s_cselect_b32 s6, s7, s6
	s_sub_i32 s7, s6, s33
	s_cmp_ge_u32 s6, s33
	s_cselect_b32 s26, s7, s6
	s_mov_b64 s[6:7], s[26:27]
.LBB144_289:                            ;   in Loop: Header=BB144_6 Depth=1
	s_sub_u32 s18, s82, s6
	s_subb_u32 s19, s55, s7
	s_mov_b32 s7, exec_lo
                                        ; implicit-def: $vgpr25
	v_cmpx_gt_u64_e64 s[18:19], v[0:1]
	s_cbranch_execz .LBB144_298
; %bb.290:                              ;   in Loop: Header=BB144_6 Depth=1
	v_mov_b32_e32 v2, v10
	v_mov_b32_e32 v5, v1
	;; [unrolled: 1-line block ×4, first 2 shown]
	s_mov_b32 s21, 0
                                        ; implicit-def: $sgpr25
	s_inst_prefetch 0x1
	s_branch .LBB144_293
	.p2align	6
.LBB144_291:                            ;   in Loop: Header=BB144_293 Depth=2
	s_or_b32 exec_lo, exec_lo, s6
	s_waitcnt lgkmcnt(0)
	s_barrier
	buffer_gl0_inv
	ds_read_b64 v[24:25], v13 offset:3072
	s_mov_b32 s6, -1
	s_mov_b32 s26, -1
	s_waitcnt lgkmcnt(0)
	s_barrier
	buffer_gl0_inv
	v_cmp_ne_u32_e32 vcc_lo, 0, v24
	s_cbranch_vccz .LBB144_296
.LBB144_292:                            ;   in Loop: Header=BB144_293 Depth=2
	s_and_b32 s6, exec_lo, s6
	s_or_b32 s21, s6, s21
	s_andn2_b32 s6, s25, exec_lo
	s_and_b32 s25, s26, exec_lo
	s_or_b32 s25, s6, s25
	s_andn2_b32 exec_lo, exec_lo, s21
	s_cbranch_execz .LBB144_297
.LBB144_293:                            ;   Parent Loop BB144_6 Depth=1
                                        ; =>  This Inner Loop Header: Depth=2
	s_mov_b32 s6, exec_lo
	v_cmpx_gt_u64_e64 s[28:29], v[4:5]
	s_cbranch_execz .LBB144_291
; %bb.294:                              ;   in Loop: Header=BB144_293 Depth=2
	global_load_dword v24, v[2:3], off
	s_waitcnt vmcnt(0)
	v_xor_b32_e32 v6, 0x80000000, v24
	v_and_b32_e32 v6, v6, v38
	v_cmp_eq_u32_e32 vcc_lo, v6, v17
	s_and_b32 exec_lo, exec_lo, vcc_lo
	s_cbranch_execz .LBB144_291
; %bb.295:                              ;   in Loop: Header=BB144_293 Depth=2
	ds_write_b64 v13, v[23:24] offset:3072
	s_branch .LBB144_291
.LBB144_296:                            ;   in Loop: Header=BB144_293 Depth=2
	v_add_co_u32 v4, vcc_lo, v4, s33
	v_add_co_ci_u32_e64 v5, null, 0, v5, vcc_lo
	v_add_co_u32 v2, s6, v2, s34
	v_add_co_ci_u32_e64 v3, null, s35, v3, s6
	v_cmp_le_u64_e32 vcc_lo, s[18:19], v[4:5]
	s_mov_b32 s26, 0
	s_orn2_b32 s6, vcc_lo, exec_lo
	s_branch .LBB144_292
.LBB144_297:                            ;   in Loop: Header=BB144_6 Depth=1
	s_inst_prefetch 0x2
	s_or_b32 exec_lo, exec_lo, s21
	s_andn2_b32 s6, s20, exec_lo
	s_and_b32 s18, s25, exec_lo
	s_or_b32 s20, s6, s18
.LBB144_298:                            ;   in Loop: Header=BB144_6 Depth=1
	s_or_b32 exec_lo, exec_lo, s7
	s_mov_b32 s25, 0
	s_mov_b32 s64, -1
.LBB144_299:                            ;   in Loop: Header=BB144_6 Depth=1
	s_orn2_b32 s6, s20, exec_lo
.LBB144_300:                            ;   in Loop: Header=BB144_6 Depth=1
	s_or_b32 exec_lo, exec_lo, s63
                                        ; implicit-def: $vgpr2_vgpr3
                                        ; implicit-def: $vgpr12
	s_and_saveexec_b32 s20, s6
	s_cbranch_execz .LBB144_458
; %bb.301:                              ;   in Loop: Header=BB144_6 Depth=1
	v_mov_b32_e32 v2, 1
	v_mov_b32_e32 v3, 0
	;; [unrolled: 1-line block ×3, first 2 shown]
	s_xor_b32 s18, s62, -1
	s_mov_b32 s7, 0
	s_and_saveexec_b32 s6, s18
	s_cbranch_execz .LBB144_310
; %bb.302:                              ;   in Loop: Header=BB144_6 Depth=1
	s_mov_b32 s7, exec_lo
	v_cmpx_ge_u64_e64 s[16:17], v[26:27]
	s_xor_b32 s7, exec_lo, s7
	s_cbranch_execz .LBB144_307
; %bb.303:                              ;   in Loop: Header=BB144_6 Depth=1
	ds_read_b64 v[2:3], v13 offset:5120
	v_or_b32_e32 v17, s9, v17
	v_or_b32_e32 v38, s9, v38
	s_waitcnt lgkmcnt(0)
	v_cmp_ne_u64_e32 vcc_lo, 0, v[2:3]
	s_cbranch_vccnz .LBB144_307
; %bb.304:                              ;   in Loop: Header=BB144_6 Depth=1
	s_and_saveexec_b32 s18, s3
; %bb.305:                              ;   in Loop: Header=BB144_6 Depth=1
	v_mov_b32_e32 v2, s16
	v_mov_b32_e32 v3, s17
	ds_write_b64 v13, v[2:3] offset:5128
; %bb.306:                              ;   in Loop: Header=BB144_6 Depth=1
	s_or_b32 exec_lo, exec_lo, s18
	s_waitcnt lgkmcnt(0)
	s_barrier
	buffer_gl0_inv
.LBB144_307:                            ;   in Loop: Header=BB144_6 Depth=1
	s_or_saveexec_b32 s7, s7
	v_mov_b32_e32 v12, 5
	s_mov_b32 s18, 0
	s_xor_b32 exec_lo, exec_lo, s7
; %bb.308:                              ;   in Loop: Header=BB144_6 Depth=1
	v_sub_co_u32 v26, vcc_lo, v26, s16
	v_subrev_co_ci_u32_e64 v27, null, s17, v27, vcc_lo
	v_mov_b32_e32 v12, 0
	s_mov_b32 s18, exec_lo
; %bb.309:                              ;   in Loop: Header=BB144_6 Depth=1
	s_or_b32 exec_lo, exec_lo, s7
	v_mov_b32_e32 v2, v26
	v_mov_b32_e32 v3, v27
	s_and_b32 s7, s18, exec_lo
.LBB144_310:                            ;   in Loop: Header=BB144_6 Depth=1
	s_or_b32 exec_lo, exec_lo, s6
	s_mov_b32 s6, -1
                                        ; implicit-def: $sgpr62
                                        ; implicit-def: $sgpr63
	s_and_saveexec_b32 s16, s7
	s_xor_b32 s21, exec_lo, s16
	s_cbranch_execz .LBB144_455
; %bb.311:                              ;   in Loop: Header=BB144_6 Depth=1
	v_cmp_eq_u64_e32 vcc_lo, 1, v[2:3]
	s_cmp_eq_u64 s[14:15], 1
                                        ; implicit-def: $sgpr63
                                        ; implicit-def: $sgpr62
	s_cselect_b32 s6, -1, 0
	s_and_b32 s65, s6, vcc_lo
	s_mov_b32 s6, -1
	s_and_saveexec_b32 s66, s65
	s_cbranch_execz .LBB144_345
; %bb.312:                              ;   in Loop: Header=BB144_6 Depth=1
	ds_read_b64 v[4:5], v13 offset:5120
	s_waitcnt lgkmcnt(0)
	s_barrier
	buffer_gl0_inv
	v_readfirstlane_b32 s6, v4
	v_readfirstlane_b32 s7, v5
	s_and_saveexec_b32 s16, s8
; %bb.313:                              ;   in Loop: Header=BB144_6 Depth=1
	ds_write_b32 v32, v13
; %bb.314:                              ;   in Loop: Header=BB144_6 Depth=1
	s_or_b32 exec_lo, exec_lo, s16
	s_lshl_b32 s16, 2, s93
	v_or_b32_e32 v38, s9, v38
	v_and_or_b32 v17, v17, s24, s16
	s_mov_b32 s62, -1
	s_mov_b32 s63, 0
	s_cmp_eq_u64 s[6:7], 0
	s_mov_b32 s18, 0
	s_mov_b32 s19, -1
	s_waitcnt lgkmcnt(0)
	s_barrier
	buffer_gl0_inv
                                        ; implicit-def: $vgpr25
	s_cbranch_scc1 .LBB144_330
; %bb.315:                              ;   in Loop: Header=BB144_6 Depth=1
	s_add_u32 s44, s6, s80
	s_addc_u32 s17, s7, s81
	s_mov_b32 s16, s27
	s_cmp_lg_u64 s[16:17], 0
	s_cbranch_scc0 .LBB144_371
; %bb.316:                              ;   in Loop: Header=BB144_6 Depth=1
	v_cvt_f32_u32_e32 v4, s33
	s_sub_u32 s19, 0, s33
	s_subb_u32 s26, 0, 0
	v_fmac_f32_e64 v4, 0x4f800000, 0
	v_rcp_f32_e32 v4, v4
	v_mul_f32_e32 v4, 0x5f7ffffc, v4
	v_mul_f32_e32 v5, 0x2f800000, v4
	v_trunc_f32_e32 v5, v5
	v_fmac_f32_e32 v4, 0xcf800000, v5
	v_cvt_u32_f32_e32 v5, v5
	v_cvt_u32_f32_e32 v4, v4
	v_readfirstlane_b32 s16, v5
	v_readfirstlane_b32 s18, v4
	s_mul_i32 s45, s19, s16
	s_mul_hi_u32 s67, s19, s18
	s_mul_i32 s54, s26, s18
	s_add_i32 s45, s67, s45
	s_mul_i32 s68, s19, s18
	s_add_i32 s45, s45, s54
	s_mul_hi_u32 s67, s18, s68
	s_mul_i32 s70, s18, s45
	s_mul_hi_u32 s69, s16, s68
	s_mul_i32 s54, s16, s68
	s_mul_hi_u32 s68, s18, s45
	s_add_u32 s67, s67, s70
	s_addc_u32 s68, 0, s68
	s_mul_hi_u32 s71, s16, s45
	s_add_u32 s54, s67, s54
	s_mul_i32 s45, s16, s45
	s_addc_u32 s54, s68, s69
	s_addc_u32 s67, s71, 0
	s_add_u32 s45, s54, s45
	s_addc_u32 s54, 0, s67
	s_add_u32 s18, s18, s45
	s_cselect_b32 s45, -1, 0
	s_mul_hi_u32 s67, s19, s18
	s_cmp_lg_u32 s45, 0
	s_mul_i32 s45, s19, s18
	s_addc_u32 s16, s16, s54
	s_mul_i32 s26, s26, s18
	s_mul_i32 s19, s19, s16
	s_mul_hi_u32 s54, s18, s45
	s_add_i32 s19, s67, s19
	s_mul_hi_u32 s67, s16, s45
	s_add_i32 s19, s19, s26
	s_mul_i32 s26, s16, s45
	s_mul_i32 s69, s18, s19
	s_mul_hi_u32 s68, s18, s19
	s_add_u32 s54, s54, s69
	s_addc_u32 s68, 0, s68
	s_mul_hi_u32 s45, s16, s19
	s_add_u32 s26, s54, s26
	s_mul_i32 s19, s16, s19
	s_addc_u32 s26, s68, s67
	s_addc_u32 s45, s45, 0
	s_add_u32 s19, s26, s19
	s_addc_u32 s26, 0, s45
	s_add_u32 s18, s18, s19
	s_cselect_b32 s19, -1, 0
	s_mul_hi_u32 s45, s44, s18
	s_cmp_lg_u32 s19, 0
	s_mul_hi_u32 s19, s17, s18
	s_addc_u32 s16, s16, s26
	s_mul_i32 s18, s17, s18
	s_mul_i32 s54, s44, s16
	s_mul_hi_u32 s26, s44, s16
	s_add_u32 s45, s45, s54
	s_addc_u32 s26, 0, s26
	s_mul_hi_u32 s67, s17, s16
	s_add_u32 s18, s45, s18
	s_mul_i32 s16, s17, s16
	s_addc_u32 s18, s26, s19
	s_addc_u32 s19, s67, 0
	s_add_u32 s16, s18, s16
	s_addc_u32 s18, 0, s19
	s_mul_hi_u32 s19, s33, s16
	s_mul_i32 s18, s33, s18
	s_mul_i32 s16, s33, s16
	s_add_i32 s19, s19, s18
	s_sub_u32 s16, s44, s16
	s_cselect_b32 s18, -1, 0
	s_cmp_lg_u32 s18, 0
	s_subb_u32 s18, s17, s19
	s_sub_u32 s19, s16, s33
	s_cselect_b32 s26, -1, 0
	s_cmp_lg_u32 s26, 0
	s_subb_u32 s26, s18, 0
	;; [unrolled: 4-line block ×3, first 2 shown]
	s_cmp_ge_u32 s19, s33
	s_cselect_b32 s67, -1, 0
	s_cmp_eq_u32 s26, 0
	s_cselect_b32 s67, s67, -1
	s_cmp_lg_u32 s67, 0
	s_cselect_b32 s26, s54, s26
	s_cselect_b32 s45, s45, s19
	s_cmp_ge_u32 s16, s33
	s_cselect_b32 s19, -1, 0
	s_cmp_eq_u32 s18, 0
	s_cselect_b32 s19, s19, -1
	s_cmp_lg_u32 s19, 0
	s_cselect_b32 s19, s26, s18
	s_cselect_b32 s18, s45, s16
	s_cbranch_execnz .LBB144_318
.LBB144_317:                            ;   in Loop: Header=BB144_6 Depth=1
	v_cvt_f32_u32_e32 v4, s33
	s_sub_i32 s18, 0, s33
	v_rcp_iflag_f32_e32 v4, v4
	v_mul_f32_e32 v4, 0x4f7ffffe, v4
	v_cvt_u32_f32_e32 v4, v4
	v_readfirstlane_b32 s16, v4
	s_mul_i32 s18, s18, s16
	s_mul_hi_u32 s18, s16, s18
	s_add_i32 s16, s16, s18
	s_mul_hi_u32 s16, s44, s16
	s_mul_i32 s16, s16, s33
	s_sub_i32 s16, s44, s16
	s_sub_i32 s18, s16, s33
	s_cmp_ge_u32 s16, s33
	s_cselect_b32 s16, s18, s16
	s_sub_i32 s18, s16, s33
	s_cmp_ge_u32 s16, s33
	s_cselect_b32 s26, s18, s16
	s_mov_b64 s[18:19], s[26:27]
.LBB144_318:                            ;   in Loop: Header=BB144_6 Depth=1
	s_sub_u32 s16, s44, s18
	s_subb_u32 s17, s17, s19
	s_mov_b32 s19, 0
	s_mov_b32 s18, 0
	s_mov_b32 s26, exec_lo
                                        ; implicit-def: $vgpr25
	v_cmpx_gt_u64_e64 s[16:17], v[0:1]
	s_cbranch_execz .LBB144_329
; %bb.319:                              ;   in Loop: Header=BB144_6 Depth=1
	v_mov_b32_e32 v5, v1
	v_mov_b32_e32 v6, v14
	;; [unrolled: 1-line block ×3, first 2 shown]
                                        ; implicit-def: $sgpr44
	s_inst_prefetch 0x1
	s_branch .LBB144_322
	.p2align	6
.LBB144_320:                            ;   in Loop: Header=BB144_322 Depth=2
	s_or_b32 exec_lo, exec_lo, s45
	s_waitcnt lgkmcnt(0)
	s_barrier
	buffer_gl0_inv
	ds_read_b64 v[24:25], v13 offset:3072
	s_mov_b32 s45, -1
	s_mov_b32 s54, -1
	s_waitcnt lgkmcnt(0)
	s_barrier
	buffer_gl0_inv
	v_cmp_ne_u32_e32 vcc_lo, 0, v24
	s_cbranch_vccz .LBB144_325
.LBB144_321:                            ;   in Loop: Header=BB144_322 Depth=2
	s_and_b32 s45, exec_lo, s45
	s_or_b32 s18, s45, s18
	s_andn2_b32 s44, s44, exec_lo
	s_and_b32 s45, s54, exec_lo
	s_or_b32 s44, s44, s45
	s_andn2_b32 exec_lo, exec_lo, s18
	s_cbranch_execz .LBB144_328
.LBB144_322:                            ;   Parent Loop BB144_6 Depth=1
                                        ; =>  This Inner Loop Header: Depth=2
	s_mov_b32 s45, exec_lo
	v_cmpx_gt_u64_e64 s[6:7], v[4:5]
	s_cbranch_execz .LBB144_320
; %bb.323:                              ;   in Loop: Header=BB144_322 Depth=2
	ds_read_b32 v24, v6
	s_waitcnt lgkmcnt(0)
	v_xor_b32_e32 v7, 0x80000000, v24
	v_and_b32_e32 v7, v7, v38
	v_cmp_eq_u32_e32 vcc_lo, v7, v17
	s_and_b32 exec_lo, exec_lo, vcc_lo
	s_cbranch_execz .LBB144_320
; %bb.324:                              ;   in Loop: Header=BB144_322 Depth=2
	ds_write_b64 v13, v[23:24] offset:3072
	s_branch .LBB144_320
.LBB144_325:                            ;   in Loop: Header=BB144_322 Depth=2
	v_add_co_u32 v4, vcc_lo, v4, s33
	v_add_co_ci_u32_e64 v5, null, 0, v5, vcc_lo
	v_add_nc_u32_e32 v6, s86, v6
	s_mov_b32 s54, 0
	v_cmp_le_u64_e32 vcc_lo, s[16:17], v[4:5]
	s_orn2_b32 s45, vcc_lo, exec_lo
	s_branch .LBB144_321
.LBB144_326:                            ;   in Loop: Header=BB144_6 Depth=1
                                        ; implicit-def: $sgpr20_sgpr21
	s_branch .LBB144_273
.LBB144_327:                            ;   in Loop: Header=BB144_6 Depth=1
                                        ; implicit-def: $sgpr6_sgpr7
	s_branch .LBB144_288
.LBB144_328:                            ;   in Loop: Header=BB144_6 Depth=1
	s_inst_prefetch 0x2
	s_or_b32 exec_lo, exec_lo, s18
	s_and_b32 s18, s44, exec_lo
.LBB144_329:                            ;   in Loop: Header=BB144_6 Depth=1
	s_or_b32 exec_lo, exec_lo, s26
.LBB144_330:                            ;   in Loop: Header=BB144_6 Depth=1
	s_and_b32 vcc_lo, exec_lo, s19
	s_cbranch_vccz .LBB144_344
; %bb.331:                              ;   in Loop: Header=BB144_6 Depth=1
	s_mov_b32 s54, s27
	s_cmp_lg_u64 s[54:55], 0
	s_cbranch_scc0 .LBB144_372
; %bb.332:                              ;   in Loop: Header=BB144_6 Depth=1
	v_cvt_f32_u32_e32 v4, s33
	s_sub_u32 s16, 0, s33
	s_subb_u32 s17, 0, 0
	v_fmac_f32_e64 v4, 0x4f800000, 0
	v_rcp_f32_e32 v4, v4
	v_mul_f32_e32 v4, 0x5f7ffffc, v4
	v_mul_f32_e32 v5, 0x2f800000, v4
	v_trunc_f32_e32 v5, v5
	v_fmac_f32_e32 v4, 0xcf800000, v5
	v_cvt_u32_f32_e32 v5, v5
	v_cvt_u32_f32_e32 v4, v4
	v_readfirstlane_b32 s6, v5
	v_readfirstlane_b32 s7, v4
	s_mul_i32 s19, s16, s6
	s_mul_hi_u32 s44, s16, s7
	s_mul_i32 s26, s17, s7
	s_add_i32 s19, s44, s19
	s_mul_i32 s45, s16, s7
	s_add_i32 s19, s19, s26
	s_mul_hi_u32 s44, s7, s45
	s_mul_i32 s62, s7, s19
	s_mul_hi_u32 s54, s6, s45
	s_mul_i32 s26, s6, s45
	s_mul_hi_u32 s45, s7, s19
	s_add_u32 s44, s44, s62
	s_addc_u32 s45, 0, s45
	s_mul_hi_u32 s63, s6, s19
	s_add_u32 s26, s44, s26
	s_mul_i32 s19, s6, s19
	s_addc_u32 s26, s45, s54
	s_addc_u32 s44, s63, 0
	s_add_u32 s19, s26, s19
	s_addc_u32 s26, 0, s44
	s_add_u32 s7, s7, s19
	s_cselect_b32 s19, -1, 0
	s_mul_hi_u32 s44, s16, s7
	s_cmp_lg_u32 s19, 0
	s_mul_i32 s19, s16, s7
	s_addc_u32 s6, s6, s26
	s_mul_i32 s17, s17, s7
	s_mul_i32 s16, s16, s6
	s_mul_hi_u32 s26, s7, s19
	s_add_i32 s16, s44, s16
	s_mul_hi_u32 s44, s6, s19
	s_add_i32 s16, s16, s17
	s_mul_i32 s17, s6, s19
	s_mul_i32 s54, s7, s16
	s_mul_hi_u32 s45, s7, s16
	s_add_u32 s26, s26, s54
	s_addc_u32 s45, 0, s45
	s_mul_hi_u32 s19, s6, s16
	s_add_u32 s17, s26, s17
	s_mul_i32 s16, s6, s16
	s_addc_u32 s17, s45, s44
	s_addc_u32 s19, s19, 0
	s_add_u32 s16, s17, s16
	s_addc_u32 s17, 0, s19
	s_add_u32 s7, s7, s16
	s_cselect_b32 s16, -1, 0
	s_mul_hi_u32 s19, s82, s7
	s_cmp_lg_u32 s16, 0
	s_mul_hi_u32 s16, s55, s7
	s_addc_u32 s6, s6, s17
	s_mul_i32 s7, s55, s7
	s_mul_i32 s26, s82, s6
	s_mul_hi_u32 s17, s82, s6
	s_add_u32 s19, s19, s26
	s_addc_u32 s17, 0, s17
	s_mul_hi_u32 s44, s55, s6
	s_add_u32 s7, s19, s7
	s_mul_i32 s6, s55, s6
	s_addc_u32 s7, s17, s16
	s_addc_u32 s16, s44, 0
	s_add_u32 s6, s7, s6
	s_addc_u32 s7, 0, s16
	s_mul_hi_u32 s16, s33, s6
	s_mul_i32 s7, s33, s7
	s_mul_i32 s6, s33, s6
	s_add_i32 s16, s16, s7
	s_sub_u32 s6, s82, s6
	s_cselect_b32 s7, -1, 0
	s_cmp_lg_u32 s7, 0
	s_subb_u32 s7, s55, s16
	s_sub_u32 s16, s6, s33
	s_cselect_b32 s17, -1, 0
	s_cmp_lg_u32 s17, 0
	s_subb_u32 s17, s7, 0
	;; [unrolled: 4-line block ×3, first 2 shown]
	s_cmp_ge_u32 s16, s33
	s_cselect_b32 s44, -1, 0
	s_cmp_eq_u32 s17, 0
	s_cselect_b32 s44, s44, -1
	s_cmp_lg_u32 s44, 0
	s_cselect_b32 s17, s26, s17
	s_cselect_b32 s16, s19, s16
	s_cmp_ge_u32 s6, s33
	s_cselect_b32 s19, -1, 0
	s_cmp_eq_u32 s7, 0
	s_cselect_b32 s19, s19, -1
	s_cmp_lg_u32 s19, 0
	s_cselect_b32 s7, s17, s7
	s_cselect_b32 s6, s16, s6
	s_cbranch_execnz .LBB144_334
.LBB144_333:                            ;   in Loop: Header=BB144_6 Depth=1
	v_cvt_f32_u32_e32 v4, s33
	s_sub_i32 s7, 0, s33
	v_rcp_iflag_f32_e32 v4, v4
	v_mul_f32_e32 v4, 0x4f7ffffe, v4
	v_cvt_u32_f32_e32 v4, v4
	v_readfirstlane_b32 s6, v4
	s_mul_i32 s7, s7, s6
	s_mul_hi_u32 s7, s6, s7
	s_add_i32 s6, s6, s7
	s_mul_hi_u32 s6, s82, s6
	s_mul_i32 s6, s6, s33
	s_sub_i32 s6, s82, s6
	s_sub_i32 s7, s6, s33
	s_cmp_ge_u32 s6, s33
	s_cselect_b32 s6, s7, s6
	s_sub_i32 s7, s6, s33
	s_cmp_ge_u32 s6, s33
	s_cselect_b32 s26, s7, s6
	s_mov_b64 s[6:7], s[26:27]
.LBB144_334:                            ;   in Loop: Header=BB144_6 Depth=1
	s_sub_u32 s16, s82, s6
	s_subb_u32 s17, s55, s7
	s_mov_b32 s7, exec_lo
                                        ; implicit-def: $vgpr25
	v_cmpx_gt_u64_e64 s[16:17], v[0:1]
	s_cbranch_execz .LBB144_343
; %bb.335:                              ;   in Loop: Header=BB144_6 Depth=1
	v_mov_b32_e32 v4, v10
	v_mov_b32_e32 v7, v1
	;; [unrolled: 1-line block ×4, first 2 shown]
	s_mov_b32 s19, 0
                                        ; implicit-def: $sgpr26
	s_inst_prefetch 0x1
	s_branch .LBB144_338
	.p2align	6
.LBB144_336:                            ;   in Loop: Header=BB144_338 Depth=2
	s_or_b32 exec_lo, exec_lo, s6
	s_waitcnt lgkmcnt(0)
	s_barrier
	buffer_gl0_inv
	ds_read_b64 v[24:25], v13 offset:3072
	s_mov_b32 s6, -1
	s_mov_b32 s44, -1
	s_waitcnt lgkmcnt(0)
	s_barrier
	buffer_gl0_inv
	v_cmp_eq_u32_e32 vcc_lo, 0, v24
	s_cbranch_vccnz .LBB144_341
.LBB144_337:                            ;   in Loop: Header=BB144_338 Depth=2
	s_and_b32 s6, exec_lo, s6
	s_or_b32 s19, s6, s19
	s_andn2_b32 s6, s26, exec_lo
	s_and_b32 s26, s44, exec_lo
	s_or_b32 s26, s6, s26
	s_andn2_b32 exec_lo, exec_lo, s19
	s_cbranch_execz .LBB144_342
.LBB144_338:                            ;   Parent Loop BB144_6 Depth=1
                                        ; =>  This Inner Loop Header: Depth=2
	s_mov_b32 s6, exec_lo
	v_cmpx_gt_u64_e64 s[28:29], v[6:7]
	s_cbranch_execz .LBB144_336
; %bb.339:                              ;   in Loop: Header=BB144_338 Depth=2
	global_load_dword v24, v[4:5], off
	s_waitcnt vmcnt(0)
	v_xor_b32_e32 v8, 0x80000000, v24
	v_and_b32_e32 v8, v8, v38
	v_cmp_eq_u32_e32 vcc_lo, v8, v17
	s_and_b32 exec_lo, exec_lo, vcc_lo
	s_cbranch_execz .LBB144_336
; %bb.340:                              ;   in Loop: Header=BB144_338 Depth=2
	ds_write_b64 v13, v[23:24] offset:3072
	s_branch .LBB144_336
.LBB144_341:                            ;   in Loop: Header=BB144_338 Depth=2
	v_add_co_u32 v6, vcc_lo, v6, s33
	v_add_co_ci_u32_e64 v7, null, 0, v7, vcc_lo
	v_add_co_u32 v4, s6, v4, s34
	v_add_co_ci_u32_e64 v5, null, s35, v5, s6
	v_cmp_le_u64_e32 vcc_lo, s[16:17], v[6:7]
	s_mov_b32 s44, 0
	s_orn2_b32 s6, vcc_lo, exec_lo
	s_branch .LBB144_337
.LBB144_342:                            ;   in Loop: Header=BB144_6 Depth=1
	s_inst_prefetch 0x2
	s_or_b32 exec_lo, exec_lo, s19
	s_andn2_b32 s6, s18, exec_lo
	s_and_b32 s16, s26, exec_lo
	s_or_b32 s18, s6, s16
.LBB144_343:                            ;   in Loop: Header=BB144_6 Depth=1
	s_or_b32 exec_lo, exec_lo, s7
	s_mov_b32 s62, 0
	s_mov_b32 s63, -1
.LBB144_344:                            ;   in Loop: Header=BB144_6 Depth=1
	s_orn2_b32 s6, s18, exec_lo
.LBB144_345:                            ;   in Loop: Header=BB144_6 Depth=1
	s_or_b32 exec_lo, exec_lo, s66
	s_mov_b32 s7, 0
	s_and_saveexec_b32 s18, s6
	s_cbranch_execz .LBB144_454
; %bb.346:                              ;   in Loop: Header=BB144_6 Depth=1
	v_mov_b32_e32 v4, 1
	v_mov_b32_e32 v5, 0
	;; [unrolled: 1-line block ×3, first 2 shown]
	s_xor_b32 s16, s65, -1
	s_and_saveexec_b32 s6, s16
	s_cbranch_execz .LBB144_355
; %bb.347:                              ;   in Loop: Header=BB144_6 Depth=1
	s_mov_b32 s7, exec_lo
	v_cmpx_ge_u64_e64 s[14:15], v[2:3]
	s_xor_b32 s7, exec_lo, s7
	s_cbranch_execz .LBB144_352
; %bb.348:                              ;   in Loop: Header=BB144_6 Depth=1
	ds_read_b64 v[4:5], v13 offset:5120
	s_lshl_b32 s16, 2, s93
	v_or_b32_e32 v38, s9, v38
	v_and_or_b32 v17, v17, s24, s16
	s_waitcnt lgkmcnt(0)
	v_cmp_ne_u64_e32 vcc_lo, 0, v[4:5]
	s_cbranch_vccnz .LBB144_352
; %bb.349:                              ;   in Loop: Header=BB144_6 Depth=1
	s_and_saveexec_b32 s16, s3
; %bb.350:                              ;   in Loop: Header=BB144_6 Depth=1
	v_mov_b32_e32 v4, s14
	v_mov_b32_e32 v5, s15
	ds_write_b64 v13, v[4:5] offset:5128
; %bb.351:                              ;   in Loop: Header=BB144_6 Depth=1
	s_or_b32 exec_lo, exec_lo, s16
	s_waitcnt lgkmcnt(0)
	s_barrier
	buffer_gl0_inv
.LBB144_352:                            ;   in Loop: Header=BB144_6 Depth=1
	s_or_saveexec_b32 s7, s7
	v_mov_b32_e32 v12, 5
	s_mov_b32 s16, 0
	s_xor_b32 exec_lo, exec_lo, s7
; %bb.353:                              ;   in Loop: Header=BB144_6 Depth=1
	v_sub_co_u32 v2, vcc_lo, v2, s14
	v_subrev_co_ci_u32_e64 v3, null, s15, v3, vcc_lo
	v_mov_b32_e32 v12, 0
	s_mov_b32 s16, exec_lo
; %bb.354:                              ;   in Loop: Header=BB144_6 Depth=1
	s_or_b32 exec_lo, exec_lo, s7
	v_mov_b32_e32 v5, v3
	v_mov_b32_e32 v4, v2
	s_and_b32 s7, s16, exec_lo
.LBB144_355:                            ;   in Loop: Header=BB144_6 Depth=1
	s_or_b32 exec_lo, exec_lo, s6
	s_mov_b32 s6, -1
                                        ; implicit-def: $sgpr65
                                        ; implicit-def: $sgpr66
	s_and_saveexec_b32 s19, s7
	s_cbranch_execz .LBB144_453
; %bb.356:                              ;   in Loop: Header=BB144_6 Depth=1
	v_cmp_eq_u64_e32 vcc_lo, 1, v[4:5]
	s_cmp_eq_u64 s[12:13], 1
                                        ; implicit-def: $sgpr66
                                        ; implicit-def: $sgpr65
	s_cselect_b32 s6, -1, 0
	s_and_b32 s67, s6, vcc_lo
	s_mov_b32 s6, -1
	s_and_saveexec_b32 s68, s67
	s_cbranch_execz .LBB144_390
; %bb.357:                              ;   in Loop: Header=BB144_6 Depth=1
	ds_read_b64 v[2:3], v13 offset:5120
	s_waitcnt lgkmcnt(0)
	s_barrier
	buffer_gl0_inv
	v_readfirstlane_b32 s6, v2
	v_readfirstlane_b32 s7, v3
	s_and_saveexec_b32 s14, s8
; %bb.358:                              ;   in Loop: Header=BB144_6 Depth=1
	ds_write_b32 v32, v13
; %bb.359:                              ;   in Loop: Header=BB144_6 Depth=1
	s_or_b32 exec_lo, exec_lo, s14
	s_lshl_b32 s14, 1, s93
	v_or_b32_e32 v38, s9, v38
	v_and_or_b32 v17, v17, s24, s14
	s_mov_b32 s65, -1
	s_mov_b32 s66, 0
	s_cmp_eq_u64 s[6:7], 0
	s_mov_b32 s16, 0
	s_mov_b32 s17, -1
	s_waitcnt lgkmcnt(0)
	s_barrier
	buffer_gl0_inv
                                        ; implicit-def: $vgpr25
	s_cbranch_scc1 .LBB144_375
; %bb.360:                              ;   in Loop: Header=BB144_6 Depth=1
	s_add_u32 s44, s6, s80
	s_addc_u32 s15, s7, s81
	s_mov_b32 s14, s27
	s_cmp_lg_u64 s[14:15], 0
	s_cbranch_scc0 .LBB144_407
; %bb.361:                              ;   in Loop: Header=BB144_6 Depth=1
	v_cvt_f32_u32_e32 v2, s33
	s_sub_u32 s17, 0, s33
	s_subb_u32 s26, 0, 0
	v_fmac_f32_e64 v2, 0x4f800000, 0
	v_rcp_f32_e32 v2, v2
	v_mul_f32_e32 v2, 0x5f7ffffc, v2
	v_mul_f32_e32 v3, 0x2f800000, v2
	v_trunc_f32_e32 v3, v3
	v_fmac_f32_e32 v2, 0xcf800000, v3
	v_cvt_u32_f32_e32 v3, v3
	v_cvt_u32_f32_e32 v2, v2
	v_readfirstlane_b32 s14, v3
	v_readfirstlane_b32 s16, v2
	s_mul_i32 s45, s17, s14
	s_mul_hi_u32 s69, s17, s16
	s_mul_i32 s54, s26, s16
	s_add_i32 s45, s69, s45
	s_mul_i32 s70, s17, s16
	s_add_i32 s45, s45, s54
	s_mul_hi_u32 s69, s16, s70
	s_mul_i32 s72, s16, s45
	s_mul_hi_u32 s71, s14, s70
	s_mul_i32 s54, s14, s70
	s_mul_hi_u32 s70, s16, s45
	s_add_u32 s69, s69, s72
	s_addc_u32 s70, 0, s70
	s_mul_hi_u32 s73, s14, s45
	s_add_u32 s54, s69, s54
	s_mul_i32 s45, s14, s45
	s_addc_u32 s54, s70, s71
	s_addc_u32 s69, s73, 0
	s_add_u32 s45, s54, s45
	s_addc_u32 s54, 0, s69
	s_add_u32 s16, s16, s45
	s_cselect_b32 s45, -1, 0
	s_mul_hi_u32 s69, s17, s16
	s_cmp_lg_u32 s45, 0
	s_mul_i32 s45, s17, s16
	s_addc_u32 s14, s14, s54
	s_mul_i32 s26, s26, s16
	s_mul_i32 s17, s17, s14
	s_mul_hi_u32 s54, s16, s45
	s_add_i32 s17, s69, s17
	s_mul_hi_u32 s69, s14, s45
	s_add_i32 s17, s17, s26
	s_mul_i32 s26, s14, s45
	s_mul_i32 s71, s16, s17
	s_mul_hi_u32 s70, s16, s17
	s_add_u32 s54, s54, s71
	s_addc_u32 s70, 0, s70
	s_mul_hi_u32 s45, s14, s17
	s_add_u32 s26, s54, s26
	s_mul_i32 s17, s14, s17
	s_addc_u32 s26, s70, s69
	s_addc_u32 s45, s45, 0
	s_add_u32 s17, s26, s17
	s_addc_u32 s26, 0, s45
	s_add_u32 s16, s16, s17
	s_cselect_b32 s17, -1, 0
	s_mul_hi_u32 s45, s44, s16
	s_cmp_lg_u32 s17, 0
	s_mul_hi_u32 s17, s15, s16
	s_addc_u32 s14, s14, s26
	s_mul_i32 s16, s15, s16
	s_mul_i32 s54, s44, s14
	s_mul_hi_u32 s26, s44, s14
	s_add_u32 s45, s45, s54
	s_addc_u32 s26, 0, s26
	s_mul_hi_u32 s69, s15, s14
	s_add_u32 s16, s45, s16
	s_mul_i32 s14, s15, s14
	s_addc_u32 s16, s26, s17
	s_addc_u32 s17, s69, 0
	s_add_u32 s14, s16, s14
	s_addc_u32 s16, 0, s17
	s_mul_hi_u32 s17, s33, s14
	s_mul_i32 s16, s33, s16
	s_mul_i32 s14, s33, s14
	s_add_i32 s17, s17, s16
	s_sub_u32 s14, s44, s14
	s_cselect_b32 s16, -1, 0
	s_cmp_lg_u32 s16, 0
	s_subb_u32 s16, s15, s17
	s_sub_u32 s17, s14, s33
	s_cselect_b32 s26, -1, 0
	s_cmp_lg_u32 s26, 0
	s_subb_u32 s26, s16, 0
	;; [unrolled: 4-line block ×3, first 2 shown]
	s_cmp_ge_u32 s17, s33
	s_cselect_b32 s69, -1, 0
	s_cmp_eq_u32 s26, 0
	s_cselect_b32 s69, s69, -1
	s_cmp_lg_u32 s69, 0
	s_cselect_b32 s26, s54, s26
	s_cselect_b32 s45, s45, s17
	s_cmp_ge_u32 s14, s33
	s_cselect_b32 s17, -1, 0
	s_cmp_eq_u32 s16, 0
	s_cselect_b32 s17, s17, -1
	s_cmp_lg_u32 s17, 0
	s_cselect_b32 s17, s26, s16
	s_cselect_b32 s16, s45, s14
	s_cbranch_execnz .LBB144_363
.LBB144_362:                            ;   in Loop: Header=BB144_6 Depth=1
	v_cvt_f32_u32_e32 v2, s33
	s_sub_i32 s16, 0, s33
	v_rcp_iflag_f32_e32 v2, v2
	v_mul_f32_e32 v2, 0x4f7ffffe, v2
	v_cvt_u32_f32_e32 v2, v2
	v_readfirstlane_b32 s14, v2
	s_mul_i32 s16, s16, s14
	s_mul_hi_u32 s16, s14, s16
	s_add_i32 s14, s14, s16
	s_mul_hi_u32 s14, s44, s14
	s_mul_i32 s14, s14, s33
	s_sub_i32 s14, s44, s14
	s_sub_i32 s16, s14, s33
	s_cmp_ge_u32 s14, s33
	s_cselect_b32 s14, s16, s14
	s_sub_i32 s16, s14, s33
	s_cmp_ge_u32 s14, s33
	s_cselect_b32 s26, s16, s14
	s_mov_b64 s[16:17], s[26:27]
.LBB144_363:                            ;   in Loop: Header=BB144_6 Depth=1
	s_sub_u32 s14, s44, s16
	s_subb_u32 s15, s15, s17
	s_mov_b32 s17, 0
	s_mov_b32 s16, 0
	s_mov_b32 s26, exec_lo
                                        ; implicit-def: $vgpr25
	v_cmpx_gt_u64_e64 s[14:15], v[0:1]
	s_cbranch_execz .LBB144_374
; %bb.364:                              ;   in Loop: Header=BB144_6 Depth=1
	v_mov_b32_e32 v3, v1
	v_mov_b32_e32 v6, v14
	;; [unrolled: 1-line block ×3, first 2 shown]
                                        ; implicit-def: $sgpr44
	s_inst_prefetch 0x1
	s_branch .LBB144_367
	.p2align	6
.LBB144_365:                            ;   in Loop: Header=BB144_367 Depth=2
	s_or_b32 exec_lo, exec_lo, s45
	s_waitcnt lgkmcnt(0)
	s_barrier
	buffer_gl0_inv
	ds_read_b64 v[24:25], v13 offset:3072
	s_mov_b32 s45, -1
	s_mov_b32 s54, -1
	s_waitcnt lgkmcnt(0)
	s_barrier
	buffer_gl0_inv
	v_cmp_ne_u32_e32 vcc_lo, 0, v24
	s_cbranch_vccz .LBB144_370
.LBB144_366:                            ;   in Loop: Header=BB144_367 Depth=2
	s_and_b32 s45, exec_lo, s45
	s_or_b32 s16, s45, s16
	s_andn2_b32 s44, s44, exec_lo
	s_and_b32 s45, s54, exec_lo
	s_or_b32 s44, s44, s45
	s_andn2_b32 exec_lo, exec_lo, s16
	s_cbranch_execz .LBB144_373
.LBB144_367:                            ;   Parent Loop BB144_6 Depth=1
                                        ; =>  This Inner Loop Header: Depth=2
	s_mov_b32 s45, exec_lo
	v_cmpx_gt_u64_e64 s[6:7], v[2:3]
	s_cbranch_execz .LBB144_365
; %bb.368:                              ;   in Loop: Header=BB144_367 Depth=2
	ds_read_b32 v24, v6
	s_waitcnt lgkmcnt(0)
	v_xor_b32_e32 v7, 0x80000000, v24
	v_and_b32_e32 v7, v7, v38
	v_cmp_eq_u32_e32 vcc_lo, v7, v17
	s_and_b32 exec_lo, exec_lo, vcc_lo
	s_cbranch_execz .LBB144_365
; %bb.369:                              ;   in Loop: Header=BB144_367 Depth=2
	ds_write_b64 v13, v[23:24] offset:3072
	s_branch .LBB144_365
.LBB144_370:                            ;   in Loop: Header=BB144_367 Depth=2
	v_add_co_u32 v2, vcc_lo, v2, s33
	v_add_co_ci_u32_e64 v3, null, 0, v3, vcc_lo
	v_add_nc_u32_e32 v6, s86, v6
	s_mov_b32 s54, 0
	v_cmp_le_u64_e32 vcc_lo, s[14:15], v[2:3]
	s_orn2_b32 s45, vcc_lo, exec_lo
	s_branch .LBB144_366
.LBB144_371:                            ;   in Loop: Header=BB144_6 Depth=1
                                        ; implicit-def: $sgpr18_sgpr19
	s_branch .LBB144_317
.LBB144_372:                            ;   in Loop: Header=BB144_6 Depth=1
                                        ; implicit-def: $sgpr6_sgpr7
	s_branch .LBB144_333
.LBB144_373:                            ;   in Loop: Header=BB144_6 Depth=1
	s_inst_prefetch 0x2
	s_or_b32 exec_lo, exec_lo, s16
	s_and_b32 s16, s44, exec_lo
.LBB144_374:                            ;   in Loop: Header=BB144_6 Depth=1
	s_or_b32 exec_lo, exec_lo, s26
.LBB144_375:                            ;   in Loop: Header=BB144_6 Depth=1
	s_and_b32 vcc_lo, exec_lo, s17
	s_cbranch_vccz .LBB144_389
; %bb.376:                              ;   in Loop: Header=BB144_6 Depth=1
	s_mov_b32 s54, s27
	s_cmp_lg_u64 s[54:55], 0
	s_cbranch_scc0 .LBB144_408
; %bb.377:                              ;   in Loop: Header=BB144_6 Depth=1
	v_cvt_f32_u32_e32 v2, s33
	s_sub_u32 s14, 0, s33
	s_subb_u32 s15, 0, 0
	v_fmac_f32_e64 v2, 0x4f800000, 0
	v_rcp_f32_e32 v2, v2
	v_mul_f32_e32 v2, 0x5f7ffffc, v2
	v_mul_f32_e32 v3, 0x2f800000, v2
	v_trunc_f32_e32 v3, v3
	v_fmac_f32_e32 v2, 0xcf800000, v3
	v_cvt_u32_f32_e32 v3, v3
	v_cvt_u32_f32_e32 v2, v2
	v_readfirstlane_b32 s6, v3
	v_readfirstlane_b32 s7, v2
	s_mul_i32 s17, s14, s6
	s_mul_hi_u32 s44, s14, s7
	s_mul_i32 s26, s15, s7
	s_add_i32 s17, s44, s17
	s_mul_i32 s45, s14, s7
	s_add_i32 s17, s17, s26
	s_mul_hi_u32 s44, s7, s45
	s_mul_i32 s65, s7, s17
	s_mul_hi_u32 s54, s6, s45
	s_mul_i32 s26, s6, s45
	s_mul_hi_u32 s45, s7, s17
	s_add_u32 s44, s44, s65
	s_addc_u32 s45, 0, s45
	s_mul_hi_u32 s66, s6, s17
	s_add_u32 s26, s44, s26
	s_mul_i32 s17, s6, s17
	s_addc_u32 s26, s45, s54
	s_addc_u32 s44, s66, 0
	s_add_u32 s17, s26, s17
	s_addc_u32 s26, 0, s44
	s_add_u32 s7, s7, s17
	s_cselect_b32 s17, -1, 0
	s_mul_hi_u32 s44, s14, s7
	s_cmp_lg_u32 s17, 0
	s_mul_i32 s17, s14, s7
	s_addc_u32 s6, s6, s26
	s_mul_i32 s15, s15, s7
	s_mul_i32 s14, s14, s6
	s_mul_hi_u32 s26, s7, s17
	s_add_i32 s14, s44, s14
	s_mul_hi_u32 s44, s6, s17
	s_add_i32 s14, s14, s15
	s_mul_i32 s15, s6, s17
	s_mul_i32 s54, s7, s14
	s_mul_hi_u32 s45, s7, s14
	s_add_u32 s26, s26, s54
	s_addc_u32 s45, 0, s45
	s_mul_hi_u32 s17, s6, s14
	s_add_u32 s15, s26, s15
	s_mul_i32 s14, s6, s14
	s_addc_u32 s15, s45, s44
	s_addc_u32 s17, s17, 0
	s_add_u32 s14, s15, s14
	s_addc_u32 s15, 0, s17
	s_add_u32 s7, s7, s14
	s_cselect_b32 s14, -1, 0
	s_mul_hi_u32 s17, s82, s7
	s_cmp_lg_u32 s14, 0
	s_mul_hi_u32 s14, s55, s7
	s_addc_u32 s6, s6, s15
	s_mul_i32 s7, s55, s7
	s_mul_i32 s26, s82, s6
	s_mul_hi_u32 s15, s82, s6
	s_add_u32 s17, s17, s26
	s_addc_u32 s15, 0, s15
	s_mul_hi_u32 s44, s55, s6
	s_add_u32 s7, s17, s7
	s_mul_i32 s6, s55, s6
	s_addc_u32 s7, s15, s14
	s_addc_u32 s14, s44, 0
	s_add_u32 s6, s7, s6
	s_addc_u32 s7, 0, s14
	s_mul_hi_u32 s14, s33, s6
	s_mul_i32 s7, s33, s7
	s_mul_i32 s6, s33, s6
	s_add_i32 s14, s14, s7
	s_sub_u32 s6, s82, s6
	s_cselect_b32 s7, -1, 0
	s_cmp_lg_u32 s7, 0
	s_subb_u32 s7, s55, s14
	s_sub_u32 s14, s6, s33
	s_cselect_b32 s15, -1, 0
	s_cmp_lg_u32 s15, 0
	s_subb_u32 s15, s7, 0
	;; [unrolled: 4-line block ×3, first 2 shown]
	s_cmp_ge_u32 s14, s33
	s_cselect_b32 s44, -1, 0
	s_cmp_eq_u32 s15, 0
	s_cselect_b32 s44, s44, -1
	s_cmp_lg_u32 s44, 0
	s_cselect_b32 s15, s26, s15
	s_cselect_b32 s14, s17, s14
	s_cmp_ge_u32 s6, s33
	s_cselect_b32 s17, -1, 0
	s_cmp_eq_u32 s7, 0
	s_cselect_b32 s17, s17, -1
	s_cmp_lg_u32 s17, 0
	s_cselect_b32 s7, s15, s7
	s_cselect_b32 s6, s14, s6
	s_cbranch_execnz .LBB144_379
.LBB144_378:                            ;   in Loop: Header=BB144_6 Depth=1
	v_cvt_f32_u32_e32 v2, s33
	s_sub_i32 s7, 0, s33
	v_rcp_iflag_f32_e32 v2, v2
	v_mul_f32_e32 v2, 0x4f7ffffe, v2
	v_cvt_u32_f32_e32 v2, v2
	v_readfirstlane_b32 s6, v2
	s_mul_i32 s7, s7, s6
	s_mul_hi_u32 s7, s6, s7
	s_add_i32 s6, s6, s7
	s_mul_hi_u32 s6, s82, s6
	s_mul_i32 s6, s6, s33
	s_sub_i32 s6, s82, s6
	s_sub_i32 s7, s6, s33
	s_cmp_ge_u32 s6, s33
	s_cselect_b32 s6, s7, s6
	s_sub_i32 s7, s6, s33
	s_cmp_ge_u32 s6, s33
	s_cselect_b32 s26, s7, s6
	s_mov_b64 s[6:7], s[26:27]
.LBB144_379:                            ;   in Loop: Header=BB144_6 Depth=1
	s_sub_u32 s14, s82, s6
	s_subb_u32 s15, s55, s7
	s_mov_b32 s7, exec_lo
                                        ; implicit-def: $vgpr25
	v_cmpx_gt_u64_e64 s[14:15], v[0:1]
	s_cbranch_execz .LBB144_388
; %bb.380:                              ;   in Loop: Header=BB144_6 Depth=1
	v_mov_b32_e32 v2, v10
	v_mov_b32_e32 v7, v1
	;; [unrolled: 1-line block ×4, first 2 shown]
	s_mov_b32 s17, 0
                                        ; implicit-def: $sgpr26
	s_inst_prefetch 0x1
	s_branch .LBB144_383
	.p2align	6
.LBB144_381:                            ;   in Loop: Header=BB144_383 Depth=2
	s_or_b32 exec_lo, exec_lo, s6
	s_waitcnt lgkmcnt(0)
	s_barrier
	buffer_gl0_inv
	ds_read_b64 v[24:25], v13 offset:3072
	s_mov_b32 s6, -1
	s_mov_b32 s44, -1
	s_waitcnt lgkmcnt(0)
	s_barrier
	buffer_gl0_inv
	v_cmp_eq_u32_e32 vcc_lo, 0, v24
	s_cbranch_vccnz .LBB144_386
.LBB144_382:                            ;   in Loop: Header=BB144_383 Depth=2
	s_and_b32 s6, exec_lo, s6
	s_or_b32 s17, s6, s17
	s_andn2_b32 s6, s26, exec_lo
	s_and_b32 s26, s44, exec_lo
	s_or_b32 s26, s6, s26
	s_andn2_b32 exec_lo, exec_lo, s17
	s_cbranch_execz .LBB144_387
.LBB144_383:                            ;   Parent Loop BB144_6 Depth=1
                                        ; =>  This Inner Loop Header: Depth=2
	s_mov_b32 s6, exec_lo
	v_cmpx_gt_u64_e64 s[28:29], v[6:7]
	s_cbranch_execz .LBB144_381
; %bb.384:                              ;   in Loop: Header=BB144_383 Depth=2
	global_load_dword v24, v[2:3], off
	s_waitcnt vmcnt(0)
	v_xor_b32_e32 v8, 0x80000000, v24
	v_and_b32_e32 v8, v8, v38
	v_cmp_eq_u32_e32 vcc_lo, v8, v17
	s_and_b32 exec_lo, exec_lo, vcc_lo
	s_cbranch_execz .LBB144_381
; %bb.385:                              ;   in Loop: Header=BB144_383 Depth=2
	ds_write_b64 v13, v[23:24] offset:3072
	s_branch .LBB144_381
.LBB144_386:                            ;   in Loop: Header=BB144_383 Depth=2
	v_add_co_u32 v6, vcc_lo, v6, s33
	v_add_co_ci_u32_e64 v7, null, 0, v7, vcc_lo
	v_add_co_u32 v2, s6, v2, s34
	v_add_co_ci_u32_e64 v3, null, s35, v3, s6
	v_cmp_le_u64_e32 vcc_lo, s[14:15], v[6:7]
	s_mov_b32 s44, 0
	s_orn2_b32 s6, vcc_lo, exec_lo
	s_branch .LBB144_382
.LBB144_387:                            ;   in Loop: Header=BB144_6 Depth=1
	s_inst_prefetch 0x2
	s_or_b32 exec_lo, exec_lo, s17
	s_andn2_b32 s6, s16, exec_lo
	s_and_b32 s14, s26, exec_lo
	s_or_b32 s16, s6, s14
.LBB144_388:                            ;   in Loop: Header=BB144_6 Depth=1
	s_or_b32 exec_lo, exec_lo, s7
	s_mov_b32 s65, 0
	s_mov_b32 s66, -1
.LBB144_389:                            ;   in Loop: Header=BB144_6 Depth=1
	s_orn2_b32 s6, s16, exec_lo
.LBB144_390:                            ;   in Loop: Header=BB144_6 Depth=1
	s_or_b32 exec_lo, exec_lo, s68
	s_mov_b32 s7, 0
	s_and_saveexec_b32 s16, s6
	s_cbranch_execz .LBB144_452
; %bb.391:                              ;   in Loop: Header=BB144_6 Depth=1
	v_mov_b32_e32 v2, 1
	v_mov_b32_e32 v3, 0
	;; [unrolled: 1-line block ×3, first 2 shown]
	s_xor_b32 s14, s67, -1
	s_and_saveexec_b32 s6, s14
	s_cbranch_execz .LBB144_400
; %bb.392:                              ;   in Loop: Header=BB144_6 Depth=1
	s_mov_b32 s7, exec_lo
	v_cmpx_ge_u64_e64 s[12:13], v[4:5]
	s_xor_b32 s7, exec_lo, s7
	s_cbranch_execz .LBB144_397
; %bb.393:                              ;   in Loop: Header=BB144_6 Depth=1
	ds_read_b64 v[2:3], v13 offset:5120
	s_lshl_b32 s14, 1, s93
	v_or_b32_e32 v38, s9, v38
	v_and_or_b32 v17, v17, s24, s14
	s_waitcnt lgkmcnt(0)
	v_cmp_ne_u64_e32 vcc_lo, 0, v[2:3]
	s_cbranch_vccnz .LBB144_397
; %bb.394:                              ;   in Loop: Header=BB144_6 Depth=1
	s_and_saveexec_b32 s14, s3
; %bb.395:                              ;   in Loop: Header=BB144_6 Depth=1
	v_mov_b32_e32 v2, s12
	v_mov_b32_e32 v3, s13
	ds_write_b64 v13, v[2:3] offset:5128
; %bb.396:                              ;   in Loop: Header=BB144_6 Depth=1
	s_or_b32 exec_lo, exec_lo, s14
	s_waitcnt lgkmcnt(0)
	s_barrier
	buffer_gl0_inv
.LBB144_397:                            ;   in Loop: Header=BB144_6 Depth=1
	s_or_saveexec_b32 s7, s7
	v_mov_b32_e32 v12, 5
	s_mov_b32 s14, 0
	s_xor_b32 exec_lo, exec_lo, s7
; %bb.398:                              ;   in Loop: Header=BB144_6 Depth=1
	v_sub_co_u32 v4, vcc_lo, v4, s12
	v_subrev_co_ci_u32_e64 v5, null, s13, v5, vcc_lo
	v_mov_b32_e32 v12, 0
	s_mov_b32 s14, exec_lo
; %bb.399:                              ;   in Loop: Header=BB144_6 Depth=1
	s_or_b32 exec_lo, exec_lo, s7
	v_mov_b32_e32 v2, v4
	v_mov_b32_e32 v3, v5
	s_and_b32 s7, s14, exec_lo
.LBB144_400:                            ;   in Loop: Header=BB144_6 Depth=1
	s_or_b32 exec_lo, exec_lo, s6
	s_mov_b32 s6, -1
                                        ; implicit-def: $sgpr69
                                        ; implicit-def: $sgpr54
	s_and_saveexec_b32 s17, s7
	s_cbranch_execz .LBB144_451
; %bb.401:                              ;   in Loop: Header=BB144_6 Depth=1
	v_cmp_eq_u64_e32 vcc_lo, 1, v[2:3]
	s_cmp_eq_u64 s[10:11], 1
	s_mov_b32 s7, -1
	s_cselect_b32 s6, -1, 0
                                        ; implicit-def: $sgpr69
                                        ; implicit-def: $sgpr54
	s_and_b32 s67, s6, vcc_lo
	s_and_saveexec_b32 s68, s67
	s_cbranch_execz .LBB144_439
; %bb.402:                              ;   in Loop: Header=BB144_6 Depth=1
	ds_read_b64 v[4:5], v13 offset:5120
	s_waitcnt lgkmcnt(0)
	s_barrier
	buffer_gl0_inv
	v_readfirstlane_b32 s6, v4
	v_readfirstlane_b32 s7, v5
	s_and_saveexec_b32 s12, s8
; %bb.403:                              ;   in Loop: Header=BB144_6 Depth=1
	ds_write_b32 v32, v13
; %bb.404:                              ;   in Loop: Header=BB144_6 Depth=1
	s_or_b32 exec_lo, exec_lo, s12
	v_and_b32_e32 v17, s24, v17
	v_or_b32_e32 v38, s9, v38
	s_mov_b32 s54, -1
	s_mov_b32 s69, 0
	s_cmp_eq_u64 s[6:7], 0
	s_mov_b32 s14, 0
	s_mov_b32 s15, -1
	s_waitcnt lgkmcnt(0)
	s_barrier
	buffer_gl0_inv
                                        ; implicit-def: $vgpr25
	s_cbranch_scc1 .LBB144_422
; %bb.405:                              ;   in Loop: Header=BB144_6 Depth=1
	s_add_u32 s44, s6, s80
	s_addc_u32 s13, s7, s81
	s_mov_b32 s12, s27
	s_cmp_lg_u64 s[12:13], 0
	s_cbranch_scc0 .LBB144_409
; %bb.406:                              ;   in Loop: Header=BB144_6 Depth=1
	v_cvt_f32_u32_e32 v4, s33
	s_sub_u32 s15, 0, s33
	s_subb_u32 s26, 0, 0
	v_fmac_f32_e64 v4, 0x4f800000, 0
	v_rcp_f32_e32 v4, v4
	v_mul_f32_e32 v4, 0x5f7ffffc, v4
	v_mul_f32_e32 v5, 0x2f800000, v4
	v_trunc_f32_e32 v5, v5
	v_fmac_f32_e32 v4, 0xcf800000, v5
	v_cvt_u32_f32_e32 v5, v5
	v_cvt_u32_f32_e32 v4, v4
	v_readfirstlane_b32 s12, v5
	v_readfirstlane_b32 s14, v4
	s_mul_i32 s45, s15, s12
	s_mul_hi_u32 s71, s15, s14
	s_mul_i32 s70, s26, s14
	s_add_i32 s45, s71, s45
	s_mul_i32 s72, s15, s14
	s_add_i32 s45, s45, s70
	s_mul_hi_u32 s71, s14, s72
	s_mul_i32 s74, s14, s45
	s_mul_hi_u32 s73, s12, s72
	s_mul_i32 s70, s12, s72
	s_mul_hi_u32 s72, s14, s45
	s_add_u32 s71, s71, s74
	s_addc_u32 s72, 0, s72
	s_mul_hi_u32 s75, s12, s45
	s_add_u32 s70, s71, s70
	s_mul_i32 s45, s12, s45
	s_addc_u32 s70, s72, s73
	s_addc_u32 s71, s75, 0
	s_add_u32 s45, s70, s45
	s_addc_u32 s70, 0, s71
	s_add_u32 s14, s14, s45
	s_cselect_b32 s45, -1, 0
	s_mul_hi_u32 s71, s15, s14
	s_cmp_lg_u32 s45, 0
	s_mul_i32 s45, s15, s14
	s_addc_u32 s12, s12, s70
	s_mul_i32 s26, s26, s14
	s_mul_i32 s15, s15, s12
	s_mul_hi_u32 s70, s14, s45
	s_add_i32 s15, s71, s15
	s_mul_hi_u32 s71, s12, s45
	s_add_i32 s15, s15, s26
	s_mul_i32 s26, s12, s45
	s_mul_i32 s73, s14, s15
	s_mul_hi_u32 s72, s14, s15
	s_add_u32 s70, s70, s73
	s_addc_u32 s72, 0, s72
	s_mul_hi_u32 s45, s12, s15
	s_add_u32 s26, s70, s26
	s_mul_i32 s15, s12, s15
	s_addc_u32 s26, s72, s71
	s_addc_u32 s45, s45, 0
	s_add_u32 s15, s26, s15
	s_addc_u32 s26, 0, s45
	s_add_u32 s14, s14, s15
	s_cselect_b32 s15, -1, 0
	s_mul_hi_u32 s45, s44, s14
	s_cmp_lg_u32 s15, 0
	s_mul_hi_u32 s15, s13, s14
	s_addc_u32 s12, s12, s26
	s_mul_i32 s14, s13, s14
	s_mul_i32 s70, s44, s12
	s_mul_hi_u32 s26, s44, s12
	s_add_u32 s45, s45, s70
	s_addc_u32 s26, 0, s26
	s_mul_hi_u32 s71, s13, s12
	s_add_u32 s14, s45, s14
	s_mul_i32 s12, s13, s12
	s_addc_u32 s14, s26, s15
	s_addc_u32 s15, s71, 0
	s_add_u32 s12, s14, s12
	s_addc_u32 s14, 0, s15
	s_mul_hi_u32 s15, s33, s12
	s_mul_i32 s14, s33, s14
	s_mul_i32 s12, s33, s12
	s_add_i32 s15, s15, s14
	s_sub_u32 s12, s44, s12
	s_cselect_b32 s14, -1, 0
	s_cmp_lg_u32 s14, 0
	s_subb_u32 s14, s13, s15
	s_sub_u32 s15, s12, s33
	s_cselect_b32 s26, -1, 0
	s_cmp_lg_u32 s26, 0
	s_subb_u32 s26, s14, 0
	s_sub_u32 s45, s15, s33
	s_cselect_b32 s70, -1, 0
	s_cmp_lg_u32 s70, 0
	s_subb_u32 s70, s26, 0
	s_cmp_ge_u32 s15, s33
	s_cselect_b32 s71, -1, 0
	s_cmp_eq_u32 s26, 0
	s_cselect_b32 s71, s71, -1
	s_cmp_lg_u32 s71, 0
	s_cselect_b32 s26, s70, s26
	s_cselect_b32 s45, s45, s15
	s_cmp_ge_u32 s12, s33
	s_cselect_b32 s15, -1, 0
	s_cmp_eq_u32 s14, 0
	s_cselect_b32 s15, s15, -1
	s_cmp_lg_u32 s15, 0
	s_cselect_b32 s15, s26, s14
	s_cselect_b32 s14, s45, s12
	s_mov_b32 s12, 0
	s_branch .LBB144_410
.LBB144_407:                            ;   in Loop: Header=BB144_6 Depth=1
                                        ; implicit-def: $sgpr16_sgpr17
	s_branch .LBB144_362
.LBB144_408:                            ;   in Loop: Header=BB144_6 Depth=1
                                        ; implicit-def: $sgpr6_sgpr7
	s_branch .LBB144_378
.LBB144_409:                            ;   in Loop: Header=BB144_6 Depth=1
	s_mov_b32 s12, -1
                                        ; implicit-def: $sgpr14_sgpr15
.LBB144_410:                            ;   in Loop: Header=BB144_6 Depth=1
	s_andn2_b32 vcc_lo, exec_lo, s12
	s_cbranch_vccnz .LBB144_412
; %bb.411:                              ;   in Loop: Header=BB144_6 Depth=1
	v_cvt_f32_u32_e32 v4, s33
	s_sub_i32 s14, 0, s33
	v_rcp_iflag_f32_e32 v4, v4
	v_mul_f32_e32 v4, 0x4f7ffffe, v4
	v_cvt_u32_f32_e32 v4, v4
	v_readfirstlane_b32 s12, v4
	s_mul_i32 s14, s14, s12
	s_mul_hi_u32 s14, s12, s14
	s_add_i32 s12, s12, s14
	s_mul_hi_u32 s12, s44, s12
	s_mul_i32 s12, s12, s33
	s_sub_i32 s12, s44, s12
	s_sub_i32 s14, s12, s33
	s_cmp_ge_u32 s12, s33
	s_cselect_b32 s12, s14, s12
	s_sub_i32 s14, s12, s33
	s_cmp_ge_u32 s12, s33
	s_cselect_b32 s26, s14, s12
	s_mov_b64 s[14:15], s[26:27]
.LBB144_412:                            ;   in Loop: Header=BB144_6 Depth=1
	s_sub_u32 s12, s44, s14
	s_subb_u32 s13, s13, s15
	s_mov_b32 s15, 0
	s_mov_b32 s14, 0
	s_mov_b32 s26, exec_lo
                                        ; implicit-def: $vgpr25
	v_cmpx_gt_u64_e64 s[12:13], v[0:1]
	s_cbranch_execz .LBB144_421
; %bb.413:                              ;   in Loop: Header=BB144_6 Depth=1
	v_mov_b32_e32 v5, v1
	v_mov_b32_e32 v6, v14
	;; [unrolled: 1-line block ×3, first 2 shown]
                                        ; implicit-def: $sgpr44
	s_inst_prefetch 0x1
	s_branch .LBB144_416
	.p2align	6
.LBB144_414:                            ;   in Loop: Header=BB144_416 Depth=2
	s_or_b32 exec_lo, exec_lo, s45
	s_waitcnt lgkmcnt(0)
	s_barrier
	buffer_gl0_inv
	ds_read_b64 v[24:25], v13 offset:3072
	s_mov_b32 s45, -1
	s_mov_b32 s70, -1
	s_waitcnt lgkmcnt(0)
	s_barrier
	buffer_gl0_inv
	v_cmp_ne_u32_e32 vcc_lo, 0, v24
	s_cbranch_vccz .LBB144_419
.LBB144_415:                            ;   in Loop: Header=BB144_416 Depth=2
	s_and_b32 s45, exec_lo, s45
	s_or_b32 s14, s45, s14
	s_andn2_b32 s44, s44, exec_lo
	s_and_b32 s45, s70, exec_lo
	s_or_b32 s44, s44, s45
	s_andn2_b32 exec_lo, exec_lo, s14
	s_cbranch_execz .LBB144_420
.LBB144_416:                            ;   Parent Loop BB144_6 Depth=1
                                        ; =>  This Inner Loop Header: Depth=2
	s_mov_b32 s45, exec_lo
	v_cmpx_gt_u64_e64 s[6:7], v[4:5]
	s_cbranch_execz .LBB144_414
; %bb.417:                              ;   in Loop: Header=BB144_416 Depth=2
	ds_read_b32 v24, v6
	s_waitcnt lgkmcnt(0)
	v_xor_b32_e32 v7, 0x80000000, v24
	v_and_b32_e32 v7, v7, v38
	v_cmp_eq_u32_e32 vcc_lo, v7, v17
	s_and_b32 exec_lo, exec_lo, vcc_lo
	s_cbranch_execz .LBB144_414
; %bb.418:                              ;   in Loop: Header=BB144_416 Depth=2
	ds_write_b64 v13, v[23:24] offset:3072
	s_branch .LBB144_414
.LBB144_419:                            ;   in Loop: Header=BB144_416 Depth=2
	v_add_co_u32 v4, vcc_lo, v4, s33
	v_add_co_ci_u32_e64 v5, null, 0, v5, vcc_lo
	v_add_nc_u32_e32 v6, s86, v6
	s_mov_b32 s70, 0
	v_cmp_le_u64_e32 vcc_lo, s[12:13], v[4:5]
	s_orn2_b32 s45, vcc_lo, exec_lo
	s_branch .LBB144_415
.LBB144_420:                            ;   in Loop: Header=BB144_6 Depth=1
	s_inst_prefetch 0x2
	s_or_b32 exec_lo, exec_lo, s14
	s_and_b32 s14, s44, exec_lo
.LBB144_421:                            ;   in Loop: Header=BB144_6 Depth=1
	s_or_b32 exec_lo, exec_lo, s26
.LBB144_422:                            ;   in Loop: Header=BB144_6 Depth=1
	s_and_b32 vcc_lo, exec_lo, s15
	s_cbranch_vccz .LBB144_438
; %bb.423:                              ;   in Loop: Header=BB144_6 Depth=1
	s_mov_b32 s54, s27
	s_cmp_lg_u64 s[54:55], 0
	s_cbranch_scc0 .LBB144_425
; %bb.424:                              ;   in Loop: Header=BB144_6 Depth=1
	v_cvt_f32_u32_e32 v4, s33
	s_sub_u32 s12, 0, s33
	s_subb_u32 s13, 0, 0
	v_fmac_f32_e64 v4, 0x4f800000, 0
	v_rcp_f32_e32 v4, v4
	v_mul_f32_e32 v4, 0x5f7ffffc, v4
	v_mul_f32_e32 v5, 0x2f800000, v4
	v_trunc_f32_e32 v5, v5
	v_fmac_f32_e32 v4, 0xcf800000, v5
	v_cvt_u32_f32_e32 v5, v5
	v_cvt_u32_f32_e32 v4, v4
	v_readfirstlane_b32 s6, v5
	v_readfirstlane_b32 s7, v4
	s_mul_i32 s15, s12, s6
	s_mul_hi_u32 s44, s12, s7
	s_mul_i32 s26, s13, s7
	s_add_i32 s15, s44, s15
	s_mul_i32 s45, s12, s7
	s_add_i32 s15, s15, s26
	s_mul_hi_u32 s44, s7, s45
	s_mul_i32 s69, s7, s15
	s_mul_hi_u32 s54, s6, s45
	s_mul_i32 s26, s6, s45
	s_mul_hi_u32 s45, s7, s15
	s_add_u32 s44, s44, s69
	s_addc_u32 s45, 0, s45
	s_mul_hi_u32 s70, s6, s15
	s_add_u32 s26, s44, s26
	s_mul_i32 s15, s6, s15
	s_addc_u32 s26, s45, s54
	s_addc_u32 s44, s70, 0
	s_add_u32 s15, s26, s15
	s_addc_u32 s26, 0, s44
	s_add_u32 s7, s7, s15
	s_cselect_b32 s15, -1, 0
	s_mul_hi_u32 s44, s12, s7
	s_cmp_lg_u32 s15, 0
	s_mul_i32 s15, s12, s7
	s_addc_u32 s6, s6, s26
	s_mul_i32 s13, s13, s7
	s_mul_i32 s12, s12, s6
	s_mul_hi_u32 s26, s7, s15
	s_add_i32 s12, s44, s12
	s_mul_hi_u32 s44, s6, s15
	s_add_i32 s12, s12, s13
	s_mul_i32 s13, s6, s15
	s_mul_i32 s54, s7, s12
	s_mul_hi_u32 s45, s7, s12
	s_add_u32 s26, s26, s54
	s_addc_u32 s45, 0, s45
	s_mul_hi_u32 s15, s6, s12
	s_add_u32 s13, s26, s13
	s_mul_i32 s12, s6, s12
	s_addc_u32 s13, s45, s44
	s_addc_u32 s15, s15, 0
	s_add_u32 s12, s13, s12
	s_addc_u32 s13, 0, s15
	s_add_u32 s7, s7, s12
	s_cselect_b32 s12, -1, 0
	s_mul_hi_u32 s15, s82, s7
	s_cmp_lg_u32 s12, 0
	s_mul_hi_u32 s12, s55, s7
	s_addc_u32 s6, s6, s13
	s_mul_i32 s7, s55, s7
	s_mul_i32 s26, s82, s6
	s_mul_hi_u32 s13, s82, s6
	s_add_u32 s15, s15, s26
	s_addc_u32 s13, 0, s13
	s_mul_hi_u32 s44, s55, s6
	s_add_u32 s7, s15, s7
	s_mul_i32 s6, s55, s6
	s_addc_u32 s7, s13, s12
	s_addc_u32 s12, s44, 0
	s_add_u32 s6, s7, s6
	s_addc_u32 s7, 0, s12
	s_mul_hi_u32 s12, s33, s6
	s_mul_i32 s7, s33, s7
	s_mul_i32 s6, s33, s6
	s_add_i32 s12, s12, s7
	s_sub_u32 s6, s82, s6
	s_cselect_b32 s7, -1, 0
	s_cmp_lg_u32 s7, 0
	s_subb_u32 s7, s55, s12
	s_sub_u32 s12, s6, s33
	s_cselect_b32 s13, -1, 0
	s_cmp_lg_u32 s13, 0
	s_subb_u32 s13, s7, 0
	;; [unrolled: 4-line block ×3, first 2 shown]
	s_cmp_ge_u32 s12, s33
	s_cselect_b32 s44, -1, 0
	s_cmp_eq_u32 s13, 0
	s_cselect_b32 s44, s44, -1
	s_cmp_lg_u32 s44, 0
	s_cselect_b32 s13, s26, s13
	s_cselect_b32 s12, s15, s12
	s_cmp_ge_u32 s6, s33
	s_cselect_b32 s15, -1, 0
	s_cmp_eq_u32 s7, 0
	s_cselect_b32 s15, s15, -1
	s_cmp_lg_u32 s15, 0
	s_cselect_b32 s7, s13, s7
	s_cselect_b32 s6, s12, s6
	s_mov_b32 s12, 0
	s_branch .LBB144_426
.LBB144_425:                            ;   in Loop: Header=BB144_6 Depth=1
	s_mov_b32 s12, -1
                                        ; implicit-def: $sgpr6_sgpr7
.LBB144_426:                            ;   in Loop: Header=BB144_6 Depth=1
	s_andn2_b32 vcc_lo, exec_lo, s12
	s_cbranch_vccnz .LBB144_428
; %bb.427:                              ;   in Loop: Header=BB144_6 Depth=1
	v_cvt_f32_u32_e32 v4, s33
	s_sub_i32 s7, 0, s33
	v_rcp_iflag_f32_e32 v4, v4
	v_mul_f32_e32 v4, 0x4f7ffffe, v4
	v_cvt_u32_f32_e32 v4, v4
	v_readfirstlane_b32 s6, v4
	s_mul_i32 s7, s7, s6
	s_mul_hi_u32 s7, s6, s7
	s_add_i32 s6, s6, s7
	s_mul_hi_u32 s6, s82, s6
	s_mul_i32 s6, s6, s33
	s_sub_i32 s6, s82, s6
	s_sub_i32 s7, s6, s33
	s_cmp_ge_u32 s6, s33
	s_cselect_b32 s6, s7, s6
	s_sub_i32 s7, s6, s33
	s_cmp_ge_u32 s6, s33
	s_cselect_b32 s26, s7, s6
	s_mov_b64 s[6:7], s[26:27]
.LBB144_428:                            ;   in Loop: Header=BB144_6 Depth=1
	s_sub_u32 s12, s82, s6
	s_subb_u32 s13, s55, s7
	s_mov_b32 s7, exec_lo
                                        ; implicit-def: $vgpr25
	v_cmpx_gt_u64_e64 s[12:13], v[0:1]
	s_cbranch_execz .LBB144_437
; %bb.429:                              ;   in Loop: Header=BB144_6 Depth=1
	v_mov_b32_e32 v4, v10
	v_mov_b32_e32 v7, v1
	;; [unrolled: 1-line block ×4, first 2 shown]
	s_mov_b32 s15, 0
                                        ; implicit-def: $sgpr26
	s_inst_prefetch 0x1
	s_branch .LBB144_432
	.p2align	6
.LBB144_430:                            ;   in Loop: Header=BB144_432 Depth=2
	s_or_b32 exec_lo, exec_lo, s6
	s_waitcnt lgkmcnt(0)
	s_barrier
	buffer_gl0_inv
	ds_read_b64 v[24:25], v13 offset:3072
	s_mov_b32 s6, -1
	s_mov_b32 s44, -1
	s_waitcnt lgkmcnt(0)
	s_barrier
	buffer_gl0_inv
	v_cmp_eq_u32_e32 vcc_lo, 0, v24
	s_cbranch_vccnz .LBB144_435
.LBB144_431:                            ;   in Loop: Header=BB144_432 Depth=2
	s_and_b32 s6, exec_lo, s6
	s_or_b32 s15, s6, s15
	s_andn2_b32 s6, s26, exec_lo
	s_and_b32 s26, s44, exec_lo
	s_or_b32 s26, s6, s26
	s_andn2_b32 exec_lo, exec_lo, s15
	s_cbranch_execz .LBB144_436
.LBB144_432:                            ;   Parent Loop BB144_6 Depth=1
                                        ; =>  This Inner Loop Header: Depth=2
	s_mov_b32 s6, exec_lo
	v_cmpx_gt_u64_e64 s[28:29], v[6:7]
	s_cbranch_execz .LBB144_430
; %bb.433:                              ;   in Loop: Header=BB144_432 Depth=2
	global_load_dword v24, v[4:5], off
	s_waitcnt vmcnt(0)
	v_xor_b32_e32 v8, 0x80000000, v24
	v_and_b32_e32 v8, v8, v38
	v_cmp_eq_u32_e32 vcc_lo, v8, v17
	s_and_b32 exec_lo, exec_lo, vcc_lo
	s_cbranch_execz .LBB144_430
; %bb.434:                              ;   in Loop: Header=BB144_432 Depth=2
	ds_write_b64 v13, v[23:24] offset:3072
	s_branch .LBB144_430
.LBB144_435:                            ;   in Loop: Header=BB144_432 Depth=2
	v_add_co_u32 v6, vcc_lo, v6, s33
	v_add_co_ci_u32_e64 v7, null, 0, v7, vcc_lo
	v_add_co_u32 v4, s6, v4, s34
	v_add_co_ci_u32_e64 v5, null, s35, v5, s6
	v_cmp_le_u64_e32 vcc_lo, s[12:13], v[6:7]
	s_mov_b32 s44, 0
	s_orn2_b32 s6, vcc_lo, exec_lo
	s_branch .LBB144_431
.LBB144_436:                            ;   in Loop: Header=BB144_6 Depth=1
	s_inst_prefetch 0x2
	s_or_b32 exec_lo, exec_lo, s15
	s_andn2_b32 s6, s14, exec_lo
	s_and_b32 s12, s26, exec_lo
	s_or_b32 s14, s6, s12
.LBB144_437:                            ;   in Loop: Header=BB144_6 Depth=1
	s_or_b32 exec_lo, exec_lo, s7
	s_mov_b32 s54, 0
	s_mov_b32 s69, -1
.LBB144_438:                            ;   in Loop: Header=BB144_6 Depth=1
	s_orn2_b32 s7, s14, exec_lo
.LBB144_439:                            ;   in Loop: Header=BB144_6 Depth=1
	s_or_b32 exec_lo, exec_lo, s68
	s_mov_b32 s12, 0
	s_and_saveexec_b32 s6, s7
	s_cbranch_execz .LBB144_450
; %bb.440:                              ;   in Loop: Header=BB144_6 Depth=1
	v_mov_b32_e32 v4, 1
	v_mov_b32_e32 v5, 0
	;; [unrolled: 1-line block ×3, first 2 shown]
	s_xor_b32 s12, s67, -1
	s_and_saveexec_b32 s7, s12
	s_cbranch_execz .LBB144_449
; %bb.441:                              ;   in Loop: Header=BB144_6 Depth=1
	s_mov_b32 s12, exec_lo
	v_cmpx_ge_u64_e64 s[10:11], v[2:3]
	s_xor_b32 s12, exec_lo, s12
	s_cbranch_execz .LBB144_446
; %bb.442:                              ;   in Loop: Header=BB144_6 Depth=1
	ds_read_b64 v[4:5], v13 offset:5120
	v_and_b32_e32 v17, s24, v17
	v_or_b32_e32 v38, s9, v38
	s_waitcnt lgkmcnt(0)
	v_cmp_ne_u64_e32 vcc_lo, 0, v[4:5]
	s_cbranch_vccnz .LBB144_446
; %bb.443:                              ;   in Loop: Header=BB144_6 Depth=1
	s_and_saveexec_b32 s9, s3
; %bb.444:                              ;   in Loop: Header=BB144_6 Depth=1
	v_mov_b32_e32 v4, s10
	v_mov_b32_e32 v5, s11
	ds_write_b64 v13, v[4:5] offset:5128
; %bb.445:                              ;   in Loop: Header=BB144_6 Depth=1
	s_or_b32 exec_lo, exec_lo, s9
	s_waitcnt lgkmcnt(0)
	s_barrier
	buffer_gl0_inv
.LBB144_446:                            ;   in Loop: Header=BB144_6 Depth=1
	s_andn2_saveexec_b32 s9, s12
; %bb.447:                              ;   in Loop: Header=BB144_6 Depth=1
	v_sub_co_u32 v2, vcc_lo, v2, s10
	v_subrev_co_ci_u32_e64 v3, null, s11, v3, vcc_lo
; %bb.448:                              ;   in Loop: Header=BB144_6 Depth=1
	s_or_b32 exec_lo, exec_lo, s9
	v_mov_b32_e32 v5, v3
	v_mov_b32_e32 v12, 5
	;; [unrolled: 1-line block ×3, first 2 shown]
.LBB144_449:                            ;   in Loop: Header=BB144_6 Depth=1
	s_or_b32 exec_lo, exec_lo, s7
	v_mov_b32_e32 v2, v4
	v_mov_b32_e32 v3, v5
	s_mov_b32 s12, exec_lo
.LBB144_450:                            ;   in Loop: Header=BB144_6 Depth=1
	s_or_b32 exec_lo, exec_lo, s6
	s_orn2_b32 s6, s12, exec_lo
.LBB144_451:                            ;   in Loop: Header=BB144_6 Depth=1
	s_or_b32 exec_lo, exec_lo, s17
	v_mov_b32_e32 v5, v3
	v_mov_b32_e32 v4, v2
	s_andn2_b32 s7, s66, exec_lo
	s_and_b32 s9, s69, exec_lo
	s_andn2_b32 s10, s65, exec_lo
	s_and_b32 s11, s54, exec_lo
	s_or_b32 s66, s7, s9
	s_or_b32 s65, s10, s11
	s_and_b32 s7, s6, exec_lo
.LBB144_452:                            ;   in Loop: Header=BB144_6 Depth=1
	s_or_b32 exec_lo, exec_lo, s16
	s_orn2_b32 s6, s7, exec_lo
.LBB144_453:                            ;   in Loop: Header=BB144_6 Depth=1
	s_or_b32 exec_lo, exec_lo, s19
	v_mov_b32_e32 v2, v4
	v_mov_b32_e32 v3, v5
	s_andn2_b32 s7, s63, exec_lo
	s_and_b32 s9, s66, exec_lo
	s_andn2_b32 s10, s62, exec_lo
	s_and_b32 s11, s65, exec_lo
	s_or_b32 s63, s7, s9
	s_or_b32 s62, s10, s11
	s_and_b32 s7, s6, exec_lo
.LBB144_454:                            ;   in Loop: Header=BB144_6 Depth=1
	s_or_b32 exec_lo, exec_lo, s18
	s_orn2_b32 s6, s7, exec_lo
.LBB144_455:                            ;   in Loop: Header=BB144_6 Depth=1
	s_or_b32 exec_lo, exec_lo, s21
	s_mov_b32 s7, s23
	s_mov_b32 s9, s22
	s_and_saveexec_b32 s10, s6
; %bb.456:                              ;   in Loop: Header=BB144_6 Depth=1
	v_cmp_ne_u32_e32 vcc_lo, 5, v12
	v_cmp_eq_u32_e64 s6, 5, v12
	s_andn2_b32 s7, s22, exec_lo
	s_andn2_b32 s11, s23, exec_lo
	s_and_b32 s9, vcc_lo, exec_lo
	s_and_b32 s6, s6, exec_lo
	s_or_b32 s9, s7, s9
	s_or_b32 s7, s11, s6
; %bb.457:                              ;   in Loop: Header=BB144_6 Depth=1
	s_or_b32 exec_lo, exec_lo, s10
	s_andn2_b32 s6, s64, exec_lo
	s_and_b32 s10, s63, exec_lo
	s_andn2_b32 s11, s25, exec_lo
	s_and_b32 s12, s62, exec_lo
	s_or_b32 s64, s6, s10
	s_andn2_b32 s6, s22, exec_lo
	s_and_b32 s9, s9, exec_lo
	s_andn2_b32 s10, s23, exec_lo
	s_and_b32 s7, s7, exec_lo
	s_or_b32 s25, s11, s12
	s_or_b32 s22, s6, s9
	;; [unrolled: 1-line block ×3, first 2 shown]
.LBB144_458:                            ;   in Loop: Header=BB144_6 Depth=1
	s_or_b32 exec_lo, exec_lo, s20
	s_mov_b32 s62, 0
	s_mov_b32 s63, 0
	s_and_saveexec_b32 s6, s23
.LBB144_459:                            ;   in Loop: Header=BB144_6 Depth=1
	v_mov_b32_e32 v12, 0
	s_or_b32 s22, s22, exec_lo
.LBB144_460:                            ;   in Loop: Header=BB144_6 Depth=1
	s_or_b32 exec_lo, exec_lo, s6
	s_andn2_b32 s6, s97, exec_lo
	s_and_b32 s9, s64, exec_lo
	s_andn2_b32 s10, s95, exec_lo
	s_and_b32 s11, s25, exec_lo
	v_mov_b32_e32 v27, v3
	v_mov_b32_e32 v26, v2
	s_or_b32 s97, s6, s9
	s_or_b32 s95, s10, s11
	s_andn2_b32 s6, s99, exec_lo
	s_and_b32 s9, s63, exec_lo
	s_andn2_b32 s10, s98, exec_lo
	s_and_b32 s11, s62, exec_lo
	s_mov_b32 s7, -1
	s_andn2_b32 s96, s96, exec_lo
	s_or_b32 s99, s6, s9
	s_or_b32 s98, s10, s11
	s_and_saveexec_b32 s6, s22
	s_xor_b32 s6, exec_lo, s6
	s_cbranch_execz .LBB144_5
; %bb.461:                              ;   in Loop: Header=BB144_6 Depth=1
	s_mov_b32 s9, -1
	s_mov_b32 s10, exec_lo
	v_cmpx_eq_u32_e32 0, v12
	s_cbranch_execz .LBB144_4
; %bb.462:                              ;   in Loop: Header=BB144_6 Depth=1
	s_xor_b32 s89, s89, 1
	s_add_i32 s11, s93, -2
	s_cmp_eq_u32 s93, 0
	s_mov_b32 s93, s11
	s_cselect_b32 s7, -1, 0
	s_xor_b32 s9, exec_lo, -1
	s_orn2_b32 s7, s7, exec_lo
	s_branch .LBB144_4
.LBB144_463:
	s_or_b32 exec_lo, exec_lo, s87
	s_xor_b32 s7, s94, -1
	s_xor_b32 s9, s91, -1
	;; [unrolled: 1-line block ×5, first 2 shown]
	s_mov_b32 s8, 0
	s_and_saveexec_b32 s12, s11
	s_xor_b32 s12, exec_lo, s12
	s_cbranch_execnz .LBB144_468
; %bb.464:
	s_andn2_saveexec_b32 s0, s12
	s_cbranch_execnz .LBB144_487
.LBB144_465:
	s_or_b32 exec_lo, exec_lo, s0
	s_and_saveexec_b32 s0, s8
.LBB144_466:
	; divergent unreachable
.LBB144_467:
	s_endpgm
.LBB144_468:
	s_and_saveexec_b32 s11, s10
	s_xor_b32 s13, exec_lo, s11
	s_cbranch_execz .LBB144_485
; %bb.469:
	s_and_saveexec_b32 s10, s9
	s_xor_b32 s14, exec_lo, s10
	s_cbranch_execz .LBB144_483
; %bb.470:
	;; [unrolled: 4-line block ×3, first 2 shown]
	s_and_saveexec_b32 s7, s6
	s_xor_b32 s6, exec_lo, s7
; %bb.472:
	v_xor_b32_e32 v25, 0x80000000, v17
; %bb.473:
	s_or_b32 exec_lo, exec_lo, s6
	s_and_saveexec_b32 s6, s3
; %bb.474:
	v_mov_b32_e32 v2, 0
	v_mov_b32_e32 v3, v2
	ds_write_b64 v2, v[2:3] offset:5136
; %bb.475:
	s_or_b32 exec_lo, exec_lo, s6
	v_mov_b32_e32 v16, 0
	s_waitcnt lgkmcnt(0)
	s_barrier
	buffer_gl0_inv
	s_and_saveexec_b32 s3, s1
	s_cbranch_execz .LBB144_477
; %bb.476:
	global_load_dword v16, v[10:11], off
.LBB144_477:
	s_or_b32 exec_lo, exec_lo, s3
	s_clause 0x1
	s_load_dwordx2 s[8:9], s[4:5], 0x368
	s_load_dwordx2 s[10:11], s[4:5], 0x510
	v_readlane_b32 s18, v47, 0
	v_readlane_b32 s19, v47, 1
	s_add_u32 s3, s28, 31
	s_mul_i32 s16, s51, s42
	s_mul_hi_u32 s17, s50, s42
	v_readlane_b32 s20, v47, 4
	s_addc_u32 s7, s29, 0
	s_and_b32 s6, s3, 0xffffffe0
	s_add_i32 s5, s17, s16
	s_mul_i32 s3, s19, s42
	s_mul_hi_u32 s16, s18, s42
	s_mul_i32 s4, s50, s42
	v_readlane_b32 s21, v47, 5
	s_add_i32 s19, s16, s3
	s_lshl_b64 s[16:17], s[4:5], 2
	s_mul_i32 s18, s18, s42
	s_add_u32 s5, s20, s16
	s_addc_u32 s16, s21, s17
	v_readlane_b32 s20, v47, 2
	v_readlane_b32 s21, v47, 3
	v_cmp_gt_u64_e32 vcc_lo, s[6:7], v[0:1]
	s_lshl_b64 s[18:19], s[18:19], 3
	s_mov_b32 s4, -1
	s_add_u32 s17, s20, s18
	s_addc_u32 s18, s21, s19
	s_mov_b32 s19, 0
	s_mov_b32 s3, 0
	s_and_saveexec_b32 s20, vcc_lo
	s_cbranch_execnz .LBB144_488
; %bb.478:
	s_or_b32 exec_lo, exec_lo, s20
	s_and_saveexec_b32 s2, s4
	s_cbranch_execnz .LBB144_503
.LBB144_479:
	s_or_b32 exec_lo, exec_lo, s2
	s_and_saveexec_b32 s0, s3
	s_xor_b32 s0, exec_lo, s0
	s_cbranch_execnz .LBB144_526
.LBB144_480:
	s_or_b32 exec_lo, exec_lo, s0
	s_waitcnt lgkmcnt(0)
	s_and_b32 s8, s19, exec_lo
.LBB144_481:
	s_andn2_saveexec_b32 s0, s15
	s_cbranch_execnz .LBB144_528
.LBB144_482:
	s_or_b32 exec_lo, exec_lo, s0
	s_and_b32 s8, s8, exec_lo
.LBB144_483:
	s_andn2_saveexec_b32 s0, s14
	s_cbranch_execnz .LBB144_527
.LBB144_484:
	s_or_b32 exec_lo, exec_lo, s0
	s_and_b32 s8, s8, exec_lo
.LBB144_485:
	s_andn2_saveexec_b32 s0, s13
	s_cbranch_execnz .LBB144_522
.LBB144_486:
	s_or_b32 exec_lo, exec_lo, s0
	s_and_b32 s8, s8, exec_lo
	s_andn2_saveexec_b32 s0, s12
	s_cbranch_execz .LBB144_465
.LBB144_487:
	s_or_b32 s8, s8, exec_lo
	s_trap 2
	s_or_b32 exec_lo, exec_lo, s0
	s_and_saveexec_b32 s0, s8
	s_cbranch_execnz .LBB144_466
	s_branch .LBB144_467
.LBB144_488:
	v_add_nc_u32_e32 v4, s33, v0
	s_add_u32 s3, s36, s40
	s_addc_u32 s4, s37, s41
	v_mov_b32_e32 v13, v1
	v_xor_b32_e32 v17, 0x80000000, v25
	v_mad_u64_u32 v[2:3], null, s38, v4, 0
	v_mov_b32_e32 v12, v0
	s_mov_b32 s21, 0
                                        ; implicit-def: $sgpr22
                                        ; implicit-def: $vgpr8_vgpr9
	v_mad_u64_u32 v[3:4], null, s39, v4, v[3:4]
	v_lshlrev_b64 v[4:5], 2, v[2:3]
	v_mov_b32_e32 v3, 0
	v_add_co_u32 v4, s3, s3, v4
	v_add_co_ci_u32_e64 v5, null, s4, v5, s3
	s_branch .LBB144_490
.LBB144_489:                            ;   in Loop: Header=BB144_490 Depth=1
	s_or_b32 exec_lo, exec_lo, s23
	s_xor_b32 s3, s24, -1
	s_and_b32 s4, exec_lo, s4
	v_mov_b32_e32 v13, v7
	v_mov_b32_e32 v16, v18
	s_or_b32 s21, s4, s21
	v_mov_b32_e32 v12, v6
	s_andn2_b32 s4, s22, exec_lo
	s_and_b32 s3, s3, exec_lo
	s_or_b32 s22, s4, s3
	s_andn2_b32 exec_lo, exec_lo, s21
	s_cbranch_execz .LBB144_502
.LBB144_490:                            ; =>This Inner Loop Header: Depth=1
	v_add_co_u32 v6, s3, v12, s33
	v_add_co_ci_u32_e64 v7, null, 0, v13, s3
	v_mov_b32_e32 v18, 0
	s_mov_b32 s4, exec_lo
	v_cmpx_gt_u64_e64 s[28:29], v[6:7]
	s_cbranch_execz .LBB144_492
; %bb.491:                              ;   in Loop: Header=BB144_490 Depth=1
	global_load_dword v18, v[4:5], off
.LBB144_492:                            ;   in Loop: Header=BB144_490 Depth=1
	s_or_b32 exec_lo, exec_lo, s4
	s_waitcnt vmcnt(0)
	v_xor_b32_e32 v2, 0x80000000, v16
	v_cmp_gt_u32_e64 s3, v2, v17
	v_cndmask_b32_e64 v14, 0, 1, s3
	v_cmp_lt_u32_e64 s3, v2, v17
	v_cndmask_b32_e64 v2, 0, 1, s3
	v_cmp_gt_u64_e64 s3, s[28:29], v[12:13]
	v_cndmask_b32_e64 v2, v2, v14, s2
	v_and_b32_e32 v2, 1, v2
	v_cmp_eq_u32_e64 s4, 1, v2
	s_and_b32 s24, s3, s4
	v_cndmask_b32_e64 v2, 0, 1, s24
	v_cmp_ne_u32_e64 s3, 0, v2
	s_cmp_lg_u32 s3, 0
	s_cselect_b32 s4, -1, 0
	s_and_b32 s4, s0, s4
	s_and_saveexec_b32 s23, s4
	s_cbranch_execz .LBB144_496
; %bb.493:                              ;   in Loop: Header=BB144_490 Depth=1
	s_mov_b32 s27, exec_lo
	s_bcnt1_i32_b32 s25, s3
	v_mbcnt_lo_u32_b32 v14, s27, 0
	s_mov_b32 s26, exec_lo
                                        ; implicit-def: $vgpr8_vgpr9
	v_cmpx_eq_u32_e32 0, v14
	s_cbranch_execz .LBB144_495
; %bb.494:                              ;   in Loop: Header=BB144_490 Depth=1
	s_bcnt1_i32_b32 s4, s27
	s_mul_i32 s4, s25, s4
	v_mov_b32_e32 v2, s4
	s_waitcnt lgkmcnt(0)
	ds_add_rtn_u64 v[8:9], v3, v[2:3] offset:5136
.LBB144_495:                            ;   in Loop: Header=BB144_490 Depth=1
	s_or_b32 exec_lo, exec_lo, s26
	s_waitcnt lgkmcnt(0)
	v_readfirstlane_b32 s27, v9
	v_readfirstlane_b32 s26, v8
	v_mad_u64_u32 v[8:9], null, s25, v14, s[26:27]
.LBB144_496:                            ;   in Loop: Header=BB144_490 Depth=1
	s_or_b32 exec_lo, exec_lo, s23
	s_waitcnt lgkmcnt(0)
	ds_bpermute_b32 v8, v3, v8
	ds_bpermute_b32 v9, v3, v9
	s_mov_b32 s4, -1
	s_mov_b32 s25, -1
	s_and_saveexec_b32 s23, s24
	s_cbranch_execz .LBB144_500
; %bb.497:                              ;   in Loop: Header=BB144_490 Depth=1
	v_and_b32_e32 v2, s3, v30
	s_mov_b32 s24, 0
	s_mov_b32 s25, exec_lo
	v_bcnt_u32_b32 v2, v2, 0
	s_waitcnt lgkmcnt(0)
	v_add_co_u32 v14, s3, v8, v2
	v_add_co_ci_u32_e64 v15, null, 0, v9, s3
	v_cmpx_gt_u64_e64 s[30:31], v[14:15]
; %bb.498:                              ;   in Loop: Header=BB144_490 Depth=1
	v_mul_lo_u32 v2, v15, s8
	v_mul_lo_u32 v21, v14, s9
	v_mad_u64_u32 v[19:20], null, v14, s8, 0
	v_mul_lo_u32 v22, v15, s10
	v_mul_lo_u32 v23, v14, s11
	v_mad_u64_u32 v[14:15], null, v14, s10, 0
	s_mov_b32 s24, exec_lo
	v_add3_u32 v20, v20, v21, v2
	v_add3_u32 v15, v15, v23, v22
	v_lshlrev_b64 v[19:20], 2, v[19:20]
	v_lshlrev_b64 v[14:15], 3, v[14:15]
	v_add_co_u32 v19, s3, s5, v19
	v_add_co_ci_u32_e64 v20, null, s16, v20, s3
	v_add_co_u32 v14, s3, s17, v14
	v_add_co_ci_u32_e64 v15, null, s18, v15, s3
	global_store_dword v[19:20], v16, off
	global_store_dwordx2 v[14:15], v[12:13], off
; %bb.499:                              ;   in Loop: Header=BB144_490 Depth=1
	s_or_b32 exec_lo, exec_lo, s25
	s_orn2_b32 s25, s24, exec_lo
.LBB144_500:                            ;   in Loop: Header=BB144_490 Depth=1
	s_or_b32 exec_lo, exec_lo, s23
	s_mov_b32 s24, -1
	s_and_saveexec_b32 s23, s25
	s_cbranch_execz .LBB144_489
; %bb.501:                              ;   in Loop: Header=BB144_490 Depth=1
	v_cmp_le_u64_e64 s3, s[6:7], v[6:7]
	v_add_co_u32 v4, s4, v4, s34
	v_add_co_ci_u32_e64 v5, null, s35, v5, s4
	s_xor_b32 s24, exec_lo, -1
	s_orn2_b32 s4, s3, exec_lo
	s_branch .LBB144_489
.LBB144_502:
	s_or_b32 exec_lo, exec_lo, s21
	s_mov_b32 s3, exec_lo
	s_orn2_b32 s4, s22, exec_lo
	s_or_b32 exec_lo, exec_lo, s20
	s_and_saveexec_b32 s2, s4
	s_cbranch_execz .LBB144_479
.LBB144_503:
	v_mov_b32_e32 v4, 0
	s_waitcnt vmcnt(0) lgkmcnt(0)
	s_waitcnt_vscnt null, 0x0
	s_barrier
	buffer_gl0_inv
	s_and_saveexec_b32 s4, s1
	s_cbranch_execz .LBB144_505
; %bb.504:
	global_load_dword v4, v[10:11], off
.LBB144_505:
	s_or_b32 exec_lo, exec_lo, s4
	s_mov_b32 s1, 0
	s_and_saveexec_b32 s4, vcc_lo
	s_cbranch_execz .LBB144_525
; %bb.506:
	v_add_nc_u32_e32 v5, s33, v0
	s_add_u32 s1, s36, s40
	s_addc_u32 s19, s37, s41
                                        ; implicit-def: $sgpr20
                                        ; implicit-def: $vgpr8_vgpr9
	v_mad_u64_u32 v[2:3], null, s38, v5, 0
	s_waitcnt vmcnt(0)
	v_mad_u64_u32 v[5:6], null, s39, v5, v[3:4]
	v_mov_b32_e32 v3, v5
	v_mov_b32_e32 v5, 0
	v_lshlrev_b64 v[2:3], 2, v[2:3]
	v_add_co_u32 v2, vcc_lo, s1, v2
	v_add_co_ci_u32_e64 v3, null, s19, v3, vcc_lo
	s_mov_b32 s19, 0
	s_branch .LBB144_509
.LBB144_507:                            ;   in Loop: Header=BB144_509 Depth=1
	s_or_b32 exec_lo, exec_lo, s22
	s_orn2_b32 s24, s23, exec_lo
	s_orn2_b32 s23, s1, exec_lo
.LBB144_508:                            ;   in Loop: Header=BB144_509 Depth=1
	s_or_b32 exec_lo, exec_lo, s21
	s_xor_b32 s1, s24, -1
	s_and_b32 s21, exec_lo, s23
	v_mov_b32_e32 v0, v6
	v_mov_b32_e32 v1, v7
	s_or_b32 s19, s21, s19
	s_waitcnt vmcnt(0)
	v_mov_b32_e32 v4, v12
	s_andn2_b32 s20, s20, exec_lo
	s_and_b32 s1, s1, exec_lo
	s_or_b32 s20, s20, s1
	s_andn2_b32 exec_lo, exec_lo, s19
	s_cbranch_execz .LBB144_523
.LBB144_509:                            ; =>This Inner Loop Header: Depth=1
	v_add_co_u32 v6, vcc_lo, v0, s33
	v_add_co_ci_u32_e64 v7, null, 0, v1, vcc_lo
	v_mov_b32_e32 v12, 0
	s_mov_b32 s1, exec_lo
	v_cmpx_gt_u64_e64 s[28:29], v[6:7]
	s_cbranch_execz .LBB144_511
; %bb.510:                              ;   in Loop: Header=BB144_509 Depth=1
	global_load_dword v12, v[2:3], off
.LBB144_511:                            ;   in Loop: Header=BB144_509 Depth=1
	s_or_b32 exec_lo, exec_lo, s1
	v_cmp_gt_u64_e32 vcc_lo, s[28:29], v[0:1]
	v_cmp_eq_u32_e64 s1, v4, v25
	s_and_b32 s22, vcc_lo, s1
	v_cndmask_b32_e64 v4, 0, 1, s22
	v_cmp_ne_u32_e32 vcc_lo, 0, v4
	s_cmp_lg_u32 vcc_lo, 0
	s_cselect_b32 s1, -1, 0
	s_and_b32 s1, s0, s1
	s_and_saveexec_b32 s21, s1
	s_cbranch_execz .LBB144_515
; %bb.512:                              ;   in Loop: Header=BB144_509 Depth=1
	s_mov_b32 s25, exec_lo
	s_bcnt1_i32_b32 s23, vcc_lo
	v_mbcnt_lo_u32_b32 v10, s25, 0
	s_mov_b32 s24, exec_lo
                                        ; implicit-def: $vgpr8_vgpr9
	v_cmpx_eq_u32_e32 0, v10
; %bb.513:                              ;   in Loop: Header=BB144_509 Depth=1
	s_bcnt1_i32_b32 s1, s25
	s_mul_i32 s1, s23, s1
	v_mov_b32_e32 v4, s1
	ds_add_rtn_u64 v[8:9], v5, v[4:5] offset:5136
; %bb.514:                              ;   in Loop: Header=BB144_509 Depth=1
	s_or_b32 exec_lo, exec_lo, s24
	s_waitcnt lgkmcnt(0)
	v_readfirstlane_b32 s25, v9
	v_readfirstlane_b32 s24, v8
	v_mad_u64_u32 v[8:9], null, s23, v10, s[24:25]
.LBB144_515:                            ;   in Loop: Header=BB144_509 Depth=1
	s_or_b32 exec_lo, exec_lo, s21
	ds_bpermute_b32 v8, v5, v8
	ds_bpermute_b32 v9, v5, v9
	s_cmp_eq_u32 vcc_lo, 0
	s_mov_b32 s23, -1
	s_cselect_b32 s21, -1, 0
	s_mov_b32 s24, -1
	s_waitcnt lgkmcnt(0)
	v_cmp_gt_u64_e64 s1, s[30:31], v[8:9]
	s_or_b32 s1, s21, s1
	s_and_saveexec_b32 s21, s1
	s_cbranch_execz .LBB144_508
; %bb.516:                              ;   in Loop: Header=BB144_509 Depth=1
	v_and_b32_e32 v4, vcc_lo, v30
	v_sub_co_u32 v10, vcc_lo, s30, v8
	v_sub_co_ci_u32_e64 v11, null, s31, v9, vcc_lo
	v_bcnt_u32_b32 v4, v4, 0
	s_mov_b32 s1, -1
	v_bcnt_u32_b32 v4, 0, v4
	v_cmp_gt_u64_e32 vcc_lo, v[10:11], v[4:5]
	s_and_b32 s25, s22, vcc_lo
	s_and_saveexec_b32 s22, s25
	s_cbranch_execz .LBB144_520
; %bb.517:                              ;   in Loop: Header=BB144_509 Depth=1
	v_add_co_u32 v10, vcc_lo, v8, v4
	v_add_co_ci_u32_e64 v11, null, 0, v9, vcc_lo
	s_mov_b32 s24, 0
	s_mov_b32 s23, exec_lo
	v_cmpx_gt_u64_e64 s[30:31], v[10:11]
; %bb.518:                              ;   in Loop: Header=BB144_509 Depth=1
	v_mul_lo_u32 v4, v11, s8
	v_mul_lo_u32 v15, v10, s9
	v_mad_u64_u32 v[13:14], null, v10, s8, 0
	v_mul_lo_u32 v16, v11, s10
	v_mul_lo_u32 v17, v10, s11
	v_mad_u64_u32 v[10:11], null, v10, s10, 0
	s_mov_b32 s24, exec_lo
	v_add3_u32 v14, v14, v15, v4
	v_add3_u32 v11, v11, v17, v16
	v_lshlrev_b64 v[13:14], 2, v[13:14]
	v_lshlrev_b64 v[10:11], 3, v[10:11]
	v_add_co_u32 v13, vcc_lo, s5, v13
	v_add_co_ci_u32_e64 v14, null, s16, v14, vcc_lo
	v_add_co_u32 v10, vcc_lo, s17, v10
	v_add_co_ci_u32_e64 v11, null, s18, v11, vcc_lo
	global_store_dword v[13:14], v25, off
	global_store_dwordx2 v[10:11], v[0:1], off
; %bb.519:                              ;   in Loop: Header=BB144_509 Depth=1
	s_or_b32 exec_lo, exec_lo, s23
	s_xor_b32 s23, exec_lo, -1
	s_orn2_b32 s24, s24, exec_lo
.LBB144_520:                            ;   in Loop: Header=BB144_509 Depth=1
	s_or_b32 exec_lo, exec_lo, s22
	s_and_saveexec_b32 s22, s24
	s_cbranch_execz .LBB144_507
; %bb.521:                              ;   in Loop: Header=BB144_509 Depth=1
	v_cmp_le_u64_e32 vcc_lo, s[6:7], v[6:7]
	v_add_co_u32 v2, s1, v2, s34
	v_add_co_ci_u32_e64 v3, null, s35, v3, s1
	s_or_b32 s23, s23, exec_lo
	s_orn2_b32 s1, vcc_lo, exec_lo
	s_branch .LBB144_507
.LBB144_522:
	s_or_b32 s8, s8, exec_lo
	s_trap 2
	s_branch .LBB144_486
.LBB144_523:
	s_or_b32 exec_lo, exec_lo, s19
	s_mov_b32 s0, 0
	s_and_saveexec_b32 s1, s20
	s_xor_b32 s1, exec_lo, s1
	s_cbranch_execnz .LBB144_529
.LBB144_524:
	s_or_b32 exec_lo, exec_lo, s1
	s_and_b32 s1, s0, exec_lo
.LBB144_525:
	s_or_b32 exec_lo, exec_lo, s4
	s_and_b32 s19, s1, exec_lo
	s_andn2_b32 s3, s3, exec_lo
	s_or_b32 exec_lo, exec_lo, s2
	s_and_saveexec_b32 s0, s3
	s_xor_b32 s0, exec_lo, s0
	s_cbranch_execz .LBB144_480
.LBB144_526:
	s_or_b32 s19, s19, exec_lo
	s_trap 2
	s_branch .LBB144_480
.LBB144_527:
	s_or_b32 s8, s8, exec_lo
	s_trap 2
	s_branch .LBB144_484
.LBB144_528:
	s_or_b32 s8, s8, exec_lo
	s_trap 2
	s_branch .LBB144_482
.LBB144_529:
	s_mov_b32 s0, exec_lo
	s_trap 2
	s_branch .LBB144_524
	.section	.rodata,"a",@progbits
	.p2align	6, 0x0
	.amdhsa_kernel _ZN2at6native6sbtopk10gatherTopKIimLi1ELb0EEEvNS_4cuda6detail10TensorInfoIKT_T0_EES8_S8_bS8_S8_NS5_IS6_S8_EES8_NS5_IlS8_EES8_PS6_
		.amdhsa_group_segment_fixed_size 5152
		.amdhsa_private_segment_fixed_size 0
		.amdhsa_kernarg_size 1568
		.amdhsa_user_sgpr_count 6
		.amdhsa_user_sgpr_private_segment_buffer 1
		.amdhsa_user_sgpr_dispatch_ptr 0
		.amdhsa_user_sgpr_queue_ptr 0
		.amdhsa_user_sgpr_kernarg_segment_ptr 1
		.amdhsa_user_sgpr_dispatch_id 0
		.amdhsa_user_sgpr_flat_scratch_init 0
		.amdhsa_user_sgpr_private_segment_size 0
		.amdhsa_wavefront_size32 1
		.amdhsa_uses_dynamic_stack 0
		.amdhsa_system_sgpr_private_segment_wavefront_offset 0
		.amdhsa_system_sgpr_workgroup_id_x 1
		.amdhsa_system_sgpr_workgroup_id_y 1
		.amdhsa_system_sgpr_workgroup_id_z 1
		.amdhsa_system_sgpr_workgroup_info 0
		.amdhsa_system_vgpr_workitem_id 0
		.amdhsa_next_free_vgpr 48
		.amdhsa_next_free_sgpr 105
		.amdhsa_reserve_vcc 1
		.amdhsa_reserve_flat_scratch 0
		.amdhsa_float_round_mode_32 0
		.amdhsa_float_round_mode_16_64 0
		.amdhsa_float_denorm_mode_32 3
		.amdhsa_float_denorm_mode_16_64 3
		.amdhsa_dx10_clamp 1
		.amdhsa_ieee_mode 1
		.amdhsa_fp16_overflow 0
		.amdhsa_workgroup_processor_mode 1
		.amdhsa_memory_ordered 1
		.amdhsa_forward_progress 1
		.amdhsa_shared_vgpr_count 0
		.amdhsa_exception_fp_ieee_invalid_op 0
		.amdhsa_exception_fp_denorm_src 0
		.amdhsa_exception_fp_ieee_div_zero 0
		.amdhsa_exception_fp_ieee_overflow 0
		.amdhsa_exception_fp_ieee_underflow 0
		.amdhsa_exception_fp_ieee_inexact 0
		.amdhsa_exception_int_div_zero 0
	.end_amdhsa_kernel
	.section	.text._ZN2at6native6sbtopk10gatherTopKIimLi1ELb0EEEvNS_4cuda6detail10TensorInfoIKT_T0_EES8_S8_bS8_S8_NS5_IS6_S8_EES8_NS5_IlS8_EES8_PS6_,"axG",@progbits,_ZN2at6native6sbtopk10gatherTopKIimLi1ELb0EEEvNS_4cuda6detail10TensorInfoIKT_T0_EES8_S8_bS8_S8_NS5_IS6_S8_EES8_NS5_IlS8_EES8_PS6_,comdat
.Lfunc_end144:
	.size	_ZN2at6native6sbtopk10gatherTopKIimLi1ELb0EEEvNS_4cuda6detail10TensorInfoIKT_T0_EES8_S8_bS8_S8_NS5_IS6_S8_EES8_NS5_IlS8_EES8_PS6_, .Lfunc_end144-_ZN2at6native6sbtopk10gatherTopKIimLi1ELb0EEEvNS_4cuda6detail10TensorInfoIKT_T0_EES8_S8_bS8_S8_NS5_IS6_S8_EES8_NS5_IlS8_EES8_PS6_
                                        ; -- End function
	.set _ZN2at6native6sbtopk10gatherTopKIimLi1ELb0EEEvNS_4cuda6detail10TensorInfoIKT_T0_EES8_S8_bS8_S8_NS5_IS6_S8_EES8_NS5_IlS8_EES8_PS6_.num_vgpr, 48
	.set _ZN2at6native6sbtopk10gatherTopKIimLi1ELb0EEEvNS_4cuda6detail10TensorInfoIKT_T0_EES8_S8_bS8_S8_NS5_IS6_S8_EES8_NS5_IlS8_EES8_PS6_.num_agpr, 0
	.set _ZN2at6native6sbtopk10gatherTopKIimLi1ELb0EEEvNS_4cuda6detail10TensorInfoIKT_T0_EES8_S8_bS8_S8_NS5_IS6_S8_EES8_NS5_IlS8_EES8_PS6_.numbered_sgpr, 105
	.set _ZN2at6native6sbtopk10gatherTopKIimLi1ELb0EEEvNS_4cuda6detail10TensorInfoIKT_T0_EES8_S8_bS8_S8_NS5_IS6_S8_EES8_NS5_IlS8_EES8_PS6_.num_named_barrier, 0
	.set _ZN2at6native6sbtopk10gatherTopKIimLi1ELb0EEEvNS_4cuda6detail10TensorInfoIKT_T0_EES8_S8_bS8_S8_NS5_IS6_S8_EES8_NS5_IlS8_EES8_PS6_.private_seg_size, 0
	.set _ZN2at6native6sbtopk10gatherTopKIimLi1ELb0EEEvNS_4cuda6detail10TensorInfoIKT_T0_EES8_S8_bS8_S8_NS5_IS6_S8_EES8_NS5_IlS8_EES8_PS6_.uses_vcc, 1
	.set _ZN2at6native6sbtopk10gatherTopKIimLi1ELb0EEEvNS_4cuda6detail10TensorInfoIKT_T0_EES8_S8_bS8_S8_NS5_IS6_S8_EES8_NS5_IlS8_EES8_PS6_.uses_flat_scratch, 0
	.set _ZN2at6native6sbtopk10gatherTopKIimLi1ELb0EEEvNS_4cuda6detail10TensorInfoIKT_T0_EES8_S8_bS8_S8_NS5_IS6_S8_EES8_NS5_IlS8_EES8_PS6_.has_dyn_sized_stack, 0
	.set _ZN2at6native6sbtopk10gatherTopKIimLi1ELb0EEEvNS_4cuda6detail10TensorInfoIKT_T0_EES8_S8_bS8_S8_NS5_IS6_S8_EES8_NS5_IlS8_EES8_PS6_.has_recursion, 0
	.set _ZN2at6native6sbtopk10gatherTopKIimLi1ELb0EEEvNS_4cuda6detail10TensorInfoIKT_T0_EES8_S8_bS8_S8_NS5_IS6_S8_EES8_NS5_IlS8_EES8_PS6_.has_indirect_call, 0
	.section	.AMDGPU.csdata,"",@progbits
; Kernel info:
; codeLenInByte = 24476
; TotalNumSgprs: 107
; NumVgprs: 48
; ScratchSize: 0
; MemoryBound: 0
; FloatMode: 240
; IeeeMode: 1
; LDSByteSize: 5152 bytes/workgroup (compile time only)
; SGPRBlocks: 0
; VGPRBlocks: 5
; NumSGPRsForWavesPerEU: 107
; NumVGPRsForWavesPerEU: 48
; Occupancy: 16
; WaveLimiterHint : 1
; COMPUTE_PGM_RSRC2:SCRATCH_EN: 0
; COMPUTE_PGM_RSRC2:USER_SGPR: 6
; COMPUTE_PGM_RSRC2:TRAP_HANDLER: 0
; COMPUTE_PGM_RSRC2:TGID_X_EN: 1
; COMPUTE_PGM_RSRC2:TGID_Y_EN: 1
; COMPUTE_PGM_RSRC2:TGID_Z_EN: 1
; COMPUTE_PGM_RSRC2:TIDIG_COMP_CNT: 0
	.section	.text._ZN2at6native6mbtopk23computeBlockDigitCountsIimjLi2EEEvNS_4cuda6detail10TensorInfoIKT_T0_EEjPjjS8_iijT1_PSB_Ps,"axG",@progbits,_ZN2at6native6mbtopk23computeBlockDigitCountsIimjLi2EEEvNS_4cuda6detail10TensorInfoIKT_T0_EEjPjjS8_iijT1_PSB_Ps,comdat
	.protected	_ZN2at6native6mbtopk23computeBlockDigitCountsIimjLi2EEEvNS_4cuda6detail10TensorInfoIKT_T0_EEjPjjS8_iijT1_PSB_Ps ; -- Begin function _ZN2at6native6mbtopk23computeBlockDigitCountsIimjLi2EEEvNS_4cuda6detail10TensorInfoIKT_T0_EEjPjjS8_iijT1_PSB_Ps
	.globl	_ZN2at6native6mbtopk23computeBlockDigitCountsIimjLi2EEEvNS_4cuda6detail10TensorInfoIKT_T0_EEjPjjS8_iijT1_PSB_Ps
	.p2align	8
	.type	_ZN2at6native6mbtopk23computeBlockDigitCountsIimjLi2EEEvNS_4cuda6detail10TensorInfoIKT_T0_EEjPjjS8_iijT1_PSB_Ps,@function
_ZN2at6native6mbtopk23computeBlockDigitCountsIimjLi2EEEvNS_4cuda6detail10TensorInfoIKT_T0_EEjPjjS8_iijT1_PSB_Ps: ; @_ZN2at6native6mbtopk23computeBlockDigitCountsIimjLi2EEEvNS_4cuda6detail10TensorInfoIKT_T0_EEjPjjS8_iijT1_PSB_Ps
; %bb.0:
	s_clause 0x2
	s_load_dwordx4 s[0:3], s[4:5], 0x1c0
	s_load_dword s12, s[4:5], 0x1b0
	s_load_dwordx2 s[10:11], s[4:5], 0x1e0
	s_waitcnt lgkmcnt(0)
	v_cvt_f32_u32_e32 v1, s2
	s_mul_i32 s8, s11, s8
	s_sub_i32 s11, 0, s2
	s_add_i32 s7, s8, s7
	v_rcp_iflag_f32_e32 v1, v1
	s_mul_i32 s16, s7, s10
	s_add_i32 s16, s16, s6
	v_mul_f32_e32 v1, 0x4f7ffffe, v1
	v_cvt_u32_f32_e32 v1, v1
	v_readfirstlane_b32 s9, v1
	s_mul_i32 s11, s11, s9
	s_mul_hi_u32 s7, s9, s11
	s_add_i32 s9, s9, s7
	s_mul_hi_u32 s6, s16, s9
	s_mul_i32 s7, s6, s2
	s_add_i32 s8, s6, 1
	s_sub_i32 s7, s16, s7
	s_sub_i32 s9, s7, s2
	s_cmp_ge_u32 s7, s2
	s_cselect_b32 s6, s8, s6
	s_cselect_b32 s7, s9, s7
	s_add_i32 s8, s6, 1
	s_cmp_ge_u32 s7, s2
	s_mov_b32 s7, 0
	s_cselect_b32 s6, s8, s6
	s_cmp_ge_u32 s6, s12
	s_cbranch_scc1 .LBB145_23
; %bb.1:
	s_clause 0x1
	s_load_dwordx2 s[12:13], s[4:5], 0x10
	s_load_dwordx4 s[8:11], s[4:5], 0x1d0
	s_lshl_b64 s[14:15], s[6:7], 2
	s_waitcnt lgkmcnt(0)
	v_cmp_lt_u64_e64 s17, s[6:7], s[12:13]
	s_add_u32 s14, s8, s14
	s_addc_u32 s15, s9, s15
	s_mov_b64 s[8:9], 0
	s_and_b32 vcc_lo, exec_lo, s17
	s_cbranch_vccnz .LBB145_3
; %bb.2:
	v_cvt_f32_u32_e32 v1, s12
	s_sub_i32 s8, 0, s12
	v_rcp_iflag_f32_e32 v1, v1
	v_mul_f32_e32 v1, 0x4f7ffffe, v1
	v_cvt_u32_f32_e32 v1, v1
	v_readfirstlane_b32 s7, v1
	s_mul_i32 s8, s8, s7
	s_mul_hi_u32 s8, s7, s8
	s_add_i32 s7, s7, s8
	s_mul_hi_u32 s7, s6, s7
	s_mul_i32 s8, s7, s12
	s_add_i32 s9, s7, 1
	s_sub_i32 s8, s6, s8
	s_sub_i32 s17, s8, s12
	s_cmp_ge_u32 s8, s12
	s_cselect_b32 s7, s9, s7
	s_cselect_b32 s8, s17, s8
	s_add_i32 s9, s7, 1
	s_cmp_ge_u32 s8, s12
	s_cselect_b32 s8, s9, s7
.LBB145_3:
	v_cmp_gt_u32_e32 vcc_lo, 0x100, v0
	v_lshlrev_b32_e32 v1, 2, v0
	s_and_saveexec_b32 s7, vcc_lo
; %bb.4:
	v_mov_b32_e32 v2, 0
	ds_write_b32 v1, v2
; %bb.5:
	s_or_b32 exec_lo, exec_lo, s7
	s_load_dword s7, s[4:5], 0x1a0
	s_mul_i32 s9, s6, s2
	s_waitcnt lgkmcnt(0)
	s_sub_i32 s17, s16, s9
	s_barrier
	s_mul_i32 s9, s1, s17
	s_add_i32 s17, s17, 1
	s_lshl_b32 s9, s9, 8
	buffer_gl0_inv
	s_sub_i32 s18, s7, s9
	s_add_u32 s18, s18, 0xff
	s_addc_u32 s19, 0, 0
	s_lshr_b64 s[18:19], s[18:19], 8
	s_cmp_lt_u32 s17, s2
	s_mov_b32 s17, 0
	s_cselect_b32 s2, s1, s18
	s_cmp_lt_i32 s2, 1
	s_cbranch_scc1 .LBB145_21
; %bb.6:
	s_clause 0x1
	s_load_dwordx4 s[20:23], s[4:5], 0xd0
	s_load_dwordx2 s[18:19], s[4:5], 0x0
	s_load_dword s1, s[14:15], 0x0
	s_load_dwordx2 s[4:5], s[4:5], 0x1b8
	s_mul_i32 s13, s8, s13
	s_mul_hi_u32 s14, s8, s12
	s_mul_i32 s12, s8, s12
	s_add_i32 s14, s14, s13
	s_sub_u32 s6, s6, s12
	s_subb_u32 s12, 0, s14
	v_add_nc_u32_e32 v2, s9, v0
	s_waitcnt lgkmcnt(0)
	s_mul_i32 s13, s6, s23
	s_mul_hi_u32 s23, s6, s22
	s_mul_i32 s24, s12, s22
	s_mul_i32 s12, s6, s22
	;; [unrolled: 1-line block ×3, first 2 shown]
	s_mul_hi_u32 s15, s8, s20
	s_mul_i32 s14, s8, s20
	s_add_i32 s15, s15, s6
	s_add_i32 s6, s23, s13
	s_lshl_b64 s[14:15], s[14:15], 2
	s_add_i32 s13, s6, s24
	s_add_u32 s6, s18, s14
	s_addc_u32 s14, s19, s15
	s_lshl_b64 s[12:13], s[12:13], 2
	s_add_u32 s8, s6, s12
	s_addc_u32 s9, s14, s13
	s_and_b32 s6, s0, 0xff
	s_cmp_eq_u32 s2, 1
	s_cbranch_scc1 .LBB145_16
; %bb.7:
	v_mov_b32_e32 v3, 1
	v_mov_b32_e32 v4, v2
	s_and_b32 s12, s2, 0x7ffffffe
	s_mov_b32 s13, 0
	s_branch .LBB145_9
.LBB145_8:                              ;   in Loop: Header=BB145_9 Depth=1
	s_or_b32 exec_lo, exec_lo, s14
	v_add_nc_u32_e32 v4, 0x200, v4
	s_add_i32 s13, s13, 2
	s_cmp_eq_u32 s12, s13
	s_cbranch_scc1 .LBB145_15
.LBB145_9:                              ; =>This Inner Loop Header: Depth=1
	s_mov_b32 s14, exec_lo
	v_cmpx_gt_u32_e64 s7, v4
	s_cbranch_execz .LBB145_12
; %bb.10:                               ;   in Loop: Header=BB145_9 Depth=1
	v_mad_u64_u32 v[5:6], null, s4, v4, 0
	v_mad_u64_u32 v[6:7], null, s5, v4, v[6:7]
	v_lshlrev_b64 v[5:6], 2, v[5:6]
	v_add_co_u32 v5, s0, s8, v5
	v_add_co_ci_u32_e64 v6, null, s9, v6, s0
	global_load_dword v5, v[5:6], off
	s_waitcnt vmcnt(0)
	v_xor_b32_e32 v5, 0x80000000, v5
	v_xor_b32_e32 v6, s1, v5
	v_and_b32_e32 v6, s3, v6
	v_cmp_eq_u32_e64 s0, 0, v6
	s_and_b32 exec_lo, exec_lo, s0
; %bb.11:                               ;   in Loop: Header=BB145_9 Depth=1
	v_bfe_u32 v5, v5, s6, 8
	v_lshlrev_b32_e32 v5, 2, v5
	ds_add_u32 v5, v3
.LBB145_12:                             ;   in Loop: Header=BB145_9 Depth=1
	s_or_b32 exec_lo, exec_lo, s14
	v_add_nc_u32_e32 v5, 0x100, v4
	s_mov_b32 s14, exec_lo
	v_cmpx_gt_u32_e64 s7, v5
	s_cbranch_execz .LBB145_8
; %bb.13:                               ;   in Loop: Header=BB145_9 Depth=1
	v_mad_u64_u32 v[6:7], null, s4, v5, 0
	v_mad_u64_u32 v[7:8], null, s5, v5, v[7:8]
	v_lshlrev_b64 v[5:6], 2, v[6:7]
	v_add_co_u32 v5, s0, s8, v5
	v_add_co_ci_u32_e64 v6, null, s9, v6, s0
	global_load_dword v5, v[5:6], off
	s_waitcnt vmcnt(0)
	v_xor_b32_e32 v5, 0x80000000, v5
	v_xor_b32_e32 v6, s1, v5
	v_and_b32_e32 v6, s3, v6
	v_cmp_eq_u32_e64 s0, 0, v6
	s_and_b32 exec_lo, exec_lo, s0
	s_cbranch_execz .LBB145_8
; %bb.14:                               ;   in Loop: Header=BB145_9 Depth=1
	v_bfe_u32 v5, v5, s6, 8
	v_lshlrev_b32_e32 v5, 2, v5
	ds_add_u32 v5, v3
	s_branch .LBB145_8
.LBB145_15:
	s_lshl_b32 s17, s12, 8
.LBB145_16:
	s_bitcmp0_b32 s2, 0
	s_cbranch_scc1 .LBB145_21
; %bb.17:
	v_add_nc_u32_e32 v2, s17, v2
	s_mov_b32 s2, exec_lo
	v_cmpx_gt_u32_e64 s7, v2
	s_cbranch_execz .LBB145_20
; %bb.18:
	v_mad_u64_u32 v[3:4], null, s4, v2, 0
	v_mad_u64_u32 v[4:5], null, s5, v2, v[4:5]
	v_lshlrev_b64 v[2:3], 2, v[3:4]
	v_add_co_u32 v2, s0, s8, v2
	v_add_co_ci_u32_e64 v3, null, s9, v3, s0
	global_load_dword v2, v[2:3], off
	s_waitcnt vmcnt(0)
	v_xor_b32_e32 v2, 0x80000000, v2
	v_xor_b32_e32 v3, s1, v2
	v_and_b32_e32 v3, s3, v3
	v_cmp_eq_u32_e64 s0, 0, v3
	s_and_b32 exec_lo, exec_lo, s0
	s_cbranch_execz .LBB145_20
; %bb.19:
	v_bfe_u32 v2, v2, s6, 8
	v_mov_b32_e32 v3, 1
	v_lshlrev_b32_e32 v2, 2, v2
	ds_add_u32 v2, v3
.LBB145_20:
	s_or_b32 exec_lo, exec_lo, s2
.LBB145_21:
	s_waitcnt lgkmcnt(0)
	s_barrier
	buffer_gl0_inv
	s_and_saveexec_b32 s0, vcc_lo
	s_cbranch_execz .LBB145_23
; %bb.22:
	ds_read_b32 v2, v1
	v_lshl_or_b32 v0, s16, 8, v0
	v_mov_b32_e32 v1, 0
	v_lshlrev_b64 v[0:1], 1, v[0:1]
	v_add_co_u32 v0, vcc_lo, s10, v0
	v_add_co_ci_u32_e64 v1, null, s11, v1, vcc_lo
	s_waitcnt lgkmcnt(0)
	global_store_short v[0:1], v2, off
.LBB145_23:
	s_endpgm
	.section	.rodata,"a",@progbits
	.p2align	6, 0x0
	.amdhsa_kernel _ZN2at6native6mbtopk23computeBlockDigitCountsIimjLi2EEEvNS_4cuda6detail10TensorInfoIKT_T0_EEjPjjS8_iijT1_PSB_Ps
		.amdhsa_group_segment_fixed_size 1024
		.amdhsa_private_segment_fixed_size 0
		.amdhsa_kernarg_size 736
		.amdhsa_user_sgpr_count 6
		.amdhsa_user_sgpr_private_segment_buffer 1
		.amdhsa_user_sgpr_dispatch_ptr 0
		.amdhsa_user_sgpr_queue_ptr 0
		.amdhsa_user_sgpr_kernarg_segment_ptr 1
		.amdhsa_user_sgpr_dispatch_id 0
		.amdhsa_user_sgpr_flat_scratch_init 0
		.amdhsa_user_sgpr_private_segment_size 0
		.amdhsa_wavefront_size32 1
		.amdhsa_uses_dynamic_stack 0
		.amdhsa_system_sgpr_private_segment_wavefront_offset 0
		.amdhsa_system_sgpr_workgroup_id_x 1
		.amdhsa_system_sgpr_workgroup_id_y 1
		.amdhsa_system_sgpr_workgroup_id_z 1
		.amdhsa_system_sgpr_workgroup_info 0
		.amdhsa_system_vgpr_workitem_id 0
		.amdhsa_next_free_vgpr 9
		.amdhsa_next_free_sgpr 25
		.amdhsa_reserve_vcc 1
		.amdhsa_reserve_flat_scratch 0
		.amdhsa_float_round_mode_32 0
		.amdhsa_float_round_mode_16_64 0
		.amdhsa_float_denorm_mode_32 3
		.amdhsa_float_denorm_mode_16_64 3
		.amdhsa_dx10_clamp 1
		.amdhsa_ieee_mode 1
		.amdhsa_fp16_overflow 0
		.amdhsa_workgroup_processor_mode 1
		.amdhsa_memory_ordered 1
		.amdhsa_forward_progress 1
		.amdhsa_shared_vgpr_count 0
		.amdhsa_exception_fp_ieee_invalid_op 0
		.amdhsa_exception_fp_denorm_src 0
		.amdhsa_exception_fp_ieee_div_zero 0
		.amdhsa_exception_fp_ieee_overflow 0
		.amdhsa_exception_fp_ieee_underflow 0
		.amdhsa_exception_fp_ieee_inexact 0
		.amdhsa_exception_int_div_zero 0
	.end_amdhsa_kernel
	.section	.text._ZN2at6native6mbtopk23computeBlockDigitCountsIimjLi2EEEvNS_4cuda6detail10TensorInfoIKT_T0_EEjPjjS8_iijT1_PSB_Ps,"axG",@progbits,_ZN2at6native6mbtopk23computeBlockDigitCountsIimjLi2EEEvNS_4cuda6detail10TensorInfoIKT_T0_EEjPjjS8_iijT1_PSB_Ps,comdat
.Lfunc_end145:
	.size	_ZN2at6native6mbtopk23computeBlockDigitCountsIimjLi2EEEvNS_4cuda6detail10TensorInfoIKT_T0_EEjPjjS8_iijT1_PSB_Ps, .Lfunc_end145-_ZN2at6native6mbtopk23computeBlockDigitCountsIimjLi2EEEvNS_4cuda6detail10TensorInfoIKT_T0_EEjPjjS8_iijT1_PSB_Ps
                                        ; -- End function
	.set _ZN2at6native6mbtopk23computeBlockDigitCountsIimjLi2EEEvNS_4cuda6detail10TensorInfoIKT_T0_EEjPjjS8_iijT1_PSB_Ps.num_vgpr, 9
	.set _ZN2at6native6mbtopk23computeBlockDigitCountsIimjLi2EEEvNS_4cuda6detail10TensorInfoIKT_T0_EEjPjjS8_iijT1_PSB_Ps.num_agpr, 0
	.set _ZN2at6native6mbtopk23computeBlockDigitCountsIimjLi2EEEvNS_4cuda6detail10TensorInfoIKT_T0_EEjPjjS8_iijT1_PSB_Ps.numbered_sgpr, 25
	.set _ZN2at6native6mbtopk23computeBlockDigitCountsIimjLi2EEEvNS_4cuda6detail10TensorInfoIKT_T0_EEjPjjS8_iijT1_PSB_Ps.num_named_barrier, 0
	.set _ZN2at6native6mbtopk23computeBlockDigitCountsIimjLi2EEEvNS_4cuda6detail10TensorInfoIKT_T0_EEjPjjS8_iijT1_PSB_Ps.private_seg_size, 0
	.set _ZN2at6native6mbtopk23computeBlockDigitCountsIimjLi2EEEvNS_4cuda6detail10TensorInfoIKT_T0_EEjPjjS8_iijT1_PSB_Ps.uses_vcc, 1
	.set _ZN2at6native6mbtopk23computeBlockDigitCountsIimjLi2EEEvNS_4cuda6detail10TensorInfoIKT_T0_EEjPjjS8_iijT1_PSB_Ps.uses_flat_scratch, 0
	.set _ZN2at6native6mbtopk23computeBlockDigitCountsIimjLi2EEEvNS_4cuda6detail10TensorInfoIKT_T0_EEjPjjS8_iijT1_PSB_Ps.has_dyn_sized_stack, 0
	.set _ZN2at6native6mbtopk23computeBlockDigitCountsIimjLi2EEEvNS_4cuda6detail10TensorInfoIKT_T0_EEjPjjS8_iijT1_PSB_Ps.has_recursion, 0
	.set _ZN2at6native6mbtopk23computeBlockDigitCountsIimjLi2EEEvNS_4cuda6detail10TensorInfoIKT_T0_EEjPjjS8_iijT1_PSB_Ps.has_indirect_call, 0
	.section	.AMDGPU.csdata,"",@progbits
; Kernel info:
; codeLenInByte = 1076
; TotalNumSgprs: 27
; NumVgprs: 9
; ScratchSize: 0
; MemoryBound: 0
; FloatMode: 240
; IeeeMode: 1
; LDSByteSize: 1024 bytes/workgroup (compile time only)
; SGPRBlocks: 0
; VGPRBlocks: 1
; NumSGPRsForWavesPerEU: 27
; NumVGPRsForWavesPerEU: 9
; Occupancy: 16
; WaveLimiterHint : 1
; COMPUTE_PGM_RSRC2:SCRATCH_EN: 0
; COMPUTE_PGM_RSRC2:USER_SGPR: 6
; COMPUTE_PGM_RSRC2:TRAP_HANDLER: 0
; COMPUTE_PGM_RSRC2:TGID_X_EN: 1
; COMPUTE_PGM_RSRC2:TGID_Y_EN: 1
; COMPUTE_PGM_RSRC2:TGID_Z_EN: 1
; COMPUTE_PGM_RSRC2:TIDIG_COMP_CNT: 0
	.section	.text._ZN2at6native6mbtopk10gatherTopKIimLi2EEEvNS_4cuda6detail10TensorInfoIKT_T0_EES8_S8_bjS8_NS5_IS6_S8_EES8_NS5_IlS8_EES8_jjPS6_PjSD_j,"axG",@progbits,_ZN2at6native6mbtopk10gatherTopKIimLi2EEEvNS_4cuda6detail10TensorInfoIKT_T0_EES8_S8_bjS8_NS5_IS6_S8_EES8_NS5_IlS8_EES8_jjPS6_PjSD_j,comdat
	.protected	_ZN2at6native6mbtopk10gatherTopKIimLi2EEEvNS_4cuda6detail10TensorInfoIKT_T0_EES8_S8_bjS8_NS5_IS6_S8_EES8_NS5_IlS8_EES8_jjPS6_PjSD_j ; -- Begin function _ZN2at6native6mbtopk10gatherTopKIimLi2EEEvNS_4cuda6detail10TensorInfoIKT_T0_EES8_S8_bjS8_NS5_IS6_S8_EES8_NS5_IlS8_EES8_jjPS6_PjSD_j
	.globl	_ZN2at6native6mbtopk10gatherTopKIimLi2EEEvNS_4cuda6detail10TensorInfoIKT_T0_EES8_S8_bjS8_NS5_IS6_S8_EES8_NS5_IlS8_EES8_jjPS6_PjSD_j
	.p2align	8
	.type	_ZN2at6native6mbtopk10gatherTopKIimLi2EEEvNS_4cuda6detail10TensorInfoIKT_T0_EES8_S8_bjS8_NS5_IS6_S8_EES8_NS5_IlS8_EES8_jjPS6_PjSD_j,@function
_ZN2at6native6mbtopk10gatherTopKIimLi2EEEvNS_4cuda6detail10TensorInfoIKT_T0_EES8_S8_bjS8_NS5_IS6_S8_EES8_NS5_IlS8_EES8_jjPS6_PjSD_j: ; @_ZN2at6native6mbtopk10gatherTopKIimLi2EEEvNS_4cuda6detail10TensorInfoIKT_T0_EES8_S8_bjS8_NS5_IS6_S8_EES8_NS5_IlS8_EES8_jjPS6_PjSD_j
; %bb.0:
	s_clause 0x1
	s_load_dwordx2 s[0:1], s[4:5], 0x538
	s_load_dword s2, s[4:5], 0x530
	s_waitcnt lgkmcnt(0)
	s_mul_i32 s1, s1, s8
	s_add_i32 s1, s1, s7
	s_mul_i32 s0, s1, s0
	s_add_i32 s0, s0, s6
	s_cmp_ge_u32 s0, s2
	s_cbranch_scc1 .LBB146_48
; %bb.1:
	s_clause 0x3
	s_load_dwordx2 s[6:7], s[4:5], 0x510
	s_load_dwordx2 s[38:39], s[4:5], 0x1d0
	s_load_dwordx4 s[8:11], s[4:5], 0x1a0
	s_load_dwordx2 s[36:37], s[4:5], 0x10
	s_mov_b32 s35, 0
	s_waitcnt lgkmcnt(0)
	v_cvt_f32_u32_e32 v1, s7
	s_sub_i32 s2, 0, s7
	s_lshl_b32 s50, s6, 8
	v_rcp_iflag_f32_e32 v1, v1
	v_mul_f32_e32 v1, 0x4f7ffffe, v1
	v_cvt_u32_f32_e32 v1, v1
	v_readfirstlane_b32 s1, v1
	s_mul_i32 s2, s2, s1
	s_mul_hi_u32 s2, s1, s2
	s_add_i32 s1, s1, s2
	s_mul_hi_u32 s1, s0, s1
	s_mul_i32 s2, s1, s7
	s_add_i32 s3, s1, 1
	s_sub_i32 s2, s0, s2
	s_sub_i32 s12, s2, s7
	s_cmp_ge_u32 s2, s7
	s_cselect_b32 s1, s3, s1
	s_cselect_b32 s2, s12, s2
	s_add_i32 s3, s1, 1
	s_cmp_ge_u32 s2, s7
	s_cselect_b32 s34, s3, s1
	s_mul_i32 s16, s34, s7
	s_sub_i32 s51, s0, s16
	s_add_i32 s0, s51, 1
	s_cmp_lt_u32 s0, s7
	s_cbranch_scc1 .LBB146_3
; %bb.2:
	s_mul_i32 s0, s51, s50
	s_sub_u32 s0, s8, s0
	s_subb_u32 s1, s9, 0
	s_add_u32 s0, s0, 0xff
	s_addc_u32 s1, s1, 0
	s_ashr_i32 s2, s1, 31
	s_lshr_b32 s2, s2, 24
	s_add_u32 s0, s0, s2
	s_addc_u32 s1, s1, 0
	s_lshr_b64 s[0:1], s[0:1], 8
	s_mov_b32 s6, s0
.LBB146_3:
	s_load_dwordx2 s[40:41], s[4:5], 0x378
	v_cmp_lt_u64_e64 s0, s[34:35], s[36:37]
	s_mov_b64 s[42:43], 0
	s_mov_b64 s[44:45], 0
	s_and_b32 vcc_lo, exec_lo, s0
	s_cbranch_vccz .LBB146_20
; %bb.4:
	v_cmp_lt_u64_e64 s0, s[34:35], s[38:39]
	s_and_b32 vcc_lo, exec_lo, s0
	s_cbranch_vccz .LBB146_21
.LBB146_5:
	s_waitcnt lgkmcnt(0)
	v_cmp_lt_u64_e64 s0, s[34:35], s[40:41]
	s_mov_b64 s[46:47], 0
	s_and_b32 vcc_lo, exec_lo, s0
	s_cbranch_vccnz .LBB146_7
.LBB146_6:
	v_cvt_f32_u32_e32 v1, s40
	s_sub_i32 s1, 0, s40
	v_rcp_iflag_f32_e32 v1, v1
	v_mul_f32_e32 v1, 0x4f7ffffe, v1
	v_cvt_u32_f32_e32 v1, v1
	v_readfirstlane_b32 s0, v1
	s_mul_i32 s1, s1, s0
	s_mul_hi_u32 s1, s0, s1
	s_add_i32 s0, s0, s1
	s_mul_hi_u32 s0, s34, s0
	s_mul_i32 s1, s0, s40
	s_add_i32 s2, s0, 1
	s_sub_i32 s1, s34, s1
	s_sub_i32 s3, s1, s40
	s_cmp_ge_u32 s1, s40
	s_cselect_b32 s0, s2, s0
	s_cselect_b32 s1, s3, s1
	s_add_i32 s2, s0, 1
	s_cmp_ge_u32 s1, s40
	s_cselect_b32 s46, s2, s0
.LBB146_7:
	s_load_dwordx4 s[0:3], s[4:5], 0x518
	s_lshl_b64 s[12:13], s[34:35], 2
	s_mov_b32 s17, 0
	s_waitcnt lgkmcnt(0)
	s_add_u32 s0, s0, s12
	s_addc_u32 s1, s1, s13
	s_load_dwordx2 s[48:49], s[4:5], 0x0
	s_load_dword s33, s[0:1], 0x0
	v_cmp_ne_u32_e64 s0, 0, v0
	v_cmp_eq_u32_e64 s1, 0, v0
	s_and_saveexec_b32 s24, s1
	s_cbranch_execz .LBB146_25
; %bb.8:
	s_load_dwordx2 s[18:19], s[4:5], 0x528
	s_lshl_b64 s[20:21], s[16:17], 2
	s_mov_b32 s16, 0
	s_add_u32 s12, s2, s20
	s_addc_u32 s13, s3, s21
	s_mov_b32 s25, 0
	s_waitcnt lgkmcnt(0)
	s_add_u32 s14, s18, s20
	s_addc_u32 s15, s19, s21
	s_cmp_lt_u32 s7, 4
	s_cbranch_scc1 .LBB146_22
; %bb.9:
	s_mov_b32 s26, 0
.LBB146_10:                             ; =>This Inner Loop Header: Depth=1
	s_add_u32 s12, s2, s20
	s_addc_u32 s13, s3, s21
	s_add_u32 s22, s18, s20
	s_load_dwordx4 s[12:15], s[12:13], 0x0
	s_addc_u32 s23, s19, s21
	s_cmp_ge_u32 s26, s51
	s_cbranch_scc0 .LBB146_17
; %bb.11:                               ;   in Loop: Header=BB146_10 Depth=1
	s_add_i32 s27, s26, 1
	s_cmp_ge_u32 s27, s51
	s_cbranch_scc0 .LBB146_18
.LBB146_12:                             ;   in Loop: Header=BB146_10 Depth=1
	s_add_i32 s27, s27, 1
	s_cmp_ge_u32 s27, s51
	s_cbranch_scc0 .LBB146_19
.LBB146_13:                             ;   in Loop: Header=BB146_10 Depth=1
	s_add_i32 s27, s27, 1
	s_cmp_ge_u32 s27, s51
	s_cbranch_scc1 .LBB146_15
.LBB146_14:                             ;   in Loop: Header=BB146_10 Depth=1
	s_load_dword s22, s[22:23], 0xc
	s_waitcnt lgkmcnt(0)
	s_add_i32 s17, s17, s15
	s_add_i32 s16, s22, s16
.LBB146_15:                             ;   in Loop: Header=BB146_10 Depth=1
	s_waitcnt lgkmcnt(0)
	s_add_i32 s12, s12, s25
	s_add_i32 s12, s12, s13
	;; [unrolled: 1-line block ×4, first 2 shown]
	s_add_u32 s2, s2, 16
	s_addc_u32 s3, s3, 0
	s_add_u32 s18, s18, 16
	s_addc_u32 s19, s19, 0
	s_add_i32 s23, s27, 4
	s_add_u32 s14, s18, s20
	s_addc_u32 s15, s19, s21
	s_add_u32 s12, s2, s20
	s_addc_u32 s13, s3, s21
	s_add_i32 s22, s27, 1
	s_cmp_ge_u32 s23, s7
	s_cbranch_scc1 .LBB146_23
; %bb.16:                               ;   in Loop: Header=BB146_10 Depth=1
	s_mov_b32 s26, s22
	s_branch .LBB146_10
.LBB146_17:                             ;   in Loop: Header=BB146_10 Depth=1
	s_load_dword s27, s[22:23], 0x0
	s_waitcnt lgkmcnt(0)
	s_add_i32 s17, s12, s17
	s_add_i32 s16, s27, s16
	;; [unrolled: 1-line block ×3, first 2 shown]
	s_cmp_ge_u32 s27, s51
	s_cbranch_scc1 .LBB146_12
.LBB146_18:                             ;   in Loop: Header=BB146_10 Depth=1
	s_load_dword s28, s[22:23], 0x4
	s_waitcnt lgkmcnt(0)
	s_add_i32 s17, s17, s13
	s_add_i32 s16, s28, s16
	;; [unrolled: 1-line block ×3, first 2 shown]
	s_cmp_ge_u32 s27, s51
	s_cbranch_scc1 .LBB146_13
.LBB146_19:                             ;   in Loop: Header=BB146_10 Depth=1
	s_load_dword s28, s[22:23], 0x8
	s_waitcnt lgkmcnt(0)
	s_add_i32 s17, s17, s14
	s_add_i32 s16, s28, s16
	s_add_i32 s27, s27, 1
	s_cmp_ge_u32 s27, s51
	s_cbranch_scc0 .LBB146_14
	s_branch .LBB146_15
.LBB146_20:
	v_cvt_f32_u32_e32 v1, s36
	s_sub_i32 s1, 0, s36
	v_rcp_iflag_f32_e32 v1, v1
	v_mul_f32_e32 v1, 0x4f7ffffe, v1
	v_cvt_u32_f32_e32 v1, v1
	v_readfirstlane_b32 s0, v1
	s_mul_i32 s1, s1, s0
	s_mul_hi_u32 s1, s0, s1
	s_add_i32 s0, s0, s1
	s_mul_hi_u32 s0, s34, s0
	s_mul_i32 s1, s0, s36
	s_add_i32 s2, s0, 1
	s_sub_i32 s1, s34, s1
	s_sub_i32 s3, s1, s36
	s_cmp_ge_u32 s1, s36
	s_cselect_b32 s0, s2, s0
	s_cselect_b32 s1, s3, s1
	s_add_i32 s2, s0, 1
	s_cmp_ge_u32 s1, s36
	s_cselect_b32 s44, s2, s0
	v_cmp_lt_u64_e64 s0, s[34:35], s[38:39]
	s_and_b32 vcc_lo, exec_lo, s0
	s_cbranch_vccnz .LBB146_5
.LBB146_21:
	v_cvt_f32_u32_e32 v1, s38
	s_sub_i32 s1, 0, s38
	v_rcp_iflag_f32_e32 v1, v1
	v_mul_f32_e32 v1, 0x4f7ffffe, v1
	v_cvt_u32_f32_e32 v1, v1
	v_readfirstlane_b32 s0, v1
	s_mul_i32 s1, s1, s0
	s_mul_hi_u32 s1, s0, s1
	s_add_i32 s0, s0, s1
	s_mul_hi_u32 s0, s34, s0
	s_mul_i32 s1, s0, s38
	s_add_i32 s2, s0, 1
	s_sub_i32 s1, s34, s1
	s_sub_i32 s3, s1, s38
	s_cmp_ge_u32 s1, s38
	s_cselect_b32 s0, s2, s0
	s_cselect_b32 s1, s3, s1
	s_add_i32 s2, s0, 1
	s_cmp_ge_u32 s1, s38
	s_cselect_b32 s42, s2, s0
	s_waitcnt lgkmcnt(0)
	v_cmp_lt_u64_e64 s0, s[34:35], s[40:41]
	s_mov_b64 s[46:47], 0
	s_and_b32 vcc_lo, exec_lo, s0
	s_cbranch_vccz .LBB146_6
	s_branch .LBB146_7
.LBB146_22:
	s_mov_b32 s2, 0
	s_cmp_ge_u32 s2, s7
	s_cbranch_scc0 .LBB146_46
	s_branch .LBB146_24
.LBB146_23:
	s_add_i32 s2, s26, 4
	s_cmp_ge_u32 s2, s7
	s_cbranch_scc0 .LBB146_46
.LBB146_24:
	v_mov_b32_e32 v1, s16
	v_mov_b32_e32 v2, s25
	;; [unrolled: 1-line block ×4, first 2 shown]
	ds_write_b96 v4, v[1:3] offset:1056
.LBB146_25:
	s_or_b32 exec_lo, exec_lo, s24
	s_clause 0x4
	s_load_dwordx4 s[12:15], s[4:5], 0x1b8
	s_load_dwordx4 s[28:31], s[4:5], 0xd0
	;; [unrolled: 1-line block ×5, first 2 shown]
	s_cmp_eq_u32 s6, 0
	s_waitcnt lgkmcnt(0)
	s_barrier
	buffer_gl0_inv
	s_cbranch_scc1 .LBB146_48
; %bb.26:
	s_mul_i32 s2, s42, s39
	s_mul_hi_u32 s3, s42, s38
	s_mul_i32 s7, s42, s38
	s_add_i32 s3, s3, s2
	s_sub_u32 s2, s34, s7
	s_subb_u32 s3, 0, s3
	s_mul_i32 s7, s2, s27
	s_mul_hi_u32 s27, s2, s26
	s_mul_i32 s3, s3, s26
	s_add_i32 s7, s27, s7
	s_mul_i32 s25, s42, s25
	s_mul_hi_u32 s27, s42, s24
	s_add_i32 s3, s7, s3
	s_add_i32 s25, s27, s25
	s_mul_i32 s7, s44, s37
	s_mul_hi_u32 s27, s44, s36
	s_mul_i32 s35, s44, s36
	s_add_i32 s27, s27, s7
	s_sub_u32 s7, s34, s35
	s_subb_u32 s27, 0, s27
	s_mul_i32 s31, s7, s31
	s_mul_hi_u32 s35, s7, s30
	s_mul_i32 s27, s27, s30
	s_add_i32 s31, s35, s31
	s_mul_i32 s29, s44, s29
	s_mul_hi_u32 s35, s44, s28
	s_add_i32 s31, s31, s27
	s_add_i32 s29, s35, s29
	s_mul_i32 s27, s46, s41
	s_mul_hi_u32 s35, s46, s40
	s_mul_i32 s36, s46, s40
	s_add_i32 s35, s35, s27
	s_sub_u32 s34, s34, s36
	s_mul_i32 s30, s7, s30
	s_mul_i32 s7, s34, s23
	s_mul_hi_u32 s23, s34, s22
	s_subb_u32 s27, 0, s35
	s_add_i32 s7, s23, s7
	s_mul_i32 s27, s27, s22
	s_mul_i32 s28, s44, s28
	s_add_i32 s23, s7, s27
	s_mul_i32 s7, s46, s21
	s_mul_hi_u32 s21, s46, s20
	v_mov_b32_e32 v5, 0
	s_lshl_b64 s[28:29], s[28:29], 2
	s_add_i32 s27, s21, s7
	s_add_u32 s7, s48, s28
	s_addc_u32 s21, s49, s29
	s_lshl_b64 s[28:29], s[30:31], 2
	s_mul_i32 s24, s42, s24
	ds_read_b96 v[1:3], v5 offset:1056
	s_add_u32 s7, s7, s28
	s_addc_u32 s21, s21, s29
	s_lshl_b64 s[24:25], s[24:25], 2
	s_mul_i32 s2, s2, s26
	s_add_u32 s14, s14, s24
	s_addc_u32 s15, s15, s25
	s_lshl_b64 s[2:3], s[2:3], 2
	s_mul_i32 s26, s46, s20
	;; [unrolled: 4-line block ×3, first 2 shown]
	s_add_u32 s18, s18, s2
	s_addc_u32 s19, s19, s3
	s_lshl_b64 s[2:3], s[22:23], 3
	v_add_nc_u32_e32 v4, -1, v0
	s_add_u32 s18, s18, s2
	s_addc_u32 s19, s19, s3
	s_clause 0x1
	s_load_dword s3, s[4:5], 0x1b0
	s_load_dwordx2 s[4:5], s[4:5], 0x508
	v_lshrrev_b32_e32 v6, 3, v0
	v_lshrrev_b32_e32 v7, 3, v4
	s_waitcnt lgkmcnt(0)
	v_add_nc_u32_e32 v1, v1, v2
	v_and_b32_e32 v10, 0xfc, v0
	v_lshlrev_b32_e32 v11, 5, v0
	v_and_b32_e32 v2, 28, v6
	v_and_b32_e32 v12, 0x1ffffffc, v7
	v_mad_u64_u32 v[6:7], null, s51, s50, v[0:1]
	v_mbcnt_lo_u32_b32 v8, -1, 0
	s_xor_b32 s20, s33, 0x80000000
	v_lshl_add_u32 v9, v0, 2, v2
	v_cmp_gt_u32_e64 s2, 32, v0
	v_lshl_add_u32 v0, v4, 2, v12
	v_add_nc_u32_e32 v10, v10, v11
	v_and_b32_e32 v11, 15, v8
	v_bfe_i32 v12, v8, 4, 1
	v_add_nc_u32_e32 v13, -1, v8
	v_mov_b32_e32 v4, v6
	s_bitcmp1_b32 s3, 0
                                        ; implicit-def: $vgpr14
	s_cselect_b32 s3, -1, 0
	s_branch .LBB146_29
.LBB146_27:                             ;   in Loop: Header=BB146_29 Depth=1
	s_or_b32 exec_lo, exec_lo, s22
	v_add_nc_u32_e32 v1, v2, v1
.LBB146_28:                             ;   in Loop: Header=BB146_29 Depth=1
	v_add_nc_u32_e32 v3, v15, v3
	v_add_nc_u32_e32 v4, 0x100, v4
	s_add_i32 s6, s6, -1
	s_cmp_lg_u32 s6, 0
	s_cbranch_scc0 .LBB146_48
.LBB146_29:                             ; =>This Inner Loop Header: Depth=1
	v_mov_b32_e32 v2, v5
	v_mov_b32_e32 v6, v5
	s_mov_b32 s22, exec_lo
	v_cmpx_gt_u64_e64 s[8:9], v[4:5]
	s_cbranch_execz .LBB146_31
; %bb.30:                               ;   in Loop: Header=BB146_29 Depth=1
	v_mad_u64_u32 v[6:7], null, s12, v4, 0
	v_mov_b32_e32 v2, v7
	v_mad_u64_u32 v[14:15], null, s13, v4, v[2:3]
	v_mov_b32_e32 v7, v14
	v_lshlrev_b64 v[6:7], 2, v[6:7]
	v_add_co_u32 v6, vcc_lo, s7, v6
	v_add_co_ci_u32_e64 v7, null, s21, v7, vcc_lo
	global_load_dword v14, v[6:7], off
	s_waitcnt vmcnt(0)
	v_xor_b32_e32 v2, 0x80000000, v14
	v_cmp_lt_u32_e32 vcc_lo, s20, v2
	v_cndmask_b32_e64 v6, 0, 1, vcc_lo
	v_cmp_gt_u32_e32 vcc_lo, s20, v2
	v_cndmask_b32_e64 v2, 0, 1, vcc_lo
	v_cmp_eq_u32_e32 vcc_lo, s33, v14
	v_cndmask_b32_e64 v2, v2, v6, s3
	v_cndmask_b32_e64 v6, 0, 1, vcc_lo
	v_and_b32_e32 v2, 1, v2
.LBB146_31:                             ;   in Loop: Header=BB146_29 Depth=1
	s_or_b32 exec_lo, exec_lo, s22
	ds_write_b32 v9, v2
	s_waitcnt lgkmcnt(0)
	s_barrier
	buffer_gl0_inv
	s_and_saveexec_b32 s22, s2
	s_cbranch_execz .LBB146_33
; %bb.32:                               ;   in Loop: Header=BB146_29 Depth=1
	ds_read2_b32 v[15:16], v10 offset1:1
	ds_read2_b32 v[17:18], v10 offset0:2 offset1:3
	ds_read2_b32 v[19:20], v10 offset0:4 offset1:5
	;; [unrolled: 1-line block ×3, first 2 shown]
	v_cmp_ne_u32_e32 vcc_lo, 0, v11
	; wave barrier
	s_waitcnt lgkmcnt(3)
	v_add_nc_u32_e32 v7, v16, v15
	s_waitcnt lgkmcnt(2)
	v_add3_u32 v7, v7, v17, v18
	s_waitcnt lgkmcnt(1)
	v_add3_u32 v7, v7, v19, v20
	;; [unrolled: 2-line block ×3, first 2 shown]
	v_mov_b32_dpp v16, v7 row_shr:1 row_mask:0xf bank_mask:0xf
	v_cndmask_b32_e32 v16, 0, v16, vcc_lo
	v_cmp_lt_u32_e32 vcc_lo, 1, v11
	v_add_nc_u32_e32 v7, v16, v7
	v_mov_b32_dpp v16, v7 row_shr:2 row_mask:0xf bank_mask:0xf
	v_cndmask_b32_e32 v16, 0, v16, vcc_lo
	v_cmp_lt_u32_e32 vcc_lo, 3, v11
	v_add_nc_u32_e32 v7, v7, v16
	;; [unrolled: 4-line block ×3, first 2 shown]
	v_mov_b32_dpp v16, v7 row_shr:8 row_mask:0xf bank_mask:0xf
	v_cndmask_b32_e32 v16, 0, v16, vcc_lo
	v_cmp_gt_i32_e32 vcc_lo, 0, v13
	v_add_nc_u32_e32 v7, v7, v16
	v_cndmask_b32_e32 v17, v13, v8, vcc_lo
	ds_swizzle_b32 v16, v7 offset:swizzle(BROADCAST,32,15)
	v_lshlrev_b32_e32 v17, 2, v17
	s_waitcnt lgkmcnt(0)
	v_and_b32_e32 v16, v12, v16
	v_add_nc_u32_e32 v7, v7, v16
	ds_bpermute_b32 v7, v17, v7
	s_waitcnt lgkmcnt(0)
	v_add_nc_u32_e32 v7, v7, v15
	v_cndmask_b32_e64 v7, v7, v2, s1
	ds_write_b32 v10, v7
	; wave barrier
	ds_read2_b32 v[15:16], v10 offset0:1 offset1:2
	ds_read2_b32 v[17:18], v10 offset0:3 offset1:4
	;; [unrolled: 1-line block ×3, first 2 shown]
	ds_read_b32 v21, v10 offset:28
	s_waitcnt lgkmcnt(3)
	v_add_nc_u32_e32 v7, v15, v7
	v_add_nc_u32_e32 v15, v16, v7
	s_waitcnt lgkmcnt(2)
	v_add_nc_u32_e32 v16, v17, v15
	v_add_nc_u32_e32 v17, v18, v16
	;; [unrolled: 3-line block ×3, first 2 shown]
	s_waitcnt lgkmcnt(0)
	v_add_nc_u32_e32 v20, v21, v19
	ds_write2_b32 v10, v7, v15 offset0:1 offset1:2
	ds_write2_b32 v10, v16, v17 offset0:3 offset1:4
	;; [unrolled: 1-line block ×3, first 2 shown]
	ds_write_b32 v10, v20 offset:28
.LBB146_33:                             ;   in Loop: Header=BB146_29 Depth=1
	s_or_b32 exec_lo, exec_lo, s22
	v_mov_b32_e32 v7, 0
	s_waitcnt lgkmcnt(0)
	s_barrier
	buffer_gl0_inv
	s_and_saveexec_b32 s22, s0
; %bb.34:                               ;   in Loop: Header=BB146_29 Depth=1
	ds_read_b32 v7, v0
; %bb.35:                               ;   in Loop: Header=BB146_29 Depth=1
	s_or_b32 exec_lo, exec_lo, s22
	ds_read_b32 v15, v5 offset:1048
	s_mov_b32 s22, exec_lo
	s_waitcnt lgkmcnt(0)
	s_barrier
	buffer_gl0_inv
	v_cmpx_ne_u32_e32 0, v2
	s_cbranch_execz .LBB146_37
; %bb.36:                               ;   in Loop: Header=BB146_29 Depth=1
	v_add_nc_u32_e32 v21, v7, v3
	v_mad_u64_u32 v[16:17], null, s16, v21, 0
	v_mad_u64_u32 v[18:19], null, s4, v21, 0
	v_mov_b32_e32 v2, v17
	v_mov_b32_e32 v7, v19
	v_mad_u64_u32 v[19:20], null, s17, v21, v[2:3]
	v_mad_u64_u32 v[20:21], null, s5, v21, v[7:8]
	v_mov_b32_e32 v17, v19
	v_mov_b32_e32 v19, v20
	v_lshlrev_b64 v[16:17], 2, v[16:17]
	v_lshlrev_b64 v[18:19], 3, v[18:19]
	v_add_co_u32 v16, vcc_lo, s14, v16
	v_add_co_ci_u32_e64 v17, null, s15, v17, vcc_lo
	v_add_co_u32 v18, vcc_lo, s18, v18
	v_add_co_ci_u32_e64 v19, null, s19, v19, vcc_lo
	global_store_dword v[16:17], v14, off
	global_store_dwordx2 v[18:19], v[4:5], off
.LBB146_37:                             ;   in Loop: Header=BB146_29 Depth=1
	s_or_b32 exec_lo, exec_lo, s22
	v_mov_b32_e32 v2, v5
	v_cmp_le_u64_e32 vcc_lo, s[10:11], v[1:2]
	s_cbranch_vccnz .LBB146_28
; %bb.38:                               ;   in Loop: Header=BB146_29 Depth=1
	ds_write_b32 v9, v6
	s_waitcnt lgkmcnt(0)
	s_waitcnt_vscnt null, 0x0
	s_barrier
	buffer_gl0_inv
	s_and_saveexec_b32 s22, s2
	s_cbranch_execz .LBB146_40
; %bb.39:                               ;   in Loop: Header=BB146_29 Depth=1
	ds_read2_b32 v[16:17], v10 offset1:1
	ds_read2_b32 v[18:19], v10 offset0:2 offset1:3
	ds_read2_b32 v[20:21], v10 offset0:4 offset1:5
	;; [unrolled: 1-line block ×3, first 2 shown]
	v_cmp_ne_u32_e32 vcc_lo, 0, v11
	; wave barrier
	s_waitcnt lgkmcnt(3)
	v_add_nc_u32_e32 v2, v17, v16
	s_waitcnt lgkmcnt(2)
	v_add3_u32 v2, v2, v18, v19
	s_waitcnt lgkmcnt(1)
	v_add3_u32 v2, v2, v20, v21
	;; [unrolled: 2-line block ×3, first 2 shown]
	v_mov_b32_dpp v7, v2 row_shr:1 row_mask:0xf bank_mask:0xf
	v_cndmask_b32_e32 v7, 0, v7, vcc_lo
	v_cmp_lt_u32_e32 vcc_lo, 1, v11
	v_add_nc_u32_e32 v2, v7, v2
	v_mov_b32_dpp v7, v2 row_shr:2 row_mask:0xf bank_mask:0xf
	v_cndmask_b32_e32 v7, 0, v7, vcc_lo
	v_cmp_lt_u32_e32 vcc_lo, 3, v11
	v_add_nc_u32_e32 v2, v2, v7
	;; [unrolled: 4-line block ×3, first 2 shown]
	v_mov_b32_dpp v7, v2 row_shr:8 row_mask:0xf bank_mask:0xf
	v_cndmask_b32_e32 v7, 0, v7, vcc_lo
	v_cmp_gt_i32_e32 vcc_lo, 0, v13
	v_add_nc_u32_e32 v2, v2, v7
	v_cndmask_b32_e32 v17, v13, v8, vcc_lo
	ds_swizzle_b32 v7, v2 offset:swizzle(BROADCAST,32,15)
	v_lshlrev_b32_e32 v17, 2, v17
	s_waitcnt lgkmcnt(0)
	v_and_b32_e32 v7, v12, v7
	v_add_nc_u32_e32 v2, v2, v7
	ds_bpermute_b32 v2, v17, v2
	s_waitcnt lgkmcnt(0)
	v_add_nc_u32_e32 v2, v2, v16
	v_cndmask_b32_e64 v2, v2, v6, s1
	ds_write_b32 v10, v2
	; wave barrier
	ds_read2_b32 v[16:17], v10 offset0:1 offset1:2
	ds_read2_b32 v[18:19], v10 offset0:3 offset1:4
	;; [unrolled: 1-line block ×3, first 2 shown]
	ds_read_b32 v7, v10 offset:28
	s_waitcnt lgkmcnt(3)
	v_add_nc_u32_e32 v2, v16, v2
	v_add_nc_u32_e32 v16, v17, v2
	s_waitcnt lgkmcnt(2)
	v_add_nc_u32_e32 v17, v18, v16
	v_add_nc_u32_e32 v18, v19, v17
	;; [unrolled: 3-line block ×3, first 2 shown]
	s_waitcnt lgkmcnt(0)
	v_add_nc_u32_e32 v7, v7, v20
	ds_write2_b32 v10, v2, v16 offset0:1 offset1:2
	ds_write2_b32 v10, v17, v18 offset0:3 offset1:4
	ds_write2_b32 v10, v19, v20 offset0:5 offset1:6
	ds_write_b32 v10, v7 offset:28
.LBB146_40:                             ;   in Loop: Header=BB146_29 Depth=1
	s_or_b32 exec_lo, exec_lo, s22
	v_mov_b32_e32 v7, 0
	s_waitcnt lgkmcnt(0)
	s_barrier
	buffer_gl0_inv
	s_and_saveexec_b32 s22, s0
; %bb.41:                               ;   in Loop: Header=BB146_29 Depth=1
	ds_read_b32 v7, v0
; %bb.42:                               ;   in Loop: Header=BB146_29 Depth=1
	s_or_b32 exec_lo, exec_lo, s22
	ds_read_b32 v2, v5 offset:1048
	s_mov_b32 s22, exec_lo
	s_waitcnt lgkmcnt(0)
	s_barrier
	buffer_gl0_inv
	v_cmpx_ne_u32_e32 0, v6
	s_cbranch_execz .LBB146_27
; %bb.43:                               ;   in Loop: Header=BB146_29 Depth=1
	v_add_nc_u32_e32 v6, v7, v1
	v_mov_b32_e32 v7, v5
	v_cmp_gt_u64_e32 vcc_lo, s[10:11], v[6:7]
	s_and_b32 exec_lo, exec_lo, vcc_lo
	s_cbranch_execz .LBB146_27
; %bb.44:                               ;   in Loop: Header=BB146_29 Depth=1
	v_mad_u64_u32 v[16:17], null, s16, v6, 0
	v_mad_u64_u32 v[18:19], null, s4, v6, 0
	v_mov_b32_e32 v7, v17
	v_mov_b32_e32 v17, v19
	v_mad_u64_u32 v[19:20], null, s17, v6, v[7:8]
	v_mad_u64_u32 v[6:7], null, s5, v6, v[17:18]
	v_mov_b32_e32 v17, v19
	v_mov_b32_e32 v19, v6
	v_lshlrev_b64 v[6:7], 2, v[16:17]
	v_lshlrev_b64 v[16:17], 3, v[18:19]
	v_add_co_u32 v6, vcc_lo, s14, v6
	v_add_co_ci_u32_e64 v7, null, s15, v7, vcc_lo
	v_add_co_u32 v16, vcc_lo, s18, v16
	v_add_co_ci_u32_e64 v17, null, s19, v17, vcc_lo
	global_store_dword v[6:7], v14, off
	global_store_dwordx2 v[16:17], v[4:5], off
	s_branch .LBB146_27
	.p2align	6
.LBB146_45:                             ;   in Loop: Header=BB146_46 Depth=1
	s_add_u32 s12, s12, 4
	s_addc_u32 s13, s13, 0
	s_waitcnt lgkmcnt(0)
	s_add_i32 s25, s3, s25
	s_add_u32 s14, s14, 4
	s_addc_u32 s15, s15, 0
	s_add_i32 s2, s2, 1
	s_cmp_lt_u32 s2, s7
	s_cbranch_scc0 .LBB146_24
.LBB146_46:                             ; =>This Inner Loop Header: Depth=1
	s_load_dword s3, s[12:13], 0x0
	s_cmp_ge_u32 s2, s51
	s_cbranch_scc1 .LBB146_45
; %bb.47:                               ;   in Loop: Header=BB146_46 Depth=1
	s_load_dword s18, s[14:15], 0x0
	s_waitcnt lgkmcnt(0)
	s_add_i32 s17, s3, s17
	s_add_i32 s16, s18, s16
	s_branch .LBB146_45
.LBB146_48:
	s_endpgm
	.section	.rodata,"a",@progbits
	.p2align	6, 0x0
	.amdhsa_kernel _ZN2at6native6mbtopk10gatherTopKIimLi2EEEvNS_4cuda6detail10TensorInfoIKT_T0_EES8_S8_bjS8_NS5_IS6_S8_EES8_NS5_IlS8_EES8_jjPS6_PjSD_j
		.amdhsa_group_segment_fixed_size 1068
		.amdhsa_private_segment_fixed_size 0
		.amdhsa_kernarg_size 1592
		.amdhsa_user_sgpr_count 6
		.amdhsa_user_sgpr_private_segment_buffer 1
		.amdhsa_user_sgpr_dispatch_ptr 0
		.amdhsa_user_sgpr_queue_ptr 0
		.amdhsa_user_sgpr_kernarg_segment_ptr 1
		.amdhsa_user_sgpr_dispatch_id 0
		.amdhsa_user_sgpr_flat_scratch_init 0
		.amdhsa_user_sgpr_private_segment_size 0
		.amdhsa_wavefront_size32 1
		.amdhsa_uses_dynamic_stack 0
		.amdhsa_system_sgpr_private_segment_wavefront_offset 0
		.amdhsa_system_sgpr_workgroup_id_x 1
		.amdhsa_system_sgpr_workgroup_id_y 1
		.amdhsa_system_sgpr_workgroup_id_z 1
		.amdhsa_system_sgpr_workgroup_info 0
		.amdhsa_system_vgpr_workitem_id 0
		.amdhsa_next_free_vgpr 24
		.amdhsa_next_free_sgpr 52
		.amdhsa_reserve_vcc 1
		.amdhsa_reserve_flat_scratch 0
		.amdhsa_float_round_mode_32 0
		.amdhsa_float_round_mode_16_64 0
		.amdhsa_float_denorm_mode_32 3
		.amdhsa_float_denorm_mode_16_64 3
		.amdhsa_dx10_clamp 1
		.amdhsa_ieee_mode 1
		.amdhsa_fp16_overflow 0
		.amdhsa_workgroup_processor_mode 1
		.amdhsa_memory_ordered 1
		.amdhsa_forward_progress 1
		.amdhsa_shared_vgpr_count 0
		.amdhsa_exception_fp_ieee_invalid_op 0
		.amdhsa_exception_fp_denorm_src 0
		.amdhsa_exception_fp_ieee_div_zero 0
		.amdhsa_exception_fp_ieee_overflow 0
		.amdhsa_exception_fp_ieee_underflow 0
		.amdhsa_exception_fp_ieee_inexact 0
		.amdhsa_exception_int_div_zero 0
	.end_amdhsa_kernel
	.section	.text._ZN2at6native6mbtopk10gatherTopKIimLi2EEEvNS_4cuda6detail10TensorInfoIKT_T0_EES8_S8_bjS8_NS5_IS6_S8_EES8_NS5_IlS8_EES8_jjPS6_PjSD_j,"axG",@progbits,_ZN2at6native6mbtopk10gatherTopKIimLi2EEEvNS_4cuda6detail10TensorInfoIKT_T0_EES8_S8_bjS8_NS5_IS6_S8_EES8_NS5_IlS8_EES8_jjPS6_PjSD_j,comdat
.Lfunc_end146:
	.size	_ZN2at6native6mbtopk10gatherTopKIimLi2EEEvNS_4cuda6detail10TensorInfoIKT_T0_EES8_S8_bjS8_NS5_IS6_S8_EES8_NS5_IlS8_EES8_jjPS6_PjSD_j, .Lfunc_end146-_ZN2at6native6mbtopk10gatherTopKIimLi2EEEvNS_4cuda6detail10TensorInfoIKT_T0_EES8_S8_bjS8_NS5_IS6_S8_EES8_NS5_IlS8_EES8_jjPS6_PjSD_j
                                        ; -- End function
	.set _ZN2at6native6mbtopk10gatherTopKIimLi2EEEvNS_4cuda6detail10TensorInfoIKT_T0_EES8_S8_bjS8_NS5_IS6_S8_EES8_NS5_IlS8_EES8_jjPS6_PjSD_j.num_vgpr, 24
	.set _ZN2at6native6mbtopk10gatherTopKIimLi2EEEvNS_4cuda6detail10TensorInfoIKT_T0_EES8_S8_bjS8_NS5_IS6_S8_EES8_NS5_IlS8_EES8_jjPS6_PjSD_j.num_agpr, 0
	.set _ZN2at6native6mbtopk10gatherTopKIimLi2EEEvNS_4cuda6detail10TensorInfoIKT_T0_EES8_S8_bjS8_NS5_IS6_S8_EES8_NS5_IlS8_EES8_jjPS6_PjSD_j.numbered_sgpr, 52
	.set _ZN2at6native6mbtopk10gatherTopKIimLi2EEEvNS_4cuda6detail10TensorInfoIKT_T0_EES8_S8_bjS8_NS5_IS6_S8_EES8_NS5_IlS8_EES8_jjPS6_PjSD_j.num_named_barrier, 0
	.set _ZN2at6native6mbtopk10gatherTopKIimLi2EEEvNS_4cuda6detail10TensorInfoIKT_T0_EES8_S8_bjS8_NS5_IS6_S8_EES8_NS5_IlS8_EES8_jjPS6_PjSD_j.private_seg_size, 0
	.set _ZN2at6native6mbtopk10gatherTopKIimLi2EEEvNS_4cuda6detail10TensorInfoIKT_T0_EES8_S8_bjS8_NS5_IS6_S8_EES8_NS5_IlS8_EES8_jjPS6_PjSD_j.uses_vcc, 1
	.set _ZN2at6native6mbtopk10gatherTopKIimLi2EEEvNS_4cuda6detail10TensorInfoIKT_T0_EES8_S8_bjS8_NS5_IS6_S8_EES8_NS5_IlS8_EES8_jjPS6_PjSD_j.uses_flat_scratch, 0
	.set _ZN2at6native6mbtopk10gatherTopKIimLi2EEEvNS_4cuda6detail10TensorInfoIKT_T0_EES8_S8_bjS8_NS5_IS6_S8_EES8_NS5_IlS8_EES8_jjPS6_PjSD_j.has_dyn_sized_stack, 0
	.set _ZN2at6native6mbtopk10gatherTopKIimLi2EEEvNS_4cuda6detail10TensorInfoIKT_T0_EES8_S8_bjS8_NS5_IS6_S8_EES8_NS5_IlS8_EES8_jjPS6_PjSD_j.has_recursion, 0
	.set _ZN2at6native6mbtopk10gatherTopKIimLi2EEEvNS_4cuda6detail10TensorInfoIKT_T0_EES8_S8_bjS8_NS5_IS6_S8_EES8_NS5_IlS8_EES8_jjPS6_PjSD_j.has_indirect_call, 0
	.section	.AMDGPU.csdata,"",@progbits
; Kernel info:
; codeLenInByte = 2960
; TotalNumSgprs: 54
; NumVgprs: 24
; ScratchSize: 0
; MemoryBound: 0
; FloatMode: 240
; IeeeMode: 1
; LDSByteSize: 1068 bytes/workgroup (compile time only)
; SGPRBlocks: 0
; VGPRBlocks: 2
; NumSGPRsForWavesPerEU: 54
; NumVGPRsForWavesPerEU: 24
; Occupancy: 16
; WaveLimiterHint : 1
; COMPUTE_PGM_RSRC2:SCRATCH_EN: 0
; COMPUTE_PGM_RSRC2:USER_SGPR: 6
; COMPUTE_PGM_RSRC2:TRAP_HANDLER: 0
; COMPUTE_PGM_RSRC2:TGID_X_EN: 1
; COMPUTE_PGM_RSRC2:TGID_Y_EN: 1
; COMPUTE_PGM_RSRC2:TGID_Z_EN: 1
; COMPUTE_PGM_RSRC2:TIDIG_COMP_CNT: 0
	.section	.text._ZN2at6native6sbtopk10gatherTopKIimLi2ELb0EEEvNS_4cuda6detail10TensorInfoIKT_T0_EES8_S8_bS8_S8_NS5_IS6_S8_EES8_NS5_IlS8_EES8_PS6_,"axG",@progbits,_ZN2at6native6sbtopk10gatherTopKIimLi2ELb0EEEvNS_4cuda6detail10TensorInfoIKT_T0_EES8_S8_bS8_S8_NS5_IS6_S8_EES8_NS5_IlS8_EES8_PS6_,comdat
	.protected	_ZN2at6native6sbtopk10gatherTopKIimLi2ELb0EEEvNS_4cuda6detail10TensorInfoIKT_T0_EES8_S8_bS8_S8_NS5_IS6_S8_EES8_NS5_IlS8_EES8_PS6_ ; -- Begin function _ZN2at6native6sbtopk10gatherTopKIimLi2ELb0EEEvNS_4cuda6detail10TensorInfoIKT_T0_EES8_S8_bS8_S8_NS5_IS6_S8_EES8_NS5_IlS8_EES8_PS6_
	.globl	_ZN2at6native6sbtopk10gatherTopKIimLi2ELb0EEEvNS_4cuda6detail10TensorInfoIKT_T0_EES8_S8_bS8_S8_NS5_IS6_S8_EES8_NS5_IlS8_EES8_PS6_
	.p2align	8
	.type	_ZN2at6native6sbtopk10gatherTopKIimLi2ELb0EEEvNS_4cuda6detail10TensorInfoIKT_T0_EES8_S8_bS8_S8_NS5_IS6_S8_EES8_NS5_IlS8_EES8_PS6_,@function
_ZN2at6native6sbtopk10gatherTopKIimLi2ELb0EEEvNS_4cuda6detail10TensorInfoIKT_T0_EES8_S8_bS8_S8_NS5_IS6_S8_EES8_NS5_IlS8_EES8_PS6_: ; @_ZN2at6native6sbtopk10gatherTopKIimLi2ELb0EEEvNS_4cuda6detail10TensorInfoIKT_T0_EES8_S8_bS8_S8_NS5_IS6_S8_EES8_NS5_IlS8_EES8_PS6_
; %bb.0:
	s_clause 0x1
	s_load_dwordx2 s[14:15], s[4:5], 0x520
	s_load_dwordx4 s[28:31], s[4:5], 0x1b8
	s_add_u32 s12, s4, 0x520
	s_addc_u32 s13, s5, 0
	s_mov_b32 s35, 0
	s_waitcnt lgkmcnt(0)
	s_mul_i32 s0, s15, s8
	s_add_i32 s0, s0, s7
	s_mul_i32 s0, s0, s14
	s_add_i32 s34, s0, s6
	v_cmp_le_u64_e64 s0, s[28:29], s[34:35]
	s_and_b32 vcc_lo, exec_lo, s0
	s_cbranch_vccnz .LBB147_473
; %bb.1:
	s_clause 0x2
	s_load_dwordx2 s[16:17], s[4:5], 0x10
	s_load_dwordx2 s[28:29], s[4:5], 0x380
	;; [unrolled: 1-line block ×3, first 2 shown]
	s_mov_b64 s[48:49], 0
	s_waitcnt lgkmcnt(0)
	v_cmp_lt_u64_e64 s0, s[34:35], s[16:17]
	s_and_b32 vcc_lo, exec_lo, s0
	s_mov_b64 s[0:1], 0
	s_cbranch_vccnz .LBB147_3
; %bb.2:
	v_cvt_f32_u32_e32 v1, s16
	s_sub_i32 s1, 0, s16
	v_rcp_iflag_f32_e32 v1, v1
	v_mul_f32_e32 v1, 0x4f7ffffe, v1
	v_cvt_u32_f32_e32 v1, v1
	v_readfirstlane_b32 s0, v1
	s_mul_i32 s1, s1, s0
	s_mul_hi_u32 s1, s0, s1
	s_add_i32 s0, s0, s1
	s_mul_hi_u32 s0, s34, s0
	s_mul_i32 s1, s0, s16
	s_add_i32 s2, s0, 1
	s_sub_i32 s1, s34, s1
	s_sub_i32 s3, s1, s16
	s_cmp_ge_u32 s1, s16
	s_cselect_b32 s0, s2, s0
	s_cselect_b32 s1, s3, s1
	s_add_i32 s2, s0, 1
	s_cmp_ge_u32 s1, s16
	s_cselect_b32 s0, s2, s0
.LBB147_3:
	v_cmp_lt_u64_e64 s1, s[34:35], s[50:51]
	s_and_b32 vcc_lo, exec_lo, s1
	s_cbranch_vccnz .LBB147_5
; %bb.4:
	v_cvt_f32_u32_e32 v1, s50
	s_sub_i32 s2, 0, s50
	v_rcp_iflag_f32_e32 v1, v1
	v_mul_f32_e32 v1, 0x4f7ffffe, v1
	v_cvt_u32_f32_e32 v1, v1
	v_readfirstlane_b32 s1, v1
	s_mul_i32 s2, s2, s1
	s_mul_hi_u32 s2, s1, s2
	s_add_i32 s1, s1, s2
	s_mul_hi_u32 s1, s34, s1
	s_mul_i32 s2, s1, s50
	s_add_i32 s3, s1, 1
	s_sub_i32 s2, s34, s2
	s_sub_i32 s7, s2, s50
	s_cmp_ge_u32 s2, s50
	s_cselect_b32 s1, s3, s1
	s_cselect_b32 s2, s7, s2
	s_add_i32 s3, s1, 1
	s_cmp_ge_u32 s2, s50
	s_cselect_b32 s48, s3, s1
.LBB147_5:
	s_load_dwordx2 s[18:19], s[4:5], 0x0
	v_cmp_lt_u64_e64 s1, s[34:35], s[28:29]
	s_mov_b64 s[52:53], 0
	s_and_b32 vcc_lo, exec_lo, s1
	s_cbranch_vccnz .LBB147_7
; %bb.6:
	v_cvt_f32_u32_e32 v1, s28
	s_sub_i32 s2, 0, s28
	v_rcp_iflag_f32_e32 v1, v1
	v_mul_f32_e32 v1, 0x4f7ffffe, v1
	v_cvt_u32_f32_e32 v1, v1
	v_readfirstlane_b32 s1, v1
	s_mul_i32 s2, s2, s1
	s_mul_hi_u32 s2, s1, s2
	s_add_i32 s1, s1, s2
	s_mul_hi_u32 s1, s34, s1
	s_mul_i32 s2, s1, s28
	s_add_i32 s3, s1, 1
	s_sub_i32 s2, s34, s2
	s_sub_i32 s7, s2, s28
	s_cmp_ge_u32 s2, s28
	s_cselect_b32 s1, s3, s1
	s_cselect_b32 s2, s7, s2
	s_add_i32 s3, s1, 1
	s_cmp_ge_u32 s2, s28
	s_cselect_b32 s52, s3, s1
.LBB147_7:
	s_clause 0x3
	s_load_dwordx2 s[2:3], s[4:5], 0x370
	s_load_dwordx2 s[56:57], s[4:5], 0x1c8
	s_load_dwordx4 s[8:11], s[4:5], 0xd0
	s_load_dwordx4 s[36:39], s[4:5], 0x1a0
                                        ; implicit-def: $vgpr39 : SGPR spill to VGPR lane
	s_mov_b32 s27, 0
	s_waitcnt lgkmcnt(0)
	v_writelane_b32 v39, s2, 0
	v_writelane_b32 v39, s3, 1
	v_cmp_eq_u32_e64 s3, 0, v0
	s_and_saveexec_b32 s1, s3
	s_cbranch_execz .LBB147_9
; %bb.8:
	v_mov_b32_e32 v1, 0
	v_mov_b32_e32 v3, s36
	;; [unrolled: 1-line block ×4, first 2 shown]
	ds_write_b32 v1, v1 offset:5144
	ds_write_b128 v1, v[1:4] offset:5120
.LBB147_9:
	s_or_b32 exec_lo, exec_lo, s1
	s_mul_i32 s1, s0, s17
	s_mul_hi_u32 s2, s0, s16
	s_mul_i32 s7, s0, s16
	s_add_i32 s2, s2, s1
	s_sub_u32 s7, s34, s7
	s_subb_u32 s2, 0, s2
	s_mul_i32 s1, s7, s11
	s_mul_hi_u32 s11, s7, s10
	s_mul_i32 s2, s2, s10
	s_add_i32 s11, s11, s1
	s_mul_i32 s1, s0, s9
	s_mul_hi_u32 s9, s0, s8
	s_mul_i32 s0, s0, s8
	s_add_i32 s1, s9, s1
	s_clause 0x1
	s_load_dwordx4 s[40:43], s[4:5], 0x440
	s_load_dword s15, s[4:5], 0x1b0
	s_lshl_b64 s[0:1], s[0:1], 2
	s_add_i32 s9, s11, s2
	s_mul_i32 s8, s7, s10
	s_add_u32 s2, s18, s0
	s_addc_u32 s7, s19, s1
	s_lshl_b64 s[0:1], s[8:9], 2
	s_waitcnt lgkmcnt(0)
	s_barrier
	buffer_gl0_inv
	s_load_dword s8, s[12:13], 0xc
	v_mad_u64_u32 v[2:3], null, s30, v0, 0
	v_mbcnt_lo_u32_b32 v24, -1, 0
	s_add_u32 s33, s2, s0
	s_addc_u32 s35, s7, s1
	v_cmp_gt_u32_e32 vcc_lo, 32, v0
	v_mov_b32_e32 v13, 0
	v_cmp_gt_i32_e64 s1, 4, v24
	v_mov_b32_e32 v1, v3
	s_bitcmp1_b32 s15, 0
	v_lshlrev_b32_e32 v14, 2, v0
	s_cselect_b32 s2, -1, 0
	s_and_b32 s76, vcc_lo, s1
	v_mad_u64_u32 v[3:4], null, s31, v0, v[1:2]
	s_xor_b32 s53, s2, -1
	v_mov_b32_e32 v1, v13
	v_cmp_lt_u64_e64 s77, 0x300, s[36:37]
	v_mov_b32_e32 v19, s38
	s_waitcnt lgkmcnt(0)
	s_and_b32 s49, s8, 0xffff
	v_cmp_eq_u32_e64 s0, 0, v24
	s_bfe_u32 s7, s49, 0x80008
	v_lshlrev_b64 v[2:3], 2, v[2:3]
	s_lshl_b32 s78, s7, 3
	s_bfe_u32 s7, s8, 0xb0005
	s_cmp_gt_u32 s49, 31
	v_cmp_gt_u64_e64 s1, s[36:37], v[0:1]
	s_cselect_b32 s79, -1, 0
	s_add_u32 s80, s49, -1
	s_addc_u32 s81, 0, -1
	s_add_u32 s82, s80, s36
	s_addc_u32 s59, s81, s37
	s_cmp_lt_u32 s6, s14
	v_add_co_u32 v10, vcc_lo, s33, v2
	s_cselect_b32 s6, 12, 18
	v_add_co_ci_u32_e64 v11, null, s35, v3, vcc_lo
	s_add_u32 s60, s12, s6
	v_lshlrev_b64 v[2:3], v24, -1
	s_addc_u32 s61, s13, 0
	s_add_i32 s7, s7, -1
	s_bfe_u32 s83, s49, 0x30005
	s_and_b32 s6, s7, 0xffff
	v_mov_b32_e32 v15, v13
	s_cmp_gt_u32 s6, 6
	s_movk_i32 s6, 0x3e0
	v_cmp_gt_u32_e64 s8, 2, v0
	v_add_nc_u32_e32 v26, 0xc00, v14
	v_not_b32_e32 v23, v2
	v_and_or_b32 v27, v0, s6, 0xc00
	v_lshlrev_b32_e32 v28, 4, v0
	v_lshl_or_b32 v29, v24, 3, 0xc00
	v_mov_b32_e32 v20, s39
	v_mov_b32_e32 v16, 1
	;; [unrolled: 1-line block ×5, first 2 shown]
	s_cselect_b32 s84, -1, 0
	s_cmp_lg_u32 s83, 0
	s_mov_b32 s93, 30
	s_cselect_b32 s85, -1, 0
	s_lshl_b32 s86, s49, 2
	s_mov_b32 s87, 0
	s_mov_b32 s89, 0
                                        ; implicit-def: $sgpr88
                                        ; implicit-def: $sgpr92
                                        ; implicit-def: $sgpr91
                                        ; implicit-def: $sgpr94
                                        ; implicit-def: $sgpr90
                                        ; implicit-def: $sgpr98
                                        ; implicit-def: $sgpr99
                                        ; implicit-def: $sgpr95
                                        ; implicit-def: $sgpr97
                                        ; implicit-def: $sgpr96
	s_branch .LBB147_12
.LBB147_10:                             ;   in Loop: Header=BB147_12 Depth=1
	s_or_b32 exec_lo, exec_lo, s10
	v_mov_b32_e32 v20, v3
	v_mov_b32_e32 v19, v2
	s_andn2_b32 s10, s96, exec_lo
	s_and_b32 s9, s9, exec_lo
	s_andn2_b32 s97, s97, exec_lo
	s_or_b32 s96, s10, s9
	s_andn2_b32 s95, s95, exec_lo
	s_andn2_b32 s99, s99, exec_lo
	;; [unrolled: 1-line block ×3, first 2 shown]
	s_orn2_b32 s7, s7, exec_lo
.LBB147_11:                             ;   in Loop: Header=BB147_12 Depth=1
	s_or_b32 exec_lo, exec_lo, s6
	s_and_b32 s6, exec_lo, s7
	s_or_b32 s87, s6, s87
	s_andn2_b32 s6, s90, exec_lo
	s_and_b32 s7, s96, exec_lo
	s_andn2_b32 s9, s94, exec_lo
	s_or_b32 s90, s6, s7
	s_and_b32 s6, s97, exec_lo
	s_andn2_b32 s7, s91, exec_lo
	s_and_b32 s10, s95, exec_lo
	s_or_b32 s94, s9, s6
	s_or_b32 s91, s7, s10
	s_andn2_b32 s6, s92, exec_lo
	s_and_b32 s7, s99, exec_lo
	s_andn2_b32 s9, s88, exec_lo
	s_and_b32 s10, s98, exec_lo
	s_or_b32 s92, s6, s7
	s_or_b32 s88, s9, s10
	s_andn2_b32 exec_lo, exec_lo, s87
	s_cbranch_execz .LBB147_469
.LBB147_12:                             ; =>This Loop Header: Depth=1
                                        ;     Child Loop BB147_18 Depth 2
                                        ;     Child Loop BB147_31 Depth 2
	;; [unrolled: 1-line block ×24, first 2 shown]
	ds_read_b128 v[2:5], v13 offset:5120
	s_waitcnt lgkmcnt(0)
	v_readfirstlane_b32 s63, v3
	v_readfirstlane_b32 s62, v2
	s_cmp_lg_u64 s[62:63], 0
	s_cbranch_scc1 .LBB147_39
; %bb.13:                               ;   in Loop: Header=BB147_12 Depth=1
	s_and_b32 vcc_lo, exec_lo, s77
	s_cbranch_vccz .LBB147_26
; %bb.14:                               ;   in Loop: Header=BB147_12 Depth=1
	v_cmp_gt_u64_e32 vcc_lo, 0x301, v[4:5]
	s_mov_b32 s9, 0
	s_mov_b32 s6, 0
	s_cbranch_vccz .LBB147_27
; %bb.15:                               ;   in Loop: Header=BB147_12 Depth=1
	s_and_saveexec_b32 s10, s1
	s_cbranch_execz .LBB147_93
; %bb.16:                               ;   in Loop: Header=BB147_12 Depth=1
	global_load_ushort v2, v13, s[60:61]
	global_load_dword v5, v[10:11], off
	s_mov_b32 s11, 0
	s_waitcnt vmcnt(1)
	v_and_b32_e32 v4, 0xffff, v2
	v_mov_b32_e32 v3, v1
	v_mov_b32_e32 v2, v0
	s_branch .LBB147_18
.LBB147_17:                             ;   in Loop: Header=BB147_18 Depth=2
	s_or_b32 exec_lo, exec_lo, s7
	v_mov_b32_e32 v5, v6
	s_andn2_b32 exec_lo, exec_lo, s11
	s_cbranch_execz .LBB147_93
.LBB147_18:                             ;   Parent Loop BB147_12 Depth=1
                                        ; =>  This Inner Loop Header: Depth=2
	v_add_co_u32 v2, vcc_lo, v2, v4
	v_add_co_ci_u32_e64 v3, null, 0, v3, vcc_lo
	s_waitcnt lgkmcnt(0)
	v_mov_b32_e32 v7, 0
	v_mov_b32_e32 v6, 0
	s_mov_b32 s7, exec_lo
	v_cmp_le_u64_e32 vcc_lo, s[36:37], v[2:3]
	v_cmpx_gt_u64_e64 s[36:37], v[2:3]
	s_cbranch_execz .LBB147_20
; %bb.19:                               ;   in Loop: Header=BB147_18 Depth=2
	v_mul_lo_u32 v6, v3, s30
	v_mul_lo_u32 v12, v2, s31
	v_mad_u64_u32 v[8:9], null, v2, s30, 0
	v_add3_u32 v9, v9, v12, v6
	v_lshlrev_b64 v[8:9], 2, v[8:9]
	v_add_co_u32 v8, s6, s33, v8
	v_add_co_ci_u32_e64 v9, null, s35, v9, s6
	global_load_dword v6, v[8:9], off
.LBB147_20:                             ;   in Loop: Header=BB147_18 Depth=2
	s_or_b32 exec_lo, exec_lo, s7
	s_waitcnt vmcnt(0)
	v_xor_b32_e32 v8, 0x80000000, v5
	v_and_b32_e32 v8, v8, v30
	v_cmp_eq_u32_e64 s6, v8, v25
	s_cmp_lg_u32 s6, 0
	s_cselect_b32 s7, -1, 0
	s_and_b32 s7, s0, s7
	s_and_saveexec_b32 s12, s7
	s_cbranch_execz .LBB147_24
; %bb.21:                               ;   in Loop: Header=BB147_18 Depth=2
	s_mov_b32 s15, exec_lo
	s_bcnt1_i32_b32 s13, s6
	v_mbcnt_lo_u32_b32 v7, s15, 0
	s_mov_b32 s14, exec_lo
                                        ; implicit-def: $vgpr8
	v_cmpx_eq_u32_e32 0, v7
; %bb.22:                               ;   in Loop: Header=BB147_18 Depth=2
	s_bcnt1_i32_b32 s7, s15
	s_mul_i32 s7, s13, s7
	v_mov_b32_e32 v8, s7
	ds_add_rtn_u32 v8, v13, v8 offset:5144
; %bb.23:                               ;   in Loop: Header=BB147_18 Depth=2
	s_or_b32 exec_lo, exec_lo, s14
	s_waitcnt lgkmcnt(0)
	v_readfirstlane_b32 s7, v8
	v_mad_u32_u24 v7, s13, v7, s7
.LBB147_24:                             ;   in Loop: Header=BB147_18 Depth=2
	s_or_b32 exec_lo, exec_lo, s12
	ds_bpermute_b32 v7, v13, v7
	s_and_b32 s7, exec_lo, vcc_lo
	s_or_b32 s11, s7, s11
	s_and_saveexec_b32 s7, s6
	s_cbranch_execz .LBB147_17
; %bb.25:                               ;   in Loop: Header=BB147_18 Depth=2
	v_and_b32_e32 v8, s6, v23
	v_bcnt_u32_b32 v8, v8, 0
	v_lshlrev_b32_e32 v8, 2, v8
	s_waitcnt lgkmcnt(0)
	v_lshl_add_u32 v7, v7, 2, v8
	ds_write_b32 v7, v5
	s_branch .LBB147_17
.LBB147_26:                             ;   in Loop: Header=BB147_12 Depth=1
	s_mov_b32 s9, -1
	s_mov_b32 s6, 0
.LBB147_27:                             ;   in Loop: Header=BB147_12 Depth=1
	s_and_b32 vcc_lo, exec_lo, s9
	s_cbranch_vccz .LBB147_37
.LBB147_28:                             ;   in Loop: Header=BB147_12 Depth=1
	s_and_saveexec_b32 s6, s1
	s_cbranch_execz .LBB147_34
; %bb.29:                               ;   in Loop: Header=BB147_12 Depth=1
	global_load_ushort v2, v13, s[60:61]
	global_load_dword v6, v[10:11], off
	s_mov_b32 s7, exec_lo
	s_waitcnt vmcnt(1)
	v_and_b32_e32 v7, 0xffff, v2
	v_mov_b32_e32 v2, v0
	v_add_nc_u32_e32 v12, v7, v0
	v_cmpx_gt_u64_e64 s[36:37], v[12:13]
	s_cbranch_execz .LBB147_33
; %bb.30:                               ;   in Loop: Header=BB147_12 Depth=1
	v_mov_b32_e32 v4, v12
	v_mov_b32_e32 v3, v1
	;; [unrolled: 1-line block ×4, first 2 shown]
	s_mov_b32 s9, 0
	.p2align	6
.LBB147_31:                             ;   Parent Loop BB147_12 Depth=1
                                        ; =>  This Inner Loop Header: Depth=2
	v_mov_b32_e32 v22, v5
	v_mov_b32_e32 v21, v4
	v_lshlrev_b32_e32 v2, 2, v2
	v_mul_lo_u32 v5, v22, s30
	v_mul_lo_u32 v8, v21, s31
	v_mad_u64_u32 v[3:4], null, v21, s30, 0
	s_waitcnt vmcnt(0)
	ds_write_b32 v2, v6
	v_add3_u32 v4, v4, v8, v5
	v_lshlrev_b64 v[3:4], 2, v[3:4]
	v_add_co_u32 v3, vcc_lo, s33, v3
	v_add_co_ci_u32_e64 v4, null, s35, v4, vcc_lo
	global_load_dword v8, v[3:4], off
	v_add_co_u32 v4, vcc_lo, v21, v7
	v_add_co_ci_u32_e64 v5, null, 0, v22, vcc_lo
	v_mov_b32_e32 v2, v21
	v_mov_b32_e32 v3, v22
	v_cmp_le_u64_e32 vcc_lo, s[36:37], v[4:5]
	s_or_b32 s9, vcc_lo, s9
	s_waitcnt vmcnt(0)
	v_mov_b32_e32 v6, v8
	s_andn2_b32 exec_lo, exec_lo, s9
	s_cbranch_execnz .LBB147_31
; %bb.32:                               ;   in Loop: Header=BB147_12 Depth=1
	s_or_b32 exec_lo, exec_lo, s9
	v_sub_nc_u32_e32 v2, v4, v7
	v_mov_b32_e32 v6, v8
.LBB147_33:                             ;   in Loop: Header=BB147_12 Depth=1
	s_or_b32 exec_lo, exec_lo, s7
	v_lshlrev_b32_e32 v2, 2, v2
	s_waitcnt vmcnt(0)
	ds_write_b32 v2, v6
.LBB147_34:                             ;   in Loop: Header=BB147_12 Depth=1
	s_or_b32 exec_lo, exec_lo, s6
	s_waitcnt lgkmcnt(0)
	s_barrier
	buffer_gl0_inv
	s_and_saveexec_b32 s6, s3
; %bb.35:                               ;   in Loop: Header=BB147_12 Depth=1
	v_mov_b32_e32 v2, s36
	v_mov_b32_e32 v3, s37
	ds_write_b64 v13, v[2:3] offset:5120
; %bb.36:                               ;   in Loop: Header=BB147_12 Depth=1
	s_or_b32 exec_lo, exec_lo, s6
	s_mov_b32 s6, -1
	s_waitcnt lgkmcnt(0)
	s_barrier
.LBB147_37:                             ;   in Loop: Header=BB147_12 Depth=1
	s_and_b32 vcc_lo, exec_lo, s6
	s_mov_b64 s[62:63], 0
	s_cbranch_vccz .LBB147_39
; %bb.38:                               ;   in Loop: Header=BB147_12 Depth=1
	buffer_gl0_inv
	ds_read_b64 v[2:3], v13 offset:5120
	s_waitcnt lgkmcnt(0)
	v_readfirstlane_b32 s62, v2
.LBB147_39:                             ;   in Loop: Header=BB147_12 Depth=1
	s_cmp_lt_i32 s62, 1
	s_mov_b32 s6, -1
                                        ; implicit-def: $vgpr2_vgpr3
                                        ; implicit-def: $vgpr6_vgpr7
	s_cbranch_scc1 .LBB147_49
; %bb.40:                               ;   in Loop: Header=BB147_12 Depth=1
	s_and_b32 vcc_lo, exec_lo, s6
	s_cbranch_vccnz .LBB147_63
.LBB147_41:                             ;   in Loop: Header=BB147_12 Depth=1
	s_lshl_b32 s6, s89, 7
	s_and_saveexec_b32 s7, s0
	s_cbranch_execz .LBB147_43
.LBB147_42:                             ;   in Loop: Header=BB147_12 Depth=1
	v_lshl_add_u32 v12, s6, 3, v27
	ds_write_b128 v12, v[2:5]
	ds_write_b128 v12, v[6:9] offset:16
.LBB147_43:                             ;   in Loop: Header=BB147_12 Depth=1
	s_or_b32 exec_lo, exec_lo, s7
	s_waitcnt lgkmcnt(0)
	s_barrier
	buffer_gl0_inv
	s_and_saveexec_b32 s7, s76
	s_cbranch_execz .LBB147_77
; %bb.44:                               ;   in Loop: Header=BB147_12 Depth=1
	v_mov_b32_e32 v2, 0
	v_mov_b32_e32 v3, 0
	s_andn2_b32 vcc_lo, exec_lo, s79
	s_cbranch_vccnz .LBB147_76
; %bb.45:                               ;   in Loop: Header=BB147_12 Depth=1
	v_mov_b32_e32 v2, 0
	v_mov_b32_e32 v3, 0
	s_andn2_b32 vcc_lo, exec_lo, s84
	s_cbranch_vccnz .LBB147_73
; %bb.46:                               ;   in Loop: Header=BB147_12 Depth=1
	v_lshl_add_u32 v4, s89, 10, v29
	s_mov_b32 s9, 0
	s_inst_prefetch 0x1
	.p2align	6
.LBB147_47:                             ;   Parent Loop BB147_12 Depth=1
                                        ; =>  This Inner Loop Header: Depth=2
	ds_read2_b64 v[5:8], v4 offset1:4
	ds_read2_b64 v[31:34], v4 offset0:8 offset1:12
	ds_read2_b64 v[35:38], v4 offset0:16 offset1:20
	s_add_i32 s9, s9, 8
	s_cmp_eq_u32 s78, s9
	s_waitcnt lgkmcnt(2)
	v_add_co_u32 v2, vcc_lo, v5, v2
	v_add_co_ci_u32_e64 v3, null, v6, v3, vcc_lo
	v_add_co_u32 v2, vcc_lo, v7, v2
	v_add_co_ci_u32_e64 v3, null, v8, v3, vcc_lo
	ds_read2_b64 v[5:8], v4 offset0:24 offset1:28
	s_waitcnt lgkmcnt(2)
	v_add_co_u32 v2, vcc_lo, v31, v2
	v_add_co_ci_u32_e64 v3, null, v32, v3, vcc_lo
	v_add_nc_u32_e32 v4, 0x100, v4
	v_add_co_u32 v2, vcc_lo, v33, v2
	v_add_co_ci_u32_e64 v3, null, v34, v3, vcc_lo
	s_waitcnt lgkmcnt(1)
	v_add_co_u32 v2, vcc_lo, v35, v2
	v_add_co_ci_u32_e64 v3, null, v36, v3, vcc_lo
	v_add_co_u32 v2, vcc_lo, v37, v2
	v_add_co_ci_u32_e64 v3, null, v38, v3, vcc_lo
	s_waitcnt lgkmcnt(0)
	v_add_co_u32 v2, vcc_lo, v5, v2
	v_add_co_ci_u32_e64 v3, null, v6, v3, vcc_lo
	v_add_co_u32 v2, vcc_lo, v7, v2
	v_add_co_ci_u32_e64 v3, null, v8, v3, vcc_lo
	s_cbranch_scc0 .LBB147_47
; %bb.48:                               ;   in Loop: Header=BB147_12 Depth=1
	s_inst_prefetch 0x2
	s_mov_b32 s9, s78
	s_andn2_b32 vcc_lo, exec_lo, s85
	s_cbranch_vccz .LBB147_74
	s_branch .LBB147_76
.LBB147_49:                             ;   in Loop: Header=BB147_12 Depth=1
	global_load_ushort v12, v13, s[60:61]
	s_mov_b32 s7, s37
	s_waitcnt vmcnt(0)
	v_readfirstlane_b32 s6, v12
	s_and_b32 s9, 0xffff, s6
	s_mov_b32 s6, s27
	s_lshl_b32 s25, s9, 2
	s_cmp_lg_u64 s[6:7], 0
	s_cbranch_scc0 .LBB147_72
; %bb.50:                               ;   in Loop: Header=BB147_12 Depth=1
	v_cvt_f32_u32_e32 v2, s25
	s_sub_u32 s9, 0, s25
	s_subb_u32 s10, 0, 0
	v_fmac_f32_e64 v2, 0x4f800000, 0
	v_rcp_f32_e32 v2, v2
	v_mul_f32_e32 v2, 0x5f7ffffc, v2
	v_mul_f32_e32 v3, 0x2f800000, v2
	v_trunc_f32_e32 v3, v3
	v_fmac_f32_e32 v2, 0xcf800000, v3
	v_cvt_u32_f32_e32 v3, v3
	v_cvt_u32_f32_e32 v2, v2
	v_readfirstlane_b32 s6, v3
	v_readfirstlane_b32 s7, v2
	s_mul_i32 s11, s9, s6
	s_mul_hi_u32 s13, s9, s7
	s_mul_i32 s12, s10, s7
	s_add_i32 s11, s13, s11
	s_mul_i32 s14, s9, s7
	s_add_i32 s11, s11, s12
	s_mul_hi_u32 s13, s7, s14
	s_mul_i32 s16, s7, s11
	s_mul_hi_u32 s15, s6, s14
	s_mul_i32 s12, s6, s14
	s_mul_hi_u32 s14, s7, s11
	s_add_u32 s13, s13, s16
	s_addc_u32 s14, 0, s14
	s_mul_hi_u32 s17, s6, s11
	s_add_u32 s12, s13, s12
	s_mul_i32 s11, s6, s11
	s_addc_u32 s12, s14, s15
	s_addc_u32 s13, s17, 0
	s_add_u32 s11, s12, s11
	s_addc_u32 s12, 0, s13
	s_add_u32 s7, s7, s11
	s_cselect_b32 s11, -1, 0
	s_mul_hi_u32 s13, s9, s7
	s_cmp_lg_u32 s11, 0
	s_mul_i32 s11, s9, s7
	s_addc_u32 s6, s6, s12
	s_mul_i32 s10, s10, s7
	s_mul_i32 s9, s9, s6
	s_mul_hi_u32 s12, s7, s11
	s_add_i32 s9, s13, s9
	s_mul_hi_u32 s13, s6, s11
	s_add_i32 s9, s9, s10
	s_mul_i32 s10, s6, s11
	s_mul_i32 s15, s7, s9
	s_mul_hi_u32 s14, s7, s9
	s_add_u32 s12, s12, s15
	s_addc_u32 s14, 0, s14
	s_mul_hi_u32 s11, s6, s9
	s_add_u32 s10, s12, s10
	s_mul_i32 s9, s6, s9
	s_addc_u32 s10, s14, s13
	s_addc_u32 s11, s11, 0
	s_add_u32 s9, s10, s9
	s_addc_u32 s10, 0, s11
	s_add_u32 s7, s7, s9
	s_cselect_b32 s9, -1, 0
	s_mul_hi_u32 s11, s36, s7
	s_cmp_lg_u32 s9, 0
	s_mul_hi_u32 s9, s37, s7
	s_addc_u32 s6, s6, s10
	s_mul_i32 s7, s37, s7
	s_mul_i32 s12, s36, s6
	s_mul_hi_u32 s10, s36, s6
	s_add_u32 s11, s11, s12
	s_addc_u32 s10, 0, s10
	s_mul_hi_u32 s13, s37, s6
	s_add_u32 s7, s11, s7
	s_mul_i32 s6, s37, s6
	s_addc_u32 s7, s10, s9
	s_addc_u32 s9, s13, 0
	s_add_u32 s6, s7, s6
	s_addc_u32 s7, 0, s9
	s_mul_hi_u32 s9, s25, s6
	s_mul_i32 s7, s25, s7
	s_mul_i32 s6, s25, s6
	s_add_i32 s9, s9, s7
	s_sub_u32 s6, s36, s6
	s_cselect_b32 s7, -1, 0
	s_cmp_lg_u32 s7, 0
	s_subb_u32 s7, s37, s9
	s_sub_u32 s9, s6, s25
	s_cselect_b32 s10, -1, 0
	s_cmp_lg_u32 s10, 0
	s_subb_u32 s10, s7, 0
	;; [unrolled: 4-line block ×3, first 2 shown]
	s_cmp_ge_u32 s9, s25
	s_cselect_b32 s13, -1, 0
	s_cmp_eq_u32 s10, 0
	s_cselect_b32 s13, s13, -1
	s_cmp_lg_u32 s13, 0
	s_cselect_b32 s10, s12, s10
	s_cselect_b32 s9, s11, s9
	s_cmp_ge_u32 s6, s25
	s_cselect_b32 s11, -1, 0
	s_cmp_eq_u32 s7, 0
	s_cselect_b32 s11, s11, -1
	s_cmp_lg_u32 s11, 0
	s_cselect_b32 s7, s10, s7
	s_cselect_b32 s6, s9, s6
	s_cbranch_execnz .LBB147_52
.LBB147_51:                             ;   in Loop: Header=BB147_12 Depth=1
	v_cvt_f32_u32_e32 v2, s25
	s_sub_i32 s7, 0, s25
	v_rcp_iflag_f32_e32 v2, v2
	v_mul_f32_e32 v2, 0x4f7ffffe, v2
	v_cvt_u32_f32_e32 v2, v2
	v_readfirstlane_b32 s6, v2
	s_mul_i32 s7, s7, s6
	s_mul_hi_u32 s7, s6, s7
	s_add_i32 s6, s6, s7
	s_mul_hi_u32 s6, s36, s6
	s_mul_i32 s6, s6, s25
	s_sub_i32 s6, s36, s6
	s_sub_i32 s7, s6, s25
	s_cmp_ge_u32 s6, s25
	s_cselect_b32 s6, s7, s6
	s_sub_i32 s7, s6, s25
	s_cmp_ge_u32 s6, s25
	s_cselect_b32 s26, s7, s6
	s_mov_b64 s[6:7], s[26:27]
.LBB147_52:                             ;   in Loop: Header=BB147_12 Depth=1
	v_mov_b32_e32 v2, 0
	v_mov_b32_e32 v4, 0
	v_mov_b32_e32 v6, 0
	v_mov_b32_e32 v8, 0
	v_mov_b32_e32 v3, 0
	v_mov_b32_e32 v5, 0
	v_mov_b32_e32 v7, 0
	v_mov_b32_e32 v9, 0
	s_sub_u32 s64, s36, s6
	s_subb_u32 s65, s37, s7
	s_mov_b32 s26, exec_lo
	v_cmpx_gt_u64_e64 s[64:65], v[14:15]
	s_cbranch_execz .LBB147_56
; %bb.53:                               ;   in Loop: Header=BB147_12 Depth=1
	v_mov_b32_e32 v22, v15
	v_mov_b32_e32 v21, v14
	s_mov_b64 s[66:67], 0
	s_mov_b32 s58, 0
	s_mov_b64 s[68:69], 0
	s_mov_b64 s[70:71], 0
	;; [unrolled: 1-line block ×3, first 2 shown]
.LBB147_54:                             ;   Parent Loop BB147_12 Depth=1
                                        ; =>  This Inner Loop Header: Depth=2
	v_mul_lo_u32 v4, v22, s30
	v_mul_lo_u32 v5, v21, s31
	v_mad_u64_u32 v[2:3], null, v21, s30, 0
	s_lshl_b64 s[6:7], s[30:31], 2
	v_add3_u32 v3, v3, v5, v4
	v_lshlrev_b64 v[2:3], 2, v[2:3]
	v_add_co_u32 v2, vcc_lo, s33, v2
	v_add_co_ci_u32_e64 v3, null, s35, v3, vcc_lo
	v_add_co_u32 v4, vcc_lo, v2, s6
	v_add_co_ci_u32_e64 v5, null, s7, v3, vcc_lo
	global_load_dword v6, v[2:3], off
	v_add_co_u32 v2, vcc_lo, v4, s6
	v_add_co_ci_u32_e64 v3, null, s7, v5, vcc_lo
	s_clause 0x1
	global_load_dword v4, v[4:5], off
	global_load_dword v5, v[2:3], off
	v_add_co_u32 v2, vcc_lo, v2, s6
	v_add_co_ci_u32_e64 v3, null, s7, v3, vcc_lo
	v_add_co_u32 v21, vcc_lo, v21, s25
	v_add_co_ci_u32_e64 v22, null, 0, v22, vcc_lo
	global_load_dword v2, v[2:3], off
	v_cmp_le_u64_e32 vcc_lo, s[64:65], v[21:22]
	s_waitcnt vmcnt(3)
	v_xor_b32_e32 v3, 0x80000000, v6
	v_and_b32_e32 v6, v3, v30
	s_waitcnt vmcnt(2)
	v_xor_b32_e32 v4, 0x80000000, v4
	v_bfe_u32 v3, v3, s93, 2
	s_waitcnt vmcnt(1)
	v_xor_b32_e32 v5, 0x80000000, v5
	v_cmp_eq_u32_e64 s6, v6, v25
	v_and_b32_e32 v6, v4, v30
	v_bfe_u32 v4, v4, s93, 2
	v_cmp_eq_u32_e64 s7, 0, v3
	v_cmp_eq_u32_e64 s9, 1, v3
	v_cmp_eq_u32_e64 s10, 2, v3
	v_cmp_eq_u32_e64 s11, 3, v3
	s_waitcnt vmcnt(0)
	v_xor_b32_e32 v2, 0x80000000, v2
	v_and_b32_e32 v3, v5, v30
	v_cmp_eq_u32_e64 s12, v6, v25
	v_bfe_u32 v5, v5, s93, 2
	v_cmp_eq_u32_e64 s13, 0, v4
	s_and_b32 s7, s6, s7
	v_cmp_eq_u32_e64 s16, v3, v25
	v_cndmask_b32_e64 v6, 0, 1, s7
	v_and_b32_e32 v3, v2, v30
	v_bfe_u32 v2, v2, s93, 2
	v_cmp_eq_u32_e64 s17, 0, v5
	s_and_b32 s13, s12, s13
	v_cmp_eq_u32_e64 s7, 1, v4
	v_cmp_eq_u32_e64 s14, 2, v4
	v_cmp_eq_u32_e64 s15, 3, v4
	v_cmp_ne_u32_e64 s18, 0, v6
	v_cndmask_b32_e64 v4, 0, 1, s13
	v_cmp_eq_u32_e64 s21, v3, v25
	v_cmp_eq_u32_e64 s22, 0, v2
	s_and_b32 s17, s16, s17
	s_bcnt1_i32_b32 s44, s18
	v_cmp_ne_u32_e64 s18, 0, v4
	v_cndmask_b32_e64 v3, 0, 1, s17
	s_and_b32 s22, s21, s22
	v_cmp_eq_u32_e64 s17, 1, v2
	v_cmp_eq_u32_e64 s23, 2, v2
	;; [unrolled: 1-line block ×3, first 2 shown]
	v_cndmask_b32_e64 v2, 0, 1, s22
	s_bcnt1_i32_b32 s22, s18
	v_cmp_ne_u32_e64 s18, 0, v3
	s_add_i32 s44, s22, s44
	v_cmp_eq_u32_e64 s13, 1, v5
	v_cmp_ne_u32_e64 s22, 0, v2
	v_cmp_eq_u32_e64 s19, 2, v5
	s_bcnt1_i32_b32 s18, s18
	v_cmp_eq_u32_e64 s20, 3, v5
	s_add_i32 s18, s44, s18
	s_bcnt1_i32_b32 s22, s22
	s_add_i32 s18, s18, s22
	s_add_u32 s72, s72, s18
	s_addc_u32 s73, s73, 0
	s_and_b32 s9, s6, s9
	s_and_b32 s7, s12, s7
	v_cndmask_b32_e64 v2, 0, 1, s9
	v_cndmask_b32_e64 v3, 0, 1, s7
	s_and_b32 s7, s16, s13
	v_cndmask_b32_e64 v4, 0, 1, s7
	s_and_b32 s7, s21, s17
	v_cmp_ne_u32_e64 s9, 0, v3
	v_cndmask_b32_e64 v5, 0, 1, s7
	v_cmp_ne_u32_e64 s7, 0, v2
	v_cmp_ne_u32_e64 s13, 0, v4
	s_bcnt1_i32_b32 s9, s9
	v_cmp_ne_u32_e64 s17, 0, v5
	s_bcnt1_i32_b32 s7, s7
	s_bcnt1_i32_b32 s13, s13
	s_add_i32 s7, s9, s7
	s_bcnt1_i32_b32 s17, s17
	s_add_i32 s7, s7, s13
	s_add_i32 s7, s7, s17
	s_add_u32 s70, s70, s7
	s_addc_u32 s71, s71, 0
	s_and_b32 s7, s6, s10
	v_cndmask_b32_e64 v2, 0, 1, s7
	s_and_b32 s7, s12, s14
	v_cndmask_b32_e64 v3, 0, 1, s7
	;; [unrolled: 2-line block ×3, first 2 shown]
	s_and_b32 s7, s21, s23
	v_cmp_ne_u32_e64 s9, 0, v3
	v_cndmask_b32_e64 v5, 0, 1, s7
	v_cmp_ne_u32_e64 s7, 0, v2
	v_cmp_ne_u32_e64 s10, 0, v4
	s_bcnt1_i32_b32 s9, s9
	v_cmp_ne_u32_e64 s13, 0, v5
	s_bcnt1_i32_b32 s7, s7
	s_bcnt1_i32_b32 s10, s10
	s_add_i32 s7, s9, s7
	s_bcnt1_i32_b32 s13, s13
	s_add_i32 s7, s7, s10
	s_add_i32 s7, s7, s13
	s_add_u32 s68, s68, s7
	s_addc_u32 s69, s69, 0
	s_and_b32 s6, s6, s11
	v_mov_b32_e32 v6, s68
	v_cndmask_b32_e64 v2, 0, 1, s6
	s_and_b32 s6, s12, s15
	v_mov_b32_e32 v7, s69
	v_cndmask_b32_e64 v3, 0, 1, s6
	s_and_b32 s6, s16, s20
	v_cndmask_b32_e64 v4, 0, 1, s6
	s_and_b32 s6, s21, s24
	v_cmp_ne_u32_e64 s7, 0, v3
	v_cndmask_b32_e64 v5, 0, 1, s6
	v_cmp_ne_u32_e64 s6, 0, v2
	v_cmp_ne_u32_e64 s9, 0, v4
	v_mov_b32_e32 v2, s72
	s_bcnt1_i32_b32 s7, s7
	v_cmp_ne_u32_e64 s10, 0, v5
	s_bcnt1_i32_b32 s6, s6
	s_bcnt1_i32_b32 s9, s9
	s_add_i32 s6, s7, s6
	v_mov_b32_e32 v4, s70
	s_bcnt1_i32_b32 s7, s10
	s_add_i32 s6, s6, s9
	v_mov_b32_e32 v3, s73
	s_add_i32 s6, s6, s7
	v_mov_b32_e32 v5, s71
	s_add_u32 s66, s66, s6
	s_addc_u32 s67, s67, 0
	v_mov_b32_e32 v8, s66
	v_mov_b32_e32 v9, s67
	s_or_b32 s58, vcc_lo, s58
	s_andn2_b32 exec_lo, exec_lo, s58
	s_cbranch_execnz .LBB147_54
; %bb.55:                               ;   in Loop: Header=BB147_12 Depth=1
	s_or_b32 exec_lo, exec_lo, s58
.LBB147_56:                             ;   in Loop: Header=BB147_12 Depth=1
	s_or_b32 exec_lo, exec_lo, s26
	v_add_co_u32 v21, s6, s64, v0
	v_and_b32_e32 v12, 0xffff, v12
	v_add_co_ci_u32_e64 v22, null, s65, 0, s6
	s_mov_b32 s10, exec_lo
	v_cmpx_gt_u64_e64 s[36:37], v[21:22]
	s_cbranch_execz .LBB147_62
; %bb.57:                               ;   in Loop: Header=BB147_12 Depth=1
	v_mul_lo_u32 v17, v22, s30
	v_mul_lo_u32 v33, v21, s31
	v_mad_u64_u32 v[31:32], null, v21, s30, 0
	s_mov_b32 s11, 0
	v_add3_u32 v32, v32, v33, v17
	v_lshlrev_b64 v[31:32], 2, v[31:32]
	v_add_co_u32 v31, vcc_lo, s33, v31
	v_add_co_ci_u32_e64 v32, null, s35, v32, vcc_lo
	global_load_dword v31, v[31:32], off
	s_branch .LBB147_59
.LBB147_58:                             ;   in Loop: Header=BB147_59 Depth=2
	s_or_b32 exec_lo, exec_lo, s7
	s_waitcnt vmcnt(0)
	v_xor_b32_e32 v31, 0x80000000, v31
	s_and_b32 s9, exec_lo, vcc_lo
	s_or_b32 s11, s9, s11
	v_and_b32_e32 v32, v31, v30
	v_bfe_u32 v31, v31, s93, 2
	v_cmp_eq_u32_e64 s6, v32, v25
	v_cmp_eq_u32_e64 s7, 0, v31
	v_cmp_eq_u32_e32 vcc_lo, 1, v31
	v_cmp_eq_u32_e64 s9, 2, v31
	s_and_b32 s7, s6, s7
	v_cndmask_b32_e64 v32, 0, 1, s7
	s_and_b32 s7, s6, vcc_lo
	v_cmp_eq_u32_e32 vcc_lo, 3, v31
	v_cndmask_b32_e64 v33, 0, 1, s7
	s_and_b32 s7, s6, s9
	v_cndmask_b32_e64 v31, 0, 1, s7
	v_cmp_ne_u32_e64 s7, 0, v32
	v_cmp_ne_u32_e64 s9, 0, v33
	s_and_b32 s6, s6, vcc_lo
	v_cndmask_b32_e64 v32, 0, 1, s6
	s_bcnt1_i32_b32 s6, s7
	v_cmp_ne_u32_e32 vcc_lo, 0, v31
	s_bcnt1_i32_b32 s7, s9
	v_add_co_u32 v2, s6, v2, s6
	v_add_co_ci_u32_e64 v3, null, 0, v3, s6
	v_add_co_u32 v4, s6, v4, s7
	v_add_co_ci_u32_e64 v5, null, 0, v5, s6
	s_bcnt1_i32_b32 s6, vcc_lo
	v_cmp_ne_u32_e32 vcc_lo, 0, v32
	v_add_co_u32 v6, s6, v6, s6
	v_add_co_ci_u32_e64 v7, null, 0, v7, s6
	s_bcnt1_i32_b32 s6, vcc_lo
	v_mov_b32_e32 v31, v17
	v_add_co_u32 v8, vcc_lo, v8, s6
	v_add_co_ci_u32_e64 v9, null, 0, v9, vcc_lo
	s_andn2_b32 exec_lo, exec_lo, s11
	s_cbranch_execz .LBB147_61
.LBB147_59:                             ;   Parent Loop BB147_12 Depth=1
                                        ; =>  This Inner Loop Header: Depth=2
	v_add_co_u32 v21, vcc_lo, v21, v12
	v_add_co_ci_u32_e64 v22, null, 0, v22, vcc_lo
	v_mov_b32_e32 v17, 0
	s_mov_b32 s7, exec_lo
	v_cmp_le_u64_e32 vcc_lo, s[36:37], v[21:22]
	v_cmpx_gt_u64_e64 s[36:37], v[21:22]
	s_cbranch_execz .LBB147_58
; %bb.60:                               ;   in Loop: Header=BB147_59 Depth=2
	v_mul_lo_u32 v17, v22, s30
	v_mul_lo_u32 v34, v21, s31
	v_mad_u64_u32 v[32:33], null, v21, s30, 0
	v_add3_u32 v33, v33, v34, v17
	v_lshlrev_b64 v[32:33], 2, v[32:33]
	v_add_co_u32 v32, s6, s33, v32
	v_add_co_ci_u32_e64 v33, null, s35, v33, s6
	global_load_dword v17, v[32:33], off
	s_branch .LBB147_58
.LBB147_61:                             ;   in Loop: Header=BB147_12 Depth=1
	s_or_b32 exec_lo, exec_lo, s11
.LBB147_62:                             ;   in Loop: Header=BB147_12 Depth=1
	s_or_b32 exec_lo, exec_lo, s10
	s_branch .LBB147_41
.LBB147_63:                             ;   in Loop: Header=BB147_12 Depth=1
	global_load_ushort v12, v13, s[60:61]
	v_mov_b32_e32 v4, 0
	v_mov_b32_e32 v6, 0
	;; [unrolled: 1-line block ×6, first 2 shown]
	s_mov_b32 s63, exec_lo
	s_waitcnt vmcnt(0)
	v_readfirstlane_b32 s6, v12
	s_and_b32 s6, 0xffff, s6
	s_lshl_b32 s58, s6, 2
	v_cvt_f32_u32_e32 v2, s58
	s_sub_i32 s9, 0, s58
	v_rcp_iflag_f32_e32 v2, v2
	v_mul_f32_e32 v2, 0x4f7ffffe, v2
	v_cvt_u32_f32_e32 v2, v2
	v_readfirstlane_b32 s7, v2
	v_mov_b32_e32 v2, 0
	v_mov_b32_e32 v3, 0
	s_mul_i32 s9, s9, s7
	s_mul_hi_u32 s9, s7, s9
	s_add_i32 s7, s7, s9
	s_mul_hi_u32 s7, s62, s7
	s_mul_i32 s9, s7, s58
	s_add_i32 s10, s7, 1
	s_sub_i32 s9, s62, s9
	s_sub_i32 s11, s9, s58
	s_cmp_ge_u32 s9, s58
	s_cselect_b32 s7, s10, s7
	s_cselect_b32 s9, s11, s9
	s_add_i32 s10, s7, 1
	s_cmp_ge_u32 s9, s58
	s_cselect_b32 s7, s10, s7
	s_mul_hi_u32 s65, s6, s7
	s_mul_i32 s64, s6, s7
	s_lshl_b64 s[66:67], s[64:65], 2
	v_cmpx_gt_u64_e64 s[66:67], v[14:15]
	s_cbranch_execz .LBB147_67
; %bb.64:                               ;   in Loop: Header=BB147_12 Depth=1
	v_mov_b32_e32 v22, v15
	v_mov_b32_e32 v17, v28
	;; [unrolled: 1-line block ×3, first 2 shown]
	s_lshl_b32 s65, s6, 4
	s_mov_b64 s[68:69], 0
	s_mov_b32 s104, 0
	s_mov_b64 s[70:71], 0
	s_mov_b64 s[72:73], 0
	;; [unrolled: 1-line block ×3, first 2 shown]
.LBB147_65:                             ;   Parent Loop BB147_12 Depth=1
                                        ; =>  This Inner Loop Header: Depth=2
	ds_read_b128 v[2:5], v17
	v_add_co_u32 v21, vcc_lo, v21, s58
	v_add_co_ci_u32_e64 v22, null, 0, v22, vcc_lo
	v_add_nc_u32_e32 v17, s65, v17
	v_cmp_le_u64_e32 vcc_lo, s[66:67], v[21:22]
	s_waitcnt lgkmcnt(0)
	v_xor_b32_e32 v2, 0x80000000, v2
	v_xor_b32_e32 v3, 0x80000000, v3
	;; [unrolled: 1-line block ×4, first 2 shown]
	v_and_b32_e32 v6, v2, v30
	v_bfe_u32 v2, v2, s93, 2
	v_and_b32_e32 v7, v3, v30
	v_bfe_u32 v3, v3, s93, 2
	v_and_b32_e32 v8, v4, v30
	v_bfe_u32 v4, v4, s93, 2
	v_cmp_eq_u32_e64 s6, v6, v25
	v_cmp_eq_u32_e64 s11, 0, v2
	v_and_b32_e32 v9, v5, v30
	v_bfe_u32 v5, v5, s93, 2
	v_cmp_eq_u32_e64 s7, v7, v25
	v_cmp_eq_u32_e64 s12, 0, v3
	;; [unrolled: 1-line block ×4, first 2 shown]
	s_and_b32 s11, s6, s11
	v_cmp_eq_u32_e64 s10, v9, v25
	v_cmp_eq_u32_e64 s14, 0, v5
	;; [unrolled: 1-line block ×5, first 2 shown]
	v_cndmask_b32_e64 v2, 0, 1, s11
	s_and_b32 s11, s7, s12
	v_cmp_eq_u32_e64 s16, 1, v3
	v_cmp_eq_u32_e64 s20, 2, v3
	v_cmp_eq_u32_e64 s24, 3, v3
	v_cndmask_b32_e64 v3, 0, 1, s11
	s_and_b32 s11, s9, s13
	v_cmp_eq_u32_e64 s17, 1, v4
	v_cmp_eq_u32_e64 s21, 2, v4
	v_cmp_eq_u32_e64 s25, 3, v4
	;; [unrolled: 5-line block ×3, first 2 shown]
	v_cndmask_b32_e64 v5, 0, 1, s11
	v_cmp_ne_u32_e64 s11, 0, v2
	v_cmp_ne_u32_e64 s12, 0, v3
	;; [unrolled: 1-line block ×4, first 2 shown]
	s_bcnt1_i32_b32 s11, s11
	s_bcnt1_i32_b32 s12, s12
	;; [unrolled: 1-line block ×3, first 2 shown]
	s_add_i32 s11, s12, s11
	s_bcnt1_i32_b32 s14, s14
	s_add_i32 s11, s11, s13
	s_add_i32 s11, s11, s14
	s_add_u32 s74, s74, s11
	s_addc_u32 s75, s75, 0
	s_and_b32 s11, s6, s15
	v_cndmask_b32_e64 v2, 0, 1, s11
	s_and_b32 s11, s7, s16
	v_cndmask_b32_e64 v3, 0, 1, s11
	s_and_b32 s11, s9, s17
	v_cndmask_b32_e64 v4, 0, 1, s11
	s_and_b32 s11, s10, s18
	v_cmp_ne_u32_e64 s12, 0, v3
	v_cndmask_b32_e64 v5, 0, 1, s11
	v_cmp_ne_u32_e64 s11, 0, v2
	v_cmp_ne_u32_e64 s13, 0, v4
	s_bcnt1_i32_b32 s12, s12
	v_cmp_ne_u32_e64 s14, 0, v5
	s_bcnt1_i32_b32 s11, s11
	s_bcnt1_i32_b32 s13, s13
	s_add_i32 s11, s12, s11
	s_bcnt1_i32_b32 s14, s14
	s_add_i32 s11, s11, s13
	s_add_i32 s11, s11, s14
	s_add_u32 s72, s72, s11
	s_addc_u32 s73, s73, 0
	s_and_b32 s11, s6, s19
	v_cndmask_b32_e64 v2, 0, 1, s11
	s_and_b32 s11, s7, s20
	v_cndmask_b32_e64 v3, 0, 1, s11
	;; [unrolled: 2-line block ×3, first 2 shown]
	s_and_b32 s11, s10, s22
	v_cmp_ne_u32_e64 s12, 0, v3
	v_cndmask_b32_e64 v5, 0, 1, s11
	v_cmp_ne_u32_e64 s11, 0, v2
	v_cmp_ne_u32_e64 s13, 0, v4
	s_bcnt1_i32_b32 s12, s12
	v_cmp_ne_u32_e64 s14, 0, v5
	s_bcnt1_i32_b32 s11, s11
	s_bcnt1_i32_b32 s13, s13
	s_add_i32 s11, s12, s11
	s_bcnt1_i32_b32 s14, s14
	s_add_i32 s11, s11, s13
	s_add_i32 s11, s11, s14
	s_add_u32 s70, s70, s11
	s_addc_u32 s71, s71, 0
	s_and_b32 s6, s6, s23
	v_mov_b32_e32 v6, s70
	v_cndmask_b32_e64 v2, 0, 1, s6
	s_and_b32 s6, s7, s24
	v_mov_b32_e32 v7, s71
	v_cndmask_b32_e64 v3, 0, 1, s6
	s_and_b32 s6, s9, s25
	v_cndmask_b32_e64 v4, 0, 1, s6
	s_and_b32 s6, s10, s26
	v_cmp_ne_u32_e64 s7, 0, v3
	v_cndmask_b32_e64 v5, 0, 1, s6
	v_cmp_ne_u32_e64 s6, 0, v2
	v_cmp_ne_u32_e64 s9, 0, v4
	v_mov_b32_e32 v2, s74
	s_bcnt1_i32_b32 s7, s7
	v_cmp_ne_u32_e64 s10, 0, v5
	s_bcnt1_i32_b32 s6, s6
	s_bcnt1_i32_b32 s9, s9
	s_add_i32 s6, s7, s6
	v_mov_b32_e32 v4, s72
	s_bcnt1_i32_b32 s7, s10
	s_add_i32 s6, s6, s9
	v_mov_b32_e32 v3, s75
	s_add_i32 s6, s6, s7
	v_mov_b32_e32 v5, s73
	s_add_u32 s68, s68, s6
	s_addc_u32 s69, s69, 0
	v_mov_b32_e32 v8, s68
	v_mov_b32_e32 v9, s69
	s_or_b32 s104, vcc_lo, s104
	s_andn2_b32 exec_lo, exec_lo, s104
	s_cbranch_execnz .LBB147_65
; %bb.66:                               ;   in Loop: Header=BB147_12 Depth=1
	s_or_b32 exec_lo, exec_lo, s104
.LBB147_67:                             ;   in Loop: Header=BB147_12 Depth=1
	s_or_b32 exec_lo, exec_lo, s63
	v_add_co_u32 v21, s6, s66, v0
	v_and_b32_e32 v12, 0xffff, v12
	v_add_co_ci_u32_e64 v22, null, s67, 0, s6
	s_and_b32 s26, s62, 0x7fffffff
	s_mov_b32 s12, exec_lo
	v_cmpx_gt_u64_e64 s[26:27], v[21:22]
	s_cbranch_execz .LBB147_71
; %bb.68:                               ;   in Loop: Header=BB147_12 Depth=1
	v_lshl_add_u32 v17, s64, 4, v14
	s_mov_b32 s13, 0
.LBB147_69:                             ;   Parent Loop BB147_12 Depth=1
                                        ; =>  This Inner Loop Header: Depth=2
	ds_read_b32 v31, v17
	v_add_co_u32 v21, vcc_lo, v21, v12
	v_add_co_ci_u32_e64 v22, null, 0, v22, vcc_lo
	v_add_nc_u32_e32 v17, s58, v17
	v_cmp_le_u64_e32 vcc_lo, s[26:27], v[21:22]
	s_waitcnt lgkmcnt(0)
	v_xor_b32_e32 v31, 0x80000000, v31
	v_and_b32_e32 v32, v31, v30
	v_bfe_u32 v31, v31, s93, 2
	v_cmp_eq_u32_e64 s6, v32, v25
	v_cmp_eq_u32_e64 s7, 0, v31
	;; [unrolled: 1-line block ×5, first 2 shown]
	s_and_b32 s7, s6, s7
	v_cndmask_b32_e64 v31, 0, 1, s7
	s_and_b32 s7, s6, s9
	v_cndmask_b32_e64 v32, 0, 1, s7
	s_and_b32 s7, s6, s10
	s_and_b32 s6, s6, s11
	v_cndmask_b32_e64 v33, 0, 1, s7
	v_cndmask_b32_e64 v34, 0, 1, s6
	v_cmp_ne_u32_e64 s6, 0, v31
	v_cmp_ne_u32_e64 s7, 0, v32
	;; [unrolled: 1-line block ×4, first 2 shown]
	s_bcnt1_i32_b32 s6, s6
	s_bcnt1_i32_b32 s7, s7
	v_add_co_u32 v2, s6, v2, s6
	s_bcnt1_i32_b32 s9, s9
	v_add_co_ci_u32_e64 v3, null, 0, v3, s6
	v_add_co_u32 v4, s6, v4, s7
	s_bcnt1_i32_b32 s10, s10
	v_add_co_ci_u32_e64 v5, null, 0, v5, s6
	v_add_co_u32 v6, s6, v6, s9
	v_add_co_ci_u32_e64 v7, null, 0, v7, s6
	v_add_co_u32 v8, s6, v8, s10
	v_add_co_ci_u32_e64 v9, null, 0, v9, s6
	s_or_b32 s13, vcc_lo, s13
	s_andn2_b32 exec_lo, exec_lo, s13
	s_cbranch_execnz .LBB147_69
; %bb.70:                               ;   in Loop: Header=BB147_12 Depth=1
	s_or_b32 exec_lo, exec_lo, s13
.LBB147_71:                             ;   in Loop: Header=BB147_12 Depth=1
	s_or_b32 exec_lo, exec_lo, s12
	s_lshl_b32 s6, s89, 7
	s_and_saveexec_b32 s7, s0
	s_cbranch_execnz .LBB147_42
	s_branch .LBB147_43
.LBB147_72:                             ;   in Loop: Header=BB147_12 Depth=1
                                        ; implicit-def: $sgpr6_sgpr7
	s_branch .LBB147_51
.LBB147_73:                             ;   in Loop: Header=BB147_12 Depth=1
	s_mov_b32 s9, 0
	s_andn2_b32 vcc_lo, exec_lo, s85
	s_cbranch_vccnz .LBB147_76
.LBB147_74:                             ;   in Loop: Header=BB147_12 Depth=1
	s_lshl_b32 s10, s89, 10
	s_lshl_b32 s9, s9, 5
	v_add3_u32 v4, s10, s9, v29
	s_mov_b32 s9, s83
.LBB147_75:                             ;   Parent Loop BB147_12 Depth=1
                                        ; =>  This Inner Loop Header: Depth=2
	ds_read_b64 v[5:6], v4
	v_add_nc_u32_e32 v4, 32, v4
	s_add_i32 s9, s9, -1
	s_cmp_lg_u32 s9, 0
	s_waitcnt lgkmcnt(0)
	v_add_co_u32 v2, vcc_lo, v5, v2
	v_add_co_ci_u32_e64 v3, null, v6, v3, vcc_lo
	s_cbranch_scc1 .LBB147_75
.LBB147_76:                             ;   in Loop: Header=BB147_12 Depth=1
	v_add_lshl_u32 v4, s6, v24, 3
	ds_write_b64 v4, v[2:3] offset:3072
.LBB147_77:                             ;   in Loop: Header=BB147_12 Depth=1
	s_or_b32 exec_lo, exec_lo, s7
	s_lshl_b32 s6, s6, 3
	s_waitcnt lgkmcnt(0)
	v_mov_b32_e32 v6, s6
	s_barrier
	buffer_gl0_inv
	v_cmp_eq_u64_e64 s7, 1, v[19:20]
	s_lshl_b32 s9, 3, s93
	ds_read_b128 v[2:5], v6 offset:3072
	ds_read_b128 v[6:9], v6 offset:3088
	s_mov_b32 s64, -1
	s_not_b32 s24, s9
	s_mov_b32 s25, 0
	s_andn2_b32 vcc_lo, exec_lo, s53
	s_mov_b32 s23, 0
	s_mov_b32 s22, 0
                                        ; implicit-def: $sgpr62
                                        ; implicit-def: $sgpr63
                                        ; implicit-def: $vgpr12
	s_waitcnt lgkmcnt(1)
	v_readfirstlane_b32 s11, v3
	v_readfirstlane_b32 s10, v2
	;; [unrolled: 1-line block ×4, first 2 shown]
	s_waitcnt lgkmcnt(0)
	v_readfirstlane_b32 s15, v7
	v_readfirstlane_b32 s14, v6
	;; [unrolled: 1-line block ×4, first 2 shown]
                                        ; implicit-def: $vgpr2_vgpr3
                                        ; implicit-def: $vgpr8
                                        ; implicit-def: $vgpr9
                                        ; implicit-def: $vgpr5
	s_cbranch_vccnz .LBB147_272
; %bb.78:                               ;   in Loop: Header=BB147_12 Depth=1
	s_cmp_eq_u64 s[10:11], 1
	v_mov_b32_e32 v9, v25
	v_mov_b32_e32 v12, v30
	;; [unrolled: 1-line block ×3, first 2 shown]
	s_cselect_b32 s6, -1, 0
	s_mov_b32 s18, -1
	s_and_b32 s6, s6, s7
                                        ; implicit-def: $sgpr63
                                        ; implicit-def: $sgpr62
	s_and_saveexec_b32 s64, s6
	s_cbranch_execz .LBB147_113
; %bb.79:                               ;   in Loop: Header=BB147_12 Depth=1
	ds_read_b64 v[2:3], v13 offset:5120
	s_waitcnt lgkmcnt(0)
	s_barrier
	buffer_gl0_inv
	v_readfirstlane_b32 s18, v2
	v_readfirstlane_b32 s19, v3
	s_and_saveexec_b32 s20, s8
; %bb.80:                               ;   in Loop: Header=BB147_12 Depth=1
	ds_write_b32 v26, v13
; %bb.81:                               ;   in Loop: Header=BB147_12 Depth=1
	s_or_b32 exec_lo, exec_lo, s20
	v_and_b32_e32 v9, s24, v25
	v_or_b32_e32 v12, s9, v30
	s_mov_b32 s62, -1
	s_mov_b32 s63, 0
	s_cmp_eq_u64 s[18:19], 0
	s_mov_b32 s23, -1
	s_waitcnt lgkmcnt(0)
	s_barrier
	buffer_gl0_inv
                                        ; implicit-def: $vgpr5
	s_cbranch_scc1 .LBB147_98
; %bb.82:                               ;   in Loop: Header=BB147_12 Depth=1
	s_add_u32 s58, s18, s80
	s_addc_u32 s21, s19, s81
	s_mov_b32 s20, s27
	s_cmp_lg_u64 s[20:21], 0
	s_cbranch_scc0 .LBB147_139
; %bb.83:                               ;   in Loop: Header=BB147_12 Depth=1
	v_cvt_f32_u32_e32 v2, s49
	s_sub_u32 s23, 0, s49
	s_subb_u32 s26, 0, 0
	v_fmac_f32_e64 v2, 0x4f800000, 0
	v_rcp_f32_e32 v2, v2
	v_mul_f32_e32 v2, 0x5f7ffffc, v2
	v_mul_f32_e32 v3, 0x2f800000, v2
	v_trunc_f32_e32 v3, v3
	v_fmac_f32_e32 v2, 0xcf800000, v3
	v_cvt_u32_f32_e32 v3, v3
	v_cvt_u32_f32_e32 v2, v2
	v_readfirstlane_b32 s20, v3
	v_readfirstlane_b32 s22, v2
	s_mul_i32 s44, s23, s20
	s_mul_hi_u32 s46, s23, s22
	s_mul_i32 s45, s26, s22
	s_add_i32 s44, s46, s44
	s_mul_i32 s47, s23, s22
	s_add_i32 s44, s44, s45
	s_mul_hi_u32 s46, s22, s47
	s_mul_i32 s55, s22, s44
	s_mul_hi_u32 s54, s20, s47
	s_mul_i32 s45, s20, s47
	s_mul_hi_u32 s47, s22, s44
	s_add_u32 s46, s46, s55
	s_addc_u32 s47, 0, s47
	s_mul_hi_u32 s65, s20, s44
	s_add_u32 s45, s46, s45
	s_mul_i32 s44, s20, s44
	s_addc_u32 s45, s47, s54
	s_addc_u32 s46, s65, 0
	s_add_u32 s44, s45, s44
	s_addc_u32 s45, 0, s46
	s_add_u32 s22, s22, s44
	s_cselect_b32 s44, -1, 0
	s_mul_hi_u32 s46, s23, s22
	s_cmp_lg_u32 s44, 0
	s_mul_i32 s44, s23, s22
	s_addc_u32 s20, s20, s45
	s_mul_i32 s26, s26, s22
	s_mul_i32 s23, s23, s20
	s_mul_hi_u32 s45, s22, s44
	s_add_i32 s23, s46, s23
	s_mul_hi_u32 s46, s20, s44
	s_add_i32 s23, s23, s26
	s_mul_i32 s26, s20, s44
	s_mul_i32 s54, s22, s23
	s_mul_hi_u32 s47, s22, s23
	s_add_u32 s45, s45, s54
	s_addc_u32 s47, 0, s47
	s_mul_hi_u32 s44, s20, s23
	s_add_u32 s26, s45, s26
	s_mul_i32 s23, s20, s23
	s_addc_u32 s26, s47, s46
	s_addc_u32 s44, s44, 0
	s_add_u32 s23, s26, s23
	s_addc_u32 s26, 0, s44
	s_add_u32 s22, s22, s23
	s_cselect_b32 s23, -1, 0
	s_mul_hi_u32 s44, s58, s22
	s_cmp_lg_u32 s23, 0
	s_mul_hi_u32 s23, s21, s22
	s_addc_u32 s20, s20, s26
	s_mul_i32 s22, s21, s22
	s_mul_i32 s45, s58, s20
	s_mul_hi_u32 s26, s58, s20
	s_add_u32 s44, s44, s45
	s_addc_u32 s26, 0, s26
	s_mul_hi_u32 s46, s21, s20
	s_add_u32 s22, s44, s22
	s_mul_i32 s20, s21, s20
	s_addc_u32 s22, s26, s23
	s_addc_u32 s23, s46, 0
	s_add_u32 s20, s22, s20
	s_addc_u32 s22, 0, s23
	s_mul_hi_u32 s23, s49, s20
	s_mul_i32 s22, s49, s22
	s_mul_i32 s20, s49, s20
	s_add_i32 s23, s23, s22
	s_sub_u32 s20, s58, s20
	s_cselect_b32 s22, -1, 0
	s_cmp_lg_u32 s22, 0
	s_subb_u32 s22, s21, s23
	s_sub_u32 s23, s20, s49
	s_cselect_b32 s26, -1, 0
	s_cmp_lg_u32 s26, 0
	s_subb_u32 s26, s22, 0
	;; [unrolled: 4-line block ×3, first 2 shown]
	s_cmp_ge_u32 s23, s49
	s_cselect_b32 s46, -1, 0
	s_cmp_eq_u32 s26, 0
	s_cselect_b32 s46, s46, -1
	s_cmp_lg_u32 s46, 0
	s_cselect_b32 s26, s45, s26
	s_cselect_b32 s44, s44, s23
	s_cmp_ge_u32 s20, s49
	s_cselect_b32 s23, -1, 0
	s_cmp_eq_u32 s22, 0
	s_cselect_b32 s23, s23, -1
	s_cmp_lg_u32 s23, 0
	s_cselect_b32 s23, s26, s22
	s_cselect_b32 s22, s44, s20
	s_cbranch_execnz .LBB147_85
.LBB147_84:                             ;   in Loop: Header=BB147_12 Depth=1
	v_cvt_f32_u32_e32 v2, s49
	s_sub_i32 s22, 0, s49
	v_rcp_iflag_f32_e32 v2, v2
	v_mul_f32_e32 v2, 0x4f7ffffe, v2
	v_cvt_u32_f32_e32 v2, v2
	v_readfirstlane_b32 s20, v2
	s_mul_i32 s22, s22, s20
	s_mul_hi_u32 s22, s20, s22
	s_add_i32 s20, s20, s22
	s_mul_hi_u32 s20, s58, s20
	s_mul_i32 s20, s20, s49
	s_sub_i32 s20, s58, s20
	s_sub_i32 s22, s20, s49
	s_cmp_ge_u32 s20, s49
	s_cselect_b32 s20, s22, s20
	s_sub_i32 s22, s20, s49
	s_cmp_ge_u32 s20, s49
	s_cselect_b32 s26, s22, s20
	s_mov_b64 s[22:23], s[26:27]
.LBB147_85:                             ;   in Loop: Header=BB147_12 Depth=1
	s_sub_u32 s20, s58, s22
	s_subb_u32 s21, s21, s23
	s_mov_b32 s23, 0
	s_mov_b32 s22, 0
	s_mov_b32 s26, exec_lo
                                        ; implicit-def: $vgpr5
	v_cmpx_gt_u64_e64 s[20:21], v[0:1]
	s_cbranch_execz .LBB147_97
; %bb.86:                               ;   in Loop: Header=BB147_12 Depth=1
	v_mov_b32_e32 v3, v1
	v_mov_b32_e32 v6, v14
	;; [unrolled: 1-line block ×3, first 2 shown]
                                        ; implicit-def: $sgpr58
	s_inst_prefetch 0x1
	s_branch .LBB147_89
	.p2align	6
.LBB147_87:                             ;   in Loop: Header=BB147_89 Depth=2
	s_or_b32 exec_lo, exec_lo, s44
	s_waitcnt lgkmcnt(0)
	s_barrier
	buffer_gl0_inv
	ds_read_b64 v[4:5], v13 offset:3072
	s_mov_b32 s44, -1
	s_mov_b32 s45, -1
	s_waitcnt lgkmcnt(0)
	s_barrier
	buffer_gl0_inv
	v_cmp_ne_u32_e32 vcc_lo, 0, v4
	s_cbranch_vccz .LBB147_92
.LBB147_88:                             ;   in Loop: Header=BB147_89 Depth=2
	s_and_b32 s44, exec_lo, s44
	s_or_b32 s22, s44, s22
	s_andn2_b32 s44, s58, exec_lo
	s_and_b32 s45, s45, exec_lo
	s_or_b32 s58, s44, s45
	s_andn2_b32 exec_lo, exec_lo, s22
	s_cbranch_execz .LBB147_96
.LBB147_89:                             ;   Parent Loop BB147_12 Depth=1
                                        ; =>  This Inner Loop Header: Depth=2
	s_mov_b32 s44, exec_lo
	v_cmpx_gt_u64_e64 s[18:19], v[2:3]
	s_cbranch_execz .LBB147_87
; %bb.90:                               ;   in Loop: Header=BB147_89 Depth=2
	ds_read_b32 v17, v6
	s_waitcnt lgkmcnt(0)
	v_xor_b32_e32 v4, 0x80000000, v17
	v_and_b32_e32 v4, v4, v12
	v_cmp_eq_u32_e32 vcc_lo, v4, v9
	s_and_b32 exec_lo, exec_lo, vcc_lo
	s_cbranch_execz .LBB147_87
; %bb.91:                               ;   in Loop: Header=BB147_89 Depth=2
	ds_write_b64 v13, v[16:17] offset:3072
	s_branch .LBB147_87
.LBB147_92:                             ;   in Loop: Header=BB147_89 Depth=2
	v_add_co_u32 v2, vcc_lo, v2, s49
	v_add_co_ci_u32_e64 v3, null, 0, v3, vcc_lo
	v_add_nc_u32_e32 v6, s86, v6
	s_mov_b32 s45, 0
	v_cmp_le_u64_e32 vcc_lo, s[20:21], v[2:3]
	s_orn2_b32 s44, vcc_lo, exec_lo
	s_branch .LBB147_88
.LBB147_93:                             ;   in Loop: Header=BB147_12 Depth=1
	s_or_b32 exec_lo, exec_lo, s10
	s_waitcnt lgkmcnt(0)
	s_barrier
	buffer_gl0_inv
	s_and_saveexec_b32 s6, s3
	s_cbranch_execz .LBB147_95
; %bb.94:                               ;   in Loop: Header=BB147_12 Depth=1
	ds_read_b32 v2, v13 offset:5144
	s_waitcnt lgkmcnt(0)
	v_ashrrev_i32_e32 v3, 31, v2
	ds_write_b64 v13, v[2:3] offset:5120
.LBB147_95:                             ;   in Loop: Header=BB147_12 Depth=1
	s_or_b32 exec_lo, exec_lo, s6
	s_waitcnt lgkmcnt(0)
	s_mov_b32 s6, -1
	s_barrier
	s_and_b32 vcc_lo, exec_lo, s9
	s_cbranch_vccnz .LBB147_28
	s_branch .LBB147_37
.LBB147_96:                             ;   in Loop: Header=BB147_12 Depth=1
	s_inst_prefetch 0x2
	s_or_b32 exec_lo, exec_lo, s22
	s_and_b32 s22, s58, exec_lo
.LBB147_97:                             ;   in Loop: Header=BB147_12 Depth=1
	s_or_b32 exec_lo, exec_lo, s26
.LBB147_98:                             ;   in Loop: Header=BB147_12 Depth=1
	s_and_b32 vcc_lo, exec_lo, s23
	s_cbranch_vccz .LBB147_112
; %bb.99:                               ;   in Loop: Header=BB147_12 Depth=1
	s_mov_b32 s58, s27
	s_cmp_lg_u64 s[58:59], 0
	s_cbranch_scc0 .LBB147_140
; %bb.100:                              ;   in Loop: Header=BB147_12 Depth=1
	v_cvt_f32_u32_e32 v2, s49
	s_sub_u32 s20, 0, s49
	s_subb_u32 s21, 0, 0
	v_fmac_f32_e64 v2, 0x4f800000, 0
	v_rcp_f32_e32 v2, v2
	v_mul_f32_e32 v2, 0x5f7ffffc, v2
	v_mul_f32_e32 v3, 0x2f800000, v2
	v_trunc_f32_e32 v3, v3
	v_fmac_f32_e32 v2, 0xcf800000, v3
	v_cvt_u32_f32_e32 v3, v3
	v_cvt_u32_f32_e32 v2, v2
	v_readfirstlane_b32 s18, v3
	v_readfirstlane_b32 s19, v2
	s_mul_i32 s23, s20, s18
	s_mul_hi_u32 s44, s20, s19
	s_mul_i32 s26, s21, s19
	s_add_i32 s23, s44, s23
	s_mul_i32 s45, s20, s19
	s_add_i32 s23, s23, s26
	s_mul_hi_u32 s44, s19, s45
	s_mul_i32 s47, s19, s23
	s_mul_hi_u32 s46, s18, s45
	s_mul_i32 s26, s18, s45
	s_mul_hi_u32 s45, s19, s23
	s_add_u32 s44, s44, s47
	s_addc_u32 s45, 0, s45
	s_mul_hi_u32 s54, s18, s23
	s_add_u32 s26, s44, s26
	s_mul_i32 s23, s18, s23
	s_addc_u32 s26, s45, s46
	s_addc_u32 s44, s54, 0
	s_add_u32 s23, s26, s23
	s_addc_u32 s26, 0, s44
	s_add_u32 s19, s19, s23
	s_cselect_b32 s23, -1, 0
	s_mul_hi_u32 s44, s20, s19
	s_cmp_lg_u32 s23, 0
	s_mul_i32 s23, s20, s19
	s_addc_u32 s18, s18, s26
	s_mul_i32 s21, s21, s19
	s_mul_i32 s20, s20, s18
	s_mul_hi_u32 s26, s19, s23
	s_add_i32 s20, s44, s20
	s_mul_hi_u32 s44, s18, s23
	s_add_i32 s20, s20, s21
	s_mul_i32 s21, s18, s23
	s_mul_i32 s46, s19, s20
	s_mul_hi_u32 s45, s19, s20
	s_add_u32 s26, s26, s46
	s_addc_u32 s45, 0, s45
	s_mul_hi_u32 s23, s18, s20
	s_add_u32 s21, s26, s21
	s_mul_i32 s20, s18, s20
	s_addc_u32 s21, s45, s44
	s_addc_u32 s23, s23, 0
	s_add_u32 s20, s21, s20
	s_addc_u32 s21, 0, s23
	s_add_u32 s19, s19, s20
	s_cselect_b32 s20, -1, 0
	s_mul_hi_u32 s23, s82, s19
	s_cmp_lg_u32 s20, 0
	s_mul_hi_u32 s20, s59, s19
	s_addc_u32 s18, s18, s21
	s_mul_i32 s19, s59, s19
	s_mul_i32 s26, s82, s18
	s_mul_hi_u32 s21, s82, s18
	s_add_u32 s23, s23, s26
	s_addc_u32 s21, 0, s21
	s_mul_hi_u32 s44, s59, s18
	s_add_u32 s19, s23, s19
	s_mul_i32 s18, s59, s18
	s_addc_u32 s19, s21, s20
	s_addc_u32 s20, s44, 0
	s_add_u32 s18, s19, s18
	s_addc_u32 s19, 0, s20
	s_mul_hi_u32 s20, s49, s18
	s_mul_i32 s19, s49, s19
	s_mul_i32 s18, s49, s18
	s_add_i32 s20, s20, s19
	s_sub_u32 s18, s82, s18
	s_cselect_b32 s19, -1, 0
	s_cmp_lg_u32 s19, 0
	s_subb_u32 s19, s59, s20
	s_sub_u32 s20, s18, s49
	s_cselect_b32 s21, -1, 0
	s_cmp_lg_u32 s21, 0
	s_subb_u32 s21, s19, 0
	;; [unrolled: 4-line block ×3, first 2 shown]
	s_cmp_ge_u32 s20, s49
	s_cselect_b32 s44, -1, 0
	s_cmp_eq_u32 s21, 0
	s_cselect_b32 s44, s44, -1
	s_cmp_lg_u32 s44, 0
	s_cselect_b32 s21, s26, s21
	s_cselect_b32 s20, s23, s20
	s_cmp_ge_u32 s18, s49
	s_cselect_b32 s23, -1, 0
	s_cmp_eq_u32 s19, 0
	s_cselect_b32 s23, s23, -1
	s_cmp_lg_u32 s23, 0
	s_cselect_b32 s19, s21, s19
	s_cselect_b32 s18, s20, s18
	s_cbranch_execnz .LBB147_102
.LBB147_101:                            ;   in Loop: Header=BB147_12 Depth=1
	v_cvt_f32_u32_e32 v2, s49
	s_sub_i32 s19, 0, s49
	v_rcp_iflag_f32_e32 v2, v2
	v_mul_f32_e32 v2, 0x4f7ffffe, v2
	v_cvt_u32_f32_e32 v2, v2
	v_readfirstlane_b32 s18, v2
	s_mul_i32 s19, s19, s18
	s_mul_hi_u32 s19, s18, s19
	s_add_i32 s18, s18, s19
	s_mul_hi_u32 s18, s82, s18
	s_mul_i32 s18, s18, s49
	s_sub_i32 s18, s82, s18
	s_sub_i32 s19, s18, s49
	s_cmp_ge_u32 s18, s49
	s_cselect_b32 s18, s19, s18
	s_sub_i32 s19, s18, s49
	s_cmp_ge_u32 s18, s49
	s_cselect_b32 s26, s19, s18
	s_mov_b64 s[18:19], s[26:27]
.LBB147_102:                            ;   in Loop: Header=BB147_12 Depth=1
	s_sub_u32 s18, s82, s18
	s_subb_u32 s19, s59, s19
	s_mov_b32 s20, exec_lo
                                        ; implicit-def: $vgpr5
	v_cmpx_gt_u64_e64 s[18:19], v[0:1]
	s_cbranch_execz .LBB147_111
; %bb.103:                              ;   in Loop: Header=BB147_12 Depth=1
	v_mov_b32_e32 v3, v1
	v_mov_b32_e32 v2, v0
	s_mov_b32 s21, 0
                                        ; implicit-def: $sgpr23
	s_branch .LBB147_106
.LBB147_104:                            ;   in Loop: Header=BB147_106 Depth=2
	s_or_b32 exec_lo, exec_lo, s26
	s_waitcnt lgkmcnt(0)
	s_barrier
	buffer_gl0_inv
	ds_read_b64 v[4:5], v13 offset:3072
	s_mov_b32 s44, -1
	s_mov_b32 s26, -1
	s_waitcnt lgkmcnt(0)
	s_barrier
	buffer_gl0_inv
	v_cmp_ne_u32_e32 vcc_lo, 0, v4
	s_cbranch_vccz .LBB147_109
.LBB147_105:                            ;   in Loop: Header=BB147_106 Depth=2
	s_and_b32 s44, exec_lo, s44
	s_or_b32 s21, s44, s21
	s_andn2_b32 s23, s23, exec_lo
	s_and_b32 s26, s26, exec_lo
	s_or_b32 s23, s23, s26
	s_andn2_b32 exec_lo, exec_lo, s21
	s_cbranch_execz .LBB147_110
.LBB147_106:                            ;   Parent Loop BB147_12 Depth=1
                                        ; =>  This Inner Loop Header: Depth=2
	s_mov_b32 s26, exec_lo
	v_cmpx_gt_u64_e64 s[36:37], v[2:3]
	s_cbranch_execz .LBB147_104
; %bb.107:                              ;   in Loop: Header=BB147_106 Depth=2
	v_mul_lo_u32 v6, v3, s30
	v_mul_lo_u32 v7, v2, s31
	v_mad_u64_u32 v[4:5], null, v2, s30, 0
	v_add3_u32 v5, v5, v7, v6
	v_lshlrev_b64 v[4:5], 2, v[4:5]
	v_add_co_u32 v4, vcc_lo, s33, v4
	v_add_co_ci_u32_e64 v5, null, s35, v5, vcc_lo
	global_load_dword v17, v[4:5], off
	s_waitcnt vmcnt(0)
	v_xor_b32_e32 v4, 0x80000000, v17
	v_and_b32_e32 v4, v4, v12
	v_cmp_eq_u32_e32 vcc_lo, v4, v9
	s_and_b32 exec_lo, exec_lo, vcc_lo
	s_cbranch_execz .LBB147_104
; %bb.108:                              ;   in Loop: Header=BB147_106 Depth=2
	ds_write_b64 v13, v[16:17] offset:3072
	s_branch .LBB147_104
.LBB147_109:                            ;   in Loop: Header=BB147_106 Depth=2
	v_add_co_u32 v2, vcc_lo, v2, s49
	v_add_co_ci_u32_e64 v3, null, 0, v3, vcc_lo
	s_mov_b32 s26, 0
	v_cmp_le_u64_e32 vcc_lo, s[18:19], v[2:3]
	s_orn2_b32 s44, vcc_lo, exec_lo
	s_branch .LBB147_105
.LBB147_110:                            ;   in Loop: Header=BB147_12 Depth=1
	s_or_b32 exec_lo, exec_lo, s21
	s_andn2_b32 s18, s22, exec_lo
	s_and_b32 s19, s23, exec_lo
	s_or_b32 s22, s18, s19
.LBB147_111:                            ;   in Loop: Header=BB147_12 Depth=1
	s_or_b32 exec_lo, exec_lo, s20
	s_mov_b32 s62, 0
	s_mov_b32 s63, -1
.LBB147_112:                            ;   in Loop: Header=BB147_12 Depth=1
	s_orn2_b32 s18, s22, exec_lo
.LBB147_113:                            ;   in Loop: Header=BB147_12 Depth=1
	s_or_b32 exec_lo, exec_lo, s64
	s_mov_b32 s64, 0
	s_mov_b32 s23, 0
	;; [unrolled: 1-line block ×3, first 2 shown]
                                        ; implicit-def: $vgpr2_vgpr3
                                        ; implicit-def: $vgpr8
	s_and_saveexec_b32 s65, s18
	s_cbranch_execz .LBB147_271
; %bb.114:                              ;   in Loop: Header=BB147_12 Depth=1
	v_mov_b32_e32 v2, 1
	v_mov_b32_e32 v3, 0
	;; [unrolled: 1-line block ×3, first 2 shown]
	s_xor_b32 s18, s6, -1
	s_mov_b32 s19, 0
	s_and_saveexec_b32 s6, s18
	s_cbranch_execz .LBB147_123
; %bb.115:                              ;   in Loop: Header=BB147_12 Depth=1
	s_mov_b32 s18, exec_lo
	v_cmpx_ge_u64_e64 s[10:11], v[19:20]
	s_xor_b32 s18, exec_lo, s18
	s_cbranch_execz .LBB147_120
; %bb.116:                              ;   in Loop: Header=BB147_12 Depth=1
	ds_read_b64 v[2:3], v13 offset:5120
	v_and_b32_e32 v9, s24, v9
	v_or_b32_e32 v12, s9, v12
	s_waitcnt lgkmcnt(0)
	v_cmp_ne_u64_e32 vcc_lo, 0, v[2:3]
	s_cbranch_vccnz .LBB147_120
; %bb.117:                              ;   in Loop: Header=BB147_12 Depth=1
	s_and_saveexec_b32 s19, s3
; %bb.118:                              ;   in Loop: Header=BB147_12 Depth=1
	v_mov_b32_e32 v2, s10
	v_mov_b32_e32 v3, s11
	ds_write_b64 v13, v[2:3] offset:5128
; %bb.119:                              ;   in Loop: Header=BB147_12 Depth=1
	s_or_b32 exec_lo, exec_lo, s19
	s_waitcnt lgkmcnt(0)
	s_barrier
	buffer_gl0_inv
.LBB147_120:                            ;   in Loop: Header=BB147_12 Depth=1
	s_or_saveexec_b32 s18, s18
	v_mov_b32_e32 v2, v19
	v_mov_b32_e32 v8, 8
	;; [unrolled: 1-line block ×3, first 2 shown]
	s_mov_b32 s19, 0
	s_xor_b32 exec_lo, exec_lo, s18
; %bb.121:                              ;   in Loop: Header=BB147_12 Depth=1
	v_sub_co_u32 v2, vcc_lo, v19, s10
	v_subrev_co_ci_u32_e64 v3, null, s11, v20, vcc_lo
	v_mov_b32_e32 v8, 0
	s_mov_b32 s19, exec_lo
; %bb.122:                              ;   in Loop: Header=BB147_12 Depth=1
	s_or_b32 exec_lo, exec_lo, s18
	s_and_b32 s19, s19, exec_lo
.LBB147_123:                            ;   in Loop: Header=BB147_12 Depth=1
	s_or_b32 exec_lo, exec_lo, s6
	s_mov_b32 s18, -1
                                        ; implicit-def: $sgpr66
                                        ; implicit-def: $sgpr67
	s_and_saveexec_b32 s6, s19
	s_xor_b32 s6, exec_lo, s6
	s_cbranch_execz .LBB147_268
; %bb.124:                              ;   in Loop: Header=BB147_12 Depth=1
	v_cmp_eq_u64_e32 vcc_lo, 1, v[2:3]
	s_cmp_eq_u64 s[12:13], 1
                                        ; implicit-def: $sgpr67
                                        ; implicit-def: $sgpr66
	s_cselect_b32 s18, -1, 0
	s_and_b32 s69, s18, vcc_lo
	s_mov_b32 s18, -1
	s_and_saveexec_b32 s68, s69
	s_cbranch_execz .LBB147_158
; %bb.125:                              ;   in Loop: Header=BB147_12 Depth=1
	ds_read_b64 v[4:5], v13 offset:5120
	s_waitcnt lgkmcnt(0)
	s_barrier
	buffer_gl0_inv
	v_readfirstlane_b32 s18, v4
	v_readfirstlane_b32 s19, v5
	s_and_saveexec_b32 s20, s8
; %bb.126:                              ;   in Loop: Header=BB147_12 Depth=1
	ds_write_b32 v26, v13
; %bb.127:                              ;   in Loop: Header=BB147_12 Depth=1
	s_or_b32 exec_lo, exec_lo, s20
	s_lshl_b32 s20, 1, s93
	v_or_b32_e32 v12, s9, v12
	v_and_or_b32 v9, v9, s24, s20
	s_mov_b32 s66, -1
	s_mov_b32 s67, 0
	s_cmp_eq_u64 s[18:19], 0
	s_mov_b32 s23, -1
	s_waitcnt lgkmcnt(0)
	s_barrier
	buffer_gl0_inv
                                        ; implicit-def: $vgpr5
	s_cbranch_scc1 .LBB147_143
; %bb.128:                              ;   in Loop: Header=BB147_12 Depth=1
	s_add_u32 s58, s18, s80
	s_addc_u32 s21, s19, s81
	s_mov_b32 s20, s27
	s_cmp_lg_u64 s[20:21], 0
	s_cbranch_scc0 .LBB147_184
; %bb.129:                              ;   in Loop: Header=BB147_12 Depth=1
	v_cvt_f32_u32_e32 v4, s49
	s_sub_u32 s23, 0, s49
	s_subb_u32 s26, 0, 0
	v_fmac_f32_e64 v4, 0x4f800000, 0
	v_rcp_f32_e32 v4, v4
	v_mul_f32_e32 v4, 0x5f7ffffc, v4
	v_mul_f32_e32 v5, 0x2f800000, v4
	v_trunc_f32_e32 v5, v5
	v_fmac_f32_e32 v4, 0xcf800000, v5
	v_cvt_u32_f32_e32 v5, v5
	v_cvt_u32_f32_e32 v4, v4
	v_readfirstlane_b32 s20, v5
	v_readfirstlane_b32 s22, v4
	s_mul_i32 s44, s23, s20
	s_mul_hi_u32 s46, s23, s22
	s_mul_i32 s45, s26, s22
	s_add_i32 s44, s46, s44
	s_mul_i32 s47, s23, s22
	s_add_i32 s44, s44, s45
	s_mul_hi_u32 s46, s22, s47
	s_mul_i32 s71, s22, s44
	s_mul_hi_u32 s70, s20, s47
	s_mul_i32 s45, s20, s47
	s_mul_hi_u32 s47, s22, s44
	s_add_u32 s46, s46, s71
	s_addc_u32 s47, 0, s47
	s_mul_hi_u32 s72, s20, s44
	s_add_u32 s45, s46, s45
	s_mul_i32 s44, s20, s44
	s_addc_u32 s45, s47, s70
	s_addc_u32 s46, s72, 0
	s_add_u32 s44, s45, s44
	s_addc_u32 s45, 0, s46
	s_add_u32 s22, s22, s44
	s_cselect_b32 s44, -1, 0
	s_mul_hi_u32 s46, s23, s22
	s_cmp_lg_u32 s44, 0
	s_mul_i32 s44, s23, s22
	s_addc_u32 s20, s20, s45
	s_mul_i32 s26, s26, s22
	s_mul_i32 s23, s23, s20
	s_mul_hi_u32 s45, s22, s44
	s_add_i32 s23, s46, s23
	s_mul_hi_u32 s46, s20, s44
	s_add_i32 s23, s23, s26
	s_mul_i32 s26, s20, s44
	s_mul_i32 s70, s22, s23
	s_mul_hi_u32 s47, s22, s23
	s_add_u32 s45, s45, s70
	s_addc_u32 s47, 0, s47
	s_mul_hi_u32 s44, s20, s23
	s_add_u32 s26, s45, s26
	s_mul_i32 s23, s20, s23
	s_addc_u32 s26, s47, s46
	s_addc_u32 s44, s44, 0
	s_add_u32 s23, s26, s23
	s_addc_u32 s26, 0, s44
	s_add_u32 s22, s22, s23
	s_cselect_b32 s23, -1, 0
	s_mul_hi_u32 s44, s58, s22
	s_cmp_lg_u32 s23, 0
	s_mul_hi_u32 s23, s21, s22
	s_addc_u32 s20, s20, s26
	s_mul_i32 s22, s21, s22
	s_mul_i32 s45, s58, s20
	s_mul_hi_u32 s26, s58, s20
	s_add_u32 s44, s44, s45
	s_addc_u32 s26, 0, s26
	s_mul_hi_u32 s46, s21, s20
	s_add_u32 s22, s44, s22
	s_mul_i32 s20, s21, s20
	s_addc_u32 s22, s26, s23
	s_addc_u32 s23, s46, 0
	s_add_u32 s20, s22, s20
	s_addc_u32 s22, 0, s23
	s_mul_hi_u32 s23, s49, s20
	s_mul_i32 s22, s49, s22
	s_mul_i32 s20, s49, s20
	s_add_i32 s23, s23, s22
	s_sub_u32 s20, s58, s20
	s_cselect_b32 s22, -1, 0
	s_cmp_lg_u32 s22, 0
	s_subb_u32 s22, s21, s23
	s_sub_u32 s23, s20, s49
	s_cselect_b32 s26, -1, 0
	s_cmp_lg_u32 s26, 0
	s_subb_u32 s26, s22, 0
	;; [unrolled: 4-line block ×3, first 2 shown]
	s_cmp_ge_u32 s23, s49
	s_cselect_b32 s46, -1, 0
	s_cmp_eq_u32 s26, 0
	s_cselect_b32 s46, s46, -1
	s_cmp_lg_u32 s46, 0
	s_cselect_b32 s26, s45, s26
	s_cselect_b32 s44, s44, s23
	s_cmp_ge_u32 s20, s49
	s_cselect_b32 s23, -1, 0
	s_cmp_eq_u32 s22, 0
	s_cselect_b32 s23, s23, -1
	s_cmp_lg_u32 s23, 0
	s_cselect_b32 s23, s26, s22
	s_cselect_b32 s22, s44, s20
	s_cbranch_execnz .LBB147_131
.LBB147_130:                            ;   in Loop: Header=BB147_12 Depth=1
	v_cvt_f32_u32_e32 v4, s49
	s_sub_i32 s22, 0, s49
	v_rcp_iflag_f32_e32 v4, v4
	v_mul_f32_e32 v4, 0x4f7ffffe, v4
	v_cvt_u32_f32_e32 v4, v4
	v_readfirstlane_b32 s20, v4
	s_mul_i32 s22, s22, s20
	s_mul_hi_u32 s22, s20, s22
	s_add_i32 s20, s20, s22
	s_mul_hi_u32 s20, s58, s20
	s_mul_i32 s20, s20, s49
	s_sub_i32 s20, s58, s20
	s_sub_i32 s22, s20, s49
	s_cmp_ge_u32 s20, s49
	s_cselect_b32 s20, s22, s20
	s_sub_i32 s22, s20, s49
	s_cmp_ge_u32 s20, s49
	s_cselect_b32 s26, s22, s20
	s_mov_b64 s[22:23], s[26:27]
.LBB147_131:                            ;   in Loop: Header=BB147_12 Depth=1
	s_sub_u32 s20, s58, s22
	s_subb_u32 s21, s21, s23
	s_mov_b32 s23, 0
	s_mov_b32 s22, 0
	s_mov_b32 s26, exec_lo
                                        ; implicit-def: $vgpr5
	v_cmpx_gt_u64_e64 s[20:21], v[0:1]
	s_cbranch_execz .LBB147_142
; %bb.132:                              ;   in Loop: Header=BB147_12 Depth=1
	v_mov_b32_e32 v7, v1
	v_mov_b32_e32 v21, v14
	;; [unrolled: 1-line block ×3, first 2 shown]
                                        ; implicit-def: $sgpr58
	s_inst_prefetch 0x1
	s_branch .LBB147_135
	.p2align	6
.LBB147_133:                            ;   in Loop: Header=BB147_135 Depth=2
	s_or_b32 exec_lo, exec_lo, s70
	s_waitcnt lgkmcnt(0)
	s_barrier
	buffer_gl0_inv
	ds_read_b64 v[4:5], v13 offset:3072
	s_mov_b32 s44, -1
	s_mov_b32 s45, -1
	s_waitcnt lgkmcnt(0)
	s_barrier
	buffer_gl0_inv
	v_cmp_ne_u32_e32 vcc_lo, 0, v4
	s_cbranch_vccz .LBB147_138
.LBB147_134:                            ;   in Loop: Header=BB147_135 Depth=2
	s_and_b32 s44, exec_lo, s44
	s_or_b32 s22, s44, s22
	s_andn2_b32 s44, s58, exec_lo
	s_and_b32 s45, s45, exec_lo
	s_or_b32 s58, s44, s45
	s_andn2_b32 exec_lo, exec_lo, s22
	s_cbranch_execz .LBB147_141
.LBB147_135:                            ;   Parent Loop BB147_12 Depth=1
                                        ; =>  This Inner Loop Header: Depth=2
	s_mov_b32 s70, exec_lo
	v_cmpx_gt_u64_e64 s[18:19], v[6:7]
	s_cbranch_execz .LBB147_133
; %bb.136:                              ;   in Loop: Header=BB147_135 Depth=2
	ds_read_b32 v17, v21
	s_waitcnt lgkmcnt(0)
	v_xor_b32_e32 v4, 0x80000000, v17
	v_and_b32_e32 v4, v4, v12
	v_cmp_eq_u32_e32 vcc_lo, v4, v9
	s_and_b32 exec_lo, exec_lo, vcc_lo
	s_cbranch_execz .LBB147_133
; %bb.137:                              ;   in Loop: Header=BB147_135 Depth=2
	ds_write_b64 v13, v[16:17] offset:3072
	s_branch .LBB147_133
.LBB147_138:                            ;   in Loop: Header=BB147_135 Depth=2
	v_add_co_u32 v6, vcc_lo, v6, s49
	v_add_co_ci_u32_e64 v7, null, 0, v7, vcc_lo
	v_add_nc_u32_e32 v21, s86, v21
	s_mov_b32 s45, 0
	v_cmp_le_u64_e32 vcc_lo, s[20:21], v[6:7]
	s_orn2_b32 s44, vcc_lo, exec_lo
	s_branch .LBB147_134
.LBB147_139:                            ;   in Loop: Header=BB147_12 Depth=1
                                        ; implicit-def: $sgpr22_sgpr23
	s_branch .LBB147_84
.LBB147_140:                            ;   in Loop: Header=BB147_12 Depth=1
                                        ; implicit-def: $sgpr18_sgpr19
	s_branch .LBB147_101
.LBB147_141:                            ;   in Loop: Header=BB147_12 Depth=1
	s_inst_prefetch 0x2
	s_or_b32 exec_lo, exec_lo, s22
	s_and_b32 s22, s58, exec_lo
.LBB147_142:                            ;   in Loop: Header=BB147_12 Depth=1
	s_or_b32 exec_lo, exec_lo, s26
.LBB147_143:                            ;   in Loop: Header=BB147_12 Depth=1
	s_and_b32 vcc_lo, exec_lo, s23
	s_cbranch_vccz .LBB147_157
; %bb.144:                              ;   in Loop: Header=BB147_12 Depth=1
	s_mov_b32 s58, s27
	s_cmp_lg_u64 s[58:59], 0
	s_cbranch_scc0 .LBB147_185
; %bb.145:                              ;   in Loop: Header=BB147_12 Depth=1
	v_cvt_f32_u32_e32 v4, s49
	s_sub_u32 s20, 0, s49
	s_subb_u32 s21, 0, 0
	v_fmac_f32_e64 v4, 0x4f800000, 0
	v_rcp_f32_e32 v4, v4
	v_mul_f32_e32 v4, 0x5f7ffffc, v4
	v_mul_f32_e32 v5, 0x2f800000, v4
	v_trunc_f32_e32 v5, v5
	v_fmac_f32_e32 v4, 0xcf800000, v5
	v_cvt_u32_f32_e32 v5, v5
	v_cvt_u32_f32_e32 v4, v4
	v_readfirstlane_b32 s18, v5
	v_readfirstlane_b32 s19, v4
	s_mul_i32 s23, s20, s18
	s_mul_hi_u32 s44, s20, s19
	s_mul_i32 s26, s21, s19
	s_add_i32 s23, s44, s23
	s_mul_i32 s45, s20, s19
	s_add_i32 s23, s23, s26
	s_mul_hi_u32 s44, s19, s45
	s_mul_i32 s47, s19, s23
	s_mul_hi_u32 s46, s18, s45
	s_mul_i32 s26, s18, s45
	s_mul_hi_u32 s45, s19, s23
	s_add_u32 s44, s44, s47
	s_addc_u32 s45, 0, s45
	s_mul_hi_u32 s58, s18, s23
	s_add_u32 s26, s44, s26
	s_mul_i32 s23, s18, s23
	s_addc_u32 s26, s45, s46
	s_addc_u32 s44, s58, 0
	s_add_u32 s23, s26, s23
	s_addc_u32 s26, 0, s44
	s_add_u32 s19, s19, s23
	s_cselect_b32 s23, -1, 0
	s_mul_hi_u32 s44, s20, s19
	s_cmp_lg_u32 s23, 0
	s_mul_i32 s23, s20, s19
	s_addc_u32 s18, s18, s26
	s_mul_i32 s21, s21, s19
	s_mul_i32 s20, s20, s18
	s_mul_hi_u32 s26, s19, s23
	s_add_i32 s20, s44, s20
	s_mul_hi_u32 s44, s18, s23
	s_add_i32 s20, s20, s21
	s_mul_i32 s21, s18, s23
	s_mul_i32 s46, s19, s20
	s_mul_hi_u32 s45, s19, s20
	s_add_u32 s26, s26, s46
	s_addc_u32 s45, 0, s45
	s_mul_hi_u32 s23, s18, s20
	s_add_u32 s21, s26, s21
	s_mul_i32 s20, s18, s20
	s_addc_u32 s21, s45, s44
	s_addc_u32 s23, s23, 0
	s_add_u32 s20, s21, s20
	s_addc_u32 s21, 0, s23
	s_add_u32 s19, s19, s20
	s_cselect_b32 s20, -1, 0
	s_mul_hi_u32 s23, s82, s19
	s_cmp_lg_u32 s20, 0
	s_mul_hi_u32 s20, s59, s19
	s_addc_u32 s18, s18, s21
	s_mul_i32 s19, s59, s19
	s_mul_i32 s26, s82, s18
	s_mul_hi_u32 s21, s82, s18
	s_add_u32 s23, s23, s26
	s_addc_u32 s21, 0, s21
	s_mul_hi_u32 s44, s59, s18
	s_add_u32 s19, s23, s19
	s_mul_i32 s18, s59, s18
	s_addc_u32 s19, s21, s20
	s_addc_u32 s20, s44, 0
	s_add_u32 s18, s19, s18
	s_addc_u32 s19, 0, s20
	s_mul_hi_u32 s20, s49, s18
	s_mul_i32 s19, s49, s19
	s_mul_i32 s18, s49, s18
	s_add_i32 s20, s20, s19
	s_sub_u32 s18, s82, s18
	s_cselect_b32 s19, -1, 0
	s_cmp_lg_u32 s19, 0
	s_subb_u32 s19, s59, s20
	s_sub_u32 s20, s18, s49
	s_cselect_b32 s21, -1, 0
	s_cmp_lg_u32 s21, 0
	s_subb_u32 s21, s19, 0
	;; [unrolled: 4-line block ×3, first 2 shown]
	s_cmp_ge_u32 s20, s49
	s_cselect_b32 s44, -1, 0
	s_cmp_eq_u32 s21, 0
	s_cselect_b32 s44, s44, -1
	s_cmp_lg_u32 s44, 0
	s_cselect_b32 s21, s26, s21
	s_cselect_b32 s20, s23, s20
	s_cmp_ge_u32 s18, s49
	s_cselect_b32 s23, -1, 0
	s_cmp_eq_u32 s19, 0
	s_cselect_b32 s23, s23, -1
	s_cmp_lg_u32 s23, 0
	s_cselect_b32 s19, s21, s19
	s_cselect_b32 s18, s20, s18
	s_cbranch_execnz .LBB147_147
.LBB147_146:                            ;   in Loop: Header=BB147_12 Depth=1
	v_cvt_f32_u32_e32 v4, s49
	s_sub_i32 s19, 0, s49
	v_rcp_iflag_f32_e32 v4, v4
	v_mul_f32_e32 v4, 0x4f7ffffe, v4
	v_cvt_u32_f32_e32 v4, v4
	v_readfirstlane_b32 s18, v4
	s_mul_i32 s19, s19, s18
	s_mul_hi_u32 s19, s18, s19
	s_add_i32 s18, s18, s19
	s_mul_hi_u32 s18, s82, s18
	s_mul_i32 s18, s18, s49
	s_sub_i32 s18, s82, s18
	s_sub_i32 s19, s18, s49
	s_cmp_ge_u32 s18, s49
	s_cselect_b32 s18, s19, s18
	s_sub_i32 s19, s18, s49
	s_cmp_ge_u32 s18, s49
	s_cselect_b32 s26, s19, s18
	s_mov_b64 s[18:19], s[26:27]
.LBB147_147:                            ;   in Loop: Header=BB147_12 Depth=1
	s_sub_u32 s18, s82, s18
	s_subb_u32 s19, s59, s19
	s_mov_b32 s20, exec_lo
                                        ; implicit-def: $vgpr5
	v_cmpx_gt_u64_e64 s[18:19], v[0:1]
	s_cbranch_execz .LBB147_156
; %bb.148:                              ;   in Loop: Header=BB147_12 Depth=1
	v_mov_b32_e32 v7, v1
	v_mov_b32_e32 v6, v0
	s_mov_b32 s21, 0
                                        ; implicit-def: $sgpr23
	s_branch .LBB147_151
.LBB147_149:                            ;   in Loop: Header=BB147_151 Depth=2
	s_or_b32 exec_lo, exec_lo, s26
	s_waitcnt lgkmcnt(0)
	s_barrier
	buffer_gl0_inv
	ds_read_b64 v[4:5], v13 offset:3072
	s_mov_b32 s44, -1
	s_mov_b32 s26, -1
	s_waitcnt lgkmcnt(0)
	s_barrier
	buffer_gl0_inv
	v_cmp_eq_u32_e32 vcc_lo, 0, v4
	s_cbranch_vccnz .LBB147_154
.LBB147_150:                            ;   in Loop: Header=BB147_151 Depth=2
	s_and_b32 s44, exec_lo, s44
	s_or_b32 s21, s44, s21
	s_andn2_b32 s23, s23, exec_lo
	s_and_b32 s26, s26, exec_lo
	s_or_b32 s23, s23, s26
	s_andn2_b32 exec_lo, exec_lo, s21
	s_cbranch_execz .LBB147_155
.LBB147_151:                            ;   Parent Loop BB147_12 Depth=1
                                        ; =>  This Inner Loop Header: Depth=2
	s_mov_b32 s26, exec_lo
	v_cmpx_gt_u64_e64 s[36:37], v[6:7]
	s_cbranch_execz .LBB147_149
; %bb.152:                              ;   in Loop: Header=BB147_151 Depth=2
	v_mul_lo_u32 v17, v7, s30
	v_mul_lo_u32 v21, v6, s31
	v_mad_u64_u32 v[4:5], null, v6, s30, 0
	v_add3_u32 v5, v5, v21, v17
	v_lshlrev_b64 v[4:5], 2, v[4:5]
	v_add_co_u32 v4, vcc_lo, s33, v4
	v_add_co_ci_u32_e64 v5, null, s35, v5, vcc_lo
	global_load_dword v17, v[4:5], off
	s_waitcnt vmcnt(0)
	v_xor_b32_e32 v4, 0x80000000, v17
	v_and_b32_e32 v4, v4, v12
	v_cmp_eq_u32_e32 vcc_lo, v4, v9
	s_and_b32 exec_lo, exec_lo, vcc_lo
	s_cbranch_execz .LBB147_149
; %bb.153:                              ;   in Loop: Header=BB147_151 Depth=2
	ds_write_b64 v13, v[16:17] offset:3072
	s_branch .LBB147_149
.LBB147_154:                            ;   in Loop: Header=BB147_151 Depth=2
	v_add_co_u32 v6, vcc_lo, v6, s49
	v_add_co_ci_u32_e64 v7, null, 0, v7, vcc_lo
	s_mov_b32 s26, 0
	v_cmp_le_u64_e32 vcc_lo, s[18:19], v[6:7]
	s_orn2_b32 s44, vcc_lo, exec_lo
	s_branch .LBB147_150
.LBB147_155:                            ;   in Loop: Header=BB147_12 Depth=1
	s_or_b32 exec_lo, exec_lo, s21
	s_andn2_b32 s18, s22, exec_lo
	s_and_b32 s19, s23, exec_lo
	s_or_b32 s22, s18, s19
.LBB147_156:                            ;   in Loop: Header=BB147_12 Depth=1
	s_or_b32 exec_lo, exec_lo, s20
	s_mov_b32 s66, 0
	s_mov_b32 s67, -1
.LBB147_157:                            ;   in Loop: Header=BB147_12 Depth=1
	s_orn2_b32 s18, s22, exec_lo
.LBB147_158:                            ;   in Loop: Header=BB147_12 Depth=1
	s_or_b32 exec_lo, exec_lo, s68
	s_mov_b32 s19, 0
	s_and_saveexec_b32 s68, s18
	s_cbranch_execz .LBB147_267
; %bb.159:                              ;   in Loop: Header=BB147_12 Depth=1
	v_mov_b32_e32 v6, 1
	v_mov_b32_e32 v7, 0
	;; [unrolled: 1-line block ×3, first 2 shown]
	s_xor_b32 s20, s69, -1
	s_and_saveexec_b32 s18, s20
	s_cbranch_execz .LBB147_168
; %bb.160:                              ;   in Loop: Header=BB147_12 Depth=1
	s_mov_b32 s19, exec_lo
	v_cmpx_ge_u64_e64 s[12:13], v[2:3]
	s_xor_b32 s19, exec_lo, s19
	s_cbranch_execz .LBB147_165
; %bb.161:                              ;   in Loop: Header=BB147_12 Depth=1
	ds_read_b64 v[6:7], v13 offset:5120
	s_lshl_b32 s20, 1, s93
	v_or_b32_e32 v12, s9, v12
	v_and_or_b32 v9, v9, s24, s20
	s_waitcnt lgkmcnt(0)
	v_cmp_ne_u64_e32 vcc_lo, 0, v[6:7]
	s_cbranch_vccnz .LBB147_165
; %bb.162:                              ;   in Loop: Header=BB147_12 Depth=1
	s_and_saveexec_b32 s20, s3
; %bb.163:                              ;   in Loop: Header=BB147_12 Depth=1
	v_mov_b32_e32 v6, s12
	v_mov_b32_e32 v7, s13
	ds_write_b64 v13, v[6:7] offset:5128
; %bb.164:                              ;   in Loop: Header=BB147_12 Depth=1
	s_or_b32 exec_lo, exec_lo, s20
	s_waitcnt lgkmcnt(0)
	s_barrier
	buffer_gl0_inv
.LBB147_165:                            ;   in Loop: Header=BB147_12 Depth=1
	s_or_saveexec_b32 s19, s19
	v_mov_b32_e32 v8, 8
	s_mov_b32 s20, 0
	s_xor_b32 exec_lo, exec_lo, s19
; %bb.166:                              ;   in Loop: Header=BB147_12 Depth=1
	v_sub_co_u32 v2, vcc_lo, v2, s12
	v_subrev_co_ci_u32_e64 v3, null, s13, v3, vcc_lo
	v_mov_b32_e32 v8, 0
	s_mov_b32 s20, exec_lo
; %bb.167:                              ;   in Loop: Header=BB147_12 Depth=1
	s_or_b32 exec_lo, exec_lo, s19
	v_mov_b32_e32 v7, v3
	v_mov_b32_e32 v6, v2
	s_and_b32 s19, s20, exec_lo
.LBB147_168:                            ;   in Loop: Header=BB147_12 Depth=1
	s_or_b32 exec_lo, exec_lo, s18
	s_mov_b32 s18, -1
                                        ; implicit-def: $sgpr70
                                        ; implicit-def: $sgpr71
	s_and_saveexec_b32 s69, s19
	s_cbranch_execz .LBB147_266
; %bb.169:                              ;   in Loop: Header=BB147_12 Depth=1
	v_cmp_eq_u64_e32 vcc_lo, 1, v[6:7]
	s_cmp_eq_u64 s[14:15], 1
                                        ; implicit-def: $sgpr71
                                        ; implicit-def: $sgpr70
	s_cselect_b32 s18, -1, 0
	s_and_b32 s73, s18, vcc_lo
	s_mov_b32 s18, -1
	s_and_saveexec_b32 s72, s73
	s_cbranch_execz .LBB147_203
; %bb.170:                              ;   in Loop: Header=BB147_12 Depth=1
	ds_read_b64 v[2:3], v13 offset:5120
	s_waitcnt lgkmcnt(0)
	s_barrier
	buffer_gl0_inv
	v_readfirstlane_b32 s18, v2
	v_readfirstlane_b32 s19, v3
	s_and_saveexec_b32 s20, s8
; %bb.171:                              ;   in Loop: Header=BB147_12 Depth=1
	ds_write_b32 v26, v13
; %bb.172:                              ;   in Loop: Header=BB147_12 Depth=1
	s_or_b32 exec_lo, exec_lo, s20
	s_lshl_b32 s20, 2, s93
	v_or_b32_e32 v12, s9, v12
	v_and_or_b32 v9, v9, s24, s20
	s_mov_b32 s70, -1
	s_mov_b32 s71, 0
	s_cmp_eq_u64 s[18:19], 0
	s_mov_b32 s22, 0
	s_mov_b32 s23, -1
	s_waitcnt lgkmcnt(0)
	s_barrier
	buffer_gl0_inv
                                        ; implicit-def: $vgpr5
	s_cbranch_scc1 .LBB147_188
; %bb.173:                              ;   in Loop: Header=BB147_12 Depth=1
	s_add_u32 s58, s18, s80
	s_addc_u32 s21, s19, s81
	s_mov_b32 s20, s27
	s_cmp_lg_u64 s[20:21], 0
	s_cbranch_scc0 .LBB147_220
; %bb.174:                              ;   in Loop: Header=BB147_12 Depth=1
	v_cvt_f32_u32_e32 v2, s49
	s_sub_u32 s23, 0, s49
	s_subb_u32 s26, 0, 0
	v_fmac_f32_e64 v2, 0x4f800000, 0
	v_rcp_f32_e32 v2, v2
	v_mul_f32_e32 v2, 0x5f7ffffc, v2
	v_mul_f32_e32 v3, 0x2f800000, v2
	v_trunc_f32_e32 v3, v3
	v_fmac_f32_e32 v2, 0xcf800000, v3
	v_cvt_u32_f32_e32 v3, v3
	v_cvt_u32_f32_e32 v2, v2
	v_readfirstlane_b32 s20, v3
	v_readfirstlane_b32 s22, v2
	s_mul_i32 s44, s23, s20
	s_mul_hi_u32 s46, s23, s22
	s_mul_i32 s45, s26, s22
	s_add_i32 s44, s46, s44
	s_mul_i32 s47, s23, s22
	s_add_i32 s44, s44, s45
	s_mul_hi_u32 s46, s22, s47
	s_mul_i32 s75, s22, s44
	s_mul_hi_u32 s74, s20, s47
	s_mul_i32 s45, s20, s47
	s_mul_hi_u32 s47, s22, s44
	s_add_u32 s46, s46, s75
	s_addc_u32 s47, 0, s47
	s_mul_hi_u32 s104, s20, s44
	s_add_u32 s45, s46, s45
	s_mul_i32 s44, s20, s44
	s_addc_u32 s45, s47, s74
	s_addc_u32 s46, s104, 0
	s_add_u32 s44, s45, s44
	s_addc_u32 s45, 0, s46
	s_add_u32 s22, s22, s44
	s_cselect_b32 s44, -1, 0
	s_mul_hi_u32 s46, s23, s22
	s_cmp_lg_u32 s44, 0
	s_mul_i32 s44, s23, s22
	s_addc_u32 s20, s20, s45
	s_mul_i32 s26, s26, s22
	s_mul_i32 s23, s23, s20
	s_mul_hi_u32 s45, s22, s44
	s_add_i32 s23, s46, s23
	s_mul_hi_u32 s46, s20, s44
	s_add_i32 s23, s23, s26
	s_mul_i32 s26, s20, s44
	s_mul_i32 s74, s22, s23
	s_mul_hi_u32 s47, s22, s23
	s_add_u32 s45, s45, s74
	s_addc_u32 s47, 0, s47
	s_mul_hi_u32 s44, s20, s23
	s_add_u32 s26, s45, s26
	s_mul_i32 s23, s20, s23
	s_addc_u32 s26, s47, s46
	s_addc_u32 s44, s44, 0
	s_add_u32 s23, s26, s23
	s_addc_u32 s26, 0, s44
	s_add_u32 s22, s22, s23
	s_cselect_b32 s23, -1, 0
	s_mul_hi_u32 s44, s58, s22
	s_cmp_lg_u32 s23, 0
	s_mul_hi_u32 s23, s21, s22
	s_addc_u32 s20, s20, s26
	s_mul_i32 s22, s21, s22
	s_mul_i32 s45, s58, s20
	s_mul_hi_u32 s26, s58, s20
	s_add_u32 s44, s44, s45
	s_addc_u32 s26, 0, s26
	s_mul_hi_u32 s46, s21, s20
	s_add_u32 s22, s44, s22
	s_mul_i32 s20, s21, s20
	s_addc_u32 s22, s26, s23
	s_addc_u32 s23, s46, 0
	s_add_u32 s20, s22, s20
	s_addc_u32 s22, 0, s23
	s_mul_hi_u32 s23, s49, s20
	s_mul_i32 s22, s49, s22
	s_mul_i32 s20, s49, s20
	s_add_i32 s23, s23, s22
	s_sub_u32 s20, s58, s20
	s_cselect_b32 s22, -1, 0
	s_cmp_lg_u32 s22, 0
	s_subb_u32 s22, s21, s23
	s_sub_u32 s23, s20, s49
	s_cselect_b32 s26, -1, 0
	s_cmp_lg_u32 s26, 0
	s_subb_u32 s26, s22, 0
	;; [unrolled: 4-line block ×3, first 2 shown]
	s_cmp_ge_u32 s23, s49
	s_cselect_b32 s46, -1, 0
	s_cmp_eq_u32 s26, 0
	s_cselect_b32 s46, s46, -1
	s_cmp_lg_u32 s46, 0
	s_cselect_b32 s26, s45, s26
	s_cselect_b32 s44, s44, s23
	s_cmp_ge_u32 s20, s49
	s_cselect_b32 s23, -1, 0
	s_cmp_eq_u32 s22, 0
	s_cselect_b32 s23, s23, -1
	s_cmp_lg_u32 s23, 0
	s_cselect_b32 s23, s26, s22
	s_cselect_b32 s22, s44, s20
	s_cbranch_execnz .LBB147_176
.LBB147_175:                            ;   in Loop: Header=BB147_12 Depth=1
	v_cvt_f32_u32_e32 v2, s49
	s_sub_i32 s22, 0, s49
	v_rcp_iflag_f32_e32 v2, v2
	v_mul_f32_e32 v2, 0x4f7ffffe, v2
	v_cvt_u32_f32_e32 v2, v2
	v_readfirstlane_b32 s20, v2
	s_mul_i32 s22, s22, s20
	s_mul_hi_u32 s22, s20, s22
	s_add_i32 s20, s20, s22
	s_mul_hi_u32 s20, s58, s20
	s_mul_i32 s20, s20, s49
	s_sub_i32 s20, s58, s20
	s_sub_i32 s22, s20, s49
	s_cmp_ge_u32 s20, s49
	s_cselect_b32 s20, s22, s20
	s_sub_i32 s22, s20, s49
	s_cmp_ge_u32 s20, s49
	s_cselect_b32 s26, s22, s20
	s_mov_b64 s[22:23], s[26:27]
.LBB147_176:                            ;   in Loop: Header=BB147_12 Depth=1
	s_sub_u32 s20, s58, s22
	s_subb_u32 s21, s21, s23
	s_mov_b32 s23, 0
	s_mov_b32 s22, 0
	s_mov_b32 s26, exec_lo
                                        ; implicit-def: $vgpr5
	v_cmpx_gt_u64_e64 s[20:21], v[0:1]
	s_cbranch_execz .LBB147_187
; %bb.177:                              ;   in Loop: Header=BB147_12 Depth=1
	v_mov_b32_e32 v3, v1
	v_mov_b32_e32 v21, v14
	;; [unrolled: 1-line block ×3, first 2 shown]
                                        ; implicit-def: $sgpr58
	s_inst_prefetch 0x1
	s_branch .LBB147_180
	.p2align	6
.LBB147_178:                            ;   in Loop: Header=BB147_180 Depth=2
	s_or_b32 exec_lo, exec_lo, s74
	s_waitcnt lgkmcnt(0)
	s_barrier
	buffer_gl0_inv
	ds_read_b64 v[4:5], v13 offset:3072
	s_mov_b32 s44, -1
	s_mov_b32 s45, -1
	s_waitcnt lgkmcnt(0)
	s_barrier
	buffer_gl0_inv
	v_cmp_ne_u32_e32 vcc_lo, 0, v4
	s_cbranch_vccz .LBB147_183
.LBB147_179:                            ;   in Loop: Header=BB147_180 Depth=2
	s_and_b32 s44, exec_lo, s44
	s_or_b32 s22, s44, s22
	s_andn2_b32 s44, s58, exec_lo
	s_and_b32 s45, s45, exec_lo
	s_or_b32 s58, s44, s45
	s_andn2_b32 exec_lo, exec_lo, s22
	s_cbranch_execz .LBB147_186
.LBB147_180:                            ;   Parent Loop BB147_12 Depth=1
                                        ; =>  This Inner Loop Header: Depth=2
	s_mov_b32 s74, exec_lo
	v_cmpx_gt_u64_e64 s[18:19], v[2:3]
	s_cbranch_execz .LBB147_178
; %bb.181:                              ;   in Loop: Header=BB147_180 Depth=2
	ds_read_b32 v17, v21
	s_waitcnt lgkmcnt(0)
	v_xor_b32_e32 v4, 0x80000000, v17
	v_and_b32_e32 v4, v4, v12
	v_cmp_eq_u32_e32 vcc_lo, v4, v9
	s_and_b32 exec_lo, exec_lo, vcc_lo
	s_cbranch_execz .LBB147_178
; %bb.182:                              ;   in Loop: Header=BB147_180 Depth=2
	ds_write_b64 v13, v[16:17] offset:3072
	s_branch .LBB147_178
.LBB147_183:                            ;   in Loop: Header=BB147_180 Depth=2
	v_add_co_u32 v2, vcc_lo, v2, s49
	v_add_co_ci_u32_e64 v3, null, 0, v3, vcc_lo
	v_add_nc_u32_e32 v21, s86, v21
	s_mov_b32 s45, 0
	v_cmp_le_u64_e32 vcc_lo, s[20:21], v[2:3]
	s_orn2_b32 s44, vcc_lo, exec_lo
	s_branch .LBB147_179
.LBB147_184:                            ;   in Loop: Header=BB147_12 Depth=1
                                        ; implicit-def: $sgpr22_sgpr23
	s_branch .LBB147_130
.LBB147_185:                            ;   in Loop: Header=BB147_12 Depth=1
                                        ; implicit-def: $sgpr18_sgpr19
	s_branch .LBB147_146
.LBB147_186:                            ;   in Loop: Header=BB147_12 Depth=1
	s_inst_prefetch 0x2
	s_or_b32 exec_lo, exec_lo, s22
	s_and_b32 s22, s58, exec_lo
.LBB147_187:                            ;   in Loop: Header=BB147_12 Depth=1
	s_or_b32 exec_lo, exec_lo, s26
.LBB147_188:                            ;   in Loop: Header=BB147_12 Depth=1
	s_and_b32 vcc_lo, exec_lo, s23
	s_cbranch_vccz .LBB147_202
; %bb.189:                              ;   in Loop: Header=BB147_12 Depth=1
	s_mov_b32 s58, s27
	s_cmp_lg_u64 s[58:59], 0
	s_cbranch_scc0 .LBB147_221
; %bb.190:                              ;   in Loop: Header=BB147_12 Depth=1
	v_cvt_f32_u32_e32 v2, s49
	s_sub_u32 s20, 0, s49
	s_subb_u32 s21, 0, 0
	v_fmac_f32_e64 v2, 0x4f800000, 0
	v_rcp_f32_e32 v2, v2
	v_mul_f32_e32 v2, 0x5f7ffffc, v2
	v_mul_f32_e32 v3, 0x2f800000, v2
	v_trunc_f32_e32 v3, v3
	v_fmac_f32_e32 v2, 0xcf800000, v3
	v_cvt_u32_f32_e32 v3, v3
	v_cvt_u32_f32_e32 v2, v2
	v_readfirstlane_b32 s18, v3
	v_readfirstlane_b32 s19, v2
	s_mul_i32 s23, s20, s18
	s_mul_hi_u32 s44, s20, s19
	s_mul_i32 s26, s21, s19
	s_add_i32 s23, s44, s23
	s_mul_i32 s45, s20, s19
	s_add_i32 s23, s23, s26
	s_mul_hi_u32 s44, s19, s45
	s_mul_i32 s47, s19, s23
	s_mul_hi_u32 s46, s18, s45
	s_mul_i32 s26, s18, s45
	s_mul_hi_u32 s45, s19, s23
	s_add_u32 s44, s44, s47
	s_addc_u32 s45, 0, s45
	s_mul_hi_u32 s58, s18, s23
	s_add_u32 s26, s44, s26
	s_mul_i32 s23, s18, s23
	s_addc_u32 s26, s45, s46
	s_addc_u32 s44, s58, 0
	s_add_u32 s23, s26, s23
	s_addc_u32 s26, 0, s44
	s_add_u32 s19, s19, s23
	s_cselect_b32 s23, -1, 0
	s_mul_hi_u32 s44, s20, s19
	s_cmp_lg_u32 s23, 0
	s_mul_i32 s23, s20, s19
	s_addc_u32 s18, s18, s26
	s_mul_i32 s21, s21, s19
	s_mul_i32 s20, s20, s18
	s_mul_hi_u32 s26, s19, s23
	s_add_i32 s20, s44, s20
	s_mul_hi_u32 s44, s18, s23
	s_add_i32 s20, s20, s21
	s_mul_i32 s21, s18, s23
	s_mul_i32 s46, s19, s20
	s_mul_hi_u32 s45, s19, s20
	s_add_u32 s26, s26, s46
	s_addc_u32 s45, 0, s45
	s_mul_hi_u32 s23, s18, s20
	s_add_u32 s21, s26, s21
	s_mul_i32 s20, s18, s20
	s_addc_u32 s21, s45, s44
	s_addc_u32 s23, s23, 0
	s_add_u32 s20, s21, s20
	s_addc_u32 s21, 0, s23
	s_add_u32 s19, s19, s20
	s_cselect_b32 s20, -1, 0
	s_mul_hi_u32 s23, s82, s19
	s_cmp_lg_u32 s20, 0
	s_mul_hi_u32 s20, s59, s19
	s_addc_u32 s18, s18, s21
	s_mul_i32 s19, s59, s19
	s_mul_i32 s26, s82, s18
	s_mul_hi_u32 s21, s82, s18
	s_add_u32 s23, s23, s26
	s_addc_u32 s21, 0, s21
	s_mul_hi_u32 s44, s59, s18
	s_add_u32 s19, s23, s19
	s_mul_i32 s18, s59, s18
	s_addc_u32 s19, s21, s20
	s_addc_u32 s20, s44, 0
	s_add_u32 s18, s19, s18
	s_addc_u32 s19, 0, s20
	s_mul_hi_u32 s20, s49, s18
	s_mul_i32 s19, s49, s19
	s_mul_i32 s18, s49, s18
	s_add_i32 s20, s20, s19
	s_sub_u32 s18, s82, s18
	s_cselect_b32 s19, -1, 0
	s_cmp_lg_u32 s19, 0
	s_subb_u32 s19, s59, s20
	s_sub_u32 s20, s18, s49
	s_cselect_b32 s21, -1, 0
	s_cmp_lg_u32 s21, 0
	s_subb_u32 s21, s19, 0
	;; [unrolled: 4-line block ×3, first 2 shown]
	s_cmp_ge_u32 s20, s49
	s_cselect_b32 s44, -1, 0
	s_cmp_eq_u32 s21, 0
	s_cselect_b32 s44, s44, -1
	s_cmp_lg_u32 s44, 0
	s_cselect_b32 s21, s26, s21
	s_cselect_b32 s20, s23, s20
	s_cmp_ge_u32 s18, s49
	s_cselect_b32 s23, -1, 0
	s_cmp_eq_u32 s19, 0
	s_cselect_b32 s23, s23, -1
	s_cmp_lg_u32 s23, 0
	s_cselect_b32 s19, s21, s19
	s_cselect_b32 s18, s20, s18
	s_cbranch_execnz .LBB147_192
.LBB147_191:                            ;   in Loop: Header=BB147_12 Depth=1
	v_cvt_f32_u32_e32 v2, s49
	s_sub_i32 s19, 0, s49
	v_rcp_iflag_f32_e32 v2, v2
	v_mul_f32_e32 v2, 0x4f7ffffe, v2
	v_cvt_u32_f32_e32 v2, v2
	v_readfirstlane_b32 s18, v2
	s_mul_i32 s19, s19, s18
	s_mul_hi_u32 s19, s18, s19
	s_add_i32 s18, s18, s19
	s_mul_hi_u32 s18, s82, s18
	s_mul_i32 s18, s18, s49
	s_sub_i32 s18, s82, s18
	s_sub_i32 s19, s18, s49
	s_cmp_ge_u32 s18, s49
	s_cselect_b32 s18, s19, s18
	s_sub_i32 s19, s18, s49
	s_cmp_ge_u32 s18, s49
	s_cselect_b32 s26, s19, s18
	s_mov_b64 s[18:19], s[26:27]
.LBB147_192:                            ;   in Loop: Header=BB147_12 Depth=1
	s_sub_u32 s18, s82, s18
	s_subb_u32 s19, s59, s19
	s_mov_b32 s20, exec_lo
                                        ; implicit-def: $vgpr5
	v_cmpx_gt_u64_e64 s[18:19], v[0:1]
	s_cbranch_execz .LBB147_201
; %bb.193:                              ;   in Loop: Header=BB147_12 Depth=1
	v_mov_b32_e32 v3, v1
	v_mov_b32_e32 v2, v0
	s_mov_b32 s21, 0
                                        ; implicit-def: $sgpr23
	s_branch .LBB147_196
.LBB147_194:                            ;   in Loop: Header=BB147_196 Depth=2
	s_or_b32 exec_lo, exec_lo, s26
	s_waitcnt lgkmcnt(0)
	s_barrier
	buffer_gl0_inv
	ds_read_b64 v[4:5], v13 offset:3072
	s_mov_b32 s44, -1
	s_mov_b32 s26, -1
	s_waitcnt lgkmcnt(0)
	s_barrier
	buffer_gl0_inv
	v_cmp_eq_u32_e32 vcc_lo, 0, v4
	s_cbranch_vccnz .LBB147_199
.LBB147_195:                            ;   in Loop: Header=BB147_196 Depth=2
	s_and_b32 s44, exec_lo, s44
	s_or_b32 s21, s44, s21
	s_andn2_b32 s23, s23, exec_lo
	s_and_b32 s26, s26, exec_lo
	s_or_b32 s23, s23, s26
	s_andn2_b32 exec_lo, exec_lo, s21
	s_cbranch_execz .LBB147_200
.LBB147_196:                            ;   Parent Loop BB147_12 Depth=1
                                        ; =>  This Inner Loop Header: Depth=2
	s_mov_b32 s26, exec_lo
	v_cmpx_gt_u64_e64 s[36:37], v[2:3]
	s_cbranch_execz .LBB147_194
; %bb.197:                              ;   in Loop: Header=BB147_196 Depth=2
	v_mul_lo_u32 v17, v3, s30
	v_mul_lo_u32 v21, v2, s31
	v_mad_u64_u32 v[4:5], null, v2, s30, 0
	v_add3_u32 v5, v5, v21, v17
	v_lshlrev_b64 v[4:5], 2, v[4:5]
	v_add_co_u32 v4, vcc_lo, s33, v4
	v_add_co_ci_u32_e64 v5, null, s35, v5, vcc_lo
	global_load_dword v17, v[4:5], off
	s_waitcnt vmcnt(0)
	v_xor_b32_e32 v4, 0x80000000, v17
	v_and_b32_e32 v4, v4, v12
	v_cmp_eq_u32_e32 vcc_lo, v4, v9
	s_and_b32 exec_lo, exec_lo, vcc_lo
	s_cbranch_execz .LBB147_194
; %bb.198:                              ;   in Loop: Header=BB147_196 Depth=2
	ds_write_b64 v13, v[16:17] offset:3072
	s_branch .LBB147_194
.LBB147_199:                            ;   in Loop: Header=BB147_196 Depth=2
	v_add_co_u32 v2, vcc_lo, v2, s49
	v_add_co_ci_u32_e64 v3, null, 0, v3, vcc_lo
	s_mov_b32 s26, 0
	v_cmp_le_u64_e32 vcc_lo, s[18:19], v[2:3]
	s_orn2_b32 s44, vcc_lo, exec_lo
	s_branch .LBB147_195
.LBB147_200:                            ;   in Loop: Header=BB147_12 Depth=1
	s_or_b32 exec_lo, exec_lo, s21
	s_andn2_b32 s18, s22, exec_lo
	s_and_b32 s19, s23, exec_lo
	s_or_b32 s22, s18, s19
.LBB147_201:                            ;   in Loop: Header=BB147_12 Depth=1
	s_or_b32 exec_lo, exec_lo, s20
	s_mov_b32 s70, 0
	s_mov_b32 s71, -1
.LBB147_202:                            ;   in Loop: Header=BB147_12 Depth=1
	s_orn2_b32 s18, s22, exec_lo
.LBB147_203:                            ;   in Loop: Header=BB147_12 Depth=1
	s_or_b32 exec_lo, exec_lo, s72
	s_mov_b32 s19, 0
	s_and_saveexec_b32 s72, s18
	s_cbranch_execz .LBB147_265
; %bb.204:                              ;   in Loop: Header=BB147_12 Depth=1
	v_mov_b32_e32 v2, 1
	v_mov_b32_e32 v3, 0
	;; [unrolled: 1-line block ×3, first 2 shown]
	s_xor_b32 s20, s73, -1
	s_and_saveexec_b32 s18, s20
	s_cbranch_execz .LBB147_213
; %bb.205:                              ;   in Loop: Header=BB147_12 Depth=1
	s_mov_b32 s19, exec_lo
	v_cmpx_ge_u64_e64 s[14:15], v[6:7]
	s_xor_b32 s19, exec_lo, s19
	s_cbranch_execz .LBB147_210
; %bb.206:                              ;   in Loop: Header=BB147_12 Depth=1
	ds_read_b64 v[2:3], v13 offset:5120
	s_lshl_b32 s20, 2, s93
	v_or_b32_e32 v12, s9, v12
	v_and_or_b32 v9, v9, s24, s20
	s_waitcnt lgkmcnt(0)
	v_cmp_ne_u64_e32 vcc_lo, 0, v[2:3]
	s_cbranch_vccnz .LBB147_210
; %bb.207:                              ;   in Loop: Header=BB147_12 Depth=1
	s_and_saveexec_b32 s20, s3
; %bb.208:                              ;   in Loop: Header=BB147_12 Depth=1
	v_mov_b32_e32 v2, s14
	v_mov_b32_e32 v3, s15
	ds_write_b64 v13, v[2:3] offset:5128
; %bb.209:                              ;   in Loop: Header=BB147_12 Depth=1
	s_or_b32 exec_lo, exec_lo, s20
	s_waitcnt lgkmcnt(0)
	s_barrier
	buffer_gl0_inv
.LBB147_210:                            ;   in Loop: Header=BB147_12 Depth=1
	s_or_saveexec_b32 s19, s19
	v_mov_b32_e32 v8, 8
	s_mov_b32 s20, 0
	s_xor_b32 exec_lo, exec_lo, s19
; %bb.211:                              ;   in Loop: Header=BB147_12 Depth=1
	v_sub_co_u32 v6, vcc_lo, v6, s14
	v_subrev_co_ci_u32_e64 v7, null, s15, v7, vcc_lo
	v_mov_b32_e32 v8, 0
	s_mov_b32 s20, exec_lo
; %bb.212:                              ;   in Loop: Header=BB147_12 Depth=1
	s_or_b32 exec_lo, exec_lo, s19
	v_mov_b32_e32 v2, v6
	v_mov_b32_e32 v3, v7
	s_and_b32 s19, s20, exec_lo
.LBB147_213:                            ;   in Loop: Header=BB147_12 Depth=1
	s_or_b32 exec_lo, exec_lo, s18
	s_mov_b32 s18, -1
                                        ; implicit-def: $sgpr104
                                        ; implicit-def: $sgpr58
	s_and_saveexec_b32 s73, s19
	s_cbranch_execz .LBB147_264
; %bb.214:                              ;   in Loop: Header=BB147_12 Depth=1
	v_cmp_eq_u64_e32 vcc_lo, 1, v[2:3]
	s_cmp_eq_u64 s[16:17], 1
	s_mov_b32 s19, -1
	s_cselect_b32 s18, -1, 0
                                        ; implicit-def: $sgpr104
                                        ; implicit-def: $sgpr58
	s_and_b32 s74, s18, vcc_lo
	s_and_saveexec_b32 s75, s74
	s_cbranch_execz .LBB147_252
; %bb.215:                              ;   in Loop: Header=BB147_12 Depth=1
	ds_read_b64 v[4:5], v13 offset:5120
	s_waitcnt lgkmcnt(0)
	s_barrier
	buffer_gl0_inv
	v_readfirstlane_b32 s18, v4
	v_readfirstlane_b32 s19, v5
	s_and_saveexec_b32 s20, s8
; %bb.216:                              ;   in Loop: Header=BB147_12 Depth=1
	ds_write_b32 v26, v13
; %bb.217:                              ;   in Loop: Header=BB147_12 Depth=1
	s_or_b32 exec_lo, exec_lo, s20
	v_or_b32_e32 v9, s9, v9
	v_or_b32_e32 v12, s9, v12
	s_mov_b32 s58, -1
	s_mov_b32 s104, 0
	s_cmp_eq_u64 s[18:19], 0
	s_mov_b32 s22, 0
	s_mov_b32 s23, -1
	s_waitcnt lgkmcnt(0)
	s_barrier
	buffer_gl0_inv
                                        ; implicit-def: $vgpr5
	s_cbranch_scc1 .LBB147_235
; %bb.218:                              ;   in Loop: Header=BB147_12 Depth=1
	s_add_u32 vcc_hi, s18, s80
	s_addc_u32 s21, s19, s81
	s_mov_b32 s20, s27
	s_cmp_lg_u64 s[20:21], 0
	s_cbranch_scc0 .LBB147_222
; %bb.219:                              ;   in Loop: Header=BB147_12 Depth=1
	v_cvt_f32_u32_e32 v4, s49
	s_sub_u32 s23, 0, s49
	s_subb_u32 s26, 0, 0
	v_fmac_f32_e64 v4, 0x4f800000, 0
	v_rcp_f32_e32 v4, v4
	v_mul_f32_e32 v4, 0x5f7ffffc, v4
	v_mul_f32_e32 v5, 0x2f800000, v4
	v_trunc_f32_e32 v5, v5
	v_fmac_f32_e32 v4, 0xcf800000, v5
	v_cvt_u32_f32_e32 v5, v5
	v_cvt_u32_f32_e32 v4, v4
	v_readfirstlane_b32 s20, v5
	v_readfirstlane_b32 s22, v4
	s_mul_i32 s44, s23, s20
	s_mul_hi_u32 s46, s23, s22
	s_mul_i32 s45, s26, s22
	s_add_i32 s44, s46, s44
	s_mul_i32 s47, s23, s22
	s_add_i32 s44, s44, s45
	s_mul_hi_u32 s46, s22, s47
	s_mul_i32 s54, s22, s44
	s_mul_hi_u32 vcc_lo, s20, s47
	s_mul_i32 s45, s20, s47
	s_mul_hi_u32 s47, s22, s44
	s_add_u32 s46, s46, s54
	s_addc_u32 s47, 0, s47
	s_mul_hi_u32 s55, s20, s44
	s_add_u32 s45, s46, s45
	s_mul_i32 s44, s20, s44
	s_addc_u32 s45, s47, vcc_lo
	s_addc_u32 s46, s55, 0
	s_add_u32 s44, s45, s44
	s_addc_u32 s45, 0, s46
	s_add_u32 s22, s22, s44
	s_cselect_b32 s44, -1, 0
	s_mul_hi_u32 s46, s23, s22
	s_cmp_lg_u32 s44, 0
	s_mul_i32 s44, s23, s22
	s_addc_u32 s20, s20, s45
	s_mul_i32 s26, s26, s22
	s_mul_i32 s23, s23, s20
	s_mul_hi_u32 s45, s22, s44
	s_add_i32 s23, s46, s23
	s_mul_hi_u32 s46, s20, s44
	s_add_i32 s23, s23, s26
	s_mul_i32 s26, s20, s44
	s_mul_i32 s54, s22, s23
	s_mul_hi_u32 s47, s22, s23
	s_add_u32 s45, s45, s54
	s_addc_u32 s47, 0, s47
	s_mul_hi_u32 s44, s20, s23
	s_add_u32 s26, s45, s26
	s_mul_i32 s23, s20, s23
	s_addc_u32 s26, s47, s46
	s_addc_u32 s44, s44, 0
	s_add_u32 s23, s26, s23
	s_addc_u32 s26, 0, s44
	s_add_u32 s22, s22, s23
	s_cselect_b32 s23, -1, 0
	s_mul_hi_u32 s44, vcc_hi, s22
	s_cmp_lg_u32 s23, 0
	s_mul_hi_u32 s23, s21, s22
	s_addc_u32 s20, s20, s26
	s_mul_i32 s22, s21, s22
	s_mul_i32 s45, vcc_hi, s20
	s_mul_hi_u32 s26, vcc_hi, s20
	s_add_u32 s44, s44, s45
	s_addc_u32 s26, 0, s26
	s_mul_hi_u32 s46, s21, s20
	s_add_u32 s22, s44, s22
	s_mul_i32 s20, s21, s20
	s_addc_u32 s22, s26, s23
	s_addc_u32 s23, s46, 0
	s_add_u32 s20, s22, s20
	s_addc_u32 s22, 0, s23
	s_mul_hi_u32 s23, s49, s20
	s_mul_i32 s22, s49, s22
	s_mul_i32 s20, s49, s20
	s_add_i32 s23, s23, s22
	s_sub_u32 s20, vcc_hi, s20
	s_cselect_b32 s22, -1, 0
	s_cmp_lg_u32 s22, 0
	s_subb_u32 s22, s21, s23
	s_sub_u32 s23, s20, s49
	s_cselect_b32 s26, -1, 0
	s_cmp_lg_u32 s26, 0
	s_subb_u32 s26, s22, 0
	s_sub_u32 s44, s23, s49
	s_cselect_b32 s45, -1, 0
	s_cmp_lg_u32 s45, 0
	s_subb_u32 s45, s26, 0
	s_cmp_ge_u32 s23, s49
	s_cselect_b32 s46, -1, 0
	s_cmp_eq_u32 s26, 0
	s_cselect_b32 s46, s46, -1
	s_cmp_lg_u32 s46, 0
	s_cselect_b32 s26, s45, s26
	s_cselect_b32 s44, s44, s23
	s_cmp_ge_u32 s20, s49
	s_cselect_b32 s23, -1, 0
	s_cmp_eq_u32 s22, 0
	s_cselect_b32 s23, s23, -1
	s_cmp_lg_u32 s23, 0
	s_cselect_b32 s23, s26, s22
	s_cselect_b32 s22, s44, s20
	s_mov_b32 s20, 0
	s_branch .LBB147_223
.LBB147_220:                            ;   in Loop: Header=BB147_12 Depth=1
                                        ; implicit-def: $sgpr22_sgpr23
	s_branch .LBB147_175
.LBB147_221:                            ;   in Loop: Header=BB147_12 Depth=1
                                        ; implicit-def: $sgpr18_sgpr19
	s_branch .LBB147_191
.LBB147_222:                            ;   in Loop: Header=BB147_12 Depth=1
	s_mov_b32 s20, -1
                                        ; implicit-def: $sgpr22_sgpr23
.LBB147_223:                            ;   in Loop: Header=BB147_12 Depth=1
	s_andn2_b32 vcc_lo, exec_lo, s20
	s_cbranch_vccnz .LBB147_225
; %bb.224:                              ;   in Loop: Header=BB147_12 Depth=1
	v_cvt_f32_u32_e32 v4, s49
	s_sub_i32 s22, 0, s49
	v_rcp_iflag_f32_e32 v4, v4
	v_mul_f32_e32 v4, 0x4f7ffffe, v4
	v_cvt_u32_f32_e32 v4, v4
	v_readfirstlane_b32 s20, v4
	s_mul_i32 s22, s22, s20
	s_mul_hi_u32 s22, s20, s22
	s_add_i32 s20, s20, s22
	s_mul_hi_u32 s20, vcc_hi, s20
	s_mul_i32 s20, s20, s49
	s_sub_i32 s20, vcc_hi, s20
	s_sub_i32 s22, s20, s49
	s_cmp_ge_u32 s20, s49
	s_cselect_b32 s20, s22, s20
	s_sub_i32 s22, s20, s49
	s_cmp_ge_u32 s20, s49
	s_cselect_b32 s26, s22, s20
	s_mov_b64 s[22:23], s[26:27]
.LBB147_225:                            ;   in Loop: Header=BB147_12 Depth=1
	s_sub_u32 s20, vcc_hi, s22
	s_subb_u32 s21, s21, s23
	s_mov_b32 s23, 0
	s_mov_b32 s22, 0
	s_mov_b32 s26, exec_lo
                                        ; implicit-def: $vgpr5
	v_cmpx_gt_u64_e64 s[20:21], v[0:1]
	s_cbranch_execz .LBB147_234
; %bb.226:                              ;   in Loop: Header=BB147_12 Depth=1
	v_mov_b32_e32 v7, v1
	v_mov_b32_e32 v21, v14
	;; [unrolled: 1-line block ×3, first 2 shown]
                                        ; implicit-def: $vcc_hi
	s_inst_prefetch 0x1
	s_branch .LBB147_229
	.p2align	6
.LBB147_227:                            ;   in Loop: Header=BB147_229 Depth=2
	s_or_b32 exec_lo, exec_lo, s44
	s_waitcnt lgkmcnt(0)
	s_barrier
	buffer_gl0_inv
	ds_read_b64 v[4:5], v13 offset:3072
	s_mov_b32 s44, -1
	s_mov_b32 s45, -1
	s_waitcnt lgkmcnt(0)
	s_barrier
	buffer_gl0_inv
	v_cmp_ne_u32_e32 vcc_lo, 0, v4
	s_cbranch_vccz .LBB147_232
.LBB147_228:                            ;   in Loop: Header=BB147_229 Depth=2
	s_and_b32 s44, exec_lo, s44
	s_or_b32 s22, s44, s22
	s_andn2_b32 s44, vcc_hi, exec_lo
	s_and_b32 s45, s45, exec_lo
	s_or_b32 vcc_hi, s44, s45
	s_andn2_b32 exec_lo, exec_lo, s22
	s_cbranch_execz .LBB147_233
.LBB147_229:                            ;   Parent Loop BB147_12 Depth=1
                                        ; =>  This Inner Loop Header: Depth=2
	s_mov_b32 s44, exec_lo
	v_cmpx_gt_u64_e64 s[18:19], v[6:7]
	s_cbranch_execz .LBB147_227
; %bb.230:                              ;   in Loop: Header=BB147_229 Depth=2
	ds_read_b32 v17, v21
	s_waitcnt lgkmcnt(0)
	v_xor_b32_e32 v4, 0x80000000, v17
	v_and_b32_e32 v4, v4, v12
	v_cmp_eq_u32_e32 vcc_lo, v4, v9
	s_and_b32 exec_lo, exec_lo, vcc_lo
	s_cbranch_execz .LBB147_227
; %bb.231:                              ;   in Loop: Header=BB147_229 Depth=2
	ds_write_b64 v13, v[16:17] offset:3072
	s_branch .LBB147_227
.LBB147_232:                            ;   in Loop: Header=BB147_229 Depth=2
	v_add_co_u32 v6, vcc_lo, v6, s49
	v_add_co_ci_u32_e64 v7, null, 0, v7, vcc_lo
	v_add_nc_u32_e32 v21, s86, v21
	s_mov_b32 s45, 0
	v_cmp_le_u64_e32 vcc_lo, s[20:21], v[6:7]
	s_orn2_b32 s44, vcc_lo, exec_lo
	s_branch .LBB147_228
.LBB147_233:                            ;   in Loop: Header=BB147_12 Depth=1
	s_inst_prefetch 0x2
	s_or_b32 exec_lo, exec_lo, s22
	s_and_b32 s22, vcc_hi, exec_lo
.LBB147_234:                            ;   in Loop: Header=BB147_12 Depth=1
	s_or_b32 exec_lo, exec_lo, s26
.LBB147_235:                            ;   in Loop: Header=BB147_12 Depth=1
	s_and_b32 vcc_lo, exec_lo, s23
	s_cbranch_vccz .LBB147_251
; %bb.236:                              ;   in Loop: Header=BB147_12 Depth=1
	s_mov_b32 s58, s27
	s_cmp_lg_u64 s[58:59], 0
	s_cbranch_scc0 .LBB147_238
; %bb.237:                              ;   in Loop: Header=BB147_12 Depth=1
	v_cvt_f32_u32_e32 v4, s49
	s_sub_u32 s20, 0, s49
	s_subb_u32 s21, 0, 0
	v_fmac_f32_e64 v4, 0x4f800000, 0
	v_rcp_f32_e32 v4, v4
	v_mul_f32_e32 v4, 0x5f7ffffc, v4
	v_mul_f32_e32 v5, 0x2f800000, v4
	v_trunc_f32_e32 v5, v5
	v_fmac_f32_e32 v4, 0xcf800000, v5
	v_cvt_u32_f32_e32 v5, v5
	v_cvt_u32_f32_e32 v4, v4
	v_readfirstlane_b32 s18, v5
	v_readfirstlane_b32 s19, v4
	s_mul_i32 s23, s20, s18
	s_mul_hi_u32 s44, s20, s19
	s_mul_i32 s26, s21, s19
	s_add_i32 s23, s44, s23
	s_mul_i32 s45, s20, s19
	s_add_i32 s23, s23, s26
	s_mul_hi_u32 s44, s19, s45
	s_mul_i32 s47, s19, s23
	s_mul_hi_u32 s46, s18, s45
	s_mul_i32 s26, s18, s45
	s_mul_hi_u32 s45, s19, s23
	s_add_u32 s44, s44, s47
	s_addc_u32 s45, 0, s45
	s_mul_hi_u32 s54, s18, s23
	s_add_u32 s26, s44, s26
	s_mul_i32 s23, s18, s23
	s_addc_u32 s26, s45, s46
	s_addc_u32 s44, s54, 0
	s_add_u32 s23, s26, s23
	s_addc_u32 s26, 0, s44
	s_add_u32 s19, s19, s23
	s_cselect_b32 s23, -1, 0
	s_mul_hi_u32 s44, s20, s19
	s_cmp_lg_u32 s23, 0
	s_mul_i32 s23, s20, s19
	s_addc_u32 s18, s18, s26
	s_mul_i32 s21, s21, s19
	s_mul_i32 s20, s20, s18
	s_mul_hi_u32 s26, s19, s23
	s_add_i32 s20, s44, s20
	s_mul_hi_u32 s44, s18, s23
	s_add_i32 s20, s20, s21
	s_mul_i32 s21, s18, s23
	s_mul_i32 s46, s19, s20
	s_mul_hi_u32 s45, s19, s20
	s_add_u32 s26, s26, s46
	s_addc_u32 s45, 0, s45
	s_mul_hi_u32 s23, s18, s20
	s_add_u32 s21, s26, s21
	s_mul_i32 s20, s18, s20
	s_addc_u32 s21, s45, s44
	s_addc_u32 s23, s23, 0
	s_add_u32 s20, s21, s20
	s_addc_u32 s21, 0, s23
	s_add_u32 s19, s19, s20
	s_cselect_b32 s20, -1, 0
	s_mul_hi_u32 s23, s82, s19
	s_cmp_lg_u32 s20, 0
	s_mul_hi_u32 s20, s59, s19
	s_addc_u32 s18, s18, s21
	s_mul_i32 s19, s59, s19
	s_mul_i32 s26, s82, s18
	s_mul_hi_u32 s21, s82, s18
	s_add_u32 s23, s23, s26
	s_addc_u32 s21, 0, s21
	s_mul_hi_u32 s44, s59, s18
	s_add_u32 s19, s23, s19
	s_mul_i32 s18, s59, s18
	s_addc_u32 s19, s21, s20
	s_addc_u32 s20, s44, 0
	s_add_u32 s18, s19, s18
	s_addc_u32 s19, 0, s20
	s_mul_hi_u32 s20, s49, s18
	s_mul_i32 s19, s49, s19
	s_mul_i32 s18, s49, s18
	s_add_i32 s20, s20, s19
	s_sub_u32 s18, s82, s18
	s_cselect_b32 s19, -1, 0
	s_cmp_lg_u32 s19, 0
	s_subb_u32 s19, s59, s20
	s_sub_u32 s20, s18, s49
	s_cselect_b32 s21, -1, 0
	s_cmp_lg_u32 s21, 0
	s_subb_u32 s21, s19, 0
	s_sub_u32 s23, s20, s49
	s_cselect_b32 s26, -1, 0
	s_cmp_lg_u32 s26, 0
	s_subb_u32 s26, s21, 0
	s_cmp_ge_u32 s20, s49
	s_cselect_b32 s44, -1, 0
	s_cmp_eq_u32 s21, 0
	s_cselect_b32 s44, s44, -1
	s_cmp_lg_u32 s44, 0
	s_cselect_b32 s21, s26, s21
	s_cselect_b32 s20, s23, s20
	s_cmp_ge_u32 s18, s49
	s_cselect_b32 s23, -1, 0
	s_cmp_eq_u32 s19, 0
	s_cselect_b32 s23, s23, -1
	s_cmp_lg_u32 s23, 0
	s_cselect_b32 s19, s21, s19
	s_cselect_b32 s18, s20, s18
	s_mov_b32 s20, 0
	s_branch .LBB147_239
.LBB147_238:                            ;   in Loop: Header=BB147_12 Depth=1
	s_mov_b32 s20, -1
                                        ; implicit-def: $sgpr18_sgpr19
.LBB147_239:                            ;   in Loop: Header=BB147_12 Depth=1
	s_andn2_b32 vcc_lo, exec_lo, s20
	s_cbranch_vccnz .LBB147_241
; %bb.240:                              ;   in Loop: Header=BB147_12 Depth=1
	v_cvt_f32_u32_e32 v4, s49
	s_sub_i32 s19, 0, s49
	v_rcp_iflag_f32_e32 v4, v4
	v_mul_f32_e32 v4, 0x4f7ffffe, v4
	v_cvt_u32_f32_e32 v4, v4
	v_readfirstlane_b32 s18, v4
	s_mul_i32 s19, s19, s18
	s_mul_hi_u32 s19, s18, s19
	s_add_i32 s18, s18, s19
	s_mul_hi_u32 s18, s82, s18
	s_mul_i32 s18, s18, s49
	s_sub_i32 s18, s82, s18
	s_sub_i32 s19, s18, s49
	s_cmp_ge_u32 s18, s49
	s_cselect_b32 s18, s19, s18
	s_sub_i32 s19, s18, s49
	s_cmp_ge_u32 s18, s49
	s_cselect_b32 s26, s19, s18
	s_mov_b64 s[18:19], s[26:27]
.LBB147_241:                            ;   in Loop: Header=BB147_12 Depth=1
	s_sub_u32 s18, s82, s18
	s_subb_u32 s19, s59, s19
	s_mov_b32 s20, exec_lo
                                        ; implicit-def: $vgpr5
	v_cmpx_gt_u64_e64 s[18:19], v[0:1]
	s_cbranch_execz .LBB147_250
; %bb.242:                              ;   in Loop: Header=BB147_12 Depth=1
	v_mov_b32_e32 v7, v1
	v_mov_b32_e32 v6, v0
	s_mov_b32 s21, 0
                                        ; implicit-def: $sgpr23
	s_branch .LBB147_245
.LBB147_243:                            ;   in Loop: Header=BB147_245 Depth=2
	s_or_b32 exec_lo, exec_lo, s26
	s_waitcnt lgkmcnt(0)
	s_barrier
	buffer_gl0_inv
	ds_read_b64 v[4:5], v13 offset:3072
	s_mov_b32 s44, -1
	s_mov_b32 s26, -1
	s_waitcnt lgkmcnt(0)
	s_barrier
	buffer_gl0_inv
	v_cmp_eq_u32_e32 vcc_lo, 0, v4
	s_cbranch_vccnz .LBB147_248
.LBB147_244:                            ;   in Loop: Header=BB147_245 Depth=2
	s_and_b32 s44, exec_lo, s44
	s_or_b32 s21, s44, s21
	s_andn2_b32 s23, s23, exec_lo
	s_and_b32 s26, s26, exec_lo
	s_or_b32 s23, s23, s26
	s_andn2_b32 exec_lo, exec_lo, s21
	s_cbranch_execz .LBB147_249
.LBB147_245:                            ;   Parent Loop BB147_12 Depth=1
                                        ; =>  This Inner Loop Header: Depth=2
	s_mov_b32 s26, exec_lo
	v_cmpx_gt_u64_e64 s[36:37], v[6:7]
	s_cbranch_execz .LBB147_243
; %bb.246:                              ;   in Loop: Header=BB147_245 Depth=2
	v_mul_lo_u32 v17, v7, s30
	v_mul_lo_u32 v21, v6, s31
	v_mad_u64_u32 v[4:5], null, v6, s30, 0
	v_add3_u32 v5, v5, v21, v17
	v_lshlrev_b64 v[4:5], 2, v[4:5]
	v_add_co_u32 v4, vcc_lo, s33, v4
	v_add_co_ci_u32_e64 v5, null, s35, v5, vcc_lo
	global_load_dword v17, v[4:5], off
	s_waitcnt vmcnt(0)
	v_xor_b32_e32 v4, 0x80000000, v17
	v_and_b32_e32 v4, v4, v12
	v_cmp_eq_u32_e32 vcc_lo, v4, v9
	s_and_b32 exec_lo, exec_lo, vcc_lo
	s_cbranch_execz .LBB147_243
; %bb.247:                              ;   in Loop: Header=BB147_245 Depth=2
	ds_write_b64 v13, v[16:17] offset:3072
	s_branch .LBB147_243
.LBB147_248:                            ;   in Loop: Header=BB147_245 Depth=2
	v_add_co_u32 v6, vcc_lo, v6, s49
	v_add_co_ci_u32_e64 v7, null, 0, v7, vcc_lo
	s_mov_b32 s26, 0
	v_cmp_le_u64_e32 vcc_lo, s[18:19], v[6:7]
	s_orn2_b32 s44, vcc_lo, exec_lo
	s_branch .LBB147_244
.LBB147_249:                            ;   in Loop: Header=BB147_12 Depth=1
	s_or_b32 exec_lo, exec_lo, s21
	s_andn2_b32 s18, s22, exec_lo
	s_and_b32 s19, s23, exec_lo
	s_or_b32 s22, s18, s19
.LBB147_250:                            ;   in Loop: Header=BB147_12 Depth=1
	s_or_b32 exec_lo, exec_lo, s20
	s_mov_b32 s58, 0
	s_mov_b32 s104, -1
.LBB147_251:                            ;   in Loop: Header=BB147_12 Depth=1
	s_orn2_b32 s19, s22, exec_lo
.LBB147_252:                            ;   in Loop: Header=BB147_12 Depth=1
	s_or_b32 exec_lo, exec_lo, s75
	s_mov_b32 s20, 0
	s_and_saveexec_b32 s18, s19
	s_cbranch_execz .LBB147_263
; %bb.253:                              ;   in Loop: Header=BB147_12 Depth=1
	v_mov_b32_e32 v6, 1
	v_mov_b32_e32 v7, 0
	;; [unrolled: 1-line block ×3, first 2 shown]
	s_xor_b32 s20, s74, -1
	s_and_saveexec_b32 s19, s20
	s_cbranch_execz .LBB147_262
; %bb.254:                              ;   in Loop: Header=BB147_12 Depth=1
	s_mov_b32 s20, exec_lo
	v_cmpx_ge_u64_e64 s[16:17], v[2:3]
	s_xor_b32 s20, exec_lo, s20
	s_cbranch_execz .LBB147_259
; %bb.255:                              ;   in Loop: Header=BB147_12 Depth=1
	ds_read_b64 v[6:7], v13 offset:5120
	v_or_b32_e32 v9, s9, v9
	v_or_b32_e32 v12, s9, v12
	s_waitcnt lgkmcnt(0)
	v_cmp_ne_u64_e32 vcc_lo, 0, v[6:7]
	s_cbranch_vccnz .LBB147_259
; %bb.256:                              ;   in Loop: Header=BB147_12 Depth=1
	s_and_saveexec_b32 s21, s3
; %bb.257:                              ;   in Loop: Header=BB147_12 Depth=1
	v_mov_b32_e32 v6, s16
	v_mov_b32_e32 v7, s17
	ds_write_b64 v13, v[6:7] offset:5128
; %bb.258:                              ;   in Loop: Header=BB147_12 Depth=1
	s_or_b32 exec_lo, exec_lo, s21
	s_waitcnt lgkmcnt(0)
	s_barrier
	buffer_gl0_inv
.LBB147_259:                            ;   in Loop: Header=BB147_12 Depth=1
	s_andn2_saveexec_b32 s20, s20
; %bb.260:                              ;   in Loop: Header=BB147_12 Depth=1
	v_sub_co_u32 v2, vcc_lo, v2, s16
	v_subrev_co_ci_u32_e64 v3, null, s17, v3, vcc_lo
; %bb.261:                              ;   in Loop: Header=BB147_12 Depth=1
	s_or_b32 exec_lo, exec_lo, s20
	v_mov_b32_e32 v7, v3
	v_mov_b32_e32 v8, 8
	;; [unrolled: 1-line block ×3, first 2 shown]
.LBB147_262:                            ;   in Loop: Header=BB147_12 Depth=1
	s_or_b32 exec_lo, exec_lo, s19
	v_mov_b32_e32 v2, v6
	v_mov_b32_e32 v3, v7
	s_mov_b32 s20, exec_lo
.LBB147_263:                            ;   in Loop: Header=BB147_12 Depth=1
	s_or_b32 exec_lo, exec_lo, s18
	s_orn2_b32 s18, s20, exec_lo
.LBB147_264:                            ;   in Loop: Header=BB147_12 Depth=1
	s_or_b32 exec_lo, exec_lo, s73
	v_mov_b32_e32 v7, v3
	v_mov_b32_e32 v6, v2
	s_andn2_b32 s19, s71, exec_lo
	s_and_b32 s20, s104, exec_lo
	s_andn2_b32 s21, s70, exec_lo
	s_and_b32 s22, s58, exec_lo
	s_or_b32 s71, s19, s20
	s_or_b32 s70, s21, s22
	s_and_b32 s19, s18, exec_lo
.LBB147_265:                            ;   in Loop: Header=BB147_12 Depth=1
	s_or_b32 exec_lo, exec_lo, s72
	s_orn2_b32 s18, s19, exec_lo
.LBB147_266:                            ;   in Loop: Header=BB147_12 Depth=1
	s_or_b32 exec_lo, exec_lo, s69
	v_mov_b32_e32 v2, v6
	v_mov_b32_e32 v3, v7
	s_andn2_b32 s19, s67, exec_lo
	s_and_b32 s20, s71, exec_lo
	s_andn2_b32 s21, s66, exec_lo
	s_and_b32 s22, s70, exec_lo
	s_or_b32 s67, s19, s20
	s_or_b32 s66, s21, s22
	s_and_b32 s19, s18, exec_lo
.LBB147_267:                            ;   in Loop: Header=BB147_12 Depth=1
	s_or_b32 exec_lo, exec_lo, s68
	s_orn2_b32 s18, s19, exec_lo
.LBB147_268:                            ;   in Loop: Header=BB147_12 Depth=1
	s_or_b32 exec_lo, exec_lo, s6
	s_mov_b32 s6, 0
	s_mov_b32 s19, 0
	s_and_saveexec_b32 s20, s18
	s_xor_b32 s18, exec_lo, s20
; %bb.269:                              ;   in Loop: Header=BB147_12 Depth=1
	v_cmp_ne_u32_e32 vcc_lo, 8, v8
	v_cmp_eq_u32_e64 s6, 8, v8
	s_and_b32 s19, vcc_lo, exec_lo
	s_and_b32 s6, s6, exec_lo
; %bb.270:                              ;   in Loop: Header=BB147_12 Depth=1
	s_or_b32 exec_lo, exec_lo, s18
	s_andn2_b32 s18, s63, exec_lo
	s_and_b32 s20, s67, exec_lo
	s_andn2_b32 s21, s62, exec_lo
	s_and_b32 s22, s66, exec_lo
	s_or_b32 s63, s18, s20
	s_or_b32 s62, s21, s22
	s_and_b32 s22, s19, exec_lo
	s_and_b32 s23, s6, exec_lo
.LBB147_271:                            ;   in Loop: Header=BB147_12 Depth=1
	s_or_b32 exec_lo, exec_lo, s65
.LBB147_272:                            ;   in Loop: Header=BB147_12 Depth=1
	s_and_b32 vcc_lo, exec_lo, s64
	s_cbranch_vccz .LBB147_288
; %bb.273:                              ;   in Loop: Header=BB147_12 Depth=1
	s_cmp_eq_u64 s[16:17], 1
                                        ; implicit-def: $sgpr64
                                        ; implicit-def: $sgpr25
	s_cselect_b32 s6, -1, 0
	s_and_b32 s62, s6, s7
	s_mov_b32 s6, -1
	s_and_saveexec_b32 s63, s62
	s_cbranch_execz .LBB147_306
; %bb.274:                              ;   in Loop: Header=BB147_12 Depth=1
	ds_read_b64 v[2:3], v13 offset:5120
	s_waitcnt lgkmcnt(0)
	s_barrier
	buffer_gl0_inv
	v_readfirstlane_b32 s6, v2
	v_readfirstlane_b32 s7, v3
	s_and_saveexec_b32 s18, s8
; %bb.275:                              ;   in Loop: Header=BB147_12 Depth=1
	ds_write_b32 v26, v13
; %bb.276:                              ;   in Loop: Header=BB147_12 Depth=1
	s_or_b32 exec_lo, exec_lo, s18
	v_or_b32_e32 v25, s9, v25
	v_or_b32_e32 v30, s9, v30
	s_mov_b32 s25, -1
	s_mov_b32 s64, 0
	s_cmp_eq_u64 s[6:7], 0
	s_mov_b32 s20, 0
	s_mov_b32 s21, -1
	s_waitcnt lgkmcnt(0)
	s_barrier
	buffer_gl0_inv
                                        ; implicit-def: $vgpr18
	s_cbranch_scc1 .LBB147_291
; %bb.277:                              ;   in Loop: Header=BB147_12 Depth=1
	s_add_u32 s58, s6, s80
	s_addc_u32 s19, s7, s81
	s_mov_b32 s18, s27
	s_cmp_lg_u64 s[18:19], 0
	s_cbranch_scc0 .LBB147_332
; %bb.278:                              ;   in Loop: Header=BB147_12 Depth=1
	v_cvt_f32_u32_e32 v2, s49
	s_sub_u32 s21, 0, s49
	s_subb_u32 s26, 0, 0
	v_fmac_f32_e64 v2, 0x4f800000, 0
	v_rcp_f32_e32 v2, v2
	v_mul_f32_e32 v2, 0x5f7ffffc, v2
	v_mul_f32_e32 v3, 0x2f800000, v2
	v_trunc_f32_e32 v3, v3
	v_fmac_f32_e32 v2, 0xcf800000, v3
	v_cvt_u32_f32_e32 v3, v3
	v_cvt_u32_f32_e32 v2, v2
	v_readfirstlane_b32 s18, v3
	v_readfirstlane_b32 s20, v2
	s_mul_i32 s44, s21, s18
	s_mul_hi_u32 s46, s21, s20
	s_mul_i32 s45, s26, s20
	s_add_i32 s44, s46, s44
	s_mul_i32 s47, s21, s20
	s_add_i32 s44, s44, s45
	s_mul_hi_u32 s46, s20, s47
	s_mul_i32 s66, s20, s44
	s_mul_hi_u32 s65, s18, s47
	s_mul_i32 s45, s18, s47
	s_mul_hi_u32 s47, s20, s44
	s_add_u32 s46, s46, s66
	s_addc_u32 s47, 0, s47
	s_mul_hi_u32 s67, s18, s44
	s_add_u32 s45, s46, s45
	s_mul_i32 s44, s18, s44
	s_addc_u32 s45, s47, s65
	s_addc_u32 s46, s67, 0
	s_add_u32 s44, s45, s44
	s_addc_u32 s45, 0, s46
	s_add_u32 s20, s20, s44
	s_cselect_b32 s44, -1, 0
	s_mul_hi_u32 s46, s21, s20
	s_cmp_lg_u32 s44, 0
	s_mul_i32 s44, s21, s20
	s_addc_u32 s18, s18, s45
	s_mul_i32 s26, s26, s20
	s_mul_i32 s21, s21, s18
	s_mul_hi_u32 s45, s20, s44
	s_add_i32 s21, s46, s21
	s_mul_hi_u32 s46, s18, s44
	s_add_i32 s21, s21, s26
	s_mul_i32 s26, s18, s44
	s_mul_i32 s65, s20, s21
	s_mul_hi_u32 s47, s20, s21
	s_add_u32 s45, s45, s65
	s_addc_u32 s47, 0, s47
	s_mul_hi_u32 s44, s18, s21
	s_add_u32 s26, s45, s26
	s_mul_i32 s21, s18, s21
	s_addc_u32 s26, s47, s46
	s_addc_u32 s44, s44, 0
	s_add_u32 s21, s26, s21
	s_addc_u32 s26, 0, s44
	s_add_u32 s20, s20, s21
	s_cselect_b32 s21, -1, 0
	s_mul_hi_u32 s44, s58, s20
	s_cmp_lg_u32 s21, 0
	s_mul_hi_u32 s21, s19, s20
	s_addc_u32 s18, s18, s26
	s_mul_i32 s20, s19, s20
	s_mul_i32 s45, s58, s18
	s_mul_hi_u32 s26, s58, s18
	s_add_u32 s44, s44, s45
	s_addc_u32 s26, 0, s26
	s_mul_hi_u32 s46, s19, s18
	s_add_u32 s20, s44, s20
	s_mul_i32 s18, s19, s18
	s_addc_u32 s20, s26, s21
	s_addc_u32 s21, s46, 0
	s_add_u32 s18, s20, s18
	s_addc_u32 s20, 0, s21
	s_mul_hi_u32 s21, s49, s18
	s_mul_i32 s20, s49, s20
	s_mul_i32 s18, s49, s18
	s_add_i32 s21, s21, s20
	s_sub_u32 s18, s58, s18
	s_cselect_b32 s20, -1, 0
	s_cmp_lg_u32 s20, 0
	s_subb_u32 s20, s19, s21
	s_sub_u32 s21, s18, s49
	s_cselect_b32 s26, -1, 0
	s_cmp_lg_u32 s26, 0
	s_subb_u32 s26, s20, 0
	;; [unrolled: 4-line block ×3, first 2 shown]
	s_cmp_ge_u32 s21, s49
	s_cselect_b32 s46, -1, 0
	s_cmp_eq_u32 s26, 0
	s_cselect_b32 s46, s46, -1
	s_cmp_lg_u32 s46, 0
	s_cselect_b32 s26, s45, s26
	s_cselect_b32 s44, s44, s21
	s_cmp_ge_u32 s18, s49
	s_cselect_b32 s21, -1, 0
	s_cmp_eq_u32 s20, 0
	s_cselect_b32 s21, s21, -1
	s_cmp_lg_u32 s21, 0
	s_cselect_b32 s21, s26, s20
	s_cselect_b32 s20, s44, s18
	s_cbranch_execnz .LBB147_280
.LBB147_279:                            ;   in Loop: Header=BB147_12 Depth=1
	v_cvt_f32_u32_e32 v2, s49
	s_sub_i32 s20, 0, s49
	v_rcp_iflag_f32_e32 v2, v2
	v_mul_f32_e32 v2, 0x4f7ffffe, v2
	v_cvt_u32_f32_e32 v2, v2
	v_readfirstlane_b32 s18, v2
	s_mul_i32 s20, s20, s18
	s_mul_hi_u32 s20, s18, s20
	s_add_i32 s18, s18, s20
	s_mul_hi_u32 s18, s58, s18
	s_mul_i32 s18, s18, s49
	s_sub_i32 s18, s58, s18
	s_sub_i32 s20, s18, s49
	s_cmp_ge_u32 s18, s49
	s_cselect_b32 s18, s20, s18
	s_sub_i32 s20, s18, s49
	s_cmp_ge_u32 s18, s49
	s_cselect_b32 s26, s20, s18
	s_mov_b64 s[20:21], s[26:27]
.LBB147_280:                            ;   in Loop: Header=BB147_12 Depth=1
	s_sub_u32 s18, s58, s20
	s_subb_u32 s19, s19, s21
	s_mov_b32 s21, 0
	s_mov_b32 s20, 0
	s_mov_b32 s26, exec_lo
                                        ; implicit-def: $vgpr18
	v_cmpx_gt_u64_e64 s[18:19], v[0:1]
	s_cbranch_execz .LBB147_290
; %bb.281:                              ;   in Loop: Header=BB147_12 Depth=1
	v_mov_b32_e32 v3, v1
	v_mov_b32_e32 v4, v14
	;; [unrolled: 1-line block ×3, first 2 shown]
                                        ; implicit-def: $sgpr58
	s_inst_prefetch 0x1
	s_branch .LBB147_284
	.p2align	6
.LBB147_282:                            ;   in Loop: Header=BB147_284 Depth=2
	s_or_b32 exec_lo, exec_lo, s65
	s_waitcnt lgkmcnt(0)
	s_barrier
	buffer_gl0_inv
	ds_read_b64 v[17:18], v13 offset:3072
	s_mov_b32 s44, -1
	s_mov_b32 s45, -1
	s_waitcnt lgkmcnt(0)
	s_barrier
	buffer_gl0_inv
	v_cmp_ne_u32_e32 vcc_lo, 0, v17
	s_cbranch_vccz .LBB147_287
.LBB147_283:                            ;   in Loop: Header=BB147_284 Depth=2
	s_and_b32 s44, exec_lo, s44
	s_or_b32 s20, s44, s20
	s_andn2_b32 s44, s58, exec_lo
	s_and_b32 s45, s45, exec_lo
	s_or_b32 s58, s44, s45
	s_andn2_b32 exec_lo, exec_lo, s20
	s_cbranch_execz .LBB147_289
.LBB147_284:                            ;   Parent Loop BB147_12 Depth=1
                                        ; =>  This Inner Loop Header: Depth=2
	s_mov_b32 s65, exec_lo
	v_cmpx_gt_u64_e64 s[6:7], v[2:3]
	s_cbranch_execz .LBB147_282
; %bb.285:                              ;   in Loop: Header=BB147_284 Depth=2
	ds_read_b32 v17, v4
	s_waitcnt lgkmcnt(0)
	v_xor_b32_e32 v5, 0x80000000, v17
	v_and_b32_e32 v5, v5, v30
	v_cmp_eq_u32_e32 vcc_lo, v5, v25
	s_and_b32 exec_lo, exec_lo, vcc_lo
	s_cbranch_execz .LBB147_282
; %bb.286:                              ;   in Loop: Header=BB147_284 Depth=2
	ds_write_b64 v13, v[16:17] offset:3072
	s_branch .LBB147_282
.LBB147_287:                            ;   in Loop: Header=BB147_284 Depth=2
	v_add_co_u32 v2, vcc_lo, v2, s49
	v_add_co_ci_u32_e64 v3, null, 0, v3, vcc_lo
	v_add_nc_u32_e32 v4, s86, v4
	s_mov_b32 s45, 0
	v_cmp_le_u64_e32 vcc_lo, s[18:19], v[2:3]
	s_orn2_b32 s44, vcc_lo, exec_lo
	s_branch .LBB147_283
.LBB147_288:                            ;   in Loop: Header=BB147_12 Depth=1
	v_mov_b32_e32 v25, v9
	v_mov_b32_e32 v30, v12
	;; [unrolled: 1-line block ×3, first 2 shown]
	s_mov_b32 s64, 0
	s_and_saveexec_b32 s6, s23
	s_cbranch_execnz .LBB147_465
	s_branch .LBB147_466
.LBB147_289:                            ;   in Loop: Header=BB147_12 Depth=1
	s_inst_prefetch 0x2
	s_or_b32 exec_lo, exec_lo, s20
	s_and_b32 s20, s58, exec_lo
.LBB147_290:                            ;   in Loop: Header=BB147_12 Depth=1
	s_or_b32 exec_lo, exec_lo, s26
.LBB147_291:                            ;   in Loop: Header=BB147_12 Depth=1
	s_and_b32 vcc_lo, exec_lo, s21
	s_cbranch_vccz .LBB147_305
; %bb.292:                              ;   in Loop: Header=BB147_12 Depth=1
	s_mov_b32 s58, s27
	s_cmp_lg_u64 s[58:59], 0
	s_cbranch_scc0 .LBB147_333
; %bb.293:                              ;   in Loop: Header=BB147_12 Depth=1
	v_cvt_f32_u32_e32 v2, s49
	s_sub_u32 s18, 0, s49
	s_subb_u32 s19, 0, 0
	v_fmac_f32_e64 v2, 0x4f800000, 0
	v_rcp_f32_e32 v2, v2
	v_mul_f32_e32 v2, 0x5f7ffffc, v2
	v_mul_f32_e32 v3, 0x2f800000, v2
	v_trunc_f32_e32 v3, v3
	v_fmac_f32_e32 v2, 0xcf800000, v3
	v_cvt_u32_f32_e32 v3, v3
	v_cvt_u32_f32_e32 v2, v2
	v_readfirstlane_b32 s6, v3
	v_readfirstlane_b32 s7, v2
	s_mul_i32 s21, s18, s6
	s_mul_hi_u32 s26, s18, s7
	s_mul_i32 s25, s19, s7
	s_add_i32 s21, s26, s21
	s_mul_i32 s44, s18, s7
	s_add_i32 s21, s21, s25
	s_mul_hi_u32 s26, s7, s44
	s_mul_i32 s46, s7, s21
	s_mul_hi_u32 s45, s6, s44
	s_mul_i32 s25, s6, s44
	s_mul_hi_u32 s44, s7, s21
	s_add_u32 s26, s26, s46
	s_addc_u32 s44, 0, s44
	s_mul_hi_u32 s47, s6, s21
	s_add_u32 s25, s26, s25
	s_mul_i32 s21, s6, s21
	s_addc_u32 s25, s44, s45
	s_addc_u32 s26, s47, 0
	s_add_u32 s21, s25, s21
	s_addc_u32 s25, 0, s26
	s_add_u32 s7, s7, s21
	s_cselect_b32 s21, -1, 0
	s_mul_hi_u32 s26, s18, s7
	s_cmp_lg_u32 s21, 0
	s_mul_i32 s21, s18, s7
	s_addc_u32 s6, s6, s25
	s_mul_i32 s19, s19, s7
	s_mul_i32 s18, s18, s6
	s_mul_hi_u32 s25, s7, s21
	s_add_i32 s18, s26, s18
	s_mul_hi_u32 s26, s6, s21
	s_add_i32 s18, s18, s19
	s_mul_i32 s19, s6, s21
	s_mul_i32 s45, s7, s18
	s_mul_hi_u32 s44, s7, s18
	s_add_u32 s25, s25, s45
	s_addc_u32 s44, 0, s44
	s_mul_hi_u32 s21, s6, s18
	s_add_u32 s19, s25, s19
	s_mul_i32 s18, s6, s18
	s_addc_u32 s19, s44, s26
	s_addc_u32 s21, s21, 0
	s_add_u32 s18, s19, s18
	s_addc_u32 s19, 0, s21
	s_add_u32 s7, s7, s18
	s_cselect_b32 s18, -1, 0
	s_mul_hi_u32 s21, s82, s7
	s_cmp_lg_u32 s18, 0
	s_mul_hi_u32 s18, s59, s7
	s_addc_u32 s6, s6, s19
	s_mul_i32 s7, s59, s7
	s_mul_i32 s25, s82, s6
	s_mul_hi_u32 s19, s82, s6
	s_add_u32 s21, s21, s25
	s_addc_u32 s19, 0, s19
	s_mul_hi_u32 s26, s59, s6
	s_add_u32 s7, s21, s7
	s_mul_i32 s6, s59, s6
	s_addc_u32 s7, s19, s18
	s_addc_u32 s18, s26, 0
	s_add_u32 s6, s7, s6
	s_addc_u32 s7, 0, s18
	s_mul_hi_u32 s18, s49, s6
	s_mul_i32 s7, s49, s7
	s_mul_i32 s6, s49, s6
	s_add_i32 s18, s18, s7
	s_sub_u32 s6, s82, s6
	s_cselect_b32 s7, -1, 0
	s_cmp_lg_u32 s7, 0
	s_subb_u32 s7, s59, s18
	s_sub_u32 s18, s6, s49
	s_cselect_b32 s19, -1, 0
	s_cmp_lg_u32 s19, 0
	s_subb_u32 s19, s7, 0
	;; [unrolled: 4-line block ×3, first 2 shown]
	s_cmp_ge_u32 s18, s49
	s_cselect_b32 s26, -1, 0
	s_cmp_eq_u32 s19, 0
	s_cselect_b32 s26, s26, -1
	s_cmp_lg_u32 s26, 0
	s_cselect_b32 s19, s25, s19
	s_cselect_b32 s18, s21, s18
	s_cmp_ge_u32 s6, s49
	s_cselect_b32 s21, -1, 0
	s_cmp_eq_u32 s7, 0
	s_cselect_b32 s21, s21, -1
	s_cmp_lg_u32 s21, 0
	s_cselect_b32 s7, s19, s7
	s_cselect_b32 s6, s18, s6
	s_cbranch_execnz .LBB147_295
.LBB147_294:                            ;   in Loop: Header=BB147_12 Depth=1
	v_cvt_f32_u32_e32 v2, s49
	s_sub_i32 s7, 0, s49
	v_rcp_iflag_f32_e32 v2, v2
	v_mul_f32_e32 v2, 0x4f7ffffe, v2
	v_cvt_u32_f32_e32 v2, v2
	v_readfirstlane_b32 s6, v2
	s_mul_i32 s7, s7, s6
	s_mul_hi_u32 s7, s6, s7
	s_add_i32 s6, s6, s7
	s_mul_hi_u32 s6, s82, s6
	s_mul_i32 s6, s6, s49
	s_sub_i32 s6, s82, s6
	s_sub_i32 s7, s6, s49
	s_cmp_ge_u32 s6, s49
	s_cselect_b32 s6, s7, s6
	s_sub_i32 s7, s6, s49
	s_cmp_ge_u32 s6, s49
	s_cselect_b32 s26, s7, s6
	s_mov_b64 s[6:7], s[26:27]
.LBB147_295:                            ;   in Loop: Header=BB147_12 Depth=1
	s_sub_u32 s6, s82, s6
	s_subb_u32 s7, s59, s7
	s_mov_b32 s18, exec_lo
                                        ; implicit-def: $vgpr18
	v_cmpx_gt_u64_e64 s[6:7], v[0:1]
	s_cbranch_execz .LBB147_304
; %bb.296:                              ;   in Loop: Header=BB147_12 Depth=1
	v_mov_b32_e32 v3, v1
	v_mov_b32_e32 v2, v0
	s_mov_b32 s19, 0
                                        ; implicit-def: $sgpr21
	s_branch .LBB147_299
.LBB147_297:                            ;   in Loop: Header=BB147_299 Depth=2
	s_or_b32 exec_lo, exec_lo, s25
	s_waitcnt lgkmcnt(0)
	s_barrier
	buffer_gl0_inv
	ds_read_b64 v[17:18], v13 offset:3072
	s_mov_b32 s26, -1
	s_mov_b32 s25, -1
	s_waitcnt lgkmcnt(0)
	s_barrier
	buffer_gl0_inv
	v_cmp_ne_u32_e32 vcc_lo, 0, v17
	s_cbranch_vccz .LBB147_302
.LBB147_298:                            ;   in Loop: Header=BB147_299 Depth=2
	s_and_b32 s26, exec_lo, s26
	s_or_b32 s19, s26, s19
	s_andn2_b32 s21, s21, exec_lo
	s_and_b32 s25, s25, exec_lo
	s_or_b32 s21, s21, s25
	s_andn2_b32 exec_lo, exec_lo, s19
	s_cbranch_execz .LBB147_303
.LBB147_299:                            ;   Parent Loop BB147_12 Depth=1
                                        ; =>  This Inner Loop Header: Depth=2
	s_mov_b32 s25, exec_lo
	v_cmpx_gt_u64_e64 s[36:37], v[2:3]
	s_cbranch_execz .LBB147_297
; %bb.300:                              ;   in Loop: Header=BB147_299 Depth=2
	v_mul_lo_u32 v6, v3, s30
	v_mul_lo_u32 v7, v2, s31
	v_mad_u64_u32 v[4:5], null, v2, s30, 0
	v_add3_u32 v5, v5, v7, v6
	v_lshlrev_b64 v[4:5], 2, v[4:5]
	v_add_co_u32 v4, vcc_lo, s33, v4
	v_add_co_ci_u32_e64 v5, null, s35, v5, vcc_lo
	global_load_dword v17, v[4:5], off
	s_waitcnt vmcnt(0)
	v_xor_b32_e32 v4, 0x80000000, v17
	v_and_b32_e32 v4, v4, v30
	v_cmp_eq_u32_e32 vcc_lo, v4, v25
	s_and_b32 exec_lo, exec_lo, vcc_lo
	s_cbranch_execz .LBB147_297
; %bb.301:                              ;   in Loop: Header=BB147_299 Depth=2
	ds_write_b64 v13, v[16:17] offset:3072
	s_branch .LBB147_297
.LBB147_302:                            ;   in Loop: Header=BB147_299 Depth=2
	v_add_co_u32 v2, vcc_lo, v2, s49
	v_add_co_ci_u32_e64 v3, null, 0, v3, vcc_lo
	s_mov_b32 s25, 0
	v_cmp_le_u64_e32 vcc_lo, s[6:7], v[2:3]
	s_orn2_b32 s26, vcc_lo, exec_lo
	s_branch .LBB147_298
.LBB147_303:                            ;   in Loop: Header=BB147_12 Depth=1
	s_or_b32 exec_lo, exec_lo, s19
	s_andn2_b32 s6, s20, exec_lo
	s_and_b32 s7, s21, exec_lo
	s_or_b32 s20, s6, s7
.LBB147_304:                            ;   in Loop: Header=BB147_12 Depth=1
	s_or_b32 exec_lo, exec_lo, s18
	s_mov_b32 s25, 0
	s_mov_b32 s64, -1
.LBB147_305:                            ;   in Loop: Header=BB147_12 Depth=1
	s_orn2_b32 s6, s20, exec_lo
.LBB147_306:                            ;   in Loop: Header=BB147_12 Depth=1
	s_or_b32 exec_lo, exec_lo, s63
                                        ; implicit-def: $vgpr2_vgpr3
                                        ; implicit-def: $vgpr8
	s_and_saveexec_b32 s20, s6
	s_cbranch_execz .LBB147_464
; %bb.307:                              ;   in Loop: Header=BB147_12 Depth=1
	v_mov_b32_e32 v2, 1
	v_mov_b32_e32 v3, 0
	;; [unrolled: 1-line block ×3, first 2 shown]
	s_xor_b32 s18, s62, -1
	s_mov_b32 s7, 0
	s_and_saveexec_b32 s6, s18
	s_cbranch_execz .LBB147_316
; %bb.308:                              ;   in Loop: Header=BB147_12 Depth=1
	s_mov_b32 s7, exec_lo
	v_cmpx_ge_u64_e64 s[16:17], v[19:20]
	s_xor_b32 s7, exec_lo, s7
	s_cbranch_execz .LBB147_313
; %bb.309:                              ;   in Loop: Header=BB147_12 Depth=1
	ds_read_b64 v[2:3], v13 offset:5120
	v_or_b32_e32 v25, s9, v25
	v_or_b32_e32 v30, s9, v30
	s_waitcnt lgkmcnt(0)
	v_cmp_ne_u64_e32 vcc_lo, 0, v[2:3]
	s_cbranch_vccnz .LBB147_313
; %bb.310:                              ;   in Loop: Header=BB147_12 Depth=1
	s_and_saveexec_b32 s18, s3
; %bb.311:                              ;   in Loop: Header=BB147_12 Depth=1
	v_mov_b32_e32 v2, s16
	v_mov_b32_e32 v3, s17
	ds_write_b64 v13, v[2:3] offset:5128
; %bb.312:                              ;   in Loop: Header=BB147_12 Depth=1
	s_or_b32 exec_lo, exec_lo, s18
	s_waitcnt lgkmcnt(0)
	s_barrier
	buffer_gl0_inv
.LBB147_313:                            ;   in Loop: Header=BB147_12 Depth=1
	s_or_saveexec_b32 s7, s7
	v_mov_b32_e32 v8, 5
	s_mov_b32 s18, 0
	s_xor_b32 exec_lo, exec_lo, s7
; %bb.314:                              ;   in Loop: Header=BB147_12 Depth=1
	v_sub_co_u32 v19, vcc_lo, v19, s16
	v_subrev_co_ci_u32_e64 v20, null, s17, v20, vcc_lo
	v_mov_b32_e32 v8, 0
	s_mov_b32 s18, exec_lo
; %bb.315:                              ;   in Loop: Header=BB147_12 Depth=1
	s_or_b32 exec_lo, exec_lo, s7
	v_mov_b32_e32 v2, v19
	v_mov_b32_e32 v3, v20
	s_and_b32 s7, s18, exec_lo
.LBB147_316:                            ;   in Loop: Header=BB147_12 Depth=1
	s_or_b32 exec_lo, exec_lo, s6
	s_mov_b32 s6, -1
                                        ; implicit-def: $sgpr62
                                        ; implicit-def: $sgpr63
	s_and_saveexec_b32 s16, s7
	s_xor_b32 s21, exec_lo, s16
	s_cbranch_execz .LBB147_461
; %bb.317:                              ;   in Loop: Header=BB147_12 Depth=1
	v_cmp_eq_u64_e32 vcc_lo, 1, v[2:3]
	s_cmp_eq_u64 s[14:15], 1
                                        ; implicit-def: $sgpr63
                                        ; implicit-def: $sgpr62
	s_cselect_b32 s6, -1, 0
	s_and_b32 s65, s6, vcc_lo
	s_mov_b32 s6, -1
	s_and_saveexec_b32 s66, s65
	s_cbranch_execz .LBB147_351
; %bb.318:                              ;   in Loop: Header=BB147_12 Depth=1
	ds_read_b64 v[4:5], v13 offset:5120
	s_waitcnt lgkmcnt(0)
	s_barrier
	buffer_gl0_inv
	v_readfirstlane_b32 s6, v4
	v_readfirstlane_b32 s7, v5
	s_and_saveexec_b32 s16, s8
; %bb.319:                              ;   in Loop: Header=BB147_12 Depth=1
	ds_write_b32 v26, v13
; %bb.320:                              ;   in Loop: Header=BB147_12 Depth=1
	s_or_b32 exec_lo, exec_lo, s16
	s_lshl_b32 s16, 2, s93
	v_or_b32_e32 v30, s9, v30
	v_and_or_b32 v25, v25, s24, s16
	s_mov_b32 s62, -1
	s_mov_b32 s63, 0
	s_cmp_eq_u64 s[6:7], 0
	s_mov_b32 s18, 0
	s_mov_b32 s19, -1
	s_waitcnt lgkmcnt(0)
	s_barrier
	buffer_gl0_inv
                                        ; implicit-def: $vgpr18
	s_cbranch_scc1 .LBB147_336
; %bb.321:                              ;   in Loop: Header=BB147_12 Depth=1
	s_add_u32 s58, s6, s80
	s_addc_u32 s17, s7, s81
	s_mov_b32 s16, s27
	s_cmp_lg_u64 s[16:17], 0
	s_cbranch_scc0 .LBB147_377
; %bb.322:                              ;   in Loop: Header=BB147_12 Depth=1
	v_cvt_f32_u32_e32 v4, s49
	s_sub_u32 s19, 0, s49
	s_subb_u32 s26, 0, 0
	v_fmac_f32_e64 v4, 0x4f800000, 0
	v_rcp_f32_e32 v4, v4
	v_mul_f32_e32 v4, 0x5f7ffffc, v4
	v_mul_f32_e32 v5, 0x2f800000, v4
	v_trunc_f32_e32 v5, v5
	v_fmac_f32_e32 v4, 0xcf800000, v5
	v_cvt_u32_f32_e32 v5, v5
	v_cvt_u32_f32_e32 v4, v4
	v_readfirstlane_b32 s16, v5
	v_readfirstlane_b32 s18, v4
	s_mul_i32 s44, s19, s16
	s_mul_hi_u32 s46, s19, s18
	s_mul_i32 s45, s26, s18
	s_add_i32 s44, s46, s44
	s_mul_i32 s47, s19, s18
	s_add_i32 s44, s44, s45
	s_mul_hi_u32 s46, s18, s47
	s_mul_i32 s68, s18, s44
	s_mul_hi_u32 s67, s16, s47
	s_mul_i32 s45, s16, s47
	s_mul_hi_u32 s47, s18, s44
	s_add_u32 s46, s46, s68
	s_addc_u32 s47, 0, s47
	s_mul_hi_u32 s69, s16, s44
	s_add_u32 s45, s46, s45
	s_mul_i32 s44, s16, s44
	s_addc_u32 s45, s47, s67
	s_addc_u32 s46, s69, 0
	s_add_u32 s44, s45, s44
	s_addc_u32 s45, 0, s46
	s_add_u32 s18, s18, s44
	s_cselect_b32 s44, -1, 0
	s_mul_hi_u32 s46, s19, s18
	s_cmp_lg_u32 s44, 0
	s_mul_i32 s44, s19, s18
	s_addc_u32 s16, s16, s45
	s_mul_i32 s26, s26, s18
	s_mul_i32 s19, s19, s16
	s_mul_hi_u32 s45, s18, s44
	s_add_i32 s19, s46, s19
	s_mul_hi_u32 s46, s16, s44
	s_add_i32 s19, s19, s26
	s_mul_i32 s26, s16, s44
	s_mul_i32 s67, s18, s19
	s_mul_hi_u32 s47, s18, s19
	s_add_u32 s45, s45, s67
	s_addc_u32 s47, 0, s47
	s_mul_hi_u32 s44, s16, s19
	s_add_u32 s26, s45, s26
	s_mul_i32 s19, s16, s19
	s_addc_u32 s26, s47, s46
	s_addc_u32 s44, s44, 0
	s_add_u32 s19, s26, s19
	s_addc_u32 s26, 0, s44
	s_add_u32 s18, s18, s19
	s_cselect_b32 s19, -1, 0
	s_mul_hi_u32 s44, s58, s18
	s_cmp_lg_u32 s19, 0
	s_mul_hi_u32 s19, s17, s18
	s_addc_u32 s16, s16, s26
	s_mul_i32 s18, s17, s18
	s_mul_i32 s45, s58, s16
	s_mul_hi_u32 s26, s58, s16
	s_add_u32 s44, s44, s45
	s_addc_u32 s26, 0, s26
	s_mul_hi_u32 s46, s17, s16
	s_add_u32 s18, s44, s18
	s_mul_i32 s16, s17, s16
	s_addc_u32 s18, s26, s19
	s_addc_u32 s19, s46, 0
	s_add_u32 s16, s18, s16
	s_addc_u32 s18, 0, s19
	s_mul_hi_u32 s19, s49, s16
	s_mul_i32 s18, s49, s18
	s_mul_i32 s16, s49, s16
	s_add_i32 s19, s19, s18
	s_sub_u32 s16, s58, s16
	s_cselect_b32 s18, -1, 0
	s_cmp_lg_u32 s18, 0
	s_subb_u32 s18, s17, s19
	s_sub_u32 s19, s16, s49
	s_cselect_b32 s26, -1, 0
	s_cmp_lg_u32 s26, 0
	s_subb_u32 s26, s18, 0
	;; [unrolled: 4-line block ×3, first 2 shown]
	s_cmp_ge_u32 s19, s49
	s_cselect_b32 s46, -1, 0
	s_cmp_eq_u32 s26, 0
	s_cselect_b32 s46, s46, -1
	s_cmp_lg_u32 s46, 0
	s_cselect_b32 s26, s45, s26
	s_cselect_b32 s44, s44, s19
	s_cmp_ge_u32 s16, s49
	s_cselect_b32 s19, -1, 0
	s_cmp_eq_u32 s18, 0
	s_cselect_b32 s19, s19, -1
	s_cmp_lg_u32 s19, 0
	s_cselect_b32 s19, s26, s18
	s_cselect_b32 s18, s44, s16
	s_cbranch_execnz .LBB147_324
.LBB147_323:                            ;   in Loop: Header=BB147_12 Depth=1
	v_cvt_f32_u32_e32 v4, s49
	s_sub_i32 s18, 0, s49
	v_rcp_iflag_f32_e32 v4, v4
	v_mul_f32_e32 v4, 0x4f7ffffe, v4
	v_cvt_u32_f32_e32 v4, v4
	v_readfirstlane_b32 s16, v4
	s_mul_i32 s18, s18, s16
	s_mul_hi_u32 s18, s16, s18
	s_add_i32 s16, s16, s18
	s_mul_hi_u32 s16, s58, s16
	s_mul_i32 s16, s16, s49
	s_sub_i32 s16, s58, s16
	s_sub_i32 s18, s16, s49
	s_cmp_ge_u32 s16, s49
	s_cselect_b32 s16, s18, s16
	s_sub_i32 s18, s16, s49
	s_cmp_ge_u32 s16, s49
	s_cselect_b32 s26, s18, s16
	s_mov_b64 s[18:19], s[26:27]
.LBB147_324:                            ;   in Loop: Header=BB147_12 Depth=1
	s_sub_u32 s16, s58, s18
	s_subb_u32 s17, s17, s19
	s_mov_b32 s19, 0
	s_mov_b32 s18, 0
	s_mov_b32 s26, exec_lo
                                        ; implicit-def: $vgpr18
	v_cmpx_gt_u64_e64 s[16:17], v[0:1]
	s_cbranch_execz .LBB147_335
; %bb.325:                              ;   in Loop: Header=BB147_12 Depth=1
	v_mov_b32_e32 v5, v1
	v_mov_b32_e32 v6, v14
	;; [unrolled: 1-line block ×3, first 2 shown]
                                        ; implicit-def: $sgpr58
	s_inst_prefetch 0x1
	s_branch .LBB147_328
	.p2align	6
.LBB147_326:                            ;   in Loop: Header=BB147_328 Depth=2
	s_or_b32 exec_lo, exec_lo, s67
	s_waitcnt lgkmcnt(0)
	s_barrier
	buffer_gl0_inv
	ds_read_b64 v[17:18], v13 offset:3072
	s_mov_b32 s44, -1
	s_mov_b32 s45, -1
	s_waitcnt lgkmcnt(0)
	s_barrier
	buffer_gl0_inv
	v_cmp_ne_u32_e32 vcc_lo, 0, v17
	s_cbranch_vccz .LBB147_331
.LBB147_327:                            ;   in Loop: Header=BB147_328 Depth=2
	s_and_b32 s44, exec_lo, s44
	s_or_b32 s18, s44, s18
	s_andn2_b32 s44, s58, exec_lo
	s_and_b32 s45, s45, exec_lo
	s_or_b32 s58, s44, s45
	s_andn2_b32 exec_lo, exec_lo, s18
	s_cbranch_execz .LBB147_334
.LBB147_328:                            ;   Parent Loop BB147_12 Depth=1
                                        ; =>  This Inner Loop Header: Depth=2
	s_mov_b32 s67, exec_lo
	v_cmpx_gt_u64_e64 s[6:7], v[4:5]
	s_cbranch_execz .LBB147_326
; %bb.329:                              ;   in Loop: Header=BB147_328 Depth=2
	ds_read_b32 v17, v6
	s_waitcnt lgkmcnt(0)
	v_xor_b32_e32 v7, 0x80000000, v17
	v_and_b32_e32 v7, v7, v30
	v_cmp_eq_u32_e32 vcc_lo, v7, v25
	s_and_b32 exec_lo, exec_lo, vcc_lo
	s_cbranch_execz .LBB147_326
; %bb.330:                              ;   in Loop: Header=BB147_328 Depth=2
	ds_write_b64 v13, v[16:17] offset:3072
	s_branch .LBB147_326
.LBB147_331:                            ;   in Loop: Header=BB147_328 Depth=2
	v_add_co_u32 v4, vcc_lo, v4, s49
	v_add_co_ci_u32_e64 v5, null, 0, v5, vcc_lo
	v_add_nc_u32_e32 v6, s86, v6
	s_mov_b32 s45, 0
	v_cmp_le_u64_e32 vcc_lo, s[16:17], v[4:5]
	s_orn2_b32 s44, vcc_lo, exec_lo
	s_branch .LBB147_327
.LBB147_332:                            ;   in Loop: Header=BB147_12 Depth=1
                                        ; implicit-def: $sgpr20_sgpr21
	s_branch .LBB147_279
.LBB147_333:                            ;   in Loop: Header=BB147_12 Depth=1
                                        ; implicit-def: $sgpr6_sgpr7
	s_branch .LBB147_294
.LBB147_334:                            ;   in Loop: Header=BB147_12 Depth=1
	s_inst_prefetch 0x2
	s_or_b32 exec_lo, exec_lo, s18
	s_and_b32 s18, s58, exec_lo
.LBB147_335:                            ;   in Loop: Header=BB147_12 Depth=1
	s_or_b32 exec_lo, exec_lo, s26
.LBB147_336:                            ;   in Loop: Header=BB147_12 Depth=1
	s_and_b32 vcc_lo, exec_lo, s19
	s_cbranch_vccz .LBB147_350
; %bb.337:                              ;   in Loop: Header=BB147_12 Depth=1
	s_mov_b32 s58, s27
	s_cmp_lg_u64 s[58:59], 0
	s_cbranch_scc0 .LBB147_378
; %bb.338:                              ;   in Loop: Header=BB147_12 Depth=1
	v_cvt_f32_u32_e32 v4, s49
	s_sub_u32 s16, 0, s49
	s_subb_u32 s17, 0, 0
	v_fmac_f32_e64 v4, 0x4f800000, 0
	v_rcp_f32_e32 v4, v4
	v_mul_f32_e32 v4, 0x5f7ffffc, v4
	v_mul_f32_e32 v5, 0x2f800000, v4
	v_trunc_f32_e32 v5, v5
	v_fmac_f32_e32 v4, 0xcf800000, v5
	v_cvt_u32_f32_e32 v5, v5
	v_cvt_u32_f32_e32 v4, v4
	v_readfirstlane_b32 s6, v5
	v_readfirstlane_b32 s7, v4
	s_mul_i32 s19, s16, s6
	s_mul_hi_u32 s44, s16, s7
	s_mul_i32 s26, s17, s7
	s_add_i32 s19, s44, s19
	s_mul_i32 s45, s16, s7
	s_add_i32 s19, s19, s26
	s_mul_hi_u32 s44, s7, s45
	s_mul_i32 s47, s7, s19
	s_mul_hi_u32 s46, s6, s45
	s_mul_i32 s26, s6, s45
	s_mul_hi_u32 s45, s7, s19
	s_add_u32 s44, s44, s47
	s_addc_u32 s45, 0, s45
	s_mul_hi_u32 s58, s6, s19
	s_add_u32 s26, s44, s26
	s_mul_i32 s19, s6, s19
	s_addc_u32 s26, s45, s46
	s_addc_u32 s44, s58, 0
	s_add_u32 s19, s26, s19
	s_addc_u32 s26, 0, s44
	s_add_u32 s7, s7, s19
	s_cselect_b32 s19, -1, 0
	s_mul_hi_u32 s44, s16, s7
	s_cmp_lg_u32 s19, 0
	s_mul_i32 s19, s16, s7
	s_addc_u32 s6, s6, s26
	s_mul_i32 s17, s17, s7
	s_mul_i32 s16, s16, s6
	s_mul_hi_u32 s26, s7, s19
	s_add_i32 s16, s44, s16
	s_mul_hi_u32 s44, s6, s19
	s_add_i32 s16, s16, s17
	s_mul_i32 s17, s6, s19
	s_mul_i32 s46, s7, s16
	s_mul_hi_u32 s45, s7, s16
	s_add_u32 s26, s26, s46
	s_addc_u32 s45, 0, s45
	s_mul_hi_u32 s19, s6, s16
	s_add_u32 s17, s26, s17
	s_mul_i32 s16, s6, s16
	s_addc_u32 s17, s45, s44
	s_addc_u32 s19, s19, 0
	s_add_u32 s16, s17, s16
	s_addc_u32 s17, 0, s19
	s_add_u32 s7, s7, s16
	s_cselect_b32 s16, -1, 0
	s_mul_hi_u32 s19, s82, s7
	s_cmp_lg_u32 s16, 0
	s_mul_hi_u32 s16, s59, s7
	s_addc_u32 s6, s6, s17
	s_mul_i32 s7, s59, s7
	s_mul_i32 s26, s82, s6
	s_mul_hi_u32 s17, s82, s6
	s_add_u32 s19, s19, s26
	s_addc_u32 s17, 0, s17
	s_mul_hi_u32 s44, s59, s6
	s_add_u32 s7, s19, s7
	s_mul_i32 s6, s59, s6
	s_addc_u32 s7, s17, s16
	s_addc_u32 s16, s44, 0
	s_add_u32 s6, s7, s6
	s_addc_u32 s7, 0, s16
	s_mul_hi_u32 s16, s49, s6
	s_mul_i32 s7, s49, s7
	s_mul_i32 s6, s49, s6
	s_add_i32 s16, s16, s7
	s_sub_u32 s6, s82, s6
	s_cselect_b32 s7, -1, 0
	s_cmp_lg_u32 s7, 0
	s_subb_u32 s7, s59, s16
	s_sub_u32 s16, s6, s49
	s_cselect_b32 s17, -1, 0
	s_cmp_lg_u32 s17, 0
	s_subb_u32 s17, s7, 0
	;; [unrolled: 4-line block ×3, first 2 shown]
	s_cmp_ge_u32 s16, s49
	s_cselect_b32 s44, -1, 0
	s_cmp_eq_u32 s17, 0
	s_cselect_b32 s44, s44, -1
	s_cmp_lg_u32 s44, 0
	s_cselect_b32 s17, s26, s17
	s_cselect_b32 s16, s19, s16
	s_cmp_ge_u32 s6, s49
	s_cselect_b32 s19, -1, 0
	s_cmp_eq_u32 s7, 0
	s_cselect_b32 s19, s19, -1
	s_cmp_lg_u32 s19, 0
	s_cselect_b32 s7, s17, s7
	s_cselect_b32 s6, s16, s6
	s_cbranch_execnz .LBB147_340
.LBB147_339:                            ;   in Loop: Header=BB147_12 Depth=1
	v_cvt_f32_u32_e32 v4, s49
	s_sub_i32 s7, 0, s49
	v_rcp_iflag_f32_e32 v4, v4
	v_mul_f32_e32 v4, 0x4f7ffffe, v4
	v_cvt_u32_f32_e32 v4, v4
	v_readfirstlane_b32 s6, v4
	s_mul_i32 s7, s7, s6
	s_mul_hi_u32 s7, s6, s7
	s_add_i32 s6, s6, s7
	s_mul_hi_u32 s6, s82, s6
	s_mul_i32 s6, s6, s49
	s_sub_i32 s6, s82, s6
	s_sub_i32 s7, s6, s49
	s_cmp_ge_u32 s6, s49
	s_cselect_b32 s6, s7, s6
	s_sub_i32 s7, s6, s49
	s_cmp_ge_u32 s6, s49
	s_cselect_b32 s26, s7, s6
	s_mov_b64 s[6:7], s[26:27]
.LBB147_340:                            ;   in Loop: Header=BB147_12 Depth=1
	s_sub_u32 s6, s82, s6
	s_subb_u32 s7, s59, s7
	s_mov_b32 s16, exec_lo
                                        ; implicit-def: $vgpr18
	v_cmpx_gt_u64_e64 s[6:7], v[0:1]
	s_cbranch_execz .LBB147_349
; %bb.341:                              ;   in Loop: Header=BB147_12 Depth=1
	v_mov_b32_e32 v5, v1
	v_mov_b32_e32 v4, v0
	s_mov_b32 s17, 0
                                        ; implicit-def: $sgpr19
	s_branch .LBB147_344
.LBB147_342:                            ;   in Loop: Header=BB147_344 Depth=2
	s_or_b32 exec_lo, exec_lo, s26
	s_waitcnt lgkmcnt(0)
	s_barrier
	buffer_gl0_inv
	ds_read_b64 v[17:18], v13 offset:3072
	s_mov_b32 s44, -1
	s_mov_b32 s26, -1
	s_waitcnt lgkmcnt(0)
	s_barrier
	buffer_gl0_inv
	v_cmp_eq_u32_e32 vcc_lo, 0, v17
	s_cbranch_vccnz .LBB147_347
.LBB147_343:                            ;   in Loop: Header=BB147_344 Depth=2
	s_and_b32 s44, exec_lo, s44
	s_or_b32 s17, s44, s17
	s_andn2_b32 s19, s19, exec_lo
	s_and_b32 s26, s26, exec_lo
	s_or_b32 s19, s19, s26
	s_andn2_b32 exec_lo, exec_lo, s17
	s_cbranch_execz .LBB147_348
.LBB147_344:                            ;   Parent Loop BB147_12 Depth=1
                                        ; =>  This Inner Loop Header: Depth=2
	s_mov_b32 s26, exec_lo
	v_cmpx_gt_u64_e64 s[36:37], v[4:5]
	s_cbranch_execz .LBB147_342
; %bb.345:                              ;   in Loop: Header=BB147_344 Depth=2
	v_mul_lo_u32 v9, v5, s30
	v_mul_lo_u32 v12, v4, s31
	v_mad_u64_u32 v[6:7], null, v4, s30, 0
	v_add3_u32 v7, v7, v12, v9
	v_lshlrev_b64 v[6:7], 2, v[6:7]
	v_add_co_u32 v6, vcc_lo, s33, v6
	v_add_co_ci_u32_e64 v7, null, s35, v7, vcc_lo
	global_load_dword v17, v[6:7], off
	s_waitcnt vmcnt(0)
	v_xor_b32_e32 v6, 0x80000000, v17
	v_and_b32_e32 v6, v6, v30
	v_cmp_eq_u32_e32 vcc_lo, v6, v25
	s_and_b32 exec_lo, exec_lo, vcc_lo
	s_cbranch_execz .LBB147_342
; %bb.346:                              ;   in Loop: Header=BB147_344 Depth=2
	ds_write_b64 v13, v[16:17] offset:3072
	s_branch .LBB147_342
.LBB147_347:                            ;   in Loop: Header=BB147_344 Depth=2
	v_add_co_u32 v4, vcc_lo, v4, s49
	v_add_co_ci_u32_e64 v5, null, 0, v5, vcc_lo
	s_mov_b32 s26, 0
	v_cmp_le_u64_e32 vcc_lo, s[6:7], v[4:5]
	s_orn2_b32 s44, vcc_lo, exec_lo
	s_branch .LBB147_343
.LBB147_348:                            ;   in Loop: Header=BB147_12 Depth=1
	s_or_b32 exec_lo, exec_lo, s17
	s_andn2_b32 s6, s18, exec_lo
	s_and_b32 s7, s19, exec_lo
	s_or_b32 s18, s6, s7
.LBB147_349:                            ;   in Loop: Header=BB147_12 Depth=1
	s_or_b32 exec_lo, exec_lo, s16
	s_mov_b32 s62, 0
	s_mov_b32 s63, -1
.LBB147_350:                            ;   in Loop: Header=BB147_12 Depth=1
	s_orn2_b32 s6, s18, exec_lo
.LBB147_351:                            ;   in Loop: Header=BB147_12 Depth=1
	s_or_b32 exec_lo, exec_lo, s66
	s_mov_b32 s7, 0
	s_and_saveexec_b32 s18, s6
	s_cbranch_execz .LBB147_460
; %bb.352:                              ;   in Loop: Header=BB147_12 Depth=1
	v_mov_b32_e32 v4, 1
	v_mov_b32_e32 v5, 0
	;; [unrolled: 1-line block ×3, first 2 shown]
	s_xor_b32 s16, s65, -1
	s_and_saveexec_b32 s6, s16
	s_cbranch_execz .LBB147_361
; %bb.353:                              ;   in Loop: Header=BB147_12 Depth=1
	s_mov_b32 s7, exec_lo
	v_cmpx_ge_u64_e64 s[14:15], v[2:3]
	s_xor_b32 s7, exec_lo, s7
	s_cbranch_execz .LBB147_358
; %bb.354:                              ;   in Loop: Header=BB147_12 Depth=1
	ds_read_b64 v[4:5], v13 offset:5120
	s_lshl_b32 s16, 2, s93
	v_or_b32_e32 v30, s9, v30
	v_and_or_b32 v25, v25, s24, s16
	s_waitcnt lgkmcnt(0)
	v_cmp_ne_u64_e32 vcc_lo, 0, v[4:5]
	s_cbranch_vccnz .LBB147_358
; %bb.355:                              ;   in Loop: Header=BB147_12 Depth=1
	s_and_saveexec_b32 s16, s3
; %bb.356:                              ;   in Loop: Header=BB147_12 Depth=1
	v_mov_b32_e32 v4, s14
	v_mov_b32_e32 v5, s15
	ds_write_b64 v13, v[4:5] offset:5128
; %bb.357:                              ;   in Loop: Header=BB147_12 Depth=1
	s_or_b32 exec_lo, exec_lo, s16
	s_waitcnt lgkmcnt(0)
	s_barrier
	buffer_gl0_inv
.LBB147_358:                            ;   in Loop: Header=BB147_12 Depth=1
	s_or_saveexec_b32 s7, s7
	v_mov_b32_e32 v8, 5
	s_mov_b32 s16, 0
	s_xor_b32 exec_lo, exec_lo, s7
; %bb.359:                              ;   in Loop: Header=BB147_12 Depth=1
	v_sub_co_u32 v2, vcc_lo, v2, s14
	v_subrev_co_ci_u32_e64 v3, null, s15, v3, vcc_lo
	v_mov_b32_e32 v8, 0
	s_mov_b32 s16, exec_lo
; %bb.360:                              ;   in Loop: Header=BB147_12 Depth=1
	s_or_b32 exec_lo, exec_lo, s7
	v_mov_b32_e32 v5, v3
	v_mov_b32_e32 v4, v2
	s_and_b32 s7, s16, exec_lo
.LBB147_361:                            ;   in Loop: Header=BB147_12 Depth=1
	s_or_b32 exec_lo, exec_lo, s6
	s_mov_b32 s6, -1
                                        ; implicit-def: $sgpr65
                                        ; implicit-def: $sgpr66
	s_and_saveexec_b32 s19, s7
	s_cbranch_execz .LBB147_459
; %bb.362:                              ;   in Loop: Header=BB147_12 Depth=1
	v_cmp_eq_u64_e32 vcc_lo, 1, v[4:5]
	s_cmp_eq_u64 s[12:13], 1
                                        ; implicit-def: $sgpr66
                                        ; implicit-def: $sgpr65
	s_cselect_b32 s6, -1, 0
	s_and_b32 s67, s6, vcc_lo
	s_mov_b32 s6, -1
	s_and_saveexec_b32 s68, s67
	s_cbranch_execz .LBB147_396
; %bb.363:                              ;   in Loop: Header=BB147_12 Depth=1
	ds_read_b64 v[2:3], v13 offset:5120
	s_waitcnt lgkmcnt(0)
	s_barrier
	buffer_gl0_inv
	v_readfirstlane_b32 s6, v2
	v_readfirstlane_b32 s7, v3
	s_and_saveexec_b32 s14, s8
; %bb.364:                              ;   in Loop: Header=BB147_12 Depth=1
	ds_write_b32 v26, v13
; %bb.365:                              ;   in Loop: Header=BB147_12 Depth=1
	s_or_b32 exec_lo, exec_lo, s14
	s_lshl_b32 s14, 1, s93
	v_or_b32_e32 v30, s9, v30
	v_and_or_b32 v25, v25, s24, s14
	s_mov_b32 s65, -1
	s_mov_b32 s66, 0
	s_cmp_eq_u64 s[6:7], 0
	s_mov_b32 s16, 0
	s_mov_b32 s17, -1
	s_waitcnt lgkmcnt(0)
	s_barrier
	buffer_gl0_inv
                                        ; implicit-def: $vgpr18
	s_cbranch_scc1 .LBB147_381
; %bb.366:                              ;   in Loop: Header=BB147_12 Depth=1
	s_add_u32 s58, s6, s80
	s_addc_u32 s15, s7, s81
	s_mov_b32 s14, s27
	s_cmp_lg_u64 s[14:15], 0
	s_cbranch_scc0 .LBB147_413
; %bb.367:                              ;   in Loop: Header=BB147_12 Depth=1
	v_cvt_f32_u32_e32 v2, s49
	s_sub_u32 s17, 0, s49
	s_subb_u32 s26, 0, 0
	v_fmac_f32_e64 v2, 0x4f800000, 0
	v_rcp_f32_e32 v2, v2
	v_mul_f32_e32 v2, 0x5f7ffffc, v2
	v_mul_f32_e32 v3, 0x2f800000, v2
	v_trunc_f32_e32 v3, v3
	v_fmac_f32_e32 v2, 0xcf800000, v3
	v_cvt_u32_f32_e32 v3, v3
	v_cvt_u32_f32_e32 v2, v2
	v_readfirstlane_b32 s14, v3
	v_readfirstlane_b32 s16, v2
	s_mul_i32 s44, s17, s14
	s_mul_hi_u32 s46, s17, s16
	s_mul_i32 s45, s26, s16
	s_add_i32 s44, s46, s44
	s_mul_i32 s47, s17, s16
	s_add_i32 s44, s44, s45
	s_mul_hi_u32 s46, s16, s47
	s_mul_i32 s70, s16, s44
	s_mul_hi_u32 s69, s14, s47
	s_mul_i32 s45, s14, s47
	s_mul_hi_u32 s47, s16, s44
	s_add_u32 s46, s46, s70
	s_addc_u32 s47, 0, s47
	s_mul_hi_u32 s71, s14, s44
	s_add_u32 s45, s46, s45
	s_mul_i32 s44, s14, s44
	s_addc_u32 s45, s47, s69
	s_addc_u32 s46, s71, 0
	s_add_u32 s44, s45, s44
	s_addc_u32 s45, 0, s46
	s_add_u32 s16, s16, s44
	s_cselect_b32 s44, -1, 0
	s_mul_hi_u32 s46, s17, s16
	s_cmp_lg_u32 s44, 0
	s_mul_i32 s44, s17, s16
	s_addc_u32 s14, s14, s45
	s_mul_i32 s26, s26, s16
	s_mul_i32 s17, s17, s14
	s_mul_hi_u32 s45, s16, s44
	s_add_i32 s17, s46, s17
	s_mul_hi_u32 s46, s14, s44
	s_add_i32 s17, s17, s26
	s_mul_i32 s26, s14, s44
	s_mul_i32 s69, s16, s17
	s_mul_hi_u32 s47, s16, s17
	s_add_u32 s45, s45, s69
	s_addc_u32 s47, 0, s47
	s_mul_hi_u32 s44, s14, s17
	s_add_u32 s26, s45, s26
	s_mul_i32 s17, s14, s17
	s_addc_u32 s26, s47, s46
	s_addc_u32 s44, s44, 0
	s_add_u32 s17, s26, s17
	s_addc_u32 s26, 0, s44
	s_add_u32 s16, s16, s17
	s_cselect_b32 s17, -1, 0
	s_mul_hi_u32 s44, s58, s16
	s_cmp_lg_u32 s17, 0
	s_mul_hi_u32 s17, s15, s16
	s_addc_u32 s14, s14, s26
	s_mul_i32 s16, s15, s16
	s_mul_i32 s45, s58, s14
	s_mul_hi_u32 s26, s58, s14
	s_add_u32 s44, s44, s45
	s_addc_u32 s26, 0, s26
	s_mul_hi_u32 s46, s15, s14
	s_add_u32 s16, s44, s16
	s_mul_i32 s14, s15, s14
	s_addc_u32 s16, s26, s17
	s_addc_u32 s17, s46, 0
	s_add_u32 s14, s16, s14
	s_addc_u32 s16, 0, s17
	s_mul_hi_u32 s17, s49, s14
	s_mul_i32 s16, s49, s16
	s_mul_i32 s14, s49, s14
	s_add_i32 s17, s17, s16
	s_sub_u32 s14, s58, s14
	s_cselect_b32 s16, -1, 0
	s_cmp_lg_u32 s16, 0
	s_subb_u32 s16, s15, s17
	s_sub_u32 s17, s14, s49
	s_cselect_b32 s26, -1, 0
	s_cmp_lg_u32 s26, 0
	s_subb_u32 s26, s16, 0
	s_sub_u32 s44, s17, s49
	s_cselect_b32 s45, -1, 0
	s_cmp_lg_u32 s45, 0
	s_subb_u32 s45, s26, 0
	s_cmp_ge_u32 s17, s49
	s_cselect_b32 s46, -1, 0
	s_cmp_eq_u32 s26, 0
	s_cselect_b32 s46, s46, -1
	s_cmp_lg_u32 s46, 0
	s_cselect_b32 s26, s45, s26
	s_cselect_b32 s44, s44, s17
	s_cmp_ge_u32 s14, s49
	s_cselect_b32 s17, -1, 0
	s_cmp_eq_u32 s16, 0
	s_cselect_b32 s17, s17, -1
	s_cmp_lg_u32 s17, 0
	s_cselect_b32 s17, s26, s16
	s_cselect_b32 s16, s44, s14
	s_cbranch_execnz .LBB147_369
.LBB147_368:                            ;   in Loop: Header=BB147_12 Depth=1
	v_cvt_f32_u32_e32 v2, s49
	s_sub_i32 s16, 0, s49
	v_rcp_iflag_f32_e32 v2, v2
	v_mul_f32_e32 v2, 0x4f7ffffe, v2
	v_cvt_u32_f32_e32 v2, v2
	v_readfirstlane_b32 s14, v2
	s_mul_i32 s16, s16, s14
	s_mul_hi_u32 s16, s14, s16
	s_add_i32 s14, s14, s16
	s_mul_hi_u32 s14, s58, s14
	s_mul_i32 s14, s14, s49
	s_sub_i32 s14, s58, s14
	s_sub_i32 s16, s14, s49
	s_cmp_ge_u32 s14, s49
	s_cselect_b32 s14, s16, s14
	s_sub_i32 s16, s14, s49
	s_cmp_ge_u32 s14, s49
	s_cselect_b32 s26, s16, s14
	s_mov_b64 s[16:17], s[26:27]
.LBB147_369:                            ;   in Loop: Header=BB147_12 Depth=1
	s_sub_u32 s14, s58, s16
	s_subb_u32 s15, s15, s17
	s_mov_b32 s17, 0
	s_mov_b32 s16, 0
	s_mov_b32 s26, exec_lo
                                        ; implicit-def: $vgpr18
	v_cmpx_gt_u64_e64 s[14:15], v[0:1]
	s_cbranch_execz .LBB147_380
; %bb.370:                              ;   in Loop: Header=BB147_12 Depth=1
	v_mov_b32_e32 v3, v1
	v_mov_b32_e32 v6, v14
	;; [unrolled: 1-line block ×3, first 2 shown]
                                        ; implicit-def: $sgpr58
	s_inst_prefetch 0x1
	s_branch .LBB147_373
	.p2align	6
.LBB147_371:                            ;   in Loop: Header=BB147_373 Depth=2
	s_or_b32 exec_lo, exec_lo, s69
	s_waitcnt lgkmcnt(0)
	s_barrier
	buffer_gl0_inv
	ds_read_b64 v[17:18], v13 offset:3072
	s_mov_b32 s44, -1
	s_mov_b32 s45, -1
	s_waitcnt lgkmcnt(0)
	s_barrier
	buffer_gl0_inv
	v_cmp_ne_u32_e32 vcc_lo, 0, v17
	s_cbranch_vccz .LBB147_376
.LBB147_372:                            ;   in Loop: Header=BB147_373 Depth=2
	s_and_b32 s44, exec_lo, s44
	s_or_b32 s16, s44, s16
	s_andn2_b32 s44, s58, exec_lo
	s_and_b32 s45, s45, exec_lo
	s_or_b32 s58, s44, s45
	s_andn2_b32 exec_lo, exec_lo, s16
	s_cbranch_execz .LBB147_379
.LBB147_373:                            ;   Parent Loop BB147_12 Depth=1
                                        ; =>  This Inner Loop Header: Depth=2
	s_mov_b32 s69, exec_lo
	v_cmpx_gt_u64_e64 s[6:7], v[2:3]
	s_cbranch_execz .LBB147_371
; %bb.374:                              ;   in Loop: Header=BB147_373 Depth=2
	ds_read_b32 v17, v6
	s_waitcnt lgkmcnt(0)
	v_xor_b32_e32 v7, 0x80000000, v17
	v_and_b32_e32 v7, v7, v30
	v_cmp_eq_u32_e32 vcc_lo, v7, v25
	s_and_b32 exec_lo, exec_lo, vcc_lo
	s_cbranch_execz .LBB147_371
; %bb.375:                              ;   in Loop: Header=BB147_373 Depth=2
	ds_write_b64 v13, v[16:17] offset:3072
	s_branch .LBB147_371
.LBB147_376:                            ;   in Loop: Header=BB147_373 Depth=2
	v_add_co_u32 v2, vcc_lo, v2, s49
	v_add_co_ci_u32_e64 v3, null, 0, v3, vcc_lo
	v_add_nc_u32_e32 v6, s86, v6
	s_mov_b32 s45, 0
	v_cmp_le_u64_e32 vcc_lo, s[14:15], v[2:3]
	s_orn2_b32 s44, vcc_lo, exec_lo
	s_branch .LBB147_372
.LBB147_377:                            ;   in Loop: Header=BB147_12 Depth=1
                                        ; implicit-def: $sgpr18_sgpr19
	s_branch .LBB147_323
.LBB147_378:                            ;   in Loop: Header=BB147_12 Depth=1
                                        ; implicit-def: $sgpr6_sgpr7
	s_branch .LBB147_339
.LBB147_379:                            ;   in Loop: Header=BB147_12 Depth=1
	s_inst_prefetch 0x2
	s_or_b32 exec_lo, exec_lo, s16
	s_and_b32 s16, s58, exec_lo
.LBB147_380:                            ;   in Loop: Header=BB147_12 Depth=1
	s_or_b32 exec_lo, exec_lo, s26
.LBB147_381:                            ;   in Loop: Header=BB147_12 Depth=1
	s_and_b32 vcc_lo, exec_lo, s17
	s_cbranch_vccz .LBB147_395
; %bb.382:                              ;   in Loop: Header=BB147_12 Depth=1
	s_mov_b32 s58, s27
	s_cmp_lg_u64 s[58:59], 0
	s_cbranch_scc0 .LBB147_414
; %bb.383:                              ;   in Loop: Header=BB147_12 Depth=1
	v_cvt_f32_u32_e32 v2, s49
	s_sub_u32 s14, 0, s49
	s_subb_u32 s15, 0, 0
	v_fmac_f32_e64 v2, 0x4f800000, 0
	v_rcp_f32_e32 v2, v2
	v_mul_f32_e32 v2, 0x5f7ffffc, v2
	v_mul_f32_e32 v3, 0x2f800000, v2
	v_trunc_f32_e32 v3, v3
	v_fmac_f32_e32 v2, 0xcf800000, v3
	v_cvt_u32_f32_e32 v3, v3
	v_cvt_u32_f32_e32 v2, v2
	v_readfirstlane_b32 s6, v3
	v_readfirstlane_b32 s7, v2
	s_mul_i32 s17, s14, s6
	s_mul_hi_u32 s44, s14, s7
	s_mul_i32 s26, s15, s7
	s_add_i32 s17, s44, s17
	s_mul_i32 s45, s14, s7
	s_add_i32 s17, s17, s26
	s_mul_hi_u32 s44, s7, s45
	s_mul_i32 s47, s7, s17
	s_mul_hi_u32 s46, s6, s45
	s_mul_i32 s26, s6, s45
	s_mul_hi_u32 s45, s7, s17
	s_add_u32 s44, s44, s47
	s_addc_u32 s45, 0, s45
	s_mul_hi_u32 s58, s6, s17
	s_add_u32 s26, s44, s26
	s_mul_i32 s17, s6, s17
	s_addc_u32 s26, s45, s46
	s_addc_u32 s44, s58, 0
	s_add_u32 s17, s26, s17
	s_addc_u32 s26, 0, s44
	s_add_u32 s7, s7, s17
	s_cselect_b32 s17, -1, 0
	s_mul_hi_u32 s44, s14, s7
	s_cmp_lg_u32 s17, 0
	s_mul_i32 s17, s14, s7
	s_addc_u32 s6, s6, s26
	s_mul_i32 s15, s15, s7
	s_mul_i32 s14, s14, s6
	s_mul_hi_u32 s26, s7, s17
	s_add_i32 s14, s44, s14
	s_mul_hi_u32 s44, s6, s17
	s_add_i32 s14, s14, s15
	s_mul_i32 s15, s6, s17
	s_mul_i32 s46, s7, s14
	s_mul_hi_u32 s45, s7, s14
	s_add_u32 s26, s26, s46
	s_addc_u32 s45, 0, s45
	s_mul_hi_u32 s17, s6, s14
	s_add_u32 s15, s26, s15
	s_mul_i32 s14, s6, s14
	s_addc_u32 s15, s45, s44
	s_addc_u32 s17, s17, 0
	s_add_u32 s14, s15, s14
	s_addc_u32 s15, 0, s17
	s_add_u32 s7, s7, s14
	s_cselect_b32 s14, -1, 0
	s_mul_hi_u32 s17, s82, s7
	s_cmp_lg_u32 s14, 0
	s_mul_hi_u32 s14, s59, s7
	s_addc_u32 s6, s6, s15
	s_mul_i32 s7, s59, s7
	s_mul_i32 s26, s82, s6
	s_mul_hi_u32 s15, s82, s6
	s_add_u32 s17, s17, s26
	s_addc_u32 s15, 0, s15
	s_mul_hi_u32 s44, s59, s6
	s_add_u32 s7, s17, s7
	s_mul_i32 s6, s59, s6
	s_addc_u32 s7, s15, s14
	s_addc_u32 s14, s44, 0
	s_add_u32 s6, s7, s6
	s_addc_u32 s7, 0, s14
	s_mul_hi_u32 s14, s49, s6
	s_mul_i32 s7, s49, s7
	s_mul_i32 s6, s49, s6
	s_add_i32 s14, s14, s7
	s_sub_u32 s6, s82, s6
	s_cselect_b32 s7, -1, 0
	s_cmp_lg_u32 s7, 0
	s_subb_u32 s7, s59, s14
	s_sub_u32 s14, s6, s49
	s_cselect_b32 s15, -1, 0
	s_cmp_lg_u32 s15, 0
	s_subb_u32 s15, s7, 0
	;; [unrolled: 4-line block ×3, first 2 shown]
	s_cmp_ge_u32 s14, s49
	s_cselect_b32 s44, -1, 0
	s_cmp_eq_u32 s15, 0
	s_cselect_b32 s44, s44, -1
	s_cmp_lg_u32 s44, 0
	s_cselect_b32 s15, s26, s15
	s_cselect_b32 s14, s17, s14
	s_cmp_ge_u32 s6, s49
	s_cselect_b32 s17, -1, 0
	s_cmp_eq_u32 s7, 0
	s_cselect_b32 s17, s17, -1
	s_cmp_lg_u32 s17, 0
	s_cselect_b32 s7, s15, s7
	s_cselect_b32 s6, s14, s6
	s_cbranch_execnz .LBB147_385
.LBB147_384:                            ;   in Loop: Header=BB147_12 Depth=1
	v_cvt_f32_u32_e32 v2, s49
	s_sub_i32 s7, 0, s49
	v_rcp_iflag_f32_e32 v2, v2
	v_mul_f32_e32 v2, 0x4f7ffffe, v2
	v_cvt_u32_f32_e32 v2, v2
	v_readfirstlane_b32 s6, v2
	s_mul_i32 s7, s7, s6
	s_mul_hi_u32 s7, s6, s7
	s_add_i32 s6, s6, s7
	s_mul_hi_u32 s6, s82, s6
	s_mul_i32 s6, s6, s49
	s_sub_i32 s6, s82, s6
	s_sub_i32 s7, s6, s49
	s_cmp_ge_u32 s6, s49
	s_cselect_b32 s6, s7, s6
	s_sub_i32 s7, s6, s49
	s_cmp_ge_u32 s6, s49
	s_cselect_b32 s26, s7, s6
	s_mov_b64 s[6:7], s[26:27]
.LBB147_385:                            ;   in Loop: Header=BB147_12 Depth=1
	s_sub_u32 s6, s82, s6
	s_subb_u32 s7, s59, s7
	s_mov_b32 s14, exec_lo
                                        ; implicit-def: $vgpr18
	v_cmpx_gt_u64_e64 s[6:7], v[0:1]
	s_cbranch_execz .LBB147_394
; %bb.386:                              ;   in Loop: Header=BB147_12 Depth=1
	v_mov_b32_e32 v3, v1
	v_mov_b32_e32 v2, v0
	s_mov_b32 s15, 0
                                        ; implicit-def: $sgpr17
	s_branch .LBB147_389
.LBB147_387:                            ;   in Loop: Header=BB147_389 Depth=2
	s_or_b32 exec_lo, exec_lo, s26
	s_waitcnt lgkmcnt(0)
	s_barrier
	buffer_gl0_inv
	ds_read_b64 v[17:18], v13 offset:3072
	s_mov_b32 s44, -1
	s_mov_b32 s26, -1
	s_waitcnt lgkmcnt(0)
	s_barrier
	buffer_gl0_inv
	v_cmp_eq_u32_e32 vcc_lo, 0, v17
	s_cbranch_vccnz .LBB147_392
.LBB147_388:                            ;   in Loop: Header=BB147_389 Depth=2
	s_and_b32 s44, exec_lo, s44
	s_or_b32 s15, s44, s15
	s_andn2_b32 s17, s17, exec_lo
	s_and_b32 s26, s26, exec_lo
	s_or_b32 s17, s17, s26
	s_andn2_b32 exec_lo, exec_lo, s15
	s_cbranch_execz .LBB147_393
.LBB147_389:                            ;   Parent Loop BB147_12 Depth=1
                                        ; =>  This Inner Loop Header: Depth=2
	s_mov_b32 s26, exec_lo
	v_cmpx_gt_u64_e64 s[36:37], v[2:3]
	s_cbranch_execz .LBB147_387
; %bb.390:                              ;   in Loop: Header=BB147_389 Depth=2
	v_mul_lo_u32 v9, v3, s30
	v_mul_lo_u32 v12, v2, s31
	v_mad_u64_u32 v[6:7], null, v2, s30, 0
	v_add3_u32 v7, v7, v12, v9
	v_lshlrev_b64 v[6:7], 2, v[6:7]
	v_add_co_u32 v6, vcc_lo, s33, v6
	v_add_co_ci_u32_e64 v7, null, s35, v7, vcc_lo
	global_load_dword v17, v[6:7], off
	s_waitcnt vmcnt(0)
	v_xor_b32_e32 v6, 0x80000000, v17
	v_and_b32_e32 v6, v6, v30
	v_cmp_eq_u32_e32 vcc_lo, v6, v25
	s_and_b32 exec_lo, exec_lo, vcc_lo
	s_cbranch_execz .LBB147_387
; %bb.391:                              ;   in Loop: Header=BB147_389 Depth=2
	ds_write_b64 v13, v[16:17] offset:3072
	s_branch .LBB147_387
.LBB147_392:                            ;   in Loop: Header=BB147_389 Depth=2
	v_add_co_u32 v2, vcc_lo, v2, s49
	v_add_co_ci_u32_e64 v3, null, 0, v3, vcc_lo
	s_mov_b32 s26, 0
	v_cmp_le_u64_e32 vcc_lo, s[6:7], v[2:3]
	s_orn2_b32 s44, vcc_lo, exec_lo
	s_branch .LBB147_388
.LBB147_393:                            ;   in Loop: Header=BB147_12 Depth=1
	s_or_b32 exec_lo, exec_lo, s15
	s_andn2_b32 s6, s16, exec_lo
	s_and_b32 s7, s17, exec_lo
	s_or_b32 s16, s6, s7
.LBB147_394:                            ;   in Loop: Header=BB147_12 Depth=1
	s_or_b32 exec_lo, exec_lo, s14
	s_mov_b32 s65, 0
	s_mov_b32 s66, -1
.LBB147_395:                            ;   in Loop: Header=BB147_12 Depth=1
	s_orn2_b32 s6, s16, exec_lo
.LBB147_396:                            ;   in Loop: Header=BB147_12 Depth=1
	s_or_b32 exec_lo, exec_lo, s68
	s_mov_b32 s7, 0
	s_and_saveexec_b32 s16, s6
	s_cbranch_execz .LBB147_458
; %bb.397:                              ;   in Loop: Header=BB147_12 Depth=1
	v_mov_b32_e32 v2, 1
	v_mov_b32_e32 v3, 0
	v_mov_b32_e32 v8, 1
	s_xor_b32 s14, s67, -1
	s_and_saveexec_b32 s6, s14
	s_cbranch_execz .LBB147_406
; %bb.398:                              ;   in Loop: Header=BB147_12 Depth=1
	s_mov_b32 s7, exec_lo
	v_cmpx_ge_u64_e64 s[12:13], v[4:5]
	s_xor_b32 s7, exec_lo, s7
	s_cbranch_execz .LBB147_403
; %bb.399:                              ;   in Loop: Header=BB147_12 Depth=1
	ds_read_b64 v[2:3], v13 offset:5120
	s_lshl_b32 s14, 1, s93
	v_or_b32_e32 v30, s9, v30
	v_and_or_b32 v25, v25, s24, s14
	s_waitcnt lgkmcnt(0)
	v_cmp_ne_u64_e32 vcc_lo, 0, v[2:3]
	s_cbranch_vccnz .LBB147_403
; %bb.400:                              ;   in Loop: Header=BB147_12 Depth=1
	s_and_saveexec_b32 s14, s3
; %bb.401:                              ;   in Loop: Header=BB147_12 Depth=1
	v_mov_b32_e32 v2, s12
	v_mov_b32_e32 v3, s13
	ds_write_b64 v13, v[2:3] offset:5128
; %bb.402:                              ;   in Loop: Header=BB147_12 Depth=1
	s_or_b32 exec_lo, exec_lo, s14
	s_waitcnt lgkmcnt(0)
	s_barrier
	buffer_gl0_inv
.LBB147_403:                            ;   in Loop: Header=BB147_12 Depth=1
	s_or_saveexec_b32 s7, s7
	v_mov_b32_e32 v8, 5
	s_mov_b32 s14, 0
	s_xor_b32 exec_lo, exec_lo, s7
; %bb.404:                              ;   in Loop: Header=BB147_12 Depth=1
	v_sub_co_u32 v4, vcc_lo, v4, s12
	v_subrev_co_ci_u32_e64 v5, null, s13, v5, vcc_lo
	v_mov_b32_e32 v8, 0
	s_mov_b32 s14, exec_lo
; %bb.405:                              ;   in Loop: Header=BB147_12 Depth=1
	s_or_b32 exec_lo, exec_lo, s7
	v_mov_b32_e32 v2, v4
	v_mov_b32_e32 v3, v5
	s_and_b32 s7, s14, exec_lo
.LBB147_406:                            ;   in Loop: Header=BB147_12 Depth=1
	s_or_b32 exec_lo, exec_lo, s6
	s_mov_b32 s6, -1
                                        ; implicit-def: $sgpr69
                                        ; implicit-def: $sgpr58
	s_and_saveexec_b32 s17, s7
	s_cbranch_execz .LBB147_457
; %bb.407:                              ;   in Loop: Header=BB147_12 Depth=1
	v_cmp_eq_u64_e32 vcc_lo, 1, v[2:3]
	s_cmp_eq_u64 s[10:11], 1
	s_mov_b32 s7, -1
	s_cselect_b32 s6, -1, 0
                                        ; implicit-def: $sgpr69
                                        ; implicit-def: $sgpr58
	s_and_b32 s67, s6, vcc_lo
	s_and_saveexec_b32 s68, s67
	s_cbranch_execz .LBB147_445
; %bb.408:                              ;   in Loop: Header=BB147_12 Depth=1
	ds_read_b64 v[4:5], v13 offset:5120
	s_waitcnt lgkmcnt(0)
	s_barrier
	buffer_gl0_inv
	v_readfirstlane_b32 s6, v4
	v_readfirstlane_b32 s7, v5
	s_and_saveexec_b32 s12, s8
; %bb.409:                              ;   in Loop: Header=BB147_12 Depth=1
	ds_write_b32 v26, v13
; %bb.410:                              ;   in Loop: Header=BB147_12 Depth=1
	s_or_b32 exec_lo, exec_lo, s12
	v_and_b32_e32 v25, s24, v25
	v_or_b32_e32 v30, s9, v30
	s_mov_b32 s58, -1
	s_mov_b32 s69, 0
	s_cmp_eq_u64 s[6:7], 0
	s_mov_b32 s14, 0
	s_mov_b32 s15, -1
	s_waitcnt lgkmcnt(0)
	s_barrier
	buffer_gl0_inv
                                        ; implicit-def: $vgpr18
	s_cbranch_scc1 .LBB147_428
; %bb.411:                              ;   in Loop: Header=BB147_12 Depth=1
	s_add_u32 s70, s6, s80
	s_addc_u32 s13, s7, s81
	s_mov_b32 s12, s27
	s_cmp_lg_u64 s[12:13], 0
	s_cbranch_scc0 .LBB147_415
; %bb.412:                              ;   in Loop: Header=BB147_12 Depth=1
	v_cvt_f32_u32_e32 v4, s49
	s_sub_u32 s15, 0, s49
	s_subb_u32 s26, 0, 0
	v_fmac_f32_e64 v4, 0x4f800000, 0
	v_rcp_f32_e32 v4, v4
	v_mul_f32_e32 v4, 0x5f7ffffc, v4
	v_mul_f32_e32 v5, 0x2f800000, v4
	v_trunc_f32_e32 v5, v5
	v_fmac_f32_e32 v4, 0xcf800000, v5
	v_cvt_u32_f32_e32 v5, v5
	v_cvt_u32_f32_e32 v4, v4
	v_readfirstlane_b32 s12, v5
	v_readfirstlane_b32 s14, v4
	s_mul_i32 s44, s15, s12
	s_mul_hi_u32 s46, s15, s14
	s_mul_i32 s45, s26, s14
	s_add_i32 s44, s46, s44
	s_mul_i32 s47, s15, s14
	s_add_i32 s44, s44, s45
	s_mul_hi_u32 s46, s14, s47
	s_mul_i32 s72, s14, s44
	s_mul_hi_u32 s71, s12, s47
	s_mul_i32 s45, s12, s47
	s_mul_hi_u32 s47, s14, s44
	s_add_u32 s46, s46, s72
	s_addc_u32 s47, 0, s47
	s_mul_hi_u32 s73, s12, s44
	s_add_u32 s45, s46, s45
	s_mul_i32 s44, s12, s44
	s_addc_u32 s45, s47, s71
	s_addc_u32 s46, s73, 0
	s_add_u32 s44, s45, s44
	s_addc_u32 s45, 0, s46
	s_add_u32 s14, s14, s44
	s_cselect_b32 s44, -1, 0
	s_mul_hi_u32 s46, s15, s14
	s_cmp_lg_u32 s44, 0
	s_mul_i32 s44, s15, s14
	s_addc_u32 s12, s12, s45
	s_mul_i32 s26, s26, s14
	s_mul_i32 s15, s15, s12
	s_mul_hi_u32 s45, s14, s44
	s_add_i32 s15, s46, s15
	s_mul_hi_u32 s46, s12, s44
	s_add_i32 s15, s15, s26
	s_mul_i32 s26, s12, s44
	s_mul_i32 s71, s14, s15
	s_mul_hi_u32 s47, s14, s15
	s_add_u32 s45, s45, s71
	s_addc_u32 s47, 0, s47
	s_mul_hi_u32 s44, s12, s15
	s_add_u32 s26, s45, s26
	s_mul_i32 s15, s12, s15
	s_addc_u32 s26, s47, s46
	s_addc_u32 s44, s44, 0
	s_add_u32 s15, s26, s15
	s_addc_u32 s26, 0, s44
	s_add_u32 s14, s14, s15
	s_cselect_b32 s15, -1, 0
	s_mul_hi_u32 s44, s70, s14
	s_cmp_lg_u32 s15, 0
	s_mul_hi_u32 s15, s13, s14
	s_addc_u32 s12, s12, s26
	s_mul_i32 s14, s13, s14
	s_mul_i32 s45, s70, s12
	s_mul_hi_u32 s26, s70, s12
	s_add_u32 s44, s44, s45
	s_addc_u32 s26, 0, s26
	s_mul_hi_u32 s46, s13, s12
	s_add_u32 s14, s44, s14
	s_mul_i32 s12, s13, s12
	s_addc_u32 s14, s26, s15
	s_addc_u32 s15, s46, 0
	s_add_u32 s12, s14, s12
	s_addc_u32 s14, 0, s15
	s_mul_hi_u32 s15, s49, s12
	s_mul_i32 s14, s49, s14
	s_mul_i32 s12, s49, s12
	s_add_i32 s15, s15, s14
	s_sub_u32 s12, s70, s12
	s_cselect_b32 s14, -1, 0
	s_cmp_lg_u32 s14, 0
	s_subb_u32 s14, s13, s15
	s_sub_u32 s15, s12, s49
	s_cselect_b32 s26, -1, 0
	s_cmp_lg_u32 s26, 0
	s_subb_u32 s26, s14, 0
	;; [unrolled: 4-line block ×3, first 2 shown]
	s_cmp_ge_u32 s15, s49
	s_cselect_b32 s46, -1, 0
	s_cmp_eq_u32 s26, 0
	s_cselect_b32 s46, s46, -1
	s_cmp_lg_u32 s46, 0
	s_cselect_b32 s26, s45, s26
	s_cselect_b32 s44, s44, s15
	s_cmp_ge_u32 s12, s49
	s_cselect_b32 s15, -1, 0
	s_cmp_eq_u32 s14, 0
	s_cselect_b32 s15, s15, -1
	s_cmp_lg_u32 s15, 0
	s_cselect_b32 s15, s26, s14
	s_cselect_b32 s14, s44, s12
	s_mov_b32 s12, 0
	s_branch .LBB147_416
.LBB147_413:                            ;   in Loop: Header=BB147_12 Depth=1
                                        ; implicit-def: $sgpr16_sgpr17
	s_branch .LBB147_368
.LBB147_414:                            ;   in Loop: Header=BB147_12 Depth=1
                                        ; implicit-def: $sgpr6_sgpr7
	s_branch .LBB147_384
.LBB147_415:                            ;   in Loop: Header=BB147_12 Depth=1
	s_mov_b32 s12, -1
                                        ; implicit-def: $sgpr14_sgpr15
.LBB147_416:                            ;   in Loop: Header=BB147_12 Depth=1
	s_andn2_b32 vcc_lo, exec_lo, s12
	s_cbranch_vccnz .LBB147_418
; %bb.417:                              ;   in Loop: Header=BB147_12 Depth=1
	v_cvt_f32_u32_e32 v4, s49
	s_sub_i32 s14, 0, s49
	v_rcp_iflag_f32_e32 v4, v4
	v_mul_f32_e32 v4, 0x4f7ffffe, v4
	v_cvt_u32_f32_e32 v4, v4
	v_readfirstlane_b32 s12, v4
	s_mul_i32 s14, s14, s12
	s_mul_hi_u32 s14, s12, s14
	s_add_i32 s12, s12, s14
	s_mul_hi_u32 s12, s70, s12
	s_mul_i32 s12, s12, s49
	s_sub_i32 s12, s70, s12
	s_sub_i32 s14, s12, s49
	s_cmp_ge_u32 s12, s49
	s_cselect_b32 s12, s14, s12
	s_sub_i32 s14, s12, s49
	s_cmp_ge_u32 s12, s49
	s_cselect_b32 s26, s14, s12
	s_mov_b64 s[14:15], s[26:27]
.LBB147_418:                            ;   in Loop: Header=BB147_12 Depth=1
	s_sub_u32 s12, s70, s14
	s_subb_u32 s13, s13, s15
	s_mov_b32 s15, 0
	s_mov_b32 s14, 0
	s_mov_b32 s26, exec_lo
                                        ; implicit-def: $vgpr18
	v_cmpx_gt_u64_e64 s[12:13], v[0:1]
	s_cbranch_execz .LBB147_427
; %bb.419:                              ;   in Loop: Header=BB147_12 Depth=1
	v_mov_b32_e32 v5, v1
	v_mov_b32_e32 v6, v14
	;; [unrolled: 1-line block ×3, first 2 shown]
                                        ; implicit-def: $sgpr70
	s_inst_prefetch 0x1
	s_branch .LBB147_422
	.p2align	6
.LBB147_420:                            ;   in Loop: Header=BB147_422 Depth=2
	s_or_b32 exec_lo, exec_lo, s71
	s_waitcnt lgkmcnt(0)
	s_barrier
	buffer_gl0_inv
	ds_read_b64 v[17:18], v13 offset:3072
	s_mov_b32 s44, -1
	s_mov_b32 s45, -1
	s_waitcnt lgkmcnt(0)
	s_barrier
	buffer_gl0_inv
	v_cmp_ne_u32_e32 vcc_lo, 0, v17
	s_cbranch_vccz .LBB147_425
.LBB147_421:                            ;   in Loop: Header=BB147_422 Depth=2
	s_and_b32 s44, exec_lo, s44
	s_or_b32 s14, s44, s14
	s_andn2_b32 s44, s70, exec_lo
	s_and_b32 s45, s45, exec_lo
	s_or_b32 s70, s44, s45
	s_andn2_b32 exec_lo, exec_lo, s14
	s_cbranch_execz .LBB147_426
.LBB147_422:                            ;   Parent Loop BB147_12 Depth=1
                                        ; =>  This Inner Loop Header: Depth=2
	s_mov_b32 s71, exec_lo
	v_cmpx_gt_u64_e64 s[6:7], v[4:5]
	s_cbranch_execz .LBB147_420
; %bb.423:                              ;   in Loop: Header=BB147_422 Depth=2
	ds_read_b32 v17, v6
	s_waitcnt lgkmcnt(0)
	v_xor_b32_e32 v7, 0x80000000, v17
	v_and_b32_e32 v7, v7, v30
	v_cmp_eq_u32_e32 vcc_lo, v7, v25
	s_and_b32 exec_lo, exec_lo, vcc_lo
	s_cbranch_execz .LBB147_420
; %bb.424:                              ;   in Loop: Header=BB147_422 Depth=2
	ds_write_b64 v13, v[16:17] offset:3072
	s_branch .LBB147_420
.LBB147_425:                            ;   in Loop: Header=BB147_422 Depth=2
	v_add_co_u32 v4, vcc_lo, v4, s49
	v_add_co_ci_u32_e64 v5, null, 0, v5, vcc_lo
	v_add_nc_u32_e32 v6, s86, v6
	s_mov_b32 s45, 0
	v_cmp_le_u64_e32 vcc_lo, s[12:13], v[4:5]
	s_orn2_b32 s44, vcc_lo, exec_lo
	s_branch .LBB147_421
.LBB147_426:                            ;   in Loop: Header=BB147_12 Depth=1
	s_inst_prefetch 0x2
	s_or_b32 exec_lo, exec_lo, s14
	s_and_b32 s14, s70, exec_lo
.LBB147_427:                            ;   in Loop: Header=BB147_12 Depth=1
	s_or_b32 exec_lo, exec_lo, s26
.LBB147_428:                            ;   in Loop: Header=BB147_12 Depth=1
	s_and_b32 vcc_lo, exec_lo, s15
	s_cbranch_vccz .LBB147_444
; %bb.429:                              ;   in Loop: Header=BB147_12 Depth=1
	s_mov_b32 s58, s27
	s_cmp_lg_u64 s[58:59], 0
	s_cbranch_scc0 .LBB147_431
; %bb.430:                              ;   in Loop: Header=BB147_12 Depth=1
	v_cvt_f32_u32_e32 v4, s49
	s_sub_u32 s12, 0, s49
	s_subb_u32 s13, 0, 0
	v_fmac_f32_e64 v4, 0x4f800000, 0
	v_rcp_f32_e32 v4, v4
	v_mul_f32_e32 v4, 0x5f7ffffc, v4
	v_mul_f32_e32 v5, 0x2f800000, v4
	v_trunc_f32_e32 v5, v5
	v_fmac_f32_e32 v4, 0xcf800000, v5
	v_cvt_u32_f32_e32 v5, v5
	v_cvt_u32_f32_e32 v4, v4
	v_readfirstlane_b32 s6, v5
	v_readfirstlane_b32 s7, v4
	s_mul_i32 s15, s12, s6
	s_mul_hi_u32 s44, s12, s7
	s_mul_i32 s26, s13, s7
	s_add_i32 s15, s44, s15
	s_mul_i32 s45, s12, s7
	s_add_i32 s15, s15, s26
	s_mul_hi_u32 s44, s7, s45
	s_mul_i32 s47, s7, s15
	s_mul_hi_u32 s46, s6, s45
	s_mul_i32 s26, s6, s45
	s_mul_hi_u32 s45, s7, s15
	s_add_u32 s44, s44, s47
	s_addc_u32 s45, 0, s45
	s_mul_hi_u32 s58, s6, s15
	s_add_u32 s26, s44, s26
	s_mul_i32 s15, s6, s15
	s_addc_u32 s26, s45, s46
	s_addc_u32 s44, s58, 0
	s_add_u32 s15, s26, s15
	s_addc_u32 s26, 0, s44
	s_add_u32 s7, s7, s15
	s_cselect_b32 s15, -1, 0
	s_mul_hi_u32 s44, s12, s7
	s_cmp_lg_u32 s15, 0
	s_mul_i32 s15, s12, s7
	s_addc_u32 s6, s6, s26
	s_mul_i32 s13, s13, s7
	s_mul_i32 s12, s12, s6
	s_mul_hi_u32 s26, s7, s15
	s_add_i32 s12, s44, s12
	s_mul_hi_u32 s44, s6, s15
	s_add_i32 s12, s12, s13
	s_mul_i32 s13, s6, s15
	s_mul_i32 s46, s7, s12
	s_mul_hi_u32 s45, s7, s12
	s_add_u32 s26, s26, s46
	s_addc_u32 s45, 0, s45
	s_mul_hi_u32 s15, s6, s12
	s_add_u32 s13, s26, s13
	s_mul_i32 s12, s6, s12
	s_addc_u32 s13, s45, s44
	s_addc_u32 s15, s15, 0
	s_add_u32 s12, s13, s12
	s_addc_u32 s13, 0, s15
	s_add_u32 s7, s7, s12
	s_cselect_b32 s12, -1, 0
	s_mul_hi_u32 s15, s82, s7
	s_cmp_lg_u32 s12, 0
	s_mul_hi_u32 s12, s59, s7
	s_addc_u32 s6, s6, s13
	s_mul_i32 s7, s59, s7
	s_mul_i32 s26, s82, s6
	s_mul_hi_u32 s13, s82, s6
	s_add_u32 s15, s15, s26
	s_addc_u32 s13, 0, s13
	s_mul_hi_u32 s44, s59, s6
	s_add_u32 s7, s15, s7
	s_mul_i32 s6, s59, s6
	s_addc_u32 s7, s13, s12
	s_addc_u32 s12, s44, 0
	s_add_u32 s6, s7, s6
	s_addc_u32 s7, 0, s12
	s_mul_hi_u32 s12, s49, s6
	s_mul_i32 s7, s49, s7
	s_mul_i32 s6, s49, s6
	s_add_i32 s12, s12, s7
	s_sub_u32 s6, s82, s6
	s_cselect_b32 s7, -1, 0
	s_cmp_lg_u32 s7, 0
	s_subb_u32 s7, s59, s12
	s_sub_u32 s12, s6, s49
	s_cselect_b32 s13, -1, 0
	s_cmp_lg_u32 s13, 0
	s_subb_u32 s13, s7, 0
	;; [unrolled: 4-line block ×3, first 2 shown]
	s_cmp_ge_u32 s12, s49
	s_cselect_b32 s44, -1, 0
	s_cmp_eq_u32 s13, 0
	s_cselect_b32 s44, s44, -1
	s_cmp_lg_u32 s44, 0
	s_cselect_b32 s13, s26, s13
	s_cselect_b32 s12, s15, s12
	s_cmp_ge_u32 s6, s49
	s_cselect_b32 s15, -1, 0
	s_cmp_eq_u32 s7, 0
	s_cselect_b32 s15, s15, -1
	s_cmp_lg_u32 s15, 0
	s_cselect_b32 s7, s13, s7
	s_cselect_b32 s6, s12, s6
	s_mov_b32 s12, 0
	s_branch .LBB147_432
.LBB147_431:                            ;   in Loop: Header=BB147_12 Depth=1
	s_mov_b32 s12, -1
                                        ; implicit-def: $sgpr6_sgpr7
.LBB147_432:                            ;   in Loop: Header=BB147_12 Depth=1
	s_andn2_b32 vcc_lo, exec_lo, s12
	s_cbranch_vccnz .LBB147_434
; %bb.433:                              ;   in Loop: Header=BB147_12 Depth=1
	v_cvt_f32_u32_e32 v4, s49
	s_sub_i32 s7, 0, s49
	v_rcp_iflag_f32_e32 v4, v4
	v_mul_f32_e32 v4, 0x4f7ffffe, v4
	v_cvt_u32_f32_e32 v4, v4
	v_readfirstlane_b32 s6, v4
	s_mul_i32 s7, s7, s6
	s_mul_hi_u32 s7, s6, s7
	s_add_i32 s6, s6, s7
	s_mul_hi_u32 s6, s82, s6
	s_mul_i32 s6, s6, s49
	s_sub_i32 s6, s82, s6
	s_sub_i32 s7, s6, s49
	s_cmp_ge_u32 s6, s49
	s_cselect_b32 s6, s7, s6
	s_sub_i32 s7, s6, s49
	s_cmp_ge_u32 s6, s49
	s_cselect_b32 s26, s7, s6
	s_mov_b64 s[6:7], s[26:27]
.LBB147_434:                            ;   in Loop: Header=BB147_12 Depth=1
	s_sub_u32 s6, s82, s6
	s_subb_u32 s7, s59, s7
	s_mov_b32 s12, exec_lo
                                        ; implicit-def: $vgpr18
	v_cmpx_gt_u64_e64 s[6:7], v[0:1]
	s_cbranch_execz .LBB147_443
; %bb.435:                              ;   in Loop: Header=BB147_12 Depth=1
	v_mov_b32_e32 v5, v1
	v_mov_b32_e32 v4, v0
	s_mov_b32 s13, 0
                                        ; implicit-def: $sgpr15
	s_branch .LBB147_438
.LBB147_436:                            ;   in Loop: Header=BB147_438 Depth=2
	s_or_b32 exec_lo, exec_lo, s26
	s_waitcnt lgkmcnt(0)
	s_barrier
	buffer_gl0_inv
	ds_read_b64 v[17:18], v13 offset:3072
	s_mov_b32 s44, -1
	s_mov_b32 s26, -1
	s_waitcnt lgkmcnt(0)
	s_barrier
	buffer_gl0_inv
	v_cmp_eq_u32_e32 vcc_lo, 0, v17
	s_cbranch_vccnz .LBB147_441
.LBB147_437:                            ;   in Loop: Header=BB147_438 Depth=2
	s_and_b32 s44, exec_lo, s44
	s_or_b32 s13, s44, s13
	s_andn2_b32 s15, s15, exec_lo
	s_and_b32 s26, s26, exec_lo
	s_or_b32 s15, s15, s26
	s_andn2_b32 exec_lo, exec_lo, s13
	s_cbranch_execz .LBB147_442
.LBB147_438:                            ;   Parent Loop BB147_12 Depth=1
                                        ; =>  This Inner Loop Header: Depth=2
	s_mov_b32 s26, exec_lo
	v_cmpx_gt_u64_e64 s[36:37], v[4:5]
	s_cbranch_execz .LBB147_436
; %bb.439:                              ;   in Loop: Header=BB147_438 Depth=2
	v_mul_lo_u32 v9, v5, s30
	v_mul_lo_u32 v12, v4, s31
	v_mad_u64_u32 v[6:7], null, v4, s30, 0
	v_add3_u32 v7, v7, v12, v9
	v_lshlrev_b64 v[6:7], 2, v[6:7]
	v_add_co_u32 v6, vcc_lo, s33, v6
	v_add_co_ci_u32_e64 v7, null, s35, v7, vcc_lo
	global_load_dword v17, v[6:7], off
	s_waitcnt vmcnt(0)
	v_xor_b32_e32 v6, 0x80000000, v17
	v_and_b32_e32 v6, v6, v30
	v_cmp_eq_u32_e32 vcc_lo, v6, v25
	s_and_b32 exec_lo, exec_lo, vcc_lo
	s_cbranch_execz .LBB147_436
; %bb.440:                              ;   in Loop: Header=BB147_438 Depth=2
	ds_write_b64 v13, v[16:17] offset:3072
	s_branch .LBB147_436
.LBB147_441:                            ;   in Loop: Header=BB147_438 Depth=2
	v_add_co_u32 v4, vcc_lo, v4, s49
	v_add_co_ci_u32_e64 v5, null, 0, v5, vcc_lo
	s_mov_b32 s26, 0
	v_cmp_le_u64_e32 vcc_lo, s[6:7], v[4:5]
	s_orn2_b32 s44, vcc_lo, exec_lo
	s_branch .LBB147_437
.LBB147_442:                            ;   in Loop: Header=BB147_12 Depth=1
	s_or_b32 exec_lo, exec_lo, s13
	s_andn2_b32 s6, s14, exec_lo
	s_and_b32 s7, s15, exec_lo
	s_or_b32 s14, s6, s7
.LBB147_443:                            ;   in Loop: Header=BB147_12 Depth=1
	s_or_b32 exec_lo, exec_lo, s12
	s_mov_b32 s58, 0
	s_mov_b32 s69, -1
.LBB147_444:                            ;   in Loop: Header=BB147_12 Depth=1
	s_orn2_b32 s7, s14, exec_lo
.LBB147_445:                            ;   in Loop: Header=BB147_12 Depth=1
	s_or_b32 exec_lo, exec_lo, s68
	s_mov_b32 s12, 0
	s_and_saveexec_b32 s6, s7
	s_cbranch_execz .LBB147_456
; %bb.446:                              ;   in Loop: Header=BB147_12 Depth=1
	v_mov_b32_e32 v4, 1
	v_mov_b32_e32 v5, 0
	;; [unrolled: 1-line block ×3, first 2 shown]
	s_xor_b32 s12, s67, -1
	s_and_saveexec_b32 s7, s12
	s_cbranch_execz .LBB147_455
; %bb.447:                              ;   in Loop: Header=BB147_12 Depth=1
	s_mov_b32 s12, exec_lo
	v_cmpx_ge_u64_e64 s[10:11], v[2:3]
	s_xor_b32 s12, exec_lo, s12
	s_cbranch_execz .LBB147_452
; %bb.448:                              ;   in Loop: Header=BB147_12 Depth=1
	ds_read_b64 v[4:5], v13 offset:5120
	v_and_b32_e32 v25, s24, v25
	v_or_b32_e32 v30, s9, v30
	s_waitcnt lgkmcnt(0)
	v_cmp_ne_u64_e32 vcc_lo, 0, v[4:5]
	s_cbranch_vccnz .LBB147_452
; %bb.449:                              ;   in Loop: Header=BB147_12 Depth=1
	s_and_saveexec_b32 s9, s3
; %bb.450:                              ;   in Loop: Header=BB147_12 Depth=1
	v_mov_b32_e32 v4, s10
	v_mov_b32_e32 v5, s11
	ds_write_b64 v13, v[4:5] offset:5128
; %bb.451:                              ;   in Loop: Header=BB147_12 Depth=1
	s_or_b32 exec_lo, exec_lo, s9
	s_waitcnt lgkmcnt(0)
	s_barrier
	buffer_gl0_inv
.LBB147_452:                            ;   in Loop: Header=BB147_12 Depth=1
	s_andn2_saveexec_b32 s9, s12
; %bb.453:                              ;   in Loop: Header=BB147_12 Depth=1
	v_sub_co_u32 v2, vcc_lo, v2, s10
	v_subrev_co_ci_u32_e64 v3, null, s11, v3, vcc_lo
; %bb.454:                              ;   in Loop: Header=BB147_12 Depth=1
	s_or_b32 exec_lo, exec_lo, s9
	v_mov_b32_e32 v5, v3
	v_mov_b32_e32 v8, 5
	;; [unrolled: 1-line block ×3, first 2 shown]
.LBB147_455:                            ;   in Loop: Header=BB147_12 Depth=1
	s_or_b32 exec_lo, exec_lo, s7
	v_mov_b32_e32 v2, v4
	v_mov_b32_e32 v3, v5
	s_mov_b32 s12, exec_lo
.LBB147_456:                            ;   in Loop: Header=BB147_12 Depth=1
	s_or_b32 exec_lo, exec_lo, s6
	s_orn2_b32 s6, s12, exec_lo
.LBB147_457:                            ;   in Loop: Header=BB147_12 Depth=1
	s_or_b32 exec_lo, exec_lo, s17
	v_mov_b32_e32 v5, v3
	v_mov_b32_e32 v4, v2
	s_andn2_b32 s7, s66, exec_lo
	s_and_b32 s9, s69, exec_lo
	s_andn2_b32 s10, s65, exec_lo
	s_and_b32 s11, s58, exec_lo
	s_or_b32 s66, s7, s9
	s_or_b32 s65, s10, s11
	s_and_b32 s7, s6, exec_lo
.LBB147_458:                            ;   in Loop: Header=BB147_12 Depth=1
	s_or_b32 exec_lo, exec_lo, s16
	s_orn2_b32 s6, s7, exec_lo
.LBB147_459:                            ;   in Loop: Header=BB147_12 Depth=1
	s_or_b32 exec_lo, exec_lo, s19
	v_mov_b32_e32 v2, v4
	v_mov_b32_e32 v3, v5
	s_andn2_b32 s7, s63, exec_lo
	s_and_b32 s9, s66, exec_lo
	s_andn2_b32 s10, s62, exec_lo
	s_and_b32 s11, s65, exec_lo
	s_or_b32 s63, s7, s9
	s_or_b32 s62, s10, s11
	s_and_b32 s7, s6, exec_lo
.LBB147_460:                            ;   in Loop: Header=BB147_12 Depth=1
	s_or_b32 exec_lo, exec_lo, s18
	s_orn2_b32 s6, s7, exec_lo
.LBB147_461:                            ;   in Loop: Header=BB147_12 Depth=1
	s_or_b32 exec_lo, exec_lo, s21
	s_mov_b32 s7, s23
	s_mov_b32 s9, s22
	s_and_saveexec_b32 s10, s6
; %bb.462:                              ;   in Loop: Header=BB147_12 Depth=1
	v_cmp_ne_u32_e32 vcc_lo, 5, v8
	v_cmp_eq_u32_e64 s6, 5, v8
	s_andn2_b32 s7, s22, exec_lo
	s_andn2_b32 s11, s23, exec_lo
	s_and_b32 s9, vcc_lo, exec_lo
	s_and_b32 s6, s6, exec_lo
	s_or_b32 s9, s7, s9
	s_or_b32 s7, s11, s6
; %bb.463:                              ;   in Loop: Header=BB147_12 Depth=1
	s_or_b32 exec_lo, exec_lo, s10
	s_andn2_b32 s6, s64, exec_lo
	s_and_b32 s10, s63, exec_lo
	s_andn2_b32 s11, s25, exec_lo
	s_and_b32 s12, s62, exec_lo
	s_or_b32 s64, s6, s10
	s_andn2_b32 s6, s22, exec_lo
	s_and_b32 s9, s9, exec_lo
	s_andn2_b32 s10, s23, exec_lo
	s_and_b32 s7, s7, exec_lo
	s_or_b32 s25, s11, s12
	s_or_b32 s22, s6, s9
	;; [unrolled: 1-line block ×3, first 2 shown]
.LBB147_464:                            ;   in Loop: Header=BB147_12 Depth=1
	s_or_b32 exec_lo, exec_lo, s20
	s_mov_b32 s62, 0
	s_mov_b32 s63, 0
	s_and_saveexec_b32 s6, s23
.LBB147_465:                            ;   in Loop: Header=BB147_12 Depth=1
	v_mov_b32_e32 v8, 0
	s_or_b32 s22, s22, exec_lo
.LBB147_466:                            ;   in Loop: Header=BB147_12 Depth=1
	s_or_b32 exec_lo, exec_lo, s6
	s_andn2_b32 s6, s97, exec_lo
	s_and_b32 s9, s64, exec_lo
	s_andn2_b32 s10, s95, exec_lo
	s_and_b32 s11, s25, exec_lo
	v_mov_b32_e32 v20, v3
	v_mov_b32_e32 v19, v2
	s_or_b32 s97, s6, s9
	s_or_b32 s95, s10, s11
	s_andn2_b32 s6, s99, exec_lo
	s_and_b32 s9, s63, exec_lo
	s_andn2_b32 s10, s98, exec_lo
	s_and_b32 s11, s62, exec_lo
	s_mov_b32 s7, -1
	s_andn2_b32 s96, s96, exec_lo
	s_or_b32 s99, s6, s9
	s_or_b32 s98, s10, s11
	s_and_saveexec_b32 s6, s22
	s_xor_b32 s6, exec_lo, s6
	s_cbranch_execz .LBB147_11
; %bb.467:                              ;   in Loop: Header=BB147_12 Depth=1
	s_mov_b32 s9, -1
	s_mov_b32 s10, exec_lo
	v_cmpx_eq_u32_e32 0, v8
	s_cbranch_execz .LBB147_10
; %bb.468:                              ;   in Loop: Header=BB147_12 Depth=1
	s_xor_b32 s89, s89, 1
	s_add_i32 s11, s93, -2
	s_cmp_eq_u32 s93, 0
	s_mov_b32 s93, s11
	s_cselect_b32 s7, -1, 0
	s_xor_b32 s9, exec_lo, -1
	s_orn2_b32 s7, s7, exec_lo
	s_branch .LBB147_10
.LBB147_469:
	s_or_b32 exec_lo, exec_lo, s87
	s_xor_b32 s7, s94, -1
	s_xor_b32 s9, s91, -1
	;; [unrolled: 1-line block ×5, first 2 shown]
	s_mov_b32 s8, 0
	s_and_saveexec_b32 s12, s11
	s_xor_b32 s12, exec_lo, s12
	s_cbranch_execnz .LBB147_474
; %bb.470:
	s_andn2_saveexec_b32 s0, s12
	s_cbranch_execnz .LBB147_493
.LBB147_471:
	s_or_b32 exec_lo, exec_lo, s0
	s_and_saveexec_b32 s0, s8
.LBB147_472:
	; divergent unreachable
.LBB147_473:
	s_endpgm
.LBB147_474:
	s_and_saveexec_b32 s11, s10
	s_xor_b32 s13, exec_lo, s11
	s_cbranch_execz .LBB147_491
; %bb.475:
	s_and_saveexec_b32 s10, s9
	s_xor_b32 s14, exec_lo, s10
	s_cbranch_execz .LBB147_489
; %bb.476:
	;; [unrolled: 4-line block ×3, first 2 shown]
	s_and_saveexec_b32 s7, s6
	s_xor_b32 s6, exec_lo, s7
; %bb.478:
	v_xor_b32_e32 v18, 0x80000000, v25
; %bb.479:
	s_or_b32 exec_lo, exec_lo, s6
	s_and_saveexec_b32 s6, s3
; %bb.480:
	v_mov_b32_e32 v2, 0
	v_mov_b32_e32 v3, v2
	ds_write_b64 v2, v[2:3] offset:5136
; %bb.481:
	s_or_b32 exec_lo, exec_lo, s6
	v_mov_b32_e32 v14, 0
	s_waitcnt lgkmcnt(0)
	s_barrier
	buffer_gl0_inv
	s_and_saveexec_b32 s3, s1
	s_cbranch_execz .LBB147_483
; %bb.482:
	global_load_dword v14, v[10:11], off
.LBB147_483:
	s_or_b32 exec_lo, exec_lo, s3
	s_load_dwordx4 s[20:23], s[4:5], 0x298
	s_add_u32 s3, s36, 31
	s_addc_u32 s7, s37, 0
	s_and_b32 s6, s3, 0xffffffe0
	s_mul_i32 s3, s48, s51
	s_mul_hi_u32 s8, s48, s50
	s_mul_i32 s9, s48, s50
	s_add_i32 s8, s8, s3
	s_sub_u32 s3, s34, s9
	s_subb_u32 s8, 0, s8
	v_cmp_gt_u64_e32 vcc_lo, s[6:7], v[0:1]
	s_waitcnt lgkmcnt(0)
	s_mul_i32 s9, s3, s23
	s_mul_hi_u32 s10, s3, s22
	s_mul_i32 s8, s8, s22
	s_add_i32 s9, s10, s9
	s_mul_i32 s16, s3, s22
	s_add_i32 s17, s9, s8
	s_mul_i32 s8, s48, s21
	s_mul_hi_u32 s9, s48, s20
	s_mul_i32 s3, s52, s29
	s_add_i32 s9, s9, s8
	s_mul_hi_u32 s8, s52, s28
	s_mul_i32 s10, s52, s28
	s_add_i32 s3, s8, s3
	s_sub_u32 s18, s34, s10
	s_subb_u32 s3, 0, s3
	s_mul_i32 s10, s18, s43
	s_mul_hi_u32 s11, s18, s42
	s_mul_i32 s8, s48, s20
	s_add_i32 s10, s11, s10
	s_mul_i32 s3, s3, s42
	s_mul_i32 s11, s52, s41
	s_mul_hi_u32 s20, s52, s40
	s_add_i32 s19, s10, s3
	s_add_i32 s21, s20, s11
	s_lshl_b64 s[22:23], s[8:9], 2
	s_clause 0x1
	s_load_dwordx2 s[8:9], s[4:5], 0x368
	s_load_dwordx2 s[10:11], s[4:5], 0x510
	s_add_u32 s3, s56, s22
	s_addc_u32 s4, s57, s23
	s_lshl_b64 s[16:17], s[16:17], 2
	v_readlane_b32 s22, v39, 0
	s_mul_i32 s20, s52, s40
	v_readlane_b32 s23, v39, 1
	s_add_u32 s5, s3, s16
	s_addc_u32 s16, s4, s17
	s_lshl_b64 s[20:21], s[20:21], 3
	s_mul_i32 s18, s18, s42
	s_add_u32 s3, s22, s20
	s_addc_u32 s4, s23, s21
	s_lshl_b64 s[18:19], s[18:19], 3
	s_add_u32 s17, s3, s18
	s_addc_u32 s18, s4, s19
	s_mov_b32 s4, -1
	s_mov_b32 s19, 0
	s_mov_b32 s3, 0
	s_and_saveexec_b32 s20, vcc_lo
	s_cbranch_execnz .LBB147_494
; %bb.484:
	s_or_b32 exec_lo, exec_lo, s20
	s_and_saveexec_b32 s2, s4
	s_cbranch_execnz .LBB147_509
.LBB147_485:
	s_or_b32 exec_lo, exec_lo, s2
	s_and_saveexec_b32 s0, s3
	s_xor_b32 s0, exec_lo, s0
	s_cbranch_execnz .LBB147_532
.LBB147_486:
	s_or_b32 exec_lo, exec_lo, s0
	s_waitcnt lgkmcnt(0)
	s_and_b32 s8, s19, exec_lo
.LBB147_487:
	s_andn2_saveexec_b32 s0, s15
	s_cbranch_execnz .LBB147_534
.LBB147_488:
	s_or_b32 exec_lo, exec_lo, s0
	s_and_b32 s8, s8, exec_lo
.LBB147_489:
	s_andn2_saveexec_b32 s0, s14
	s_cbranch_execnz .LBB147_533
.LBB147_490:
	s_or_b32 exec_lo, exec_lo, s0
	s_and_b32 s8, s8, exec_lo
.LBB147_491:
	s_andn2_saveexec_b32 s0, s13
	s_cbranch_execnz .LBB147_528
.LBB147_492:
	s_or_b32 exec_lo, exec_lo, s0
	s_and_b32 s8, s8, exec_lo
	s_andn2_saveexec_b32 s0, s12
	s_cbranch_execz .LBB147_471
.LBB147_493:
	s_or_b32 s8, s8, exec_lo
	s_trap 2
	s_or_b32 exec_lo, exec_lo, s0
	s_and_saveexec_b32 s0, s8
	s_cbranch_execnz .LBB147_472
	s_branch .LBB147_473
.LBB147_494:
	v_mov_b32_e32 v9, v1
	v_xor_b32_e32 v15, 0x80000000, v18
	v_mov_b32_e32 v3, 0
	v_mov_b32_e32 v8, v0
	s_mov_b32 s21, 0
                                        ; implicit-def: $sgpr22
                                        ; implicit-def: $vgpr6_vgpr7
	s_branch .LBB147_496
.LBB147_495:                            ;   in Loop: Header=BB147_496 Depth=1
	s_or_b32 exec_lo, exec_lo, s24
	s_xor_b32 s3, s23, -1
	s_and_b32 s4, exec_lo, s4
	v_mov_b32_e32 v9, v5
	v_mov_b32_e32 v14, v16
	s_or_b32 s21, s4, s21
	v_mov_b32_e32 v8, v4
	s_andn2_b32 s4, s22, exec_lo
	s_and_b32 s3, s3, exec_lo
	s_or_b32 s22, s4, s3
	s_andn2_b32 exec_lo, exec_lo, s21
	s_cbranch_execz .LBB147_508
.LBB147_496:                            ; =>This Inner Loop Header: Depth=1
	v_add_co_u32 v4, s3, v8, s49
	v_add_co_ci_u32_e64 v5, null, 0, v9, s3
	v_mov_b32_e32 v16, 0
	s_mov_b32 s4, exec_lo
	v_cmpx_gt_u64_e64 s[36:37], v[4:5]
	s_cbranch_execz .LBB147_498
; %bb.497:                              ;   in Loop: Header=BB147_496 Depth=1
	v_mul_lo_u32 v2, v5, s30
	v_mul_lo_u32 v16, v4, s31
	v_mad_u64_u32 v[12:13], null, v4, s30, 0
	v_add3_u32 v13, v13, v16, v2
	v_lshlrev_b64 v[12:13], 2, v[12:13]
	v_add_co_u32 v12, s3, s33, v12
	v_add_co_ci_u32_e64 v13, null, s35, v13, s3
	global_load_dword v16, v[12:13], off
.LBB147_498:                            ;   in Loop: Header=BB147_496 Depth=1
	s_or_b32 exec_lo, exec_lo, s4
	s_waitcnt vmcnt(0)
	v_xor_b32_e32 v2, 0x80000000, v14
	v_cmp_gt_u32_e64 s3, v2, v15
	v_cndmask_b32_e64 v12, 0, 1, s3
	v_cmp_lt_u32_e64 s3, v2, v15
	v_cndmask_b32_e64 v2, 0, 1, s3
	v_cmp_gt_u64_e64 s3, s[36:37], v[8:9]
	v_cndmask_b32_e64 v2, v2, v12, s2
	v_and_b32_e32 v2, 1, v2
	v_cmp_eq_u32_e64 s4, 1, v2
	s_and_b32 s24, s3, s4
	v_cndmask_b32_e64 v2, 0, 1, s24
	v_cmp_ne_u32_e64 s3, 0, v2
	s_cmp_lg_u32 s3, 0
	s_cselect_b32 s4, -1, 0
	s_and_b32 s4, s0, s4
	s_and_saveexec_b32 s23, s4
	s_cbranch_execz .LBB147_502
; %bb.499:                              ;   in Loop: Header=BB147_496 Depth=1
	s_mov_b32 s27, exec_lo
	s_bcnt1_i32_b32 s25, s3
	v_mbcnt_lo_u32_b32 v12, s27, 0
	s_mov_b32 s26, exec_lo
                                        ; implicit-def: $vgpr6_vgpr7
	v_cmpx_eq_u32_e32 0, v12
	s_cbranch_execz .LBB147_501
; %bb.500:                              ;   in Loop: Header=BB147_496 Depth=1
	s_bcnt1_i32_b32 s4, s27
	s_mul_i32 s4, s25, s4
	v_mov_b32_e32 v2, s4
	s_waitcnt lgkmcnt(0)
	ds_add_rtn_u64 v[6:7], v3, v[2:3] offset:5136
.LBB147_501:                            ;   in Loop: Header=BB147_496 Depth=1
	s_or_b32 exec_lo, exec_lo, s26
	s_waitcnt lgkmcnt(0)
	v_readfirstlane_b32 s27, v7
	v_readfirstlane_b32 s26, v6
	v_mad_u64_u32 v[6:7], null, s25, v12, s[26:27]
.LBB147_502:                            ;   in Loop: Header=BB147_496 Depth=1
	s_or_b32 exec_lo, exec_lo, s23
	s_waitcnt lgkmcnt(0)
	ds_bpermute_b32 v6, v3, v6
	ds_bpermute_b32 v7, v3, v7
	s_mov_b32 s4, -1
	s_mov_b32 s25, -1
	s_and_saveexec_b32 s23, s24
	s_cbranch_execz .LBB147_506
; %bb.503:                              ;   in Loop: Header=BB147_496 Depth=1
	v_and_b32_e32 v2, s3, v23
	s_mov_b32 s24, 0
	s_mov_b32 s25, exec_lo
	v_bcnt_u32_b32 v2, v2, 0
	s_waitcnt lgkmcnt(0)
	v_add_co_u32 v12, s3, v6, v2
	v_add_co_ci_u32_e64 v13, null, 0, v7, s3
	v_cmpx_gt_u64_e64 s[38:39], v[12:13]
; %bb.504:                              ;   in Loop: Header=BB147_496 Depth=1
	v_mul_lo_u32 v2, v13, s8
	v_mul_lo_u32 v17, v12, s9
	v_mad_u64_u32 v[19:20], null, v12, s8, 0
	v_mul_lo_u32 v21, v13, s10
	v_mul_lo_u32 v22, v12, s11
	v_mad_u64_u32 v[12:13], null, v12, s10, 0
	s_mov_b32 s24, exec_lo
	v_add3_u32 v20, v20, v17, v2
	v_add3_u32 v13, v13, v22, v21
	v_lshlrev_b64 v[19:20], 2, v[19:20]
	v_lshlrev_b64 v[12:13], 3, v[12:13]
	v_add_co_u32 v19, s3, s5, v19
	v_add_co_ci_u32_e64 v20, null, s16, v20, s3
	v_add_co_u32 v12, s3, s17, v12
	v_add_co_ci_u32_e64 v13, null, s18, v13, s3
	global_store_dword v[19:20], v14, off
	global_store_dwordx2 v[12:13], v[8:9], off
; %bb.505:                              ;   in Loop: Header=BB147_496 Depth=1
	s_or_b32 exec_lo, exec_lo, s25
	s_orn2_b32 s25, s24, exec_lo
.LBB147_506:                            ;   in Loop: Header=BB147_496 Depth=1
	s_or_b32 exec_lo, exec_lo, s23
	s_mov_b32 s23, -1
	s_and_saveexec_b32 s24, s25
	s_cbranch_execz .LBB147_495
; %bb.507:                              ;   in Loop: Header=BB147_496 Depth=1
	v_cmp_le_u64_e64 s3, s[6:7], v[4:5]
	s_xor_b32 s23, exec_lo, -1
	s_orn2_b32 s4, s3, exec_lo
	s_branch .LBB147_495
.LBB147_508:
	s_or_b32 exec_lo, exec_lo, s21
	s_mov_b32 s3, exec_lo
	s_orn2_b32 s4, s22, exec_lo
	s_or_b32 exec_lo, exec_lo, s20
	s_and_saveexec_b32 s2, s4
	s_cbranch_execz .LBB147_485
.LBB147_509:
	v_mov_b32_e32 v2, 0
	s_waitcnt vmcnt(0) lgkmcnt(0)
	s_waitcnt_vscnt null, 0x0
	s_barrier
	buffer_gl0_inv
	s_and_saveexec_b32 s4, s1
	s_cbranch_execz .LBB147_511
; %bb.510:
	global_load_dword v2, v[10:11], off
.LBB147_511:
	s_or_b32 exec_lo, exec_lo, s4
	s_mov_b32 s1, 0
	s_and_saveexec_b32 s4, vcc_lo
	s_cbranch_execz .LBB147_531
; %bb.512:
	v_mov_b32_e32 v3, 0
	s_mov_b32 s19, 0
                                        ; implicit-def: $sgpr20
                                        ; implicit-def: $vgpr6_vgpr7
	s_branch .LBB147_515
.LBB147_513:                            ;   in Loop: Header=BB147_515 Depth=1
	s_or_b32 exec_lo, exec_lo, s21
	s_orn2_b32 s23, s24, exec_lo
	s_orn2_b32 s22, s22, exec_lo
.LBB147_514:                            ;   in Loop: Header=BB147_515 Depth=1
	s_or_b32 exec_lo, exec_lo, s1
	s_xor_b32 s1, s23, -1
	s_and_b32 s21, exec_lo, s22
	v_mov_b32_e32 v0, v4
	v_mov_b32_e32 v1, v5
	s_or_b32 s19, s21, s19
	v_mov_b32_e32 v2, v10
	s_andn2_b32 s20, s20, exec_lo
	s_and_b32 s1, s1, exec_lo
	s_or_b32 s20, s20, s1
	s_andn2_b32 exec_lo, exec_lo, s19
	s_cbranch_execz .LBB147_529
.LBB147_515:                            ; =>This Inner Loop Header: Depth=1
	v_add_co_u32 v4, vcc_lo, v0, s49
	v_add_co_ci_u32_e64 v5, null, 0, v1, vcc_lo
	v_mov_b32_e32 v10, 0
	s_mov_b32 s1, exec_lo
	v_cmpx_gt_u64_e64 s[36:37], v[4:5]
	s_cbranch_execz .LBB147_517
; %bb.516:                              ;   in Loop: Header=BB147_515 Depth=1
	v_mul_lo_u32 v10, v5, s30
	v_mul_lo_u32 v11, v4, s31
	v_mad_u64_u32 v[8:9], null, v4, s30, 0
	v_add3_u32 v9, v9, v11, v10
	v_lshlrev_b64 v[8:9], 2, v[8:9]
	v_add_co_u32 v8, vcc_lo, s33, v8
	v_add_co_ci_u32_e64 v9, null, s35, v9, vcc_lo
	global_load_dword v10, v[8:9], off
.LBB147_517:                            ;   in Loop: Header=BB147_515 Depth=1
	s_or_b32 exec_lo, exec_lo, s1
	v_cmp_gt_u64_e32 vcc_lo, s[36:37], v[0:1]
	s_waitcnt vmcnt(0)
	v_cmp_eq_u32_e64 s1, v2, v18
	s_and_b32 s21, vcc_lo, s1
	v_cndmask_b32_e64 v2, 0, 1, s21
	v_cmp_ne_u32_e32 vcc_lo, 0, v2
	s_cmp_lg_u32 vcc_lo, 0
	s_cselect_b32 s1, -1, 0
	s_and_b32 s1, s0, s1
	s_and_saveexec_b32 s22, s1
	s_cbranch_execz .LBB147_521
; %bb.518:                              ;   in Loop: Header=BB147_515 Depth=1
	s_mov_b32 s25, exec_lo
	s_bcnt1_i32_b32 s23, vcc_lo
	v_mbcnt_lo_u32_b32 v8, s25, 0
	s_mov_b32 s24, exec_lo
                                        ; implicit-def: $vgpr6_vgpr7
	v_cmpx_eq_u32_e32 0, v8
; %bb.519:                              ;   in Loop: Header=BB147_515 Depth=1
	s_bcnt1_i32_b32 s1, s25
	s_mul_i32 s1, s23, s1
	v_mov_b32_e32 v2, s1
	ds_add_rtn_u64 v[6:7], v3, v[2:3] offset:5136
; %bb.520:                              ;   in Loop: Header=BB147_515 Depth=1
	s_or_b32 exec_lo, exec_lo, s24
	s_waitcnt lgkmcnt(0)
	v_readfirstlane_b32 s25, v7
	v_readfirstlane_b32 s24, v6
	v_mad_u64_u32 v[6:7], null, s23, v8, s[24:25]
.LBB147_521:                            ;   in Loop: Header=BB147_515 Depth=1
	s_or_b32 exec_lo, exec_lo, s22
	ds_bpermute_b32 v6, v3, v6
	ds_bpermute_b32 v7, v3, v7
	s_cmp_eq_u32 vcc_lo, 0
	s_mov_b32 s22, -1
	s_cselect_b32 s23, -1, 0
	s_waitcnt lgkmcnt(0)
	v_cmp_gt_u64_e64 s1, s[38:39], v[6:7]
	s_or_b32 s24, s23, s1
	s_mov_b32 s23, -1
	s_and_saveexec_b32 s1, s24
	s_cbranch_execz .LBB147_514
; %bb.522:                              ;   in Loop: Header=BB147_515 Depth=1
	v_and_b32_e32 v2, vcc_lo, v23
	v_sub_co_u32 v8, vcc_lo, s38, v6
	v_sub_co_ci_u32_e64 v9, null, s39, v7, vcc_lo
	v_bcnt_u32_b32 v2, v2, 0
	s_mov_b32 s24, -1
	v_bcnt_u32_b32 v2, 0, v2
	v_cmp_gt_u64_e32 vcc_lo, v[8:9], v[2:3]
	s_and_b32 s25, s21, vcc_lo
	s_and_saveexec_b32 s21, s25
	s_cbranch_execz .LBB147_526
; %bb.523:                              ;   in Loop: Header=BB147_515 Depth=1
	v_add_co_u32 v8, vcc_lo, v6, v2
	v_add_co_ci_u32_e64 v9, null, 0, v7, vcc_lo
	s_mov_b32 s23, 0
	s_mov_b32 s24, exec_lo
	v_cmpx_gt_u64_e64 s[38:39], v[8:9]
; %bb.524:                              ;   in Loop: Header=BB147_515 Depth=1
	v_mul_lo_u32 v2, v9, s8
	v_mul_lo_u32 v13, v8, s9
	v_mad_u64_u32 v[11:12], null, v8, s8, 0
	v_mul_lo_u32 v14, v9, s10
	v_mul_lo_u32 v15, v8, s11
	v_mad_u64_u32 v[8:9], null, v8, s10, 0
	s_mov_b32 s23, exec_lo
	v_add3_u32 v12, v12, v13, v2
	v_add3_u32 v9, v9, v15, v14
	v_lshlrev_b64 v[11:12], 2, v[11:12]
	v_lshlrev_b64 v[8:9], 3, v[8:9]
	v_add_co_u32 v11, vcc_lo, s5, v11
	v_add_co_ci_u32_e64 v12, null, s16, v12, vcc_lo
	v_add_co_u32 v8, vcc_lo, s17, v8
	v_add_co_ci_u32_e64 v9, null, s18, v9, vcc_lo
	global_store_dword v[11:12], v18, off
	global_store_dwordx2 v[8:9], v[0:1], off
; %bb.525:                              ;   in Loop: Header=BB147_515 Depth=1
	s_or_b32 exec_lo, exec_lo, s24
	s_xor_b32 s24, exec_lo, -1
	s_orn2_b32 s23, s23, exec_lo
.LBB147_526:                            ;   in Loop: Header=BB147_515 Depth=1
	s_or_b32 exec_lo, exec_lo, s21
	s_and_saveexec_b32 s21, s23
	s_cbranch_execz .LBB147_513
; %bb.527:                              ;   in Loop: Header=BB147_515 Depth=1
	v_cmp_le_u64_e32 vcc_lo, s[6:7], v[4:5]
	s_or_b32 s24, s24, exec_lo
	s_orn2_b32 s22, vcc_lo, exec_lo
	s_branch .LBB147_513
.LBB147_528:
	s_or_b32 s8, s8, exec_lo
	s_trap 2
	s_branch .LBB147_492
.LBB147_529:
	s_or_b32 exec_lo, exec_lo, s19
	s_mov_b32 s0, 0
	s_and_saveexec_b32 s1, s20
	s_xor_b32 s1, exec_lo, s1
	s_cbranch_execnz .LBB147_535
.LBB147_530:
	s_or_b32 exec_lo, exec_lo, s1
	s_and_b32 s1, s0, exec_lo
.LBB147_531:
	s_or_b32 exec_lo, exec_lo, s4
	s_and_b32 s19, s1, exec_lo
	s_andn2_b32 s3, s3, exec_lo
	s_or_b32 exec_lo, exec_lo, s2
	s_and_saveexec_b32 s0, s3
	s_xor_b32 s0, exec_lo, s0
	s_cbranch_execz .LBB147_486
.LBB147_532:
	s_or_b32 s19, s19, exec_lo
	s_trap 2
	s_branch .LBB147_486
.LBB147_533:
	s_or_b32 s8, s8, exec_lo
	s_trap 2
	s_branch .LBB147_490
.LBB147_534:
	s_or_b32 s8, s8, exec_lo
	s_trap 2
	s_branch .LBB147_488
.LBB147_535:
	s_mov_b32 s0, exec_lo
	s_trap 2
	s_branch .LBB147_530
	.section	.rodata,"a",@progbits
	.p2align	6, 0x0
	.amdhsa_kernel _ZN2at6native6sbtopk10gatherTopKIimLi2ELb0EEEvNS_4cuda6detail10TensorInfoIKT_T0_EES8_S8_bS8_S8_NS5_IS6_S8_EES8_NS5_IlS8_EES8_PS6_
		.amdhsa_group_segment_fixed_size 5152
		.amdhsa_private_segment_fixed_size 0
		.amdhsa_kernarg_size 1568
		.amdhsa_user_sgpr_count 6
		.amdhsa_user_sgpr_private_segment_buffer 1
		.amdhsa_user_sgpr_dispatch_ptr 0
		.amdhsa_user_sgpr_queue_ptr 0
		.amdhsa_user_sgpr_kernarg_segment_ptr 1
		.amdhsa_user_sgpr_dispatch_id 0
		.amdhsa_user_sgpr_flat_scratch_init 0
		.amdhsa_user_sgpr_private_segment_size 0
		.amdhsa_wavefront_size32 1
		.amdhsa_uses_dynamic_stack 0
		.amdhsa_system_sgpr_private_segment_wavefront_offset 0
		.amdhsa_system_sgpr_workgroup_id_x 1
		.amdhsa_system_sgpr_workgroup_id_y 1
		.amdhsa_system_sgpr_workgroup_id_z 1
		.amdhsa_system_sgpr_workgroup_info 0
		.amdhsa_system_vgpr_workitem_id 0
		.amdhsa_next_free_vgpr 40
		.amdhsa_next_free_sgpr 105
		.amdhsa_reserve_vcc 1
		.amdhsa_reserve_flat_scratch 0
		.amdhsa_float_round_mode_32 0
		.amdhsa_float_round_mode_16_64 0
		.amdhsa_float_denorm_mode_32 3
		.amdhsa_float_denorm_mode_16_64 3
		.amdhsa_dx10_clamp 1
		.amdhsa_ieee_mode 1
		.amdhsa_fp16_overflow 0
		.amdhsa_workgroup_processor_mode 1
		.amdhsa_memory_ordered 1
		.amdhsa_forward_progress 1
		.amdhsa_shared_vgpr_count 0
		.amdhsa_exception_fp_ieee_invalid_op 0
		.amdhsa_exception_fp_denorm_src 0
		.amdhsa_exception_fp_ieee_div_zero 0
		.amdhsa_exception_fp_ieee_overflow 0
		.amdhsa_exception_fp_ieee_underflow 0
		.amdhsa_exception_fp_ieee_inexact 0
		.amdhsa_exception_int_div_zero 0
	.end_amdhsa_kernel
	.section	.text._ZN2at6native6sbtopk10gatherTopKIimLi2ELb0EEEvNS_4cuda6detail10TensorInfoIKT_T0_EES8_S8_bS8_S8_NS5_IS6_S8_EES8_NS5_IlS8_EES8_PS6_,"axG",@progbits,_ZN2at6native6sbtopk10gatherTopKIimLi2ELb0EEEvNS_4cuda6detail10TensorInfoIKT_T0_EES8_S8_bS8_S8_NS5_IS6_S8_EES8_NS5_IlS8_EES8_PS6_,comdat
.Lfunc_end147:
	.size	_ZN2at6native6sbtopk10gatherTopKIimLi2ELb0EEEvNS_4cuda6detail10TensorInfoIKT_T0_EES8_S8_bS8_S8_NS5_IS6_S8_EES8_NS5_IlS8_EES8_PS6_, .Lfunc_end147-_ZN2at6native6sbtopk10gatherTopKIimLi2ELb0EEEvNS_4cuda6detail10TensorInfoIKT_T0_EES8_S8_bS8_S8_NS5_IS6_S8_EES8_NS5_IlS8_EES8_PS6_
                                        ; -- End function
	.set _ZN2at6native6sbtopk10gatherTopKIimLi2ELb0EEEvNS_4cuda6detail10TensorInfoIKT_T0_EES8_S8_bS8_S8_NS5_IS6_S8_EES8_NS5_IlS8_EES8_PS6_.num_vgpr, 40
	.set _ZN2at6native6sbtopk10gatherTopKIimLi2ELb0EEEvNS_4cuda6detail10TensorInfoIKT_T0_EES8_S8_bS8_S8_NS5_IS6_S8_EES8_NS5_IlS8_EES8_PS6_.num_agpr, 0
	.set _ZN2at6native6sbtopk10gatherTopKIimLi2ELb0EEEvNS_4cuda6detail10TensorInfoIKT_T0_EES8_S8_bS8_S8_NS5_IS6_S8_EES8_NS5_IlS8_EES8_PS6_.numbered_sgpr, 105
	.set _ZN2at6native6sbtopk10gatherTopKIimLi2ELb0EEEvNS_4cuda6detail10TensorInfoIKT_T0_EES8_S8_bS8_S8_NS5_IS6_S8_EES8_NS5_IlS8_EES8_PS6_.num_named_barrier, 0
	.set _ZN2at6native6sbtopk10gatherTopKIimLi2ELb0EEEvNS_4cuda6detail10TensorInfoIKT_T0_EES8_S8_bS8_S8_NS5_IS6_S8_EES8_NS5_IlS8_EES8_PS6_.private_seg_size, 0
	.set _ZN2at6native6sbtopk10gatherTopKIimLi2ELb0EEEvNS_4cuda6detail10TensorInfoIKT_T0_EES8_S8_bS8_S8_NS5_IS6_S8_EES8_NS5_IlS8_EES8_PS6_.uses_vcc, 1
	.set _ZN2at6native6sbtopk10gatherTopKIimLi2ELb0EEEvNS_4cuda6detail10TensorInfoIKT_T0_EES8_S8_bS8_S8_NS5_IS6_S8_EES8_NS5_IlS8_EES8_PS6_.uses_flat_scratch, 0
	.set _ZN2at6native6sbtopk10gatherTopKIimLi2ELb0EEEvNS_4cuda6detail10TensorInfoIKT_T0_EES8_S8_bS8_S8_NS5_IS6_S8_EES8_NS5_IlS8_EES8_PS6_.has_dyn_sized_stack, 0
	.set _ZN2at6native6sbtopk10gatherTopKIimLi2ELb0EEEvNS_4cuda6detail10TensorInfoIKT_T0_EES8_S8_bS8_S8_NS5_IS6_S8_EES8_NS5_IlS8_EES8_PS6_.has_recursion, 0
	.set _ZN2at6native6sbtopk10gatherTopKIimLi2ELb0EEEvNS_4cuda6detail10TensorInfoIKT_T0_EES8_S8_bS8_S8_NS5_IS6_S8_EES8_NS5_IlS8_EES8_PS6_.has_indirect_call, 0
	.section	.AMDGPU.csdata,"",@progbits
; Kernel info:
; codeLenInByte = 24872
; TotalNumSgprs: 107
; NumVgprs: 40
; ScratchSize: 0
; MemoryBound: 0
; FloatMode: 240
; IeeeMode: 1
; LDSByteSize: 5152 bytes/workgroup (compile time only)
; SGPRBlocks: 0
; VGPRBlocks: 4
; NumSGPRsForWavesPerEU: 107
; NumVGPRsForWavesPerEU: 40
; Occupancy: 16
; WaveLimiterHint : 1
; COMPUTE_PGM_RSRC2:SCRATCH_EN: 0
; COMPUTE_PGM_RSRC2:USER_SGPR: 6
; COMPUTE_PGM_RSRC2:TRAP_HANDLER: 0
; COMPUTE_PGM_RSRC2:TGID_X_EN: 1
; COMPUTE_PGM_RSRC2:TGID_Y_EN: 1
; COMPUTE_PGM_RSRC2:TGID_Z_EN: 1
; COMPUTE_PGM_RSRC2:TIDIG_COMP_CNT: 0
	.section	.text._ZN2at6native6mbtopk23computeBlockDigitCountsIimjLi3EEEvNS_4cuda6detail10TensorInfoIKT_T0_EEjPjjS8_iijT1_PSB_Ps,"axG",@progbits,_ZN2at6native6mbtopk23computeBlockDigitCountsIimjLi3EEEvNS_4cuda6detail10TensorInfoIKT_T0_EEjPjjS8_iijT1_PSB_Ps,comdat
	.protected	_ZN2at6native6mbtopk23computeBlockDigitCountsIimjLi3EEEvNS_4cuda6detail10TensorInfoIKT_T0_EEjPjjS8_iijT1_PSB_Ps ; -- Begin function _ZN2at6native6mbtopk23computeBlockDigitCountsIimjLi3EEEvNS_4cuda6detail10TensorInfoIKT_T0_EEjPjjS8_iijT1_PSB_Ps
	.globl	_ZN2at6native6mbtopk23computeBlockDigitCountsIimjLi3EEEvNS_4cuda6detail10TensorInfoIKT_T0_EEjPjjS8_iijT1_PSB_Ps
	.p2align	8
	.type	_ZN2at6native6mbtopk23computeBlockDigitCountsIimjLi3EEEvNS_4cuda6detail10TensorInfoIKT_T0_EEjPjjS8_iijT1_PSB_Ps,@function
_ZN2at6native6mbtopk23computeBlockDigitCountsIimjLi3EEEvNS_4cuda6detail10TensorInfoIKT_T0_EEjPjjS8_iijT1_PSB_Ps: ; @_ZN2at6native6mbtopk23computeBlockDigitCountsIimjLi3EEEvNS_4cuda6detail10TensorInfoIKT_T0_EEjPjjS8_iijT1_PSB_Ps
; %bb.0:
	s_clause 0x2
	s_load_dwordx4 s[0:3], s[4:5], 0x1c0
	s_load_dword s12, s[4:5], 0x1b0
	s_load_dwordx2 s[10:11], s[4:5], 0x1e0
	s_waitcnt lgkmcnt(0)
	v_cvt_f32_u32_e32 v1, s2
	s_mul_i32 s8, s11, s8
	s_sub_i32 s11, 0, s2
	s_add_i32 s7, s8, s7
	v_rcp_iflag_f32_e32 v1, v1
	s_mul_i32 s24, s7, s10
	s_add_i32 s24, s24, s6
	v_mul_f32_e32 v1, 0x4f7ffffe, v1
	v_cvt_u32_f32_e32 v1, v1
	v_readfirstlane_b32 s9, v1
	s_mul_i32 s11, s11, s9
	s_mul_hi_u32 s7, s9, s11
	s_add_i32 s9, s9, s7
	s_mul_hi_u32 s6, s24, s9
	s_mul_i32 s7, s6, s2
	s_add_i32 s8, s6, 1
	s_sub_i32 s7, s24, s7
	s_sub_i32 s9, s7, s2
	s_cmp_ge_u32 s7, s2
	s_cselect_b32 s6, s8, s6
	s_cselect_b32 s7, s9, s7
	s_add_i32 s8, s6, 1
	s_cmp_ge_u32 s7, s2
	s_mov_b32 s7, 0
	s_cselect_b32 s6, s8, s6
	s_cmp_ge_u32 s6, s12
	s_cbranch_scc1 .LBB148_25
; %bb.1:
	s_clause 0x1
	s_load_dwordx4 s[12:15], s[4:5], 0x10
	s_load_dwordx4 s[8:11], s[4:5], 0x1d0
	s_lshl_b64 s[16:17], s[6:7], 2
	s_mov_b64 s[20:21], 0
	s_waitcnt lgkmcnt(0)
	v_cmp_lt_u64_e64 s18, s[6:7], s[14:15]
	s_add_u32 s22, s8, s16
	s_addc_u32 s23, s9, s17
	s_mov_b64 s[8:9], 0
	s_and_b32 vcc_lo, exec_lo, s18
	s_cbranch_vccz .LBB148_15
; %bb.2:
	v_cmp_lt_u64_e64 s7, s[20:21], s[12:13]
	s_and_b32 vcc_lo, exec_lo, s7
	s_cbranch_vccz .LBB148_16
.LBB148_3:
	v_cmp_gt_u32_e32 vcc_lo, 0x100, v0
	v_lshlrev_b32_e32 v1, 2, v0
	s_and_saveexec_b32 s7, vcc_lo
.LBB148_4:
	v_mov_b32_e32 v2, 0
	ds_write_b32 v1, v2
.LBB148_5:
	s_or_b32 exec_lo, exec_lo, s7
	s_load_dword s7, s[4:5], 0x1a0
	s_mul_i32 s9, s6, s2
	s_mov_b32 s25, 0
	s_sub_i32 s9, s24, s9
	s_waitcnt lgkmcnt(0)
	s_mul_i32 s16, s1, s9
	s_add_i32 s9, s9, 1
	s_lshl_b32 s26, s16, 8
	s_barrier
	buffer_gl0_inv
	s_sub_i32 s16, s7, s26
	s_add_u32 s16, s16, 0xff
	s_addc_u32 s17, 0, 0
	s_lshr_b64 s[16:17], s[16:17], 8
	s_cmp_lt_u32 s9, s2
	s_cselect_b32 s2, s1, s16
	s_cmp_lt_i32 s2, 1
	s_cbranch_scc1 .LBB148_23
; %bb.6:
	s_clause 0x2
	s_load_dwordx2 s[28:29], s[4:5], 0xe0
	s_load_dwordx4 s[16:19], s[4:5], 0xd0
	s_load_dwordx2 s[30:31], s[4:5], 0x0
	s_load_dword s1, s[22:23], 0x0
	s_mul_i32 s9, s20, s15
	s_mul_hi_u32 s15, s20, s14
	s_mul_i32 s14, s20, s14
	s_add_i32 s15, s15, s9
	s_mul_i32 s13, s8, s13
	s_mul_hi_u32 s22, s8, s12
	s_sub_u32 s6, s6, s14
	s_subb_u32 s9, 0, s15
	s_add_i32 s22, s22, s13
	s_load_dwordx2 s[4:5], s[4:5], 0x1b8
	s_mul_i32 s12, s8, s12
	v_add_nc_u32_e32 v2, s26, v0
	s_waitcnt lgkmcnt(0)
	s_mul_i32 s13, s6, s29
	s_mul_hi_u32 s14, s6, s28
	s_mul_i32 s9, s9, s28
	s_add_i32 s13, s14, s13
	s_mul_i32 s15, s8, s17
	s_add_i32 s13, s13, s9
	s_mul_hi_u32 s17, s8, s16
	s_sub_u32 s12, s20, s12
	s_mul_i32 s8, s8, s16
	s_subb_u32 s14, s21, s22
	s_add_i32 s9, s17, s15
	s_mul_i32 s15, s12, s19
	s_mul_hi_u32 s16, s12, s18
	s_mul_i32 s14, s14, s18
	s_add_i32 s15, s16, s15
	s_lshl_b64 s[8:9], s[8:9], 2
	s_add_i32 s15, s15, s14
	s_mul_i32 s14, s12, s18
	s_add_u32 s16, s30, s8
	s_addc_u32 s17, s31, s9
	s_lshl_b64 s[8:9], s[14:15], 2
	s_mul_i32 s12, s6, s28
	s_add_u32 s6, s16, s8
	s_addc_u32 s14, s17, s9
	s_lshl_b64 s[8:9], s[12:13], 2
	s_add_u32 s8, s6, s8
	s_addc_u32 s9, s14, s9
	s_and_b32 s6, s0, 0xff
	s_cmp_eq_u32 s2, 1
	s_cbranch_scc1 .LBB148_18
; %bb.7:
	v_mov_b32_e32 v3, 1
	v_mov_b32_e32 v4, v2
	s_and_b32 s12, s2, 0x7ffffffe
	s_mov_b32 s13, 0
	s_branch .LBB148_9
.LBB148_8:                              ;   in Loop: Header=BB148_9 Depth=1
	s_or_b32 exec_lo, exec_lo, s14
	v_add_nc_u32_e32 v4, 0x200, v4
	s_add_i32 s13, s13, 2
	s_cmp_eq_u32 s12, s13
	s_cbranch_scc1 .LBB148_17
.LBB148_9:                              ; =>This Inner Loop Header: Depth=1
	s_mov_b32 s14, exec_lo
	v_cmpx_gt_u32_e64 s7, v4
	s_cbranch_execz .LBB148_12
; %bb.10:                               ;   in Loop: Header=BB148_9 Depth=1
	v_mad_u64_u32 v[5:6], null, s4, v4, 0
	v_mad_u64_u32 v[6:7], null, s5, v4, v[6:7]
	v_lshlrev_b64 v[5:6], 2, v[5:6]
	v_add_co_u32 v5, s0, s8, v5
	v_add_co_ci_u32_e64 v6, null, s9, v6, s0
	global_load_dword v5, v[5:6], off
	s_waitcnt vmcnt(0)
	v_xor_b32_e32 v5, 0x80000000, v5
	v_xor_b32_e32 v6, s1, v5
	v_and_b32_e32 v6, s3, v6
	v_cmp_eq_u32_e64 s0, 0, v6
	s_and_b32 exec_lo, exec_lo, s0
; %bb.11:                               ;   in Loop: Header=BB148_9 Depth=1
	v_bfe_u32 v5, v5, s6, 8
	v_lshlrev_b32_e32 v5, 2, v5
	ds_add_u32 v5, v3
.LBB148_12:                             ;   in Loop: Header=BB148_9 Depth=1
	s_or_b32 exec_lo, exec_lo, s14
	v_add_nc_u32_e32 v5, 0x100, v4
	s_mov_b32 s14, exec_lo
	v_cmpx_gt_u32_e64 s7, v5
	s_cbranch_execz .LBB148_8
; %bb.13:                               ;   in Loop: Header=BB148_9 Depth=1
	v_mad_u64_u32 v[6:7], null, s4, v5, 0
	v_mad_u64_u32 v[7:8], null, s5, v5, v[7:8]
	v_lshlrev_b64 v[5:6], 2, v[6:7]
	v_add_co_u32 v5, s0, s8, v5
	v_add_co_ci_u32_e64 v6, null, s9, v6, s0
	global_load_dword v5, v[5:6], off
	s_waitcnt vmcnt(0)
	v_xor_b32_e32 v5, 0x80000000, v5
	v_xor_b32_e32 v6, s1, v5
	v_and_b32_e32 v6, s3, v6
	v_cmp_eq_u32_e64 s0, 0, v6
	s_and_b32 exec_lo, exec_lo, s0
	s_cbranch_execz .LBB148_8
; %bb.14:                               ;   in Loop: Header=BB148_9 Depth=1
	v_bfe_u32 v5, v5, s6, 8
	v_lshlrev_b32_e32 v5, 2, v5
	ds_add_u32 v5, v3
	s_branch .LBB148_8
.LBB148_15:
	v_cvt_f32_u32_e32 v1, s14
	s_sub_i32 s9, 0, s14
	s_mov_b32 s21, 0
	v_rcp_iflag_f32_e32 v1, v1
	v_mul_f32_e32 v1, 0x4f7ffffe, v1
	v_cvt_u32_f32_e32 v1, v1
	v_readfirstlane_b32 s7, v1
	s_mul_i32 s9, s9, s7
	s_mul_hi_u32 s9, s7, s9
	s_add_i32 s7, s7, s9
	s_mul_hi_u32 s7, s6, s7
	s_mul_i32 s9, s7, s14
	s_add_i32 s16, s7, 1
	s_sub_i32 s9, s6, s9
	s_sub_i32 s17, s9, s14
	s_cmp_ge_u32 s9, s14
	s_cselect_b32 s7, s16, s7
	s_cselect_b32 s9, s17, s9
	s_add_i32 s16, s7, 1
	s_cmp_ge_u32 s9, s14
	s_cselect_b32 s20, s16, s7
	v_cmp_lt_u64_e64 s7, s[20:21], s[12:13]
	s_and_b32 vcc_lo, exec_lo, s7
	s_cbranch_vccnz .LBB148_3
.LBB148_16:
	v_cvt_f32_u32_e32 v1, s12
	s_sub_i32 s8, 0, s12
	v_rcp_iflag_f32_e32 v1, v1
	v_mul_f32_e32 v1, 0x4f7ffffe, v1
	v_cvt_u32_f32_e32 v1, v1
	v_readfirstlane_b32 s7, v1
	s_mul_i32 s8, s8, s7
	s_mul_hi_u32 s8, s7, s8
	s_add_i32 s7, s7, s8
	s_mul_hi_u32 s7, s20, s7
	s_mul_i32 s8, s7, s12
	s_add_i32 s9, s7, 1
	s_sub_i32 s8, s20, s8
	s_sub_i32 s16, s8, s12
	s_cmp_ge_u32 s8, s12
	s_cselect_b32 s7, s9, s7
	s_cselect_b32 s8, s16, s8
	s_add_i32 s9, s7, 1
	s_cmp_ge_u32 s8, s12
	s_cselect_b32 s8, s9, s7
	v_cmp_gt_u32_e32 vcc_lo, 0x100, v0
	v_lshlrev_b32_e32 v1, 2, v0
	s_and_saveexec_b32 s7, vcc_lo
	s_cbranch_execnz .LBB148_4
	s_branch .LBB148_5
.LBB148_17:
	s_lshl_b32 s25, s12, 8
.LBB148_18:
	s_bitcmp0_b32 s2, 0
	s_cbranch_scc1 .LBB148_23
; %bb.19:
	v_add_nc_u32_e32 v2, s25, v2
	s_mov_b32 s2, exec_lo
	v_cmpx_gt_u32_e64 s7, v2
	s_cbranch_execz .LBB148_22
; %bb.20:
	v_mad_u64_u32 v[3:4], null, s4, v2, 0
	v_mad_u64_u32 v[4:5], null, s5, v2, v[4:5]
	v_lshlrev_b64 v[2:3], 2, v[3:4]
	v_add_co_u32 v2, s0, s8, v2
	v_add_co_ci_u32_e64 v3, null, s9, v3, s0
	global_load_dword v2, v[2:3], off
	s_waitcnt vmcnt(0)
	v_xor_b32_e32 v2, 0x80000000, v2
	v_xor_b32_e32 v3, s1, v2
	v_and_b32_e32 v3, s3, v3
	v_cmp_eq_u32_e64 s0, 0, v3
	s_and_b32 exec_lo, exec_lo, s0
	s_cbranch_execz .LBB148_22
; %bb.21:
	v_bfe_u32 v2, v2, s6, 8
	v_mov_b32_e32 v3, 1
	v_lshlrev_b32_e32 v2, 2, v2
	ds_add_u32 v2, v3
.LBB148_22:
	s_or_b32 exec_lo, exec_lo, s2
.LBB148_23:
	s_waitcnt lgkmcnt(0)
	s_barrier
	buffer_gl0_inv
	s_and_saveexec_b32 s0, vcc_lo
	s_cbranch_execz .LBB148_25
; %bb.24:
	ds_read_b32 v2, v1
	v_lshl_or_b32 v0, s24, 8, v0
	v_mov_b32_e32 v1, 0
	v_lshlrev_b64 v[0:1], 1, v[0:1]
	v_add_co_u32 v0, vcc_lo, s10, v0
	v_add_co_ci_u32_e64 v1, null, s11, v1, vcc_lo
	s_waitcnt lgkmcnt(0)
	global_store_short v[0:1], v2, off
.LBB148_25:
	s_endpgm
	.section	.rodata,"a",@progbits
	.p2align	6, 0x0
	.amdhsa_kernel _ZN2at6native6mbtopk23computeBlockDigitCountsIimjLi3EEEvNS_4cuda6detail10TensorInfoIKT_T0_EEjPjjS8_iijT1_PSB_Ps
		.amdhsa_group_segment_fixed_size 1024
		.amdhsa_private_segment_fixed_size 0
		.amdhsa_kernarg_size 736
		.amdhsa_user_sgpr_count 6
		.amdhsa_user_sgpr_private_segment_buffer 1
		.amdhsa_user_sgpr_dispatch_ptr 0
		.amdhsa_user_sgpr_queue_ptr 0
		.amdhsa_user_sgpr_kernarg_segment_ptr 1
		.amdhsa_user_sgpr_dispatch_id 0
		.amdhsa_user_sgpr_flat_scratch_init 0
		.amdhsa_user_sgpr_private_segment_size 0
		.amdhsa_wavefront_size32 1
		.amdhsa_uses_dynamic_stack 0
		.amdhsa_system_sgpr_private_segment_wavefront_offset 0
		.amdhsa_system_sgpr_workgroup_id_x 1
		.amdhsa_system_sgpr_workgroup_id_y 1
		.amdhsa_system_sgpr_workgroup_id_z 1
		.amdhsa_system_sgpr_workgroup_info 0
		.amdhsa_system_vgpr_workitem_id 0
		.amdhsa_next_free_vgpr 9
		.amdhsa_next_free_sgpr 32
		.amdhsa_reserve_vcc 1
		.amdhsa_reserve_flat_scratch 0
		.amdhsa_float_round_mode_32 0
		.amdhsa_float_round_mode_16_64 0
		.amdhsa_float_denorm_mode_32 3
		.amdhsa_float_denorm_mode_16_64 3
		.amdhsa_dx10_clamp 1
		.amdhsa_ieee_mode 1
		.amdhsa_fp16_overflow 0
		.amdhsa_workgroup_processor_mode 1
		.amdhsa_memory_ordered 1
		.amdhsa_forward_progress 1
		.amdhsa_shared_vgpr_count 0
		.amdhsa_exception_fp_ieee_invalid_op 0
		.amdhsa_exception_fp_denorm_src 0
		.amdhsa_exception_fp_ieee_div_zero 0
		.amdhsa_exception_fp_ieee_overflow 0
		.amdhsa_exception_fp_ieee_underflow 0
		.amdhsa_exception_fp_ieee_inexact 0
		.amdhsa_exception_int_div_zero 0
	.end_amdhsa_kernel
	.section	.text._ZN2at6native6mbtopk23computeBlockDigitCountsIimjLi3EEEvNS_4cuda6detail10TensorInfoIKT_T0_EEjPjjS8_iijT1_PSB_Ps,"axG",@progbits,_ZN2at6native6mbtopk23computeBlockDigitCountsIimjLi3EEEvNS_4cuda6detail10TensorInfoIKT_T0_EEjPjjS8_iijT1_PSB_Ps,comdat
.Lfunc_end148:
	.size	_ZN2at6native6mbtopk23computeBlockDigitCountsIimjLi3EEEvNS_4cuda6detail10TensorInfoIKT_T0_EEjPjjS8_iijT1_PSB_Ps, .Lfunc_end148-_ZN2at6native6mbtopk23computeBlockDigitCountsIimjLi3EEEvNS_4cuda6detail10TensorInfoIKT_T0_EEjPjjS8_iijT1_PSB_Ps
                                        ; -- End function
	.set _ZN2at6native6mbtopk23computeBlockDigitCountsIimjLi3EEEvNS_4cuda6detail10TensorInfoIKT_T0_EEjPjjS8_iijT1_PSB_Ps.num_vgpr, 9
	.set _ZN2at6native6mbtopk23computeBlockDigitCountsIimjLi3EEEvNS_4cuda6detail10TensorInfoIKT_T0_EEjPjjS8_iijT1_PSB_Ps.num_agpr, 0
	.set _ZN2at6native6mbtopk23computeBlockDigitCountsIimjLi3EEEvNS_4cuda6detail10TensorInfoIKT_T0_EEjPjjS8_iijT1_PSB_Ps.numbered_sgpr, 32
	.set _ZN2at6native6mbtopk23computeBlockDigitCountsIimjLi3EEEvNS_4cuda6detail10TensorInfoIKT_T0_EEjPjjS8_iijT1_PSB_Ps.num_named_barrier, 0
	.set _ZN2at6native6mbtopk23computeBlockDigitCountsIimjLi3EEEvNS_4cuda6detail10TensorInfoIKT_T0_EEjPjjS8_iijT1_PSB_Ps.private_seg_size, 0
	.set _ZN2at6native6mbtopk23computeBlockDigitCountsIimjLi3EEEvNS_4cuda6detail10TensorInfoIKT_T0_EEjPjjS8_iijT1_PSB_Ps.uses_vcc, 1
	.set _ZN2at6native6mbtopk23computeBlockDigitCountsIimjLi3EEEvNS_4cuda6detail10TensorInfoIKT_T0_EEjPjjS8_iijT1_PSB_Ps.uses_flat_scratch, 0
	.set _ZN2at6native6mbtopk23computeBlockDigitCountsIimjLi3EEEvNS_4cuda6detail10TensorInfoIKT_T0_EEjPjjS8_iijT1_PSB_Ps.has_dyn_sized_stack, 0
	.set _ZN2at6native6mbtopk23computeBlockDigitCountsIimjLi3EEEvNS_4cuda6detail10TensorInfoIKT_T0_EEjPjjS8_iijT1_PSB_Ps.has_recursion, 0
	.set _ZN2at6native6mbtopk23computeBlockDigitCountsIimjLi3EEEvNS_4cuda6detail10TensorInfoIKT_T0_EEjPjjS8_iijT1_PSB_Ps.has_indirect_call, 0
	.section	.AMDGPU.csdata,"",@progbits
; Kernel info:
; codeLenInByte = 1292
; TotalNumSgprs: 34
; NumVgprs: 9
; ScratchSize: 0
; MemoryBound: 0
; FloatMode: 240
; IeeeMode: 1
; LDSByteSize: 1024 bytes/workgroup (compile time only)
; SGPRBlocks: 0
; VGPRBlocks: 1
; NumSGPRsForWavesPerEU: 34
; NumVGPRsForWavesPerEU: 9
; Occupancy: 16
; WaveLimiterHint : 1
; COMPUTE_PGM_RSRC2:SCRATCH_EN: 0
; COMPUTE_PGM_RSRC2:USER_SGPR: 6
; COMPUTE_PGM_RSRC2:TRAP_HANDLER: 0
; COMPUTE_PGM_RSRC2:TGID_X_EN: 1
; COMPUTE_PGM_RSRC2:TGID_Y_EN: 1
; COMPUTE_PGM_RSRC2:TGID_Z_EN: 1
; COMPUTE_PGM_RSRC2:TIDIG_COMP_CNT: 0
	.section	.text._ZN2at6native6mbtopk10gatherTopKIimLi3EEEvNS_4cuda6detail10TensorInfoIKT_T0_EES8_S8_bjS8_NS5_IS6_S8_EES8_NS5_IlS8_EES8_jjPS6_PjSD_j,"axG",@progbits,_ZN2at6native6mbtopk10gatherTopKIimLi3EEEvNS_4cuda6detail10TensorInfoIKT_T0_EES8_S8_bjS8_NS5_IS6_S8_EES8_NS5_IlS8_EES8_jjPS6_PjSD_j,comdat
	.protected	_ZN2at6native6mbtopk10gatherTopKIimLi3EEEvNS_4cuda6detail10TensorInfoIKT_T0_EES8_S8_bjS8_NS5_IS6_S8_EES8_NS5_IlS8_EES8_jjPS6_PjSD_j ; -- Begin function _ZN2at6native6mbtopk10gatherTopKIimLi3EEEvNS_4cuda6detail10TensorInfoIKT_T0_EES8_S8_bjS8_NS5_IS6_S8_EES8_NS5_IlS8_EES8_jjPS6_PjSD_j
	.globl	_ZN2at6native6mbtopk10gatherTopKIimLi3EEEvNS_4cuda6detail10TensorInfoIKT_T0_EES8_S8_bjS8_NS5_IS6_S8_EES8_NS5_IlS8_EES8_jjPS6_PjSD_j
	.p2align	8
	.type	_ZN2at6native6mbtopk10gatherTopKIimLi3EEEvNS_4cuda6detail10TensorInfoIKT_T0_EES8_S8_bjS8_NS5_IS6_S8_EES8_NS5_IlS8_EES8_jjPS6_PjSD_j,@function
_ZN2at6native6mbtopk10gatherTopKIimLi3EEEvNS_4cuda6detail10TensorInfoIKT_T0_EES8_S8_bjS8_NS5_IS6_S8_EES8_NS5_IlS8_EES8_jjPS6_PjSD_j: ; @_ZN2at6native6mbtopk10gatherTopKIimLi3EEEvNS_4cuda6detail10TensorInfoIKT_T0_EES8_S8_bjS8_NS5_IS6_S8_EES8_NS5_IlS8_EES8_jjPS6_PjSD_j
; %bb.0:
	s_clause 0x1
	s_load_dwordx2 s[0:1], s[4:5], 0x538
	s_load_dword s2, s[4:5], 0x530
	s_waitcnt lgkmcnt(0)
	s_mul_i32 s1, s1, s8
	s_add_i32 s1, s1, s7
	s_mul_i32 s0, s1, s0
	s_add_i32 s0, s0, s6
	s_cmp_ge_u32 s0, s2
	s_cbranch_scc1 .LBB149_54
; %bb.1:
	s_clause 0x2
	s_load_dwordx2 s[6:7], s[4:5], 0x510
	s_load_dwordx4 s[8:11], s[4:5], 0x1a0
	s_load_dwordx4 s[12:15], s[4:5], 0x10
	s_mov_b32 s35, 0
	s_waitcnt lgkmcnt(0)
	v_cvt_f32_u32_e32 v1, s7
	s_sub_i32 s2, 0, s7
	s_lshl_b32 s72, s6, 8
	v_rcp_iflag_f32_e32 v1, v1
	v_mul_f32_e32 v1, 0x4f7ffffe, v1
	v_cvt_u32_f32_e32 v1, v1
	v_readfirstlane_b32 s1, v1
	s_mul_i32 s2, s2, s1
	s_mul_hi_u32 s2, s1, s2
	s_add_i32 s1, s1, s2
	s_mul_hi_u32 s1, s0, s1
	s_mul_i32 s2, s1, s7
	s_add_i32 s3, s1, 1
	s_sub_i32 s2, s0, s2
	s_sub_i32 s16, s2, s7
	s_cmp_ge_u32 s2, s7
	s_cselect_b32 s1, s3, s1
	s_cselect_b32 s2, s16, s2
	s_add_i32 s3, s1, 1
	s_cmp_ge_u32 s2, s7
	s_cselect_b32 s34, s3, s1
	s_mul_i32 s20, s34, s7
	s_sub_i32 s73, s0, s20
	s_add_i32 s0, s73, 1
	s_cmp_lt_u32 s0, s7
	s_cbranch_scc1 .LBB149_3
; %bb.2:
	s_mul_i32 s0, s73, s72
	s_sub_u32 s0, s8, s0
	s_subb_u32 s1, s9, 0
	s_add_u32 s0, s0, 0xff
	s_addc_u32 s1, s1, 0
	s_ashr_i32 s2, s1, 31
	s_lshr_b32 s2, s2, 24
	s_add_u32 s0, s0, s2
	s_addc_u32 s1, s1, 0
	s_lshr_b64 s[0:1], s[0:1], 8
	s_mov_b32 s6, s0
.LBB149_3:
	v_cmp_lt_u64_e64 s0, s[34:35], s[14:15]
	s_mov_b64 s[48:49], 0
	s_mov_b64 s[50:51], 0
	s_and_b32 vcc_lo, exec_lo, s0
	s_cbranch_vccnz .LBB149_5
; %bb.4:
	v_cvt_f32_u32_e32 v1, s14
	s_sub_i32 s1, 0, s14
	s_mov_b32 s51, 0
	v_rcp_iflag_f32_e32 v1, v1
	v_mul_f32_e32 v1, 0x4f7ffffe, v1
	v_cvt_u32_f32_e32 v1, v1
	v_readfirstlane_b32 s0, v1
	s_mul_i32 s1, s1, s0
	s_mul_hi_u32 s1, s0, s1
	s_add_i32 s0, s0, s1
	s_mul_hi_u32 s0, s34, s0
	s_mul_i32 s1, s0, s14
	s_add_i32 s2, s0, 1
	s_sub_i32 s1, s34, s1
	s_sub_i32 s3, s1, s14
	s_cmp_ge_u32 s1, s14
	s_cselect_b32 s0, s2, s0
	s_cselect_b32 s1, s3, s1
	s_add_i32 s2, s0, 1
	s_cmp_ge_u32 s1, s14
	s_cselect_b32 s50, s2, s0
.LBB149_5:
	s_load_dwordx4 s[24:27], s[4:5], 0x1d0
	v_cmp_lt_u64_e64 s0, s[50:51], s[12:13]
	s_and_b32 vcc_lo, exec_lo, s0
	s_cbranch_vccnz .LBB149_7
; %bb.6:
	v_cvt_f32_u32_e32 v1, s12
	s_sub_i32 s1, 0, s12
	v_rcp_iflag_f32_e32 v1, v1
	v_mul_f32_e32 v1, 0x4f7ffffe, v1
	v_cvt_u32_f32_e32 v1, v1
	v_readfirstlane_b32 s0, v1
	s_mul_i32 s1, s1, s0
	s_mul_hi_u32 s1, s0, s1
	s_add_i32 s0, s0, s1
	s_mul_hi_u32 s0, s50, s0
	s_mul_i32 s1, s0, s12
	s_add_i32 s2, s0, 1
	s_sub_i32 s1, s50, s1
	s_sub_i32 s3, s1, s12
	s_cmp_ge_u32 s1, s12
	s_cselect_b32 s0, s2, s0
	s_cselect_b32 s1, s3, s1
	s_add_i32 s2, s0, 1
	s_cmp_ge_u32 s1, s12
	s_cselect_b32 s48, s2, s0
.LBB149_7:
	s_waitcnt lgkmcnt(0)
	v_cmp_lt_u64_e64 s0, s[34:35], s[26:27]
	s_mov_b64 s[52:53], 0
	s_mov_b64 s[60:61], 0
	s_and_b32 vcc_lo, exec_lo, s0
	s_cbranch_vccnz .LBB149_9
; %bb.8:
	v_cvt_f32_u32_e32 v1, s26
	s_sub_i32 s1, 0, s26
	s_mov_b32 s61, 0
	v_rcp_iflag_f32_e32 v1, v1
	v_mul_f32_e32 v1, 0x4f7ffffe, v1
	v_cvt_u32_f32_e32 v1, v1
	v_readfirstlane_b32 s0, v1
	s_mul_i32 s1, s1, s0
	s_mul_hi_u32 s1, s0, s1
	s_add_i32 s0, s0, s1
	s_mul_hi_u32 s0, s34, s0
	s_mul_i32 s1, s0, s26
	s_add_i32 s2, s0, 1
	s_sub_i32 s1, s34, s1
	s_sub_i32 s3, s1, s26
	s_cmp_ge_u32 s1, s26
	s_cselect_b32 s0, s2, s0
	s_cselect_b32 s1, s3, s1
	s_add_i32 s2, s0, 1
	s_cmp_ge_u32 s1, s26
	s_cselect_b32 s60, s2, s0
.LBB149_9:
	s_load_dwordx4 s[28:31], s[4:5], 0x378
	v_cmp_lt_u64_e64 s0, s[60:61], s[24:25]
	s_and_b32 vcc_lo, exec_lo, s0
	s_cbranch_vccnz .LBB149_11
; %bb.10:
	v_cvt_f32_u32_e32 v1, s24
	s_sub_i32 s1, 0, s24
	v_rcp_iflag_f32_e32 v1, v1
	v_mul_f32_e32 v1, 0x4f7ffffe, v1
	v_cvt_u32_f32_e32 v1, v1
	v_readfirstlane_b32 s0, v1
	s_mul_i32 s1, s1, s0
	s_mul_hi_u32 s1, s0, s1
	s_add_i32 s0, s0, s1
	s_mul_hi_u32 s0, s60, s0
	s_mul_i32 s1, s0, s24
	s_add_i32 s2, s0, 1
	s_sub_i32 s1, s60, s1
	s_sub_i32 s3, s1, s24
	s_cmp_ge_u32 s1, s24
	s_cselect_b32 s0, s2, s0
	s_cselect_b32 s1, s3, s1
	s_add_i32 s2, s0, 1
	s_cmp_ge_u32 s1, s24
	s_cselect_b32 s52, s2, s0
.LBB149_11:
	s_waitcnt lgkmcnt(0)
	v_cmp_lt_u64_e64 s0, s[34:35], s[30:31]
	s_mov_b64 s[54:55], 0
	s_mov_b64 s[64:65], 0
	s_and_b32 vcc_lo, exec_lo, s0
	s_cbranch_vccnz .LBB149_13
; %bb.12:
	v_cvt_f32_u32_e32 v1, s30
	s_sub_i32 s1, 0, s30
	s_mov_b32 s65, 0
	v_rcp_iflag_f32_e32 v1, v1
	v_mul_f32_e32 v1, 0x4f7ffffe, v1
	v_cvt_u32_f32_e32 v1, v1
	v_readfirstlane_b32 s0, v1
	s_mul_i32 s1, s1, s0
	s_mul_hi_u32 s1, s0, s1
	s_add_i32 s0, s0, s1
	s_mul_hi_u32 s0, s34, s0
	s_mul_i32 s1, s0, s30
	s_add_i32 s2, s0, 1
	s_sub_i32 s1, s34, s1
	s_sub_i32 s3, s1, s30
	s_cmp_ge_u32 s1, s30
	s_cselect_b32 s0, s2, s0
	s_cselect_b32 s1, s3, s1
	s_add_i32 s2, s0, 1
	s_cmp_ge_u32 s1, s30
	s_cselect_b32 s64, s2, s0
.LBB149_13:
	s_clause 0x5
	s_load_dwordx2 s[62:63], s[4:5], 0xe0
	s_load_dwordx4 s[44:47], s[4:5], 0xd0
	s_load_dwordx2 s[58:59], s[4:5], 0x2a0
	s_load_dwordx4 s[40:43], s[4:5], 0x290
	;; [unrolled: 2-line block ×3, first 2 shown]
	v_cmp_lt_u64_e64 s0, s[64:65], s[28:29]
	s_and_b32 vcc_lo, exec_lo, s0
	s_cbranch_vccnz .LBB149_15
; %bb.14:
	v_cvt_f32_u32_e32 v1, s28
	s_sub_i32 s1, 0, s28
	v_rcp_iflag_f32_e32 v1, v1
	v_mul_f32_e32 v1, 0x4f7ffffe, v1
	v_cvt_u32_f32_e32 v1, v1
	v_readfirstlane_b32 s0, v1
	s_mul_i32 s1, s1, s0
	s_mul_hi_u32 s1, s0, s1
	s_add_i32 s0, s0, s1
	s_mul_hi_u32 s0, s64, s0
	s_mul_i32 s1, s0, s28
	s_add_i32 s2, s0, 1
	s_sub_i32 s1, s64, s1
	s_sub_i32 s3, s1, s28
	s_cmp_ge_u32 s1, s28
	s_cselect_b32 s0, s2, s0
	s_cselect_b32 s1, s3, s1
	s_add_i32 s2, s0, 1
	s_cmp_ge_u32 s1, s28
	s_cselect_b32 s54, s2, s0
.LBB149_15:
	s_load_dwordx4 s[0:3], s[4:5], 0x518
	s_lshl_b64 s[16:17], s[34:35], 2
	s_mov_b32 s21, 0
	s_waitcnt lgkmcnt(0)
	s_add_u32 s0, s0, s16
	s_addc_u32 s1, s1, s17
	s_load_dwordx2 s[66:67], s[4:5], 0x0
	s_load_dword s33, s[0:1], 0x0
	v_cmp_ne_u32_e64 s0, 0, v0
	v_cmp_eq_u32_e64 s1, 0, v0
	s_and_saveexec_b32 s35, s1
	s_cbranch_execz .LBB149_31
; %bb.16:
	s_load_dwordx2 s[22:23], s[4:5], 0x528
	s_lshl_b64 s[68:69], s[20:21], 2
	s_mov_b32 s20, 0
	s_add_u32 s16, s2, s68
	s_addc_u32 s17, s3, s69
	s_mov_b32 s49, 0
	s_waitcnt lgkmcnt(0)
	s_add_u32 s18, s22, s68
	s_addc_u32 s19, s23, s69
	s_cmp_lt_u32 s7, 4
	s_cbranch_scc1 .LBB149_28
; %bb.17:
	s_mov_b32 s53, 0
.LBB149_18:                             ; =>This Inner Loop Header: Depth=1
	s_add_u32 s16, s2, s68
	s_addc_u32 s17, s3, s69
	s_add_u32 s70, s22, s68
	s_load_dwordx4 s[16:19], s[16:17], 0x0
	s_addc_u32 s71, s23, s69
	s_cmp_ge_u32 s53, s73
	s_cbranch_scc0 .LBB149_25
; %bb.19:                               ;   in Loop: Header=BB149_18 Depth=1
	s_add_i32 s55, s53, 1
	s_cmp_ge_u32 s55, s73
	s_cbranch_scc0 .LBB149_26
.LBB149_20:                             ;   in Loop: Header=BB149_18 Depth=1
	s_add_i32 s55, s55, 1
	s_cmp_ge_u32 s55, s73
	s_cbranch_scc0 .LBB149_27
.LBB149_21:                             ;   in Loop: Header=BB149_18 Depth=1
	s_add_i32 s55, s55, 1
	s_cmp_ge_u32 s55, s73
	s_cbranch_scc1 .LBB149_23
.LBB149_22:                             ;   in Loop: Header=BB149_18 Depth=1
	s_load_dword s70, s[70:71], 0xc
	s_waitcnt lgkmcnt(0)
	s_add_i32 s21, s21, s19
	s_add_i32 s20, s70, s20
.LBB149_23:                             ;   in Loop: Header=BB149_18 Depth=1
	s_waitcnt lgkmcnt(0)
	s_add_i32 s16, s16, s49
	s_add_i32 s16, s16, s17
	;; [unrolled: 1-line block ×4, first 2 shown]
	s_add_u32 s2, s2, 16
	s_addc_u32 s3, s3, 0
	s_add_u32 s22, s22, 16
	s_addc_u32 s23, s23, 0
	s_add_i32 s70, s55, 4
	s_add_u32 s18, s22, s68
	s_addc_u32 s19, s23, s69
	s_add_u32 s16, s2, s68
	s_addc_u32 s17, s3, s69
	s_add_i32 s55, s55, 1
	s_cmp_ge_u32 s70, s7
	s_cbranch_scc1 .LBB149_29
; %bb.24:                               ;   in Loop: Header=BB149_18 Depth=1
	s_mov_b32 s53, s55
	s_branch .LBB149_18
.LBB149_25:                             ;   in Loop: Header=BB149_18 Depth=1
	s_load_dword s55, s[70:71], 0x0
	s_waitcnt lgkmcnt(0)
	s_add_i32 s21, s16, s21
	s_add_i32 s20, s55, s20
	;; [unrolled: 1-line block ×3, first 2 shown]
	s_cmp_ge_u32 s55, s73
	s_cbranch_scc1 .LBB149_20
.LBB149_26:                             ;   in Loop: Header=BB149_18 Depth=1
	s_load_dword s74, s[70:71], 0x4
	s_waitcnt lgkmcnt(0)
	s_add_i32 s21, s21, s17
	s_add_i32 s20, s74, s20
	;; [unrolled: 1-line block ×3, first 2 shown]
	s_cmp_ge_u32 s55, s73
	s_cbranch_scc1 .LBB149_21
.LBB149_27:                             ;   in Loop: Header=BB149_18 Depth=1
	s_load_dword s74, s[70:71], 0x8
	s_waitcnt lgkmcnt(0)
	s_add_i32 s21, s21, s18
	s_add_i32 s20, s74, s20
	;; [unrolled: 1-line block ×3, first 2 shown]
	s_cmp_ge_u32 s55, s73
	s_cbranch_scc0 .LBB149_22
	s_branch .LBB149_23
.LBB149_28:
	s_mov_b32 s2, 0
	s_cmp_ge_u32 s2, s7
	s_cbranch_scc0 .LBB149_52
	s_branch .LBB149_30
.LBB149_29:
	s_add_i32 s2, s53, 4
	s_cmp_ge_u32 s2, s7
	s_cbranch_scc0 .LBB149_52
.LBB149_30:
	v_mov_b32_e32 v1, s20
	v_mov_b32_e32 v2, s49
	;; [unrolled: 1-line block ×4, first 2 shown]
	ds_write_b96 v4, v[1:3] offset:1056
.LBB149_31:
	s_or_b32 exec_lo, exec_lo, s35
	s_clause 0x1
	s_load_dwordx4 s[16:19], s[4:5], 0x1b8
	s_load_dwordx4 s[20:23], s[4:5], 0x360
	s_cmp_eq_u32 s6, 0
	s_waitcnt lgkmcnt(0)
	s_barrier
	buffer_gl0_inv
	s_cbranch_scc1 .LBB149_54
; %bb.32:
	s_mul_i32 s2, s64, s31
	s_mul_hi_u32 s3, s64, s30
	s_mul_i32 s7, s64, s30
	s_add_i32 s3, s3, s2
	s_sub_u32 s2, s34, s7
	s_subb_u32 s3, 0, s3
	s_mul_i32 s7, s2, s57
	s_mul_hi_u32 s30, s2, s56
	s_mul_i32 s3, s3, s56
	s_add_i32 s7, s30, s7
	s_mul_hi_u32 s35, s52, s40
	s_add_i32 s3, s7, s3
	s_mul_i32 s7, s52, s25
	s_mul_hi_u32 s25, s52, s24
	s_mul_i32 s24, s52, s24
	s_add_i32 s25, s25, s7
	s_sub_u32 s24, s60, s24
	s_subb_u32 s25, s61, s25
	s_mul_i32 s7, s24, s43
	s_mul_hi_u32 s30, s24, s42
	s_mul_i32 s25, s25, s42
	s_add_i32 s7, s30, s7
	s_mul_i32 s30, s52, s41
	s_add_i32 s31, s7, s25
	s_mul_i32 s7, s60, s27
	s_mul_hi_u32 s25, s60, s26
	s_mul_i32 s26, s60, s26
	s_add_i32 s35, s35, s30
	s_add_i32 s25, s25, s7
	s_sub_u32 s41, s34, s26
	s_subb_u32 s25, 0, s25
	s_mul_i32 s7, s41, s59
	s_mul_hi_u32 s26, s41, s58
	s_mul_i32 s25, s25, s58
	s_add_i32 s7, s26, s7
	s_mul_hi_u32 s27, s48, s44
	s_add_i32 s25, s7, s25
	s_mul_i32 s7, s48, s13
	s_mul_hi_u32 s13, s48, s12
	s_mul_i32 s12, s48, s12
	s_add_i32 s13, s13, s7
	s_sub_u32 s7, s50, s12
	s_subb_u32 s13, s51, s13
	s_mul_i32 s12, s7, s47
	s_mul_hi_u32 s26, s7, s46
	s_mul_i32 s13, s13, s46
	s_add_i32 s12, s26, s12
	s_mul_i32 s26, s48, s45
	s_add_i32 s13, s12, s13
	s_mul_i32 s12, s50, s15
	s_mul_hi_u32 s15, s50, s14
	s_mul_i32 s14, s50, s14
	s_add_i32 s27, s27, s26
	s_add_i32 s15, s15, s12
	s_sub_u32 s14, s34, s14
	s_subb_u32 s15, 0, s15
	s_mul_i32 s12, s14, s63
	s_mul_hi_u32 s26, s14, s62
	s_mul_i32 s15, s15, s62
	s_add_i32 s12, s26, s12
	s_mul_hi_u32 s26, s54, s28
	s_add_i32 s15, s12, s15
	s_mul_i32 s12, s54, s29
	s_mul_i32 s28, s54, s28
	s_add_i32 s26, s26, s12
	s_sub_u32 s28, s64, s28
	s_mul_i32 s12, s7, s46
	s_mul_i32 s7, s28, s39
	s_mul_hi_u32 s29, s28, s38
	s_subb_u32 s26, s65, s26
	s_add_i32 s7, s29, s7
	s_mul_i32 s29, s26, s38
	s_mul_i32 s26, s48, s44
	s_add_i32 s29, s7, s29
	s_mul_i32 s7, s54, s37
	s_mul_hi_u32 s30, s54, s36
	s_lshl_b64 s[26:27], s[26:27], 2
	s_add_i32 s37, s30, s7
	s_add_u32 s7, s66, s26
	s_addc_u32 s26, s67, s27
	s_lshl_b64 s[12:13], s[12:13], 2
	s_mul_i32 s14, s14, s62
	s_add_u32 s7, s7, s12
	s_addc_u32 s26, s26, s13
	s_lshl_b64 s[12:13], s[14:15], 2
	s_mul_i32 s34, s52, s40
	s_add_u32 s7, s7, s12
	v_mov_b32_e32 v5, 0
	s_addc_u32 s12, s26, s13
	s_lshl_b64 s[14:15], s[34:35], 2
	s_mul_i32 s30, s24, s42
	s_add_u32 s13, s18, s14
	s_addc_u32 s18, s19, s15
	s_lshl_b64 s[14:15], s[30:31], 2
	s_mul_i32 s24, s41, s58
	ds_read_b96 v[1:3], v5 offset:1056
	s_add_u32 s13, s13, s14
	s_addc_u32 s18, s18, s15
	s_lshl_b64 s[14:15], s[24:25], 2
	s_mul_i32 s36, s54, s36
	s_add_u32 s13, s13, s14
	s_addc_u32 s14, s18, s15
	s_lshl_b64 s[18:19], s[36:37], 3
	s_mul_i32 s28, s28, s38
	;; [unrolled: 4-line block ×3, first 2 shown]
	s_add_u32 s15, s15, s18
	s_addc_u32 s18, s22, s19
	s_lshl_b64 s[2:3], s[2:3], 3
	v_add_nc_u32_e32 v4, -1, v0
	s_add_u32 s15, s15, s2
	s_addc_u32 s18, s18, s3
	s_clause 0x1
	s_load_dword s3, s[4:5], 0x1b0
	s_load_dwordx2 s[4:5], s[4:5], 0x508
	v_lshrrev_b32_e32 v6, 3, v0
	v_lshrrev_b32_e32 v7, 3, v4
	s_waitcnt lgkmcnt(0)
	v_add_nc_u32_e32 v1, v1, v2
	v_and_b32_e32 v10, 0xfc, v0
	v_lshlrev_b32_e32 v11, 5, v0
	v_and_b32_e32 v2, 28, v6
	v_and_b32_e32 v12, 0x1ffffffc, v7
	v_mad_u64_u32 v[6:7], null, s73, s72, v[0:1]
	v_mbcnt_lo_u32_b32 v8, -1, 0
	s_xor_b32 s19, s33, 0x80000000
	v_lshl_add_u32 v9, v0, 2, v2
	v_cmp_gt_u32_e64 s2, 32, v0
	v_lshl_add_u32 v0, v4, 2, v12
	v_add_nc_u32_e32 v10, v10, v11
	v_and_b32_e32 v11, 15, v8
	v_bfe_i32 v12, v8, 4, 1
	v_add_nc_u32_e32 v13, -1, v8
	v_mov_b32_e32 v4, v6
	s_bitcmp1_b32 s3, 0
                                        ; implicit-def: $vgpr14
	s_cselect_b32 s3, -1, 0
	s_branch .LBB149_35
.LBB149_33:                             ;   in Loop: Header=BB149_35 Depth=1
	s_or_b32 exec_lo, exec_lo, s22
	v_add_nc_u32_e32 v1, v2, v1
.LBB149_34:                             ;   in Loop: Header=BB149_35 Depth=1
	v_add_nc_u32_e32 v3, v15, v3
	v_add_nc_u32_e32 v4, 0x100, v4
	s_add_i32 s6, s6, -1
	s_cmp_lg_u32 s6, 0
	s_cbranch_scc0 .LBB149_54
.LBB149_35:                             ; =>This Inner Loop Header: Depth=1
	v_mov_b32_e32 v2, v5
	v_mov_b32_e32 v6, v5
	s_mov_b32 s22, exec_lo
	v_cmpx_gt_u64_e64 s[8:9], v[4:5]
	s_cbranch_execz .LBB149_37
; %bb.36:                               ;   in Loop: Header=BB149_35 Depth=1
	v_mad_u64_u32 v[6:7], null, s16, v4, 0
	v_mov_b32_e32 v2, v7
	v_mad_u64_u32 v[14:15], null, s17, v4, v[2:3]
	v_mov_b32_e32 v7, v14
	v_lshlrev_b64 v[6:7], 2, v[6:7]
	v_add_co_u32 v6, vcc_lo, s7, v6
	v_add_co_ci_u32_e64 v7, null, s12, v7, vcc_lo
	global_load_dword v14, v[6:7], off
	s_waitcnt vmcnt(0)
	v_xor_b32_e32 v2, 0x80000000, v14
	v_cmp_lt_u32_e32 vcc_lo, s19, v2
	v_cndmask_b32_e64 v6, 0, 1, vcc_lo
	v_cmp_gt_u32_e32 vcc_lo, s19, v2
	v_cndmask_b32_e64 v2, 0, 1, vcc_lo
	v_cmp_eq_u32_e32 vcc_lo, s33, v14
	v_cndmask_b32_e64 v2, v2, v6, s3
	v_cndmask_b32_e64 v6, 0, 1, vcc_lo
	v_and_b32_e32 v2, 1, v2
.LBB149_37:                             ;   in Loop: Header=BB149_35 Depth=1
	s_or_b32 exec_lo, exec_lo, s22
	ds_write_b32 v9, v2
	s_waitcnt lgkmcnt(0)
	s_barrier
	buffer_gl0_inv
	s_and_saveexec_b32 s22, s2
	s_cbranch_execz .LBB149_39
; %bb.38:                               ;   in Loop: Header=BB149_35 Depth=1
	ds_read2_b32 v[15:16], v10 offset1:1
	ds_read2_b32 v[17:18], v10 offset0:2 offset1:3
	ds_read2_b32 v[19:20], v10 offset0:4 offset1:5
	;; [unrolled: 1-line block ×3, first 2 shown]
	v_cmp_ne_u32_e32 vcc_lo, 0, v11
	; wave barrier
	s_waitcnt lgkmcnt(3)
	v_add_nc_u32_e32 v7, v16, v15
	s_waitcnt lgkmcnt(2)
	v_add3_u32 v7, v7, v17, v18
	s_waitcnt lgkmcnt(1)
	v_add3_u32 v7, v7, v19, v20
	;; [unrolled: 2-line block ×3, first 2 shown]
	v_mov_b32_dpp v16, v7 row_shr:1 row_mask:0xf bank_mask:0xf
	v_cndmask_b32_e32 v16, 0, v16, vcc_lo
	v_cmp_lt_u32_e32 vcc_lo, 1, v11
	v_add_nc_u32_e32 v7, v16, v7
	v_mov_b32_dpp v16, v7 row_shr:2 row_mask:0xf bank_mask:0xf
	v_cndmask_b32_e32 v16, 0, v16, vcc_lo
	v_cmp_lt_u32_e32 vcc_lo, 3, v11
	v_add_nc_u32_e32 v7, v7, v16
	;; [unrolled: 4-line block ×3, first 2 shown]
	v_mov_b32_dpp v16, v7 row_shr:8 row_mask:0xf bank_mask:0xf
	v_cndmask_b32_e32 v16, 0, v16, vcc_lo
	v_cmp_gt_i32_e32 vcc_lo, 0, v13
	v_add_nc_u32_e32 v7, v7, v16
	v_cndmask_b32_e32 v17, v13, v8, vcc_lo
	ds_swizzle_b32 v16, v7 offset:swizzle(BROADCAST,32,15)
	v_lshlrev_b32_e32 v17, 2, v17
	s_waitcnt lgkmcnt(0)
	v_and_b32_e32 v16, v12, v16
	v_add_nc_u32_e32 v7, v7, v16
	ds_bpermute_b32 v7, v17, v7
	s_waitcnt lgkmcnt(0)
	v_add_nc_u32_e32 v7, v7, v15
	v_cndmask_b32_e64 v7, v7, v2, s1
	ds_write_b32 v10, v7
	; wave barrier
	ds_read2_b32 v[15:16], v10 offset0:1 offset1:2
	ds_read2_b32 v[17:18], v10 offset0:3 offset1:4
	;; [unrolled: 1-line block ×3, first 2 shown]
	ds_read_b32 v21, v10 offset:28
	s_waitcnt lgkmcnt(3)
	v_add_nc_u32_e32 v7, v15, v7
	v_add_nc_u32_e32 v15, v16, v7
	s_waitcnt lgkmcnt(2)
	v_add_nc_u32_e32 v16, v17, v15
	v_add_nc_u32_e32 v17, v18, v16
	;; [unrolled: 3-line block ×3, first 2 shown]
	s_waitcnt lgkmcnt(0)
	v_add_nc_u32_e32 v20, v21, v19
	ds_write2_b32 v10, v7, v15 offset0:1 offset1:2
	ds_write2_b32 v10, v16, v17 offset0:3 offset1:4
	;; [unrolled: 1-line block ×3, first 2 shown]
	ds_write_b32 v10, v20 offset:28
.LBB149_39:                             ;   in Loop: Header=BB149_35 Depth=1
	s_or_b32 exec_lo, exec_lo, s22
	v_mov_b32_e32 v7, 0
	s_waitcnt lgkmcnt(0)
	s_barrier
	buffer_gl0_inv
	s_and_saveexec_b32 s22, s0
; %bb.40:                               ;   in Loop: Header=BB149_35 Depth=1
	ds_read_b32 v7, v0
; %bb.41:                               ;   in Loop: Header=BB149_35 Depth=1
	s_or_b32 exec_lo, exec_lo, s22
	ds_read_b32 v15, v5 offset:1048
	s_mov_b32 s22, exec_lo
	s_waitcnt lgkmcnt(0)
	s_barrier
	buffer_gl0_inv
	v_cmpx_ne_u32_e32 0, v2
	s_cbranch_execz .LBB149_43
; %bb.42:                               ;   in Loop: Header=BB149_35 Depth=1
	v_add_nc_u32_e32 v21, v7, v3
	v_mad_u64_u32 v[16:17], null, s20, v21, 0
	v_mad_u64_u32 v[18:19], null, s4, v21, 0
	v_mov_b32_e32 v2, v17
	v_mov_b32_e32 v7, v19
	v_mad_u64_u32 v[19:20], null, s21, v21, v[2:3]
	v_mad_u64_u32 v[20:21], null, s5, v21, v[7:8]
	v_mov_b32_e32 v17, v19
	v_mov_b32_e32 v19, v20
	v_lshlrev_b64 v[16:17], 2, v[16:17]
	v_lshlrev_b64 v[18:19], 3, v[18:19]
	v_add_co_u32 v16, vcc_lo, s13, v16
	v_add_co_ci_u32_e64 v17, null, s14, v17, vcc_lo
	v_add_co_u32 v18, vcc_lo, s15, v18
	v_add_co_ci_u32_e64 v19, null, s18, v19, vcc_lo
	global_store_dword v[16:17], v14, off
	global_store_dwordx2 v[18:19], v[4:5], off
.LBB149_43:                             ;   in Loop: Header=BB149_35 Depth=1
	s_or_b32 exec_lo, exec_lo, s22
	v_mov_b32_e32 v2, v5
	v_cmp_le_u64_e32 vcc_lo, s[10:11], v[1:2]
	s_cbranch_vccnz .LBB149_34
; %bb.44:                               ;   in Loop: Header=BB149_35 Depth=1
	ds_write_b32 v9, v6
	s_waitcnt lgkmcnt(0)
	s_waitcnt_vscnt null, 0x0
	s_barrier
	buffer_gl0_inv
	s_and_saveexec_b32 s22, s2
	s_cbranch_execz .LBB149_46
; %bb.45:                               ;   in Loop: Header=BB149_35 Depth=1
	ds_read2_b32 v[16:17], v10 offset1:1
	ds_read2_b32 v[18:19], v10 offset0:2 offset1:3
	ds_read2_b32 v[20:21], v10 offset0:4 offset1:5
	ds_read2_b32 v[22:23], v10 offset0:6 offset1:7
	v_cmp_ne_u32_e32 vcc_lo, 0, v11
	; wave barrier
	s_waitcnt lgkmcnt(3)
	v_add_nc_u32_e32 v2, v17, v16
	s_waitcnt lgkmcnt(2)
	v_add3_u32 v2, v2, v18, v19
	s_waitcnt lgkmcnt(1)
	v_add3_u32 v2, v2, v20, v21
	;; [unrolled: 2-line block ×3, first 2 shown]
	v_mov_b32_dpp v7, v2 row_shr:1 row_mask:0xf bank_mask:0xf
	v_cndmask_b32_e32 v7, 0, v7, vcc_lo
	v_cmp_lt_u32_e32 vcc_lo, 1, v11
	v_add_nc_u32_e32 v2, v7, v2
	v_mov_b32_dpp v7, v2 row_shr:2 row_mask:0xf bank_mask:0xf
	v_cndmask_b32_e32 v7, 0, v7, vcc_lo
	v_cmp_lt_u32_e32 vcc_lo, 3, v11
	v_add_nc_u32_e32 v2, v2, v7
	;; [unrolled: 4-line block ×3, first 2 shown]
	v_mov_b32_dpp v7, v2 row_shr:8 row_mask:0xf bank_mask:0xf
	v_cndmask_b32_e32 v7, 0, v7, vcc_lo
	v_cmp_gt_i32_e32 vcc_lo, 0, v13
	v_add_nc_u32_e32 v2, v2, v7
	v_cndmask_b32_e32 v17, v13, v8, vcc_lo
	ds_swizzle_b32 v7, v2 offset:swizzle(BROADCAST,32,15)
	v_lshlrev_b32_e32 v17, 2, v17
	s_waitcnt lgkmcnt(0)
	v_and_b32_e32 v7, v12, v7
	v_add_nc_u32_e32 v2, v2, v7
	ds_bpermute_b32 v2, v17, v2
	s_waitcnt lgkmcnt(0)
	v_add_nc_u32_e32 v2, v2, v16
	v_cndmask_b32_e64 v2, v2, v6, s1
	ds_write_b32 v10, v2
	; wave barrier
	ds_read2_b32 v[16:17], v10 offset0:1 offset1:2
	ds_read2_b32 v[18:19], v10 offset0:3 offset1:4
	;; [unrolled: 1-line block ×3, first 2 shown]
	ds_read_b32 v7, v10 offset:28
	s_waitcnt lgkmcnt(3)
	v_add_nc_u32_e32 v2, v16, v2
	v_add_nc_u32_e32 v16, v17, v2
	s_waitcnt lgkmcnt(2)
	v_add_nc_u32_e32 v17, v18, v16
	v_add_nc_u32_e32 v18, v19, v17
	;; [unrolled: 3-line block ×3, first 2 shown]
	s_waitcnt lgkmcnt(0)
	v_add_nc_u32_e32 v7, v7, v20
	ds_write2_b32 v10, v2, v16 offset0:1 offset1:2
	ds_write2_b32 v10, v17, v18 offset0:3 offset1:4
	;; [unrolled: 1-line block ×3, first 2 shown]
	ds_write_b32 v10, v7 offset:28
.LBB149_46:                             ;   in Loop: Header=BB149_35 Depth=1
	s_or_b32 exec_lo, exec_lo, s22
	v_mov_b32_e32 v7, 0
	s_waitcnt lgkmcnt(0)
	s_barrier
	buffer_gl0_inv
	s_and_saveexec_b32 s22, s0
; %bb.47:                               ;   in Loop: Header=BB149_35 Depth=1
	ds_read_b32 v7, v0
; %bb.48:                               ;   in Loop: Header=BB149_35 Depth=1
	s_or_b32 exec_lo, exec_lo, s22
	ds_read_b32 v2, v5 offset:1048
	s_mov_b32 s22, exec_lo
	s_waitcnt lgkmcnt(0)
	s_barrier
	buffer_gl0_inv
	v_cmpx_ne_u32_e32 0, v6
	s_cbranch_execz .LBB149_33
; %bb.49:                               ;   in Loop: Header=BB149_35 Depth=1
	v_add_nc_u32_e32 v6, v7, v1
	v_mov_b32_e32 v7, v5
	v_cmp_gt_u64_e32 vcc_lo, s[10:11], v[6:7]
	s_and_b32 exec_lo, exec_lo, vcc_lo
	s_cbranch_execz .LBB149_33
; %bb.50:                               ;   in Loop: Header=BB149_35 Depth=1
	v_mad_u64_u32 v[16:17], null, s20, v6, 0
	v_mad_u64_u32 v[18:19], null, s4, v6, 0
	v_mov_b32_e32 v7, v17
	v_mov_b32_e32 v17, v19
	v_mad_u64_u32 v[19:20], null, s21, v6, v[7:8]
	v_mad_u64_u32 v[6:7], null, s5, v6, v[17:18]
	v_mov_b32_e32 v17, v19
	v_mov_b32_e32 v19, v6
	v_lshlrev_b64 v[6:7], 2, v[16:17]
	v_lshlrev_b64 v[16:17], 3, v[18:19]
	v_add_co_u32 v6, vcc_lo, s13, v6
	v_add_co_ci_u32_e64 v7, null, s14, v7, vcc_lo
	v_add_co_u32 v16, vcc_lo, s15, v16
	v_add_co_ci_u32_e64 v17, null, s18, v17, vcc_lo
	global_store_dword v[6:7], v14, off
	global_store_dwordx2 v[16:17], v[4:5], off
	s_branch .LBB149_33
	.p2align	6
.LBB149_51:                             ;   in Loop: Header=BB149_52 Depth=1
	s_add_u32 s16, s16, 4
	s_addc_u32 s17, s17, 0
	s_waitcnt lgkmcnt(0)
	s_add_i32 s49, s3, s49
	s_add_u32 s18, s18, 4
	s_addc_u32 s19, s19, 0
	s_add_i32 s2, s2, 1
	s_cmp_lt_u32 s2, s7
	s_cbranch_scc0 .LBB149_30
.LBB149_52:                             ; =>This Inner Loop Header: Depth=1
	s_load_dword s3, s[16:17], 0x0
	s_cmp_ge_u32 s2, s73
	s_cbranch_scc1 .LBB149_51
; %bb.53:                               ;   in Loop: Header=BB149_52 Depth=1
	s_load_dword s22, s[18:19], 0x0
	s_waitcnt lgkmcnt(0)
	s_add_i32 s21, s3, s21
	s_add_i32 s20, s22, s20
	s_branch .LBB149_51
.LBB149_54:
	s_endpgm
	.section	.rodata,"a",@progbits
	.p2align	6, 0x0
	.amdhsa_kernel _ZN2at6native6mbtopk10gatherTopKIimLi3EEEvNS_4cuda6detail10TensorInfoIKT_T0_EES8_S8_bjS8_NS5_IS6_S8_EES8_NS5_IlS8_EES8_jjPS6_PjSD_j
		.amdhsa_group_segment_fixed_size 1068
		.amdhsa_private_segment_fixed_size 0
		.amdhsa_kernarg_size 1592
		.amdhsa_user_sgpr_count 6
		.amdhsa_user_sgpr_private_segment_buffer 1
		.amdhsa_user_sgpr_dispatch_ptr 0
		.amdhsa_user_sgpr_queue_ptr 0
		.amdhsa_user_sgpr_kernarg_segment_ptr 1
		.amdhsa_user_sgpr_dispatch_id 0
		.amdhsa_user_sgpr_flat_scratch_init 0
		.amdhsa_user_sgpr_private_segment_size 0
		.amdhsa_wavefront_size32 1
		.amdhsa_uses_dynamic_stack 0
		.amdhsa_system_sgpr_private_segment_wavefront_offset 0
		.amdhsa_system_sgpr_workgroup_id_x 1
		.amdhsa_system_sgpr_workgroup_id_y 1
		.amdhsa_system_sgpr_workgroup_id_z 1
		.amdhsa_system_sgpr_workgroup_info 0
		.amdhsa_system_vgpr_workitem_id 0
		.amdhsa_next_free_vgpr 24
		.amdhsa_next_free_sgpr 75
		.amdhsa_reserve_vcc 1
		.amdhsa_reserve_flat_scratch 0
		.amdhsa_float_round_mode_32 0
		.amdhsa_float_round_mode_16_64 0
		.amdhsa_float_denorm_mode_32 3
		.amdhsa_float_denorm_mode_16_64 3
		.amdhsa_dx10_clamp 1
		.amdhsa_ieee_mode 1
		.amdhsa_fp16_overflow 0
		.amdhsa_workgroup_processor_mode 1
		.amdhsa_memory_ordered 1
		.amdhsa_forward_progress 1
		.amdhsa_shared_vgpr_count 0
		.amdhsa_exception_fp_ieee_invalid_op 0
		.amdhsa_exception_fp_denorm_src 0
		.amdhsa_exception_fp_ieee_div_zero 0
		.amdhsa_exception_fp_ieee_overflow 0
		.amdhsa_exception_fp_ieee_underflow 0
		.amdhsa_exception_fp_ieee_inexact 0
		.amdhsa_exception_int_div_zero 0
	.end_amdhsa_kernel
	.section	.text._ZN2at6native6mbtopk10gatherTopKIimLi3EEEvNS_4cuda6detail10TensorInfoIKT_T0_EES8_S8_bjS8_NS5_IS6_S8_EES8_NS5_IlS8_EES8_jjPS6_PjSD_j,"axG",@progbits,_ZN2at6native6mbtopk10gatherTopKIimLi3EEEvNS_4cuda6detail10TensorInfoIKT_T0_EES8_S8_bjS8_NS5_IS6_S8_EES8_NS5_IlS8_EES8_jjPS6_PjSD_j,comdat
.Lfunc_end149:
	.size	_ZN2at6native6mbtopk10gatherTopKIimLi3EEEvNS_4cuda6detail10TensorInfoIKT_T0_EES8_S8_bjS8_NS5_IS6_S8_EES8_NS5_IlS8_EES8_jjPS6_PjSD_j, .Lfunc_end149-_ZN2at6native6mbtopk10gatherTopKIimLi3EEEvNS_4cuda6detail10TensorInfoIKT_T0_EES8_S8_bjS8_NS5_IS6_S8_EES8_NS5_IlS8_EES8_jjPS6_PjSD_j
                                        ; -- End function
	.set _ZN2at6native6mbtopk10gatherTopKIimLi3EEEvNS_4cuda6detail10TensorInfoIKT_T0_EES8_S8_bjS8_NS5_IS6_S8_EES8_NS5_IlS8_EES8_jjPS6_PjSD_j.num_vgpr, 24
	.set _ZN2at6native6mbtopk10gatherTopKIimLi3EEEvNS_4cuda6detail10TensorInfoIKT_T0_EES8_S8_bjS8_NS5_IS6_S8_EES8_NS5_IlS8_EES8_jjPS6_PjSD_j.num_agpr, 0
	.set _ZN2at6native6mbtopk10gatherTopKIimLi3EEEvNS_4cuda6detail10TensorInfoIKT_T0_EES8_S8_bjS8_NS5_IS6_S8_EES8_NS5_IlS8_EES8_jjPS6_PjSD_j.numbered_sgpr, 75
	.set _ZN2at6native6mbtopk10gatherTopKIimLi3EEEvNS_4cuda6detail10TensorInfoIKT_T0_EES8_S8_bjS8_NS5_IS6_S8_EES8_NS5_IlS8_EES8_jjPS6_PjSD_j.num_named_barrier, 0
	.set _ZN2at6native6mbtopk10gatherTopKIimLi3EEEvNS_4cuda6detail10TensorInfoIKT_T0_EES8_S8_bjS8_NS5_IS6_S8_EES8_NS5_IlS8_EES8_jjPS6_PjSD_j.private_seg_size, 0
	.set _ZN2at6native6mbtopk10gatherTopKIimLi3EEEvNS_4cuda6detail10TensorInfoIKT_T0_EES8_S8_bjS8_NS5_IS6_S8_EES8_NS5_IlS8_EES8_jjPS6_PjSD_j.uses_vcc, 1
	.set _ZN2at6native6mbtopk10gatherTopKIimLi3EEEvNS_4cuda6detail10TensorInfoIKT_T0_EES8_S8_bjS8_NS5_IS6_S8_EES8_NS5_IlS8_EES8_jjPS6_PjSD_j.uses_flat_scratch, 0
	.set _ZN2at6native6mbtopk10gatherTopKIimLi3EEEvNS_4cuda6detail10TensorInfoIKT_T0_EES8_S8_bjS8_NS5_IS6_S8_EES8_NS5_IlS8_EES8_jjPS6_PjSD_j.has_dyn_sized_stack, 0
	.set _ZN2at6native6mbtopk10gatherTopKIimLi3EEEvNS_4cuda6detail10TensorInfoIKT_T0_EES8_S8_bjS8_NS5_IS6_S8_EES8_NS5_IlS8_EES8_jjPS6_PjSD_j.has_recursion, 0
	.set _ZN2at6native6mbtopk10gatherTopKIimLi3EEEvNS_4cuda6detail10TensorInfoIKT_T0_EES8_S8_bjS8_NS5_IS6_S8_EES8_NS5_IlS8_EES8_jjPS6_PjSD_j.has_indirect_call, 0
	.section	.AMDGPU.csdata,"",@progbits
; Kernel info:
; codeLenInByte = 3472
; TotalNumSgprs: 77
; NumVgprs: 24
; ScratchSize: 0
; MemoryBound: 0
; FloatMode: 240
; IeeeMode: 1
; LDSByteSize: 1068 bytes/workgroup (compile time only)
; SGPRBlocks: 0
; VGPRBlocks: 2
; NumSGPRsForWavesPerEU: 77
; NumVGPRsForWavesPerEU: 24
; Occupancy: 16
; WaveLimiterHint : 1
; COMPUTE_PGM_RSRC2:SCRATCH_EN: 0
; COMPUTE_PGM_RSRC2:USER_SGPR: 6
; COMPUTE_PGM_RSRC2:TRAP_HANDLER: 0
; COMPUTE_PGM_RSRC2:TGID_X_EN: 1
; COMPUTE_PGM_RSRC2:TGID_Y_EN: 1
; COMPUTE_PGM_RSRC2:TGID_Z_EN: 1
; COMPUTE_PGM_RSRC2:TIDIG_COMP_CNT: 0
	.section	.text._ZN2at6native6sbtopk10gatherTopKIimLi3ELb0EEEvNS_4cuda6detail10TensorInfoIKT_T0_EES8_S8_bS8_S8_NS5_IS6_S8_EES8_NS5_IlS8_EES8_PS6_,"axG",@progbits,_ZN2at6native6sbtopk10gatherTopKIimLi3ELb0EEEvNS_4cuda6detail10TensorInfoIKT_T0_EES8_S8_bS8_S8_NS5_IS6_S8_EES8_NS5_IlS8_EES8_PS6_,comdat
	.protected	_ZN2at6native6sbtopk10gatherTopKIimLi3ELb0EEEvNS_4cuda6detail10TensorInfoIKT_T0_EES8_S8_bS8_S8_NS5_IS6_S8_EES8_NS5_IlS8_EES8_PS6_ ; -- Begin function _ZN2at6native6sbtopk10gatherTopKIimLi3ELb0EEEvNS_4cuda6detail10TensorInfoIKT_T0_EES8_S8_bS8_S8_NS5_IS6_S8_EES8_NS5_IlS8_EES8_PS6_
	.globl	_ZN2at6native6sbtopk10gatherTopKIimLi3ELb0EEEvNS_4cuda6detail10TensorInfoIKT_T0_EES8_S8_bS8_S8_NS5_IS6_S8_EES8_NS5_IlS8_EES8_PS6_
	.p2align	8
	.type	_ZN2at6native6sbtopk10gatherTopKIimLi3ELb0EEEvNS_4cuda6detail10TensorInfoIKT_T0_EES8_S8_bS8_S8_NS5_IS6_S8_EES8_NS5_IlS8_EES8_PS6_,@function
_ZN2at6native6sbtopk10gatherTopKIimLi3ELb0EEEvNS_4cuda6detail10TensorInfoIKT_T0_EES8_S8_bS8_S8_NS5_IS6_S8_EES8_NS5_IlS8_EES8_PS6_: ; @_ZN2at6native6sbtopk10gatherTopKIimLi3ELb0EEEvNS_4cuda6detail10TensorInfoIKT_T0_EES8_S8_bS8_S8_NS5_IS6_S8_EES8_NS5_IlS8_EES8_PS6_
; %bb.0:
	s_clause 0x1
	s_load_dwordx2 s[18:19], s[4:5], 0x520
	s_load_dwordx4 s[24:27], s[4:5], 0x1b8
	s_add_u32 s16, s4, 0x520
	s_addc_u32 s17, s5, 0
	s_mov_b32 s35, 0
	s_waitcnt lgkmcnt(0)
	s_mul_i32 s0, s19, s8
	s_add_i32 s0, s0, s7
	s_mul_i32 s0, s0, s18
	s_add_i32 s34, s0, s6
	v_cmp_le_u64_e64 s0, s[24:25], s[34:35]
	s_and_b32 vcc_lo, exec_lo, s0
	s_cbranch_vccnz .LBB150_479
; %bb.1:
	s_load_dwordx4 s[8:11], s[4:5], 0x10
	s_mov_b64 s[0:1], 0
	s_mov_b64 s[20:21], 0
	s_waitcnt lgkmcnt(0)
	v_cmp_lt_u64_e64 s2, s[34:35], s[10:11]
	s_and_b32 vcc_lo, exec_lo, s2
	s_cbranch_vccnz .LBB150_3
; %bb.2:
	v_cvt_f32_u32_e32 v1, s10
	s_sub_i32 s2, 0, s10
	s_mov_b32 s21, 0
	v_rcp_iflag_f32_e32 v1, v1
	v_mul_f32_e32 v1, 0x4f7ffffe, v1
	v_cvt_u32_f32_e32 v1, v1
	v_readfirstlane_b32 s1, v1
	s_mul_i32 s2, s2, s1
	s_mul_hi_u32 s2, s1, s2
	s_add_i32 s1, s1, s2
	s_mul_hi_u32 s1, s34, s1
	s_mul_i32 s2, s1, s10
	s_add_i32 s3, s1, 1
	s_sub_i32 s2, s34, s2
	s_sub_i32 s7, s2, s10
	s_cmp_ge_u32 s2, s10
	s_cselect_b32 s1, s3, s1
	s_cselect_b32 s2, s7, s2
	s_add_i32 s3, s1, 1
	s_cmp_ge_u32 s2, s10
	s_cselect_b32 s20, s3, s1
.LBB150_3:
	s_load_dwordx4 s[36:39], s[4:5], 0x1d8
	v_cmp_lt_u64_e64 s1, s[20:21], s[8:9]
	s_and_b32 vcc_lo, exec_lo, s1
	s_cbranch_vccnz .LBB150_5
; %bb.4:
	v_cvt_f32_u32_e32 v1, s8
	s_sub_i32 s1, 0, s8
	v_rcp_iflag_f32_e32 v1, v1
	v_mul_f32_e32 v1, 0x4f7ffffe, v1
	v_cvt_u32_f32_e32 v1, v1
	v_readfirstlane_b32 s0, v1
	s_mul_i32 s1, s1, s0
	s_mul_hi_u32 s1, s0, s1
	s_add_i32 s0, s0, s1
	s_mul_hi_u32 s0, s20, s0
	s_mul_i32 s1, s0, s8
	s_add_i32 s2, s0, 1
	s_sub_i32 s1, s20, s1
	s_sub_i32 s3, s1, s8
	s_cmp_ge_u32 s1, s8
	s_cselect_b32 s0, s2, s0
	s_cselect_b32 s1, s3, s1
	s_add_i32 s2, s0, 1
	s_cmp_ge_u32 s1, s8
	s_cselect_b32 s0, s2, s0
.LBB150_5:
	s_waitcnt lgkmcnt(0)
	v_cmp_lt_u64_e64 s1, s[34:35], s[38:39]
	s_mov_b64 s[12:13], 0
	s_mov_b64 s[54:55], 0
	s_and_b32 vcc_lo, exec_lo, s1
	s_cbranch_vccnz .LBB150_7
; %bb.6:
	v_cvt_f32_u32_e32 v1, s38
	s_sub_i32 s2, 0, s38
	s_mov_b32 s55, 0
	v_rcp_iflag_f32_e32 v1, v1
	v_mul_f32_e32 v1, 0x4f7ffffe, v1
	v_cvt_u32_f32_e32 v1, v1
	v_readfirstlane_b32 s1, v1
	s_mul_i32 s2, s2, s1
	s_mul_hi_u32 s2, s1, s2
	s_add_i32 s1, s1, s2
	s_mul_hi_u32 s1, s34, s1
	s_mul_i32 s2, s1, s38
	s_add_i32 s3, s1, 1
	s_sub_i32 s2, s34, s2
	s_sub_i32 s7, s2, s38
	s_cmp_ge_u32 s2, s38
	s_cselect_b32 s1, s3, s1
	s_cselect_b32 s2, s7, s2
	s_add_i32 s3, s1, 1
	s_cmp_ge_u32 s2, s38
	s_cselect_b32 s54, s3, s1
.LBB150_7:
	s_load_dwordx4 s[40:43], s[4:5], 0x380
	v_cmp_lt_u64_e64 s1, s[54:55], s[36:37]
	s_and_b32 vcc_lo, exec_lo, s1
	s_cbranch_vccnz .LBB150_9
; %bb.8:
	v_cvt_f32_u32_e32 v1, s36
	s_sub_i32 s2, 0, s36
	v_rcp_iflag_f32_e32 v1, v1
	v_mul_f32_e32 v1, 0x4f7ffffe, v1
	v_cvt_u32_f32_e32 v1, v1
	v_readfirstlane_b32 s1, v1
	s_mul_i32 s2, s2, s1
	s_mul_hi_u32 s2, s1, s2
	s_add_i32 s1, s1, s2
	s_mul_hi_u32 s1, s54, s1
	s_mul_i32 s2, s1, s36
	s_add_i32 s3, s1, 1
	s_sub_i32 s2, s54, s2
	s_sub_i32 s7, s2, s36
	s_cmp_ge_u32 s2, s36
	s_cselect_b32 s1, s3, s1
	s_cselect_b32 s2, s7, s2
	s_add_i32 s3, s1, 1
	s_cmp_ge_u32 s2, s36
	s_cselect_b32 s12, s3, s1
.LBB150_9:
                                        ; implicit-def: $vgpr39 : SGPR spill to VGPR lane
	s_waitcnt lgkmcnt(0)
	v_cmp_lt_u64_e64 s1, s[34:35], s[42:43]
	v_writelane_b32 v39, s12, 0
	s_mov_b64 s[28:29], 0
	s_mov_b64 s[60:61], 0
	v_writelane_b32 v39, s13, 1
	s_clause 0x1
	s_load_dwordx2 s[22:23], s[4:5], 0xe0
	s_load_dwordx4 s[12:15], s[4:5], 0xd0
	s_and_b32 vcc_lo, exec_lo, s1
	s_cbranch_vccnz .LBB150_11
; %bb.10:
	v_cvt_f32_u32_e32 v1, s42
	s_sub_i32 s2, 0, s42
	s_mov_b32 s61, 0
	v_rcp_iflag_f32_e32 v1, v1
	v_mul_f32_e32 v1, 0x4f7ffffe, v1
	v_cvt_u32_f32_e32 v1, v1
	v_readfirstlane_b32 s1, v1
	s_mul_i32 s2, s2, s1
	s_mul_hi_u32 s2, s1, s2
	s_add_i32 s1, s1, s2
	s_mul_hi_u32 s1, s34, s1
	s_mul_i32 s2, s1, s42
	s_add_i32 s3, s1, 1
	s_sub_i32 s2, s34, s2
	s_sub_i32 s7, s2, s42
	s_cmp_ge_u32 s2, s42
	s_cselect_b32 s1, s3, s1
	s_cselect_b32 s2, s7, s2
	s_add_i32 s3, s1, 1
	s_cmp_ge_u32 s2, s42
	s_cselect_b32 s60, s3, s1
.LBB150_11:
	s_load_dwordx2 s[24:25], s[4:5], 0x0
	v_cmp_lt_u64_e64 s1, s[60:61], s[40:41]
	s_and_b32 vcc_lo, exec_lo, s1
	s_cbranch_vccnz .LBB150_13
; %bb.12:
	v_cvt_f32_u32_e32 v1, s40
	s_sub_i32 s2, 0, s40
	v_rcp_iflag_f32_e32 v1, v1
	v_mul_f32_e32 v1, 0x4f7ffffe, v1
	v_cvt_u32_f32_e32 v1, v1
	v_readfirstlane_b32 s1, v1
	s_mul_i32 s2, s2, s1
	s_mul_hi_u32 s2, s1, s2
	s_add_i32 s1, s1, s2
	s_mul_hi_u32 s1, s60, s1
	s_mul_i32 s2, s1, s40
	s_add_i32 s3, s1, 1
	s_sub_i32 s2, s60, s2
	s_sub_i32 s7, s2, s40
	s_cmp_ge_u32 s2, s40
	s_cselect_b32 s1, s3, s1
	s_cselect_b32 s2, s7, s2
	s_add_i32 s3, s1, 1
	s_cmp_ge_u32 s2, s40
	s_cselect_b32 s28, s3, s1
.LBB150_13:
	s_load_dwordx2 s[2:3], s[4:5], 0x370
	v_writelane_b32 v39, s28, 2
	s_mov_b32 s69, 0
	v_writelane_b32 v39, s29, 3
	s_load_dwordx4 s[28:31], s[4:5], 0x1a0
	s_waitcnt lgkmcnt(0)
	v_writelane_b32 v39, s2, 4
	v_writelane_b32 v39, s3, 5
	v_cmp_eq_u32_e64 s3, 0, v0
	s_and_saveexec_b32 s1, s3
	s_cbranch_execz .LBB150_15
; %bb.14:
	v_mov_b32_e32 v1, 0
	v_mov_b32_e32 v3, s28
	;; [unrolled: 1-line block ×4, first 2 shown]
	ds_write_b32 v1, v1 offset:5144
	ds_write_b128 v1, v[1:4] offset:5120
.LBB150_15:
	s_or_b32 exec_lo, exec_lo, s1
	s_mul_i32 s1, s0, s9
	s_mul_hi_u32 s2, s0, s8
	s_mul_i32 s7, s0, s8
	s_add_i32 s2, s2, s1
	s_sub_u32 s7, s20, s7
	s_subb_u32 s2, s21, s2
	s_mul_i32 s1, s7, s15
	s_mul_hi_u32 s8, s7, s14
	s_mul_i32 s2, s2, s14
	s_add_i32 s1, s8, s1
	s_mul_i32 s8, s0, s13
	s_mul_hi_u32 s13, s0, s12
	s_add_i32 s9, s1, s2
	s_add_i32 s1, s13, s8
	s_mul_i32 s2, s20, s11
	s_mul_hi_u32 s8, s20, s10
	s_mul_i32 s10, s20, s10
	s_add_i32 s2, s8, s2
	s_sub_u32 s10, s34, s10
	s_mul_i32 s8, s7, s14
	s_mul_i32 s7, s10, s23
	s_mul_hi_u32 s11, s10, s22
	s_subb_u32 s2, 0, s2
	s_mul_i32 s0, s0, s12
	s_add_i32 s7, s11, s7
	s_mul_i32 s2, s2, s22
	s_lshl_b64 s[0:1], s[0:1], 2
	s_add_i32 s11, s7, s2
	s_add_u32 s7, s24, s0
	s_addc_u32 s12, s25, s1
	s_lshl_b64 s[0:1], s[8:9], 2
	s_mul_i32 s10, s10, s22
	s_add_u32 s7, s7, s0
	s_load_dword s2, s[4:5], 0x1b0
	s_addc_u32 s8, s12, s1
	s_lshl_b64 s[0:1], s[10:11], 2
	s_waitcnt lgkmcnt(0)
	s_add_u32 s33, s7, s0
	s_barrier
	buffer_gl0_inv
	s_load_dword s7, s[16:17], 0xc
	v_mad_u64_u32 v[2:3], null, s26, v0, 0
	v_mbcnt_lo_u32_b32 v24, -1, 0
	s_addc_u32 s35, s8, s1
	v_cmp_gt_u32_e32 vcc_lo, 32, v0
	v_mov_b32_e32 v13, 0
	v_lshlrev_b32_e32 v14, 2, v0
	v_cmp_gt_i32_e64 s1, 4, v24
	v_mov_b32_e32 v1, v3
	v_cmp_lt_u64_e64 s89, 0x300, s[28:29]
	v_mov_b32_e32 v19, s30
	v_cmp_eq_u32_e64 s0, 0, v24
	s_bitcmp1_b32 s2, 0
	v_mad_u64_u32 v[3:4], null, s27, v0, v[1:2]
	s_cselect_b32 s2, -1, 0
	s_and_b32 s88, vcc_lo, s1
	s_xor_b32 s59, s2, -1
	v_mov_b32_e32 v1, v13
	s_waitcnt lgkmcnt(0)
	s_and_b32 s53, s7, 0xffff
	s_bfe_u32 s7, s7, 0xb0005
	s_bfe_u32 s8, s53, 0x80008
	v_lshlrev_b64 v[2:3], 2, v[2:3]
	s_lshl_b32 s90, s8, 3
	s_cmp_gt_u32 s53, 31
	v_cmp_gt_u64_e64 s1, s[28:29], v[0:1]
	s_cselect_b32 s91, -1, 0
	s_add_u32 s92, s53, -1
	s_addc_u32 s93, 0, -1
	s_add_u32 s94, s92, s28
	s_addc_u32 s71, s93, s29
	s_cmp_lt_u32 s6, s18
	v_add_co_u32 v10, vcc_lo, s33, v2
	s_cselect_b32 s6, 12, 18
	v_add_co_ci_u32_e64 v11, null, s35, v3, vcc_lo
	s_add_u32 s72, s16, s6
	v_lshlrev_b64 v[2:3], v24, -1
	s_addc_u32 s73, s17, 0
	s_add_i32 s7, s7, -1
	s_bfe_u32 s95, s53, 0x30005
	s_and_b32 s6, s7, 0xffff
	v_mov_b32_e32 v15, v13
	s_cmp_gt_u32 s6, 6
	s_movk_i32 s6, 0x3e0
	v_cmp_gt_u32_e64 s8, 2, v0
	v_add_nc_u32_e32 v26, 0xc00, v14
	v_not_b32_e32 v23, v2
	v_and_or_b32 v27, v0, s6, 0xc00
	v_lshlrev_b32_e32 v28, 4, v0
	v_lshl_or_b32 v29, v24, 3, 0xc00
	v_mov_b32_e32 v20, s31
	v_mov_b32_e32 v16, 1
	v_mov_b32_e32 v18, 0
	v_mov_b32_e32 v25, 0
	v_mov_b32_e32 v30, 0
	s_cselect_b32 s96, -1, 0
	s_cmp_lg_u32 s95, 0
	s_mov_b32 s63, 30
	s_cselect_b32 s97, -1, 0
	s_lshl_b32 s98, s53, 2
	s_mov_b32 s99, 0
	s_mov_b32 vcc_hi, 0
                                        ; implicit-def: $sgpr104
                                        ; implicit-def: $sgpr62
                                        ; implicit-def: $sgpr67
                                        ; implicit-def: $sgpr48
                                        ; implicit-def: $sgpr66
                                        ; implicit-def: $sgpr64
                                        ; implicit-def: $sgpr65
                                        ; implicit-def: $sgpr49
                                        ; implicit-def: $sgpr51
                                        ; implicit-def: $sgpr50
	s_branch .LBB150_18
.LBB150_16:                             ;   in Loop: Header=BB150_18 Depth=1
	s_or_b32 exec_lo, exec_lo, s10
	v_mov_b32_e32 v20, v3
	v_mov_b32_e32 v19, v2
	s_andn2_b32 s10, s50, exec_lo
	s_and_b32 s9, s9, exec_lo
	s_andn2_b32 s51, s51, exec_lo
	s_or_b32 s50, s10, s9
	s_andn2_b32 s49, s49, exec_lo
	s_andn2_b32 s65, s65, exec_lo
	;; [unrolled: 1-line block ×3, first 2 shown]
	s_orn2_b32 s7, s7, exec_lo
.LBB150_17:                             ;   in Loop: Header=BB150_18 Depth=1
	s_or_b32 exec_lo, exec_lo, s6
	s_and_b32 s6, exec_lo, s7
	s_or_b32 s99, s6, s99
	s_andn2_b32 s6, s66, exec_lo
	s_and_b32 s7, s50, exec_lo
	s_andn2_b32 s9, s48, exec_lo
	s_or_b32 s66, s6, s7
	s_and_b32 s6, s51, exec_lo
	s_andn2_b32 s7, s67, exec_lo
	s_and_b32 s10, s49, exec_lo
	s_or_b32 s48, s9, s6
	s_or_b32 s67, s7, s10
	s_andn2_b32 s6, s62, exec_lo
	s_and_b32 s7, s65, exec_lo
	s_andn2_b32 s9, s104, exec_lo
	s_and_b32 s10, s64, exec_lo
	s_or_b32 s62, s6, s7
	s_or_b32 s104, s9, s10
	s_andn2_b32 exec_lo, exec_lo, s99
	s_cbranch_execz .LBB150_475
.LBB150_18:                             ; =>This Loop Header: Depth=1
                                        ;     Child Loop BB150_24 Depth 2
                                        ;     Child Loop BB150_37 Depth 2
	;; [unrolled: 1-line block ×24, first 2 shown]
	ds_read_b128 v[2:5], v13 offset:5120
	s_waitcnt lgkmcnt(0)
	v_readfirstlane_b32 s75, v3
	v_readfirstlane_b32 s74, v2
	s_cmp_lg_u64 s[74:75], 0
	s_cbranch_scc1 .LBB150_45
; %bb.19:                               ;   in Loop: Header=BB150_18 Depth=1
	s_and_b32 vcc_lo, exec_lo, s89
	s_cbranch_vccz .LBB150_32
; %bb.20:                               ;   in Loop: Header=BB150_18 Depth=1
	v_cmp_gt_u64_e32 vcc_lo, 0x301, v[4:5]
	s_mov_b32 s9, 0
	s_mov_b32 s6, 0
	s_cbranch_vccz .LBB150_33
; %bb.21:                               ;   in Loop: Header=BB150_18 Depth=1
	s_and_saveexec_b32 s10, s1
	s_cbranch_execz .LBB150_99
; %bb.22:                               ;   in Loop: Header=BB150_18 Depth=1
	global_load_ushort v2, v13, s[72:73]
	global_load_dword v5, v[10:11], off
	s_mov_b32 s11, 0
	s_waitcnt vmcnt(1)
	v_and_b32_e32 v4, 0xffff, v2
	v_mov_b32_e32 v3, v1
	v_mov_b32_e32 v2, v0
	s_branch .LBB150_24
.LBB150_23:                             ;   in Loop: Header=BB150_24 Depth=2
	s_or_b32 exec_lo, exec_lo, s7
	v_mov_b32_e32 v5, v6
	s_andn2_b32 exec_lo, exec_lo, s11
	s_cbranch_execz .LBB150_99
.LBB150_24:                             ;   Parent Loop BB150_18 Depth=1
                                        ; =>  This Inner Loop Header: Depth=2
	v_add_co_u32 v2, vcc_lo, v2, v4
	v_add_co_ci_u32_e64 v3, null, 0, v3, vcc_lo
	s_waitcnt lgkmcnt(0)
	v_mov_b32_e32 v7, 0
	v_mov_b32_e32 v6, 0
	s_mov_b32 s7, exec_lo
	v_cmp_le_u64_e32 vcc_lo, s[28:29], v[2:3]
	v_cmpx_gt_u64_e64 s[28:29], v[2:3]
	s_cbranch_execz .LBB150_26
; %bb.25:                               ;   in Loop: Header=BB150_24 Depth=2
	v_mul_lo_u32 v6, v3, s26
	v_mul_lo_u32 v12, v2, s27
	v_mad_u64_u32 v[8:9], null, v2, s26, 0
	v_add3_u32 v9, v9, v12, v6
	v_lshlrev_b64 v[8:9], 2, v[8:9]
	v_add_co_u32 v8, s6, s33, v8
	v_add_co_ci_u32_e64 v9, null, s35, v9, s6
	global_load_dword v6, v[8:9], off
.LBB150_26:                             ;   in Loop: Header=BB150_24 Depth=2
	s_or_b32 exec_lo, exec_lo, s7
	s_waitcnt vmcnt(0)
	v_xor_b32_e32 v8, 0x80000000, v5
	v_and_b32_e32 v8, v8, v30
	v_cmp_eq_u32_e64 s6, v8, v25
	s_cmp_lg_u32 s6, 0
	s_cselect_b32 s7, -1, 0
	s_and_b32 s7, s0, s7
	s_and_saveexec_b32 s12, s7
	s_cbranch_execz .LBB150_30
; %bb.27:                               ;   in Loop: Header=BB150_24 Depth=2
	s_mov_b32 s15, exec_lo
	s_bcnt1_i32_b32 s13, s6
	v_mbcnt_lo_u32_b32 v7, s15, 0
	s_mov_b32 s14, exec_lo
                                        ; implicit-def: $vgpr8
	v_cmpx_eq_u32_e32 0, v7
; %bb.28:                               ;   in Loop: Header=BB150_24 Depth=2
	s_bcnt1_i32_b32 s7, s15
	s_mul_i32 s7, s13, s7
	v_mov_b32_e32 v8, s7
	ds_add_rtn_u32 v8, v13, v8 offset:5144
; %bb.29:                               ;   in Loop: Header=BB150_24 Depth=2
	s_or_b32 exec_lo, exec_lo, s14
	s_waitcnt lgkmcnt(0)
	v_readfirstlane_b32 s7, v8
	v_mad_u32_u24 v7, s13, v7, s7
.LBB150_30:                             ;   in Loop: Header=BB150_24 Depth=2
	s_or_b32 exec_lo, exec_lo, s12
	ds_bpermute_b32 v7, v13, v7
	s_and_b32 s7, exec_lo, vcc_lo
	s_or_b32 s11, s7, s11
	s_and_saveexec_b32 s7, s6
	s_cbranch_execz .LBB150_23
; %bb.31:                               ;   in Loop: Header=BB150_24 Depth=2
	v_and_b32_e32 v8, s6, v23
	v_bcnt_u32_b32 v8, v8, 0
	v_lshlrev_b32_e32 v8, 2, v8
	s_waitcnt lgkmcnt(0)
	v_lshl_add_u32 v7, v7, 2, v8
	ds_write_b32 v7, v5
	s_branch .LBB150_23
.LBB150_32:                             ;   in Loop: Header=BB150_18 Depth=1
	s_mov_b32 s9, -1
	s_mov_b32 s6, 0
.LBB150_33:                             ;   in Loop: Header=BB150_18 Depth=1
	s_and_b32 vcc_lo, exec_lo, s9
	s_cbranch_vccz .LBB150_43
.LBB150_34:                             ;   in Loop: Header=BB150_18 Depth=1
	s_and_saveexec_b32 s6, s1
	s_cbranch_execz .LBB150_40
; %bb.35:                               ;   in Loop: Header=BB150_18 Depth=1
	global_load_ushort v2, v13, s[72:73]
	global_load_dword v6, v[10:11], off
	s_mov_b32 s7, exec_lo
	s_waitcnt vmcnt(1)
	v_and_b32_e32 v7, 0xffff, v2
	v_mov_b32_e32 v2, v0
	v_add_nc_u32_e32 v12, v7, v0
	v_cmpx_gt_u64_e64 s[28:29], v[12:13]
	s_cbranch_execz .LBB150_39
; %bb.36:                               ;   in Loop: Header=BB150_18 Depth=1
	v_mov_b32_e32 v4, v12
	v_mov_b32_e32 v3, v1
	;; [unrolled: 1-line block ×4, first 2 shown]
	s_mov_b32 s9, 0
	.p2align	6
.LBB150_37:                             ;   Parent Loop BB150_18 Depth=1
                                        ; =>  This Inner Loop Header: Depth=2
	v_mov_b32_e32 v22, v5
	v_mov_b32_e32 v21, v4
	v_lshlrev_b32_e32 v2, 2, v2
	v_mul_lo_u32 v5, v22, s26
	v_mul_lo_u32 v8, v21, s27
	v_mad_u64_u32 v[3:4], null, v21, s26, 0
	s_waitcnt vmcnt(0)
	ds_write_b32 v2, v6
	v_add3_u32 v4, v4, v8, v5
	v_lshlrev_b64 v[3:4], 2, v[3:4]
	v_add_co_u32 v3, vcc_lo, s33, v3
	v_add_co_ci_u32_e64 v4, null, s35, v4, vcc_lo
	global_load_dword v8, v[3:4], off
	v_add_co_u32 v4, vcc_lo, v21, v7
	v_add_co_ci_u32_e64 v5, null, 0, v22, vcc_lo
	v_mov_b32_e32 v2, v21
	v_mov_b32_e32 v3, v22
	v_cmp_le_u64_e32 vcc_lo, s[28:29], v[4:5]
	s_or_b32 s9, vcc_lo, s9
	s_waitcnt vmcnt(0)
	v_mov_b32_e32 v6, v8
	s_andn2_b32 exec_lo, exec_lo, s9
	s_cbranch_execnz .LBB150_37
; %bb.38:                               ;   in Loop: Header=BB150_18 Depth=1
	s_or_b32 exec_lo, exec_lo, s9
	v_sub_nc_u32_e32 v2, v4, v7
	v_mov_b32_e32 v6, v8
.LBB150_39:                             ;   in Loop: Header=BB150_18 Depth=1
	s_or_b32 exec_lo, exec_lo, s7
	v_lshlrev_b32_e32 v2, 2, v2
	s_waitcnt vmcnt(0)
	ds_write_b32 v2, v6
.LBB150_40:                             ;   in Loop: Header=BB150_18 Depth=1
	s_or_b32 exec_lo, exec_lo, s6
	s_waitcnt lgkmcnt(0)
	s_barrier
	buffer_gl0_inv
	s_and_saveexec_b32 s6, s3
; %bb.41:                               ;   in Loop: Header=BB150_18 Depth=1
	v_mov_b32_e32 v2, s28
	v_mov_b32_e32 v3, s29
	ds_write_b64 v13, v[2:3] offset:5120
; %bb.42:                               ;   in Loop: Header=BB150_18 Depth=1
	s_or_b32 exec_lo, exec_lo, s6
	s_mov_b32 s6, -1
	s_waitcnt lgkmcnt(0)
	s_barrier
.LBB150_43:                             ;   in Loop: Header=BB150_18 Depth=1
	s_and_b32 vcc_lo, exec_lo, s6
	s_mov_b64 s[74:75], 0
	s_cbranch_vccz .LBB150_45
; %bb.44:                               ;   in Loop: Header=BB150_18 Depth=1
	buffer_gl0_inv
	ds_read_b64 v[2:3], v13 offset:5120
	s_waitcnt lgkmcnt(0)
	v_readfirstlane_b32 s74, v2
.LBB150_45:                             ;   in Loop: Header=BB150_18 Depth=1
	s_cmp_lt_i32 s74, 1
	s_mov_b32 s6, -1
                                        ; implicit-def: $vgpr2_vgpr3
                                        ; implicit-def: $vgpr6_vgpr7
	s_cbranch_scc1 .LBB150_55
; %bb.46:                               ;   in Loop: Header=BB150_18 Depth=1
	s_and_b32 vcc_lo, exec_lo, s6
	s_cbranch_vccnz .LBB150_69
.LBB150_47:                             ;   in Loop: Header=BB150_18 Depth=1
	s_lshl_b32 s6, vcc_hi, 7
	s_and_saveexec_b32 s7, s0
	s_cbranch_execz .LBB150_49
.LBB150_48:                             ;   in Loop: Header=BB150_18 Depth=1
	v_lshl_add_u32 v12, s6, 3, v27
	ds_write_b128 v12, v[2:5]
	ds_write_b128 v12, v[6:9] offset:16
.LBB150_49:                             ;   in Loop: Header=BB150_18 Depth=1
	s_or_b32 exec_lo, exec_lo, s7
	s_waitcnt lgkmcnt(0)
	s_barrier
	buffer_gl0_inv
	s_and_saveexec_b32 s7, s88
	s_cbranch_execz .LBB150_83
; %bb.50:                               ;   in Loop: Header=BB150_18 Depth=1
	v_mov_b32_e32 v2, 0
	v_mov_b32_e32 v3, 0
	s_andn2_b32 vcc_lo, exec_lo, s91
	s_cbranch_vccnz .LBB150_82
; %bb.51:                               ;   in Loop: Header=BB150_18 Depth=1
	v_mov_b32_e32 v2, 0
	v_mov_b32_e32 v3, 0
	s_andn2_b32 vcc_lo, exec_lo, s96
	s_cbranch_vccnz .LBB150_79
; %bb.52:                               ;   in Loop: Header=BB150_18 Depth=1
	v_lshl_add_u32 v4, vcc_hi, 10, v29
	s_mov_b32 s9, 0
	s_inst_prefetch 0x1
	.p2align	6
.LBB150_53:                             ;   Parent Loop BB150_18 Depth=1
                                        ; =>  This Inner Loop Header: Depth=2
	ds_read2_b64 v[5:8], v4 offset1:4
	ds_read2_b64 v[31:34], v4 offset0:8 offset1:12
	ds_read2_b64 v[35:38], v4 offset0:16 offset1:20
	s_add_i32 s9, s9, 8
	s_cmp_eq_u32 s90, s9
	s_waitcnt lgkmcnt(2)
	v_add_co_u32 v2, vcc_lo, v5, v2
	v_add_co_ci_u32_e64 v3, null, v6, v3, vcc_lo
	v_add_co_u32 v2, vcc_lo, v7, v2
	v_add_co_ci_u32_e64 v3, null, v8, v3, vcc_lo
	ds_read2_b64 v[5:8], v4 offset0:24 offset1:28
	s_waitcnt lgkmcnt(2)
	v_add_co_u32 v2, vcc_lo, v31, v2
	v_add_co_ci_u32_e64 v3, null, v32, v3, vcc_lo
	v_add_nc_u32_e32 v4, 0x100, v4
	v_add_co_u32 v2, vcc_lo, v33, v2
	v_add_co_ci_u32_e64 v3, null, v34, v3, vcc_lo
	s_waitcnt lgkmcnt(1)
	v_add_co_u32 v2, vcc_lo, v35, v2
	v_add_co_ci_u32_e64 v3, null, v36, v3, vcc_lo
	v_add_co_u32 v2, vcc_lo, v37, v2
	v_add_co_ci_u32_e64 v3, null, v38, v3, vcc_lo
	s_waitcnt lgkmcnt(0)
	v_add_co_u32 v2, vcc_lo, v5, v2
	v_add_co_ci_u32_e64 v3, null, v6, v3, vcc_lo
	v_add_co_u32 v2, vcc_lo, v7, v2
	v_add_co_ci_u32_e64 v3, null, v8, v3, vcc_lo
	s_cbranch_scc0 .LBB150_53
; %bb.54:                               ;   in Loop: Header=BB150_18 Depth=1
	s_inst_prefetch 0x2
	s_mov_b32 s9, s90
	s_andn2_b32 vcc_lo, exec_lo, s97
	s_cbranch_vccz .LBB150_80
	s_branch .LBB150_82
.LBB150_55:                             ;   in Loop: Header=BB150_18 Depth=1
	global_load_ushort v12, v13, s[72:73]
	s_mov_b32 s7, s29
	s_waitcnt vmcnt(0)
	v_readfirstlane_b32 s6, v12
	s_and_b32 s9, 0xffff, s6
	s_mov_b32 s6, s69
	s_lshl_b32 s70, s9, 2
	s_cmp_lg_u64 s[6:7], 0
	s_cbranch_scc0 .LBB150_78
; %bb.56:                               ;   in Loop: Header=BB150_18 Depth=1
	v_cvt_f32_u32_e32 v2, s70
	s_sub_u32 s9, 0, s70
	s_subb_u32 s10, 0, 0
	v_fmac_f32_e64 v2, 0x4f800000, 0
	v_rcp_f32_e32 v2, v2
	v_mul_f32_e32 v2, 0x5f7ffffc, v2
	v_mul_f32_e32 v3, 0x2f800000, v2
	v_trunc_f32_e32 v3, v3
	v_fmac_f32_e32 v2, 0xcf800000, v3
	v_cvt_u32_f32_e32 v3, v3
	v_cvt_u32_f32_e32 v2, v2
	v_readfirstlane_b32 s6, v3
	v_readfirstlane_b32 s7, v2
	s_mul_i32 s11, s9, s6
	s_mul_hi_u32 s13, s9, s7
	s_mul_i32 s12, s10, s7
	s_add_i32 s11, s13, s11
	s_mul_i32 s14, s9, s7
	s_add_i32 s11, s11, s12
	s_mul_hi_u32 s13, s7, s14
	s_mul_i32 s16, s7, s11
	s_mul_hi_u32 s15, s6, s14
	s_mul_i32 s12, s6, s14
	s_mul_hi_u32 s14, s7, s11
	s_add_u32 s13, s13, s16
	s_addc_u32 s14, 0, s14
	s_mul_hi_u32 s17, s6, s11
	s_add_u32 s12, s13, s12
	s_mul_i32 s11, s6, s11
	s_addc_u32 s12, s14, s15
	s_addc_u32 s13, s17, 0
	s_add_u32 s11, s12, s11
	s_addc_u32 s12, 0, s13
	s_add_u32 s7, s7, s11
	s_cselect_b32 s11, -1, 0
	s_mul_hi_u32 s13, s9, s7
	s_cmp_lg_u32 s11, 0
	s_mul_i32 s11, s9, s7
	s_addc_u32 s6, s6, s12
	s_mul_i32 s10, s10, s7
	s_mul_i32 s9, s9, s6
	s_mul_hi_u32 s12, s7, s11
	s_add_i32 s9, s13, s9
	s_mul_hi_u32 s13, s6, s11
	s_add_i32 s9, s9, s10
	s_mul_i32 s10, s6, s11
	s_mul_i32 s15, s7, s9
	s_mul_hi_u32 s14, s7, s9
	s_add_u32 s12, s12, s15
	s_addc_u32 s14, 0, s14
	s_mul_hi_u32 s11, s6, s9
	s_add_u32 s10, s12, s10
	s_mul_i32 s9, s6, s9
	s_addc_u32 s10, s14, s13
	s_addc_u32 s11, s11, 0
	s_add_u32 s9, s10, s9
	s_addc_u32 s10, 0, s11
	s_add_u32 s7, s7, s9
	s_cselect_b32 s9, -1, 0
	s_mul_hi_u32 s11, s28, s7
	s_cmp_lg_u32 s9, 0
	s_mul_hi_u32 s9, s29, s7
	s_addc_u32 s6, s6, s10
	s_mul_i32 s7, s29, s7
	s_mul_i32 s12, s28, s6
	s_mul_hi_u32 s10, s28, s6
	s_add_u32 s11, s11, s12
	s_addc_u32 s10, 0, s10
	s_mul_hi_u32 s13, s29, s6
	s_add_u32 s7, s11, s7
	s_mul_i32 s6, s29, s6
	s_addc_u32 s7, s10, s9
	s_addc_u32 s9, s13, 0
	s_add_u32 s6, s7, s6
	s_addc_u32 s7, 0, s9
	s_mul_hi_u32 s9, s70, s6
	s_mul_i32 s7, s70, s7
	s_mul_i32 s6, s70, s6
	s_add_i32 s9, s9, s7
	s_sub_u32 s6, s28, s6
	s_cselect_b32 s7, -1, 0
	s_cmp_lg_u32 s7, 0
	s_subb_u32 s7, s29, s9
	s_sub_u32 s9, s6, s70
	s_cselect_b32 s10, -1, 0
	s_cmp_lg_u32 s10, 0
	s_subb_u32 s10, s7, 0
	s_sub_u32 s11, s9, s70
	s_cselect_b32 s12, -1, 0
	s_cmp_lg_u32 s12, 0
	s_subb_u32 s12, s10, 0
	s_cmp_ge_u32 s9, s70
	s_cselect_b32 s13, -1, 0
	s_cmp_eq_u32 s10, 0
	s_cselect_b32 s13, s13, -1
	s_cmp_lg_u32 s13, 0
	s_cselect_b32 s10, s12, s10
	s_cselect_b32 s9, s11, s9
	s_cmp_ge_u32 s6, s70
	s_cselect_b32 s11, -1, 0
	s_cmp_eq_u32 s7, 0
	s_cselect_b32 s11, s11, -1
	s_cmp_lg_u32 s11, 0
	s_cselect_b32 s7, s10, s7
	s_cselect_b32 s6, s9, s6
	s_cbranch_execnz .LBB150_58
.LBB150_57:                             ;   in Loop: Header=BB150_18 Depth=1
	v_cvt_f32_u32_e32 v2, s70
	s_sub_i32 s7, 0, s70
	v_rcp_iflag_f32_e32 v2, v2
	v_mul_f32_e32 v2, 0x4f7ffffe, v2
	v_cvt_u32_f32_e32 v2, v2
	v_readfirstlane_b32 s6, v2
	s_mul_i32 s7, s7, s6
	s_mul_hi_u32 s7, s6, s7
	s_add_i32 s6, s6, s7
	s_mul_hi_u32 s6, s28, s6
	s_mul_i32 s6, s6, s70
	s_sub_i32 s6, s28, s6
	s_sub_i32 s7, s6, s70
	s_cmp_ge_u32 s6, s70
	s_cselect_b32 s6, s7, s6
	s_sub_i32 s7, s6, s70
	s_cmp_ge_u32 s6, s70
	s_cselect_b32 s68, s7, s6
	s_mov_b64 s[6:7], s[68:69]
.LBB150_58:                             ;   in Loop: Header=BB150_18 Depth=1
	v_mov_b32_e32 v2, 0
	v_mov_b32_e32 v4, 0
	;; [unrolled: 1-line block ×8, first 2 shown]
	s_sub_u32 s76, s28, s6
	s_subb_u32 s77, s29, s7
	s_mov_b32 s56, exec_lo
	v_cmpx_gt_u64_e64 s[76:77], v[14:15]
	s_cbranch_execz .LBB150_62
; %bb.59:                               ;   in Loop: Header=BB150_18 Depth=1
	v_mov_b32_e32 v22, v15
	v_mov_b32_e32 v21, v14
	s_mov_b64 s[78:79], 0
	s_mov_b32 s57, 0
	s_mov_b64 s[80:81], 0
	s_mov_b64 s[82:83], 0
	s_mov_b64 s[84:85], 0
.LBB150_60:                             ;   Parent Loop BB150_18 Depth=1
                                        ; =>  This Inner Loop Header: Depth=2
	v_mul_lo_u32 v4, v22, s26
	v_mul_lo_u32 v5, v21, s27
	v_mad_u64_u32 v[2:3], null, v21, s26, 0
	s_lshl_b64 s[6:7], s[26:27], 2
	v_add_co_u32 v21, s22, v21, s70
	v_add_co_ci_u32_e64 v22, null, 0, v22, s22
	v_add3_u32 v3, v3, v5, v4
	v_cmp_le_u64_e64 s22, s[76:77], v[21:22]
	v_lshlrev_b64 v[2:3], 2, v[2:3]
	v_add_co_u32 v2, vcc_lo, s33, v2
	v_add_co_ci_u32_e64 v3, null, s35, v3, vcc_lo
	v_add_co_u32 v4, vcc_lo, v2, s6
	v_add_co_ci_u32_e64 v5, null, s7, v3, vcc_lo
	s_clause 0x1
	global_load_dword v6, v[2:3], off
	global_load_dword v7, v[4:5], off
	v_add_co_u32 v2, vcc_lo, v4, s6
	v_add_co_ci_u32_e64 v3, null, s7, v5, vcc_lo
	v_add_co_u32 v4, vcc_lo, v2, s6
	v_add_co_ci_u32_e64 v5, null, s7, v3, vcc_lo
	s_clause 0x1
	global_load_dword v2, v[2:3], off
	global_load_dword v3, v[4:5], off
	s_waitcnt vmcnt(3)
	v_xor_b32_e32 v4, 0x80000000, v6
	v_and_b32_e32 v5, v4, v30
	v_bfe_u32 v4, v4, s63, 2
	v_cmp_eq_u32_e32 vcc_lo, v5, v25
	v_cmp_eq_u32_e64 s6, 0, v4
	v_cmp_eq_u32_e64 s7, 1, v4
	v_cmp_eq_u32_e64 s9, 2, v4
	v_cmp_eq_u32_e64 s10, 3, v4
	s_waitcnt vmcnt(2)
	v_xor_b32_e32 v4, 0x80000000, v7
	s_waitcnt vmcnt(1)
	v_xor_b32_e32 v2, 0x80000000, v2
	s_and_b32 s6, vcc_lo, s6
	v_and_b32_e32 v5, v4, v30
	v_bfe_u32 v4, v4, s63, 2
	v_cmp_eq_u32_e64 s11, v5, v25
	v_cmp_eq_u32_e64 s12, 0, v4
	;; [unrolled: 1-line block ×5, first 2 shown]
	v_and_b32_e32 v4, v2, v30
	v_bfe_u32 v2, v2, s63, 2
	s_and_b32 s44, s11, s12
	v_cmp_eq_u32_e64 s16, v4, v25
	v_cmp_eq_u32_e64 s17, 0, v2
	;; [unrolled: 1-line block ×5, first 2 shown]
	v_cndmask_b32_e64 v2, 0, 1, s6
	v_cmp_ne_u32_e64 s6, 0, v2
	s_waitcnt vmcnt(0)
	v_xor_b32_e32 v2, 0x80000000, v3
	v_and_b32_e32 v3, v2, v30
	v_bfe_u32 v2, v2, s63, 2
	v_cmp_eq_u32_e64 s21, v3, v25
	v_cmp_eq_u32_e64 s12, 0, v2
	;; [unrolled: 1-line block ×5, first 2 shown]
	v_cndmask_b32_e64 v2, 0, 1, s44
	s_and_b32 s44, s16, s17
	s_and_b32 s12, s21, s12
	v_cmp_ne_u32_e64 s17, 0, v2
	v_cndmask_b32_e64 v2, 0, 1, s44
	s_bcnt1_i32_b32 s44, s6
	v_cmp_ne_u32_e64 s6, 0, v2
	v_cndmask_b32_e64 v2, 0, 1, s12
	s_bcnt1_i32_b32 s12, s17
	s_add_i32 s17, s12, s44
	s_bcnt1_i32_b32 s6, s6
	v_cmp_ne_u32_e64 s12, 0, v2
	s_add_i32 s6, s17, s6
	s_bcnt1_i32_b32 s12, s12
	s_add_i32 s6, s6, s12
	s_add_u32 s84, s84, s6
	s_addc_u32 s85, s85, 0
	s_and_b32 s6, vcc_lo, s7
	s_and_b32 s7, s11, s13
	v_cndmask_b32_e64 v2, 0, 1, s6
	s_and_b32 s12, s16, s18
	s_and_b32 s13, s21, s23
	v_cmp_ne_u32_e64 s6, 0, v2
	v_cndmask_b32_e64 v2, 0, 1, s7
	s_bcnt1_i32_b32 s6, s6
	v_cmp_ne_u32_e64 s7, 0, v2
	v_cndmask_b32_e64 v2, 0, 1, s12
	s_bcnt1_i32_b32 s7, s7
	v_cmp_ne_u32_e64 s12, 0, v2
	v_cndmask_b32_e64 v2, 0, 1, s13
	s_add_i32 s6, s7, s6
	s_bcnt1_i32_b32 s12, s12
	v_cmp_ne_u32_e64 s13, 0, v2
	s_add_i32 s6, s6, s12
	s_bcnt1_i32_b32 s13, s13
	s_add_i32 s6, s6, s13
	s_add_u32 s82, s82, s6
	s_addc_u32 s83, s83, 0
	s_and_b32 s6, vcc_lo, s9
	s_and_b32 s7, s11, s14
	v_cndmask_b32_e64 v2, 0, 1, s6
	s_and_b32 s9, s16, s19
	s_and_b32 s12, s21, s24
	v_mov_b32_e32 v4, s82
	v_mov_b32_e32 v5, s83
	v_cmp_ne_u32_e64 s6, 0, v2
	v_cndmask_b32_e64 v2, 0, 1, s7
	s_bcnt1_i32_b32 s6, s6
	v_cmp_ne_u32_e64 s7, 0, v2
	v_cndmask_b32_e64 v2, 0, 1, s9
	s_bcnt1_i32_b32 s7, s7
	v_cmp_ne_u32_e64 s9, 0, v2
	v_cndmask_b32_e64 v2, 0, 1, s12
	s_add_i32 s6, s7, s6
	s_bcnt1_i32_b32 s9, s9
	v_cmp_ne_u32_e64 s12, 0, v2
	s_add_i32 s6, s6, s9
	s_bcnt1_i32_b32 s12, s12
	s_add_i32 s6, s6, s12
	s_add_u32 s80, s80, s6
	s_addc_u32 s81, s81, 0
	s_and_b32 s6, vcc_lo, s10
	s_and_b32 s7, s11, s15
	v_cndmask_b32_e64 v2, 0, 1, s6
	s_and_b32 s9, s16, s20
	s_and_b32 s10, s21, s25
	v_mov_b32_e32 v6, s80
	v_mov_b32_e32 v7, s81
	v_cmp_ne_u32_e32 vcc_lo, 0, v2
	v_cndmask_b32_e64 v2, 0, 1, s7
	v_cmp_ne_u32_e64 s6, 0, v2
	v_cndmask_b32_e64 v2, 0, 1, s9
	s_bcnt1_i32_b32 s6, s6
	v_cmp_ne_u32_e64 s7, 0, v2
	v_cndmask_b32_e64 v2, 0, 1, s10
	s_bcnt1_i32_b32 s10, vcc_lo
	s_add_i32 s6, s6, s10
	s_bcnt1_i32_b32 s7, s7
	v_cmp_ne_u32_e64 s9, 0, v2
	s_add_i32 s6, s6, s7
	v_mov_b32_e32 v2, s84
	v_mov_b32_e32 v3, s85
	s_bcnt1_i32_b32 s9, s9
	s_add_i32 s6, s6, s9
	s_add_u32 s78, s78, s6
	s_addc_u32 s79, s79, 0
	v_mov_b32_e32 v8, s78
	v_mov_b32_e32 v9, s79
	s_or_b32 s57, s22, s57
	s_andn2_b32 exec_lo, exec_lo, s57
	s_cbranch_execnz .LBB150_60
; %bb.61:                               ;   in Loop: Header=BB150_18 Depth=1
	s_or_b32 exec_lo, exec_lo, s57
.LBB150_62:                             ;   in Loop: Header=BB150_18 Depth=1
	s_or_b32 exec_lo, exec_lo, s56
	v_add_co_u32 v21, s6, s76, v0
	v_and_b32_e32 v12, 0xffff, v12
	v_add_co_ci_u32_e64 v22, null, s77, 0, s6
	s_mov_b32 s10, exec_lo
	v_cmpx_gt_u64_e64 s[28:29], v[21:22]
	s_cbranch_execz .LBB150_68
; %bb.63:                               ;   in Loop: Header=BB150_18 Depth=1
	v_mul_lo_u32 v17, v22, s26
	v_mul_lo_u32 v33, v21, s27
	v_mad_u64_u32 v[31:32], null, v21, s26, 0
	s_mov_b32 s11, 0
	v_add3_u32 v32, v32, v33, v17
	v_lshlrev_b64 v[31:32], 2, v[31:32]
	v_add_co_u32 v31, vcc_lo, s33, v31
	v_add_co_ci_u32_e64 v32, null, s35, v32, vcc_lo
	global_load_dword v31, v[31:32], off
	s_branch .LBB150_65
.LBB150_64:                             ;   in Loop: Header=BB150_65 Depth=2
	s_or_b32 exec_lo, exec_lo, s7
	s_waitcnt vmcnt(0)
	v_xor_b32_e32 v31, 0x80000000, v31
	s_and_b32 s9, exec_lo, vcc_lo
	s_or_b32 s11, s9, s11
	v_and_b32_e32 v32, v31, v30
	v_bfe_u32 v31, v31, s63, 2
	v_cmp_eq_u32_e64 s6, v32, v25
	v_cmp_eq_u32_e64 s7, 0, v31
	v_cmp_eq_u32_e32 vcc_lo, 1, v31
	v_cmp_eq_u32_e64 s9, 2, v31
	s_and_b32 s7, s6, s7
	v_cndmask_b32_e64 v32, 0, 1, s7
	s_and_b32 s7, s6, vcc_lo
	v_cmp_eq_u32_e32 vcc_lo, 3, v31
	v_cndmask_b32_e64 v33, 0, 1, s7
	s_and_b32 s7, s6, s9
	v_cndmask_b32_e64 v31, 0, 1, s7
	v_cmp_ne_u32_e64 s7, 0, v32
	v_cmp_ne_u32_e64 s9, 0, v33
	s_and_b32 s6, s6, vcc_lo
	v_cndmask_b32_e64 v32, 0, 1, s6
	s_bcnt1_i32_b32 s6, s7
	v_cmp_ne_u32_e32 vcc_lo, 0, v31
	s_bcnt1_i32_b32 s7, s9
	v_add_co_u32 v2, s6, v2, s6
	v_add_co_ci_u32_e64 v3, null, 0, v3, s6
	v_add_co_u32 v4, s6, v4, s7
	v_add_co_ci_u32_e64 v5, null, 0, v5, s6
	s_bcnt1_i32_b32 s6, vcc_lo
	v_cmp_ne_u32_e32 vcc_lo, 0, v32
	v_add_co_u32 v6, s6, v6, s6
	v_add_co_ci_u32_e64 v7, null, 0, v7, s6
	s_bcnt1_i32_b32 s6, vcc_lo
	v_mov_b32_e32 v31, v17
	v_add_co_u32 v8, vcc_lo, v8, s6
	v_add_co_ci_u32_e64 v9, null, 0, v9, vcc_lo
	s_andn2_b32 exec_lo, exec_lo, s11
	s_cbranch_execz .LBB150_67
.LBB150_65:                             ;   Parent Loop BB150_18 Depth=1
                                        ; =>  This Inner Loop Header: Depth=2
	v_add_co_u32 v21, vcc_lo, v21, v12
	v_add_co_ci_u32_e64 v22, null, 0, v22, vcc_lo
	v_mov_b32_e32 v17, 0
	s_mov_b32 s7, exec_lo
	v_cmp_le_u64_e32 vcc_lo, s[28:29], v[21:22]
	v_cmpx_gt_u64_e64 s[28:29], v[21:22]
	s_cbranch_execz .LBB150_64
; %bb.66:                               ;   in Loop: Header=BB150_65 Depth=2
	v_mul_lo_u32 v17, v22, s26
	v_mul_lo_u32 v34, v21, s27
	v_mad_u64_u32 v[32:33], null, v21, s26, 0
	v_add3_u32 v33, v33, v34, v17
	v_lshlrev_b64 v[32:33], 2, v[32:33]
	v_add_co_u32 v32, s6, s33, v32
	v_add_co_ci_u32_e64 v33, null, s35, v33, s6
	global_load_dword v17, v[32:33], off
	s_branch .LBB150_64
.LBB150_67:                             ;   in Loop: Header=BB150_18 Depth=1
	s_or_b32 exec_lo, exec_lo, s11
.LBB150_68:                             ;   in Loop: Header=BB150_18 Depth=1
	s_or_b32 exec_lo, exec_lo, s10
	s_branch .LBB150_47
.LBB150_69:                             ;   in Loop: Header=BB150_18 Depth=1
	global_load_ushort v12, v13, s[72:73]
	v_mov_b32_e32 v4, 0
	v_mov_b32_e32 v6, 0
	;; [unrolled: 1-line block ×6, first 2 shown]
	s_mov_b32 s57, exec_lo
	s_waitcnt vmcnt(0)
	v_readfirstlane_b32 s6, v12
	s_and_b32 s6, 0xffff, s6
	s_lshl_b32 s56, s6, 2
	v_cvt_f32_u32_e32 v2, s56
	s_sub_i32 s9, 0, s56
	v_rcp_iflag_f32_e32 v2, v2
	v_mul_f32_e32 v2, 0x4f7ffffe, v2
	v_cvt_u32_f32_e32 v2, v2
	v_readfirstlane_b32 s7, v2
	v_mov_b32_e32 v2, 0
	v_mov_b32_e32 v3, 0
	s_mul_i32 s9, s9, s7
	s_mul_hi_u32 s9, s7, s9
	s_add_i32 s7, s7, s9
	s_mul_hi_u32 s7, s74, s7
	s_mul_i32 s9, s7, s56
	s_add_i32 s10, s7, 1
	s_sub_i32 s9, s74, s9
	s_sub_i32 s11, s9, s56
	s_cmp_ge_u32 s9, s56
	s_cselect_b32 s7, s10, s7
	s_cselect_b32 s9, s11, s9
	s_add_i32 s10, s7, 1
	s_cmp_ge_u32 s9, s56
	s_cselect_b32 s7, s10, s7
	s_mul_hi_u32 s77, s6, s7
	s_mul_i32 s76, s6, s7
	s_lshl_b64 s[78:79], s[76:77], 2
	v_cmpx_gt_u64_e64 s[78:79], v[14:15]
	s_cbranch_execz .LBB150_73
; %bb.70:                               ;   in Loop: Header=BB150_18 Depth=1
	v_mov_b32_e32 v22, v15
	v_mov_b32_e32 v17, v28
	;; [unrolled: 1-line block ×3, first 2 shown]
	s_lshl_b32 s68, s6, 4
	s_mov_b64 s[80:81], 0
	s_mov_b32 s70, 0
	s_mov_b64 s[82:83], 0
	s_mov_b64 s[84:85], 0
	;; [unrolled: 1-line block ×3, first 2 shown]
.LBB150_71:                             ;   Parent Loop BB150_18 Depth=1
                                        ; =>  This Inner Loop Header: Depth=2
	ds_read_b128 v[2:5], v17
	v_add_nc_u32_e32 v17, s68, v17
	s_waitcnt lgkmcnt(0)
	v_xor_b32_e32 v2, 0x80000000, v2
	v_xor_b32_e32 v3, 0x80000000, v3
	;; [unrolled: 1-line block ×4, first 2 shown]
	v_and_b32_e32 v6, v2, v30
	v_bfe_u32 v2, v2, s63, 2
	v_cmp_eq_u32_e32 vcc_lo, v6, v25
	v_cmp_eq_u32_e64 s10, 0, v2
	v_cmp_eq_u32_e64 s11, 1, v2
	;; [unrolled: 1-line block ×4, first 2 shown]
	v_bfe_u32 v2, v3, s63, 2
	v_and_b32_e32 v6, v3, v30
	s_and_b32 s10, vcc_lo, s10
	v_cmp_eq_u32_e64 s14, 0, v2
	v_cmp_eq_u32_e64 s15, 1, v2
	;; [unrolled: 1-line block ×4, first 2 shown]
	v_bfe_u32 v2, v4, s63, 2
	v_cmp_eq_u32_e64 s6, v6, v25
	v_and_b32_e32 v6, v4, v30
	v_cmp_eq_u32_e64 s18, 0, v2
	v_cmp_eq_u32_e64 s19, 1, v2
	v_cmp_eq_u32_e64 s20, 2, v2
	v_cmp_eq_u32_e64 s21, 3, v2
	v_bfe_u32 v2, v5, s63, 2
	v_cmp_eq_u32_e64 s7, v6, v25
	v_and_b32_e32 v6, v5, v30
	s_and_b32 s14, s6, s14
	v_cmp_eq_u32_e64 s22, 0, v2
	v_cmp_eq_u32_e64 s23, 1, v2
	;; [unrolled: 1-line block ×4, first 2 shown]
	v_cndmask_b32_e64 v2, 0, 1, s10
	v_cmp_eq_u32_e64 s9, v6, v25
	s_and_b32 s18, s7, s18
	v_cmp_ne_u32_e64 s10, 0, v2
	v_cndmask_b32_e64 v2, 0, 1, s14
	s_and_b32 s22, s9, s22
	s_bcnt1_i32_b32 s10, s10
	v_cmp_ne_u32_e64 s14, 0, v2
	v_cndmask_b32_e64 v2, 0, 1, s18
	s_bcnt1_i32_b32 s14, s14
	v_cmp_ne_u32_e64 s18, 0, v2
	v_cndmask_b32_e64 v2, 0, 1, s22
	s_add_i32 s10, s14, s10
	s_bcnt1_i32_b32 s18, s18
	v_cmp_ne_u32_e64 s22, 0, v2
	s_add_i32 s10, s10, s18
	s_bcnt1_i32_b32 s22, s22
	s_add_i32 s10, s10, s22
	s_add_u32 s86, s86, s10
	s_addc_u32 s87, s87, 0
	s_and_b32 s10, vcc_lo, s11
	s_and_b32 s11, s6, s15
	v_cndmask_b32_e64 v2, 0, 1, s10
	s_and_b32 s14, s7, s19
	s_and_b32 s15, s9, s23
	v_cmp_ne_u32_e64 s10, 0, v2
	v_cndmask_b32_e64 v2, 0, 1, s11
	s_bcnt1_i32_b32 s10, s10
	v_cmp_ne_u32_e64 s11, 0, v2
	v_cndmask_b32_e64 v2, 0, 1, s14
	s_bcnt1_i32_b32 s11, s11
	v_cmp_ne_u32_e64 s14, 0, v2
	v_cndmask_b32_e64 v2, 0, 1, s15
	s_add_i32 s10, s11, s10
	s_bcnt1_i32_b32 s14, s14
	v_cmp_ne_u32_e64 s15, 0, v2
	s_add_i32 s10, s10, s14
	s_bcnt1_i32_b32 s15, s15
	s_add_i32 s10, s10, s15
	s_add_u32 s84, s84, s10
	s_addc_u32 s85, s85, 0
	s_and_b32 s10, vcc_lo, s12
	s_and_b32 s11, s6, s16
	v_cndmask_b32_e64 v2, 0, 1, s10
	s_and_b32 s12, s7, s20
	s_and_b32 s14, s9, s24
	v_mov_b32_e32 v4, s84
	v_mov_b32_e32 v5, s85
	v_cmp_ne_u32_e64 s10, 0, v2
	v_cndmask_b32_e64 v2, 0, 1, s11
	s_bcnt1_i32_b32 s10, s10
	v_cmp_ne_u32_e64 s11, 0, v2
	v_cndmask_b32_e64 v2, 0, 1, s12
	s_bcnt1_i32_b32 s11, s11
	v_cmp_ne_u32_e64 s12, 0, v2
	v_cndmask_b32_e64 v2, 0, 1, s14
	s_add_i32 s10, s11, s10
	s_bcnt1_i32_b32 s12, s12
	v_cmp_ne_u32_e64 s14, 0, v2
	s_add_i32 s10, s10, s12
	s_bcnt1_i32_b32 s14, s14
	s_add_i32 s10, s10, s14
	s_add_u32 s82, s82, s10
	s_addc_u32 s83, s83, 0
	s_and_b32 s10, vcc_lo, s13
	s_and_b32 s6, s6, s17
	v_cndmask_b32_e64 v2, 0, 1, s10
	s_and_b32 s7, s7, s21
	s_and_b32 s9, s9, s25
	v_add_co_u32 v21, s10, v21, s56
	v_cmp_ne_u32_e32 vcc_lo, 0, v2
	v_cndmask_b32_e64 v2, 0, 1, s6
	v_add_co_ci_u32_e64 v22, null, 0, v22, s10
	v_mov_b32_e32 v6, s82
	s_bcnt1_i32_b32 s11, vcc_lo
	v_cmp_ne_u32_e64 s6, 0, v2
	v_cndmask_b32_e64 v2, 0, 1, s7
	v_cmp_le_u64_e64 s10, s[78:79], v[21:22]
	v_mov_b32_e32 v7, s83
	s_bcnt1_i32_b32 s6, s6
	v_cmp_ne_u32_e64 s7, 0, v2
	v_cndmask_b32_e64 v2, 0, 1, s9
	s_add_i32 s6, s6, s11
	s_bcnt1_i32_b32 s7, s7
	v_cmp_ne_u32_e64 s9, 0, v2
	s_add_i32 s6, s6, s7
	v_mov_b32_e32 v2, s86
	v_mov_b32_e32 v3, s87
	s_bcnt1_i32_b32 s9, s9
	s_add_i32 s6, s6, s9
	s_add_u32 s80, s80, s6
	s_addc_u32 s81, s81, 0
	v_mov_b32_e32 v8, s80
	v_mov_b32_e32 v9, s81
	s_or_b32 s70, s10, s70
	s_andn2_b32 exec_lo, exec_lo, s70
	s_cbranch_execnz .LBB150_71
; %bb.72:                               ;   in Loop: Header=BB150_18 Depth=1
	s_or_b32 exec_lo, exec_lo, s70
.LBB150_73:                             ;   in Loop: Header=BB150_18 Depth=1
	s_or_b32 exec_lo, exec_lo, s57
	v_add_co_u32 v21, s6, s78, v0
	v_and_b32_e32 v12, 0xffff, v12
	v_add_co_ci_u32_e64 v22, null, s79, 0, s6
	s_and_b32 s68, s74, 0x7fffffff
	s_mov_b32 s12, exec_lo
	v_cmpx_gt_u64_e64 s[68:69], v[21:22]
	s_cbranch_execz .LBB150_77
; %bb.74:                               ;   in Loop: Header=BB150_18 Depth=1
	v_lshl_add_u32 v17, s76, 4, v14
	s_mov_b32 s13, 0
.LBB150_75:                             ;   Parent Loop BB150_18 Depth=1
                                        ; =>  This Inner Loop Header: Depth=2
	ds_read_b32 v31, v17
	v_add_co_u32 v21, vcc_lo, v21, v12
	v_add_co_ci_u32_e64 v22, null, 0, v22, vcc_lo
	v_add_nc_u32_e32 v17, s56, v17
	v_cmp_le_u64_e32 vcc_lo, s[68:69], v[21:22]
	s_waitcnt lgkmcnt(0)
	v_xor_b32_e32 v31, 0x80000000, v31
	v_and_b32_e32 v32, v31, v30
	v_bfe_u32 v31, v31, s63, 2
	v_cmp_eq_u32_e64 s6, v32, v25
	v_cmp_eq_u32_e64 s7, 0, v31
	v_cmp_eq_u32_e64 s9, 1, v31
	v_cmp_eq_u32_e64 s10, 2, v31
	v_cmp_eq_u32_e64 s11, 3, v31
	s_and_b32 s7, s6, s7
	v_cndmask_b32_e64 v31, 0, 1, s7
	s_and_b32 s7, s6, s9
	v_cndmask_b32_e64 v32, 0, 1, s7
	s_and_b32 s7, s6, s10
	s_and_b32 s6, s6, s11
	v_cndmask_b32_e64 v33, 0, 1, s7
	v_cndmask_b32_e64 v34, 0, 1, s6
	v_cmp_ne_u32_e64 s6, 0, v31
	v_cmp_ne_u32_e64 s7, 0, v32
	;; [unrolled: 1-line block ×4, first 2 shown]
	s_bcnt1_i32_b32 s6, s6
	s_bcnt1_i32_b32 s7, s7
	v_add_co_u32 v2, s6, v2, s6
	s_bcnt1_i32_b32 s9, s9
	v_add_co_ci_u32_e64 v3, null, 0, v3, s6
	v_add_co_u32 v4, s6, v4, s7
	s_bcnt1_i32_b32 s10, s10
	v_add_co_ci_u32_e64 v5, null, 0, v5, s6
	v_add_co_u32 v6, s6, v6, s9
	v_add_co_ci_u32_e64 v7, null, 0, v7, s6
	v_add_co_u32 v8, s6, v8, s10
	v_add_co_ci_u32_e64 v9, null, 0, v9, s6
	s_or_b32 s13, vcc_lo, s13
	s_andn2_b32 exec_lo, exec_lo, s13
	s_cbranch_execnz .LBB150_75
; %bb.76:                               ;   in Loop: Header=BB150_18 Depth=1
	s_or_b32 exec_lo, exec_lo, s13
.LBB150_77:                             ;   in Loop: Header=BB150_18 Depth=1
	s_or_b32 exec_lo, exec_lo, s12
	s_lshl_b32 s6, vcc_hi, 7
	s_and_saveexec_b32 s7, s0
	s_cbranch_execnz .LBB150_48
	s_branch .LBB150_49
.LBB150_78:                             ;   in Loop: Header=BB150_18 Depth=1
                                        ; implicit-def: $sgpr6_sgpr7
	s_branch .LBB150_57
.LBB150_79:                             ;   in Loop: Header=BB150_18 Depth=1
	s_mov_b32 s9, 0
	s_andn2_b32 vcc_lo, exec_lo, s97
	s_cbranch_vccnz .LBB150_82
.LBB150_80:                             ;   in Loop: Header=BB150_18 Depth=1
	s_lshl_b32 s10, vcc_hi, 10
	s_lshl_b32 s9, s9, 5
	v_add3_u32 v4, s10, s9, v29
	s_mov_b32 s9, s95
.LBB150_81:                             ;   Parent Loop BB150_18 Depth=1
                                        ; =>  This Inner Loop Header: Depth=2
	ds_read_b64 v[5:6], v4
	v_add_nc_u32_e32 v4, 32, v4
	s_add_i32 s9, s9, -1
	s_cmp_lg_u32 s9, 0
	s_waitcnt lgkmcnt(0)
	v_add_co_u32 v2, vcc_lo, v5, v2
	v_add_co_ci_u32_e64 v3, null, v6, v3, vcc_lo
	s_cbranch_scc1 .LBB150_81
.LBB150_82:                             ;   in Loop: Header=BB150_18 Depth=1
	v_add_lshl_u32 v4, s6, v24, 3
	ds_write_b64 v4, v[2:3] offset:3072
.LBB150_83:                             ;   in Loop: Header=BB150_18 Depth=1
	s_or_b32 exec_lo, exec_lo, s7
	s_lshl_b32 s6, s6, 3
	s_waitcnt lgkmcnt(0)
	v_mov_b32_e32 v6, s6
	s_barrier
	buffer_gl0_inv
	v_cmp_eq_u64_e64 s7, 1, v[19:20]
	s_lshl_b32 s9, 3, s63
	ds_read_b128 v[2:5], v6 offset:3072
	ds_read_b128 v[6:9], v6 offset:3088
	s_mov_b32 s76, -1
	s_not_b32 s24, s9
	s_mov_b32 s25, 0
	s_andn2_b32 vcc_lo, exec_lo, s59
	s_mov_b32 s23, 0
	s_mov_b32 s22, 0
                                        ; implicit-def: $sgpr74
                                        ; implicit-def: $sgpr75
                                        ; implicit-def: $vgpr12
	s_waitcnt lgkmcnt(1)
	v_readfirstlane_b32 s11, v3
	v_readfirstlane_b32 s10, v2
	;; [unrolled: 1-line block ×4, first 2 shown]
	s_waitcnt lgkmcnt(0)
	v_readfirstlane_b32 s15, v7
	v_readfirstlane_b32 s14, v6
	;; [unrolled: 1-line block ×4, first 2 shown]
                                        ; implicit-def: $vgpr2_vgpr3
                                        ; implicit-def: $vgpr8
                                        ; implicit-def: $vgpr9
                                        ; implicit-def: $vgpr5
	s_cbranch_vccnz .LBB150_278
; %bb.84:                               ;   in Loop: Header=BB150_18 Depth=1
	s_cmp_eq_u64 s[10:11], 1
	v_mov_b32_e32 v9, v25
	v_mov_b32_e32 v12, v30
	;; [unrolled: 1-line block ×3, first 2 shown]
	s_cselect_b32 s6, -1, 0
	s_mov_b32 s18, -1
	s_and_b32 s6, s6, s7
                                        ; implicit-def: $sgpr75
                                        ; implicit-def: $sgpr74
	s_and_saveexec_b32 s76, s6
	s_cbranch_execz .LBB150_119
; %bb.85:                               ;   in Loop: Header=BB150_18 Depth=1
	ds_read_b64 v[2:3], v13 offset:5120
	s_waitcnt lgkmcnt(0)
	s_barrier
	buffer_gl0_inv
	v_readfirstlane_b32 s18, v2
	v_readfirstlane_b32 s19, v3
	s_and_saveexec_b32 s20, s8
; %bb.86:                               ;   in Loop: Header=BB150_18 Depth=1
	ds_write_b32 v26, v13
; %bb.87:                               ;   in Loop: Header=BB150_18 Depth=1
	s_or_b32 exec_lo, exec_lo, s20
	v_and_b32_e32 v9, s24, v25
	v_or_b32_e32 v12, s9, v30
	s_mov_b32 s74, -1
	s_mov_b32 s75, 0
	s_cmp_eq_u64 s[18:19], 0
	s_mov_b32 s23, -1
	s_waitcnt lgkmcnt(0)
	s_barrier
	buffer_gl0_inv
                                        ; implicit-def: $vgpr5
	s_cbranch_scc1 .LBB150_104
; %bb.88:                               ;   in Loop: Header=BB150_18 Depth=1
	s_add_u32 s56, s18, s92
	s_addc_u32 s21, s19, s93
	s_mov_b32 s20, s69
	s_cmp_lg_u64 s[20:21], 0
	s_cbranch_scc0 .LBB150_145
; %bb.89:                               ;   in Loop: Header=BB150_18 Depth=1
	v_cvt_f32_u32_e32 v2, s53
	s_sub_u32 s23, 0, s53
	s_subb_u32 s44, 0, 0
	v_fmac_f32_e64 v2, 0x4f800000, 0
	v_rcp_f32_e32 v2, v2
	v_mul_f32_e32 v2, 0x5f7ffffc, v2
	v_mul_f32_e32 v3, 0x2f800000, v2
	v_trunc_f32_e32 v3, v3
	v_fmac_f32_e32 v2, 0xcf800000, v3
	v_cvt_u32_f32_e32 v3, v3
	v_cvt_u32_f32_e32 v2, v2
	v_readfirstlane_b32 s20, v3
	v_readfirstlane_b32 s22, v2
	s_mul_i32 s45, s23, s20
	s_mul_hi_u32 s47, s23, s22
	s_mul_i32 s46, s44, s22
	s_add_i32 s45, s47, s45
	s_mul_i32 s52, s23, s22
	s_add_i32 s45, s45, s46
	s_mul_hi_u32 s47, s22, s52
	s_mul_i32 s58, s22, s45
	s_mul_hi_u32 s57, s20, s52
	s_mul_i32 s46, s20, s52
	s_mul_hi_u32 s52, s22, s45
	s_add_u32 s47, s47, s58
	s_addc_u32 s52, 0, s52
	s_mul_hi_u32 s68, s20, s45
	s_add_u32 s46, s47, s46
	s_mul_i32 s45, s20, s45
	s_addc_u32 s46, s52, s57
	s_addc_u32 s47, s68, 0
	s_add_u32 s45, s46, s45
	s_addc_u32 s46, 0, s47
	s_add_u32 s22, s22, s45
	s_cselect_b32 s45, -1, 0
	s_mul_hi_u32 s47, s23, s22
	s_cmp_lg_u32 s45, 0
	s_mul_i32 s45, s23, s22
	s_addc_u32 s20, s20, s46
	s_mul_i32 s44, s44, s22
	s_mul_i32 s23, s23, s20
	s_mul_hi_u32 s46, s22, s45
	s_add_i32 s23, s47, s23
	s_mul_hi_u32 s47, s20, s45
	s_add_i32 s23, s23, s44
	s_mul_i32 s44, s20, s45
	s_mul_i32 s57, s22, s23
	s_mul_hi_u32 s52, s22, s23
	s_add_u32 s46, s46, s57
	s_addc_u32 s52, 0, s52
	s_mul_hi_u32 s45, s20, s23
	s_add_u32 s44, s46, s44
	s_mul_i32 s23, s20, s23
	s_addc_u32 s44, s52, s47
	s_addc_u32 s45, s45, 0
	s_add_u32 s23, s44, s23
	s_addc_u32 s44, 0, s45
	s_add_u32 s22, s22, s23
	s_cselect_b32 s23, -1, 0
	s_mul_hi_u32 s45, s56, s22
	s_cmp_lg_u32 s23, 0
	s_mul_hi_u32 s23, s21, s22
	s_addc_u32 s20, s20, s44
	s_mul_i32 s22, s21, s22
	s_mul_i32 s46, s56, s20
	s_mul_hi_u32 s44, s56, s20
	s_add_u32 s45, s45, s46
	s_addc_u32 s44, 0, s44
	s_mul_hi_u32 s47, s21, s20
	s_add_u32 s22, s45, s22
	s_mul_i32 s20, s21, s20
	s_addc_u32 s22, s44, s23
	s_addc_u32 s23, s47, 0
	s_add_u32 s20, s22, s20
	s_addc_u32 s22, 0, s23
	s_mul_hi_u32 s23, s53, s20
	s_mul_i32 s22, s53, s22
	s_mul_i32 s20, s53, s20
	s_add_i32 s23, s23, s22
	s_sub_u32 s20, s56, s20
	s_cselect_b32 s22, -1, 0
	s_cmp_lg_u32 s22, 0
	s_subb_u32 s22, s21, s23
	s_sub_u32 s23, s20, s53
	s_cselect_b32 s44, -1, 0
	s_cmp_lg_u32 s44, 0
	s_subb_u32 s44, s22, 0
	;; [unrolled: 4-line block ×3, first 2 shown]
	s_cmp_ge_u32 s23, s53
	s_cselect_b32 s47, -1, 0
	s_cmp_eq_u32 s44, 0
	s_cselect_b32 s47, s47, -1
	s_cmp_lg_u32 s47, 0
	s_cselect_b32 s44, s46, s44
	s_cselect_b32 s45, s45, s23
	s_cmp_ge_u32 s20, s53
	s_cselect_b32 s23, -1, 0
	s_cmp_eq_u32 s22, 0
	s_cselect_b32 s23, s23, -1
	s_cmp_lg_u32 s23, 0
	s_cselect_b32 s23, s44, s22
	s_cselect_b32 s22, s45, s20
	s_cbranch_execnz .LBB150_91
.LBB150_90:                             ;   in Loop: Header=BB150_18 Depth=1
	v_cvt_f32_u32_e32 v2, s53
	s_sub_i32 s22, 0, s53
	v_rcp_iflag_f32_e32 v2, v2
	v_mul_f32_e32 v2, 0x4f7ffffe, v2
	v_cvt_u32_f32_e32 v2, v2
	v_readfirstlane_b32 s20, v2
	s_mul_i32 s22, s22, s20
	s_mul_hi_u32 s22, s20, s22
	s_add_i32 s20, s20, s22
	s_mul_hi_u32 s20, s56, s20
	s_mul_i32 s20, s20, s53
	s_sub_i32 s20, s56, s20
	s_sub_i32 s22, s20, s53
	s_cmp_ge_u32 s20, s53
	s_cselect_b32 s20, s22, s20
	s_sub_i32 s22, s20, s53
	s_cmp_ge_u32 s20, s53
	s_cselect_b32 s68, s22, s20
	s_mov_b64 s[22:23], s[68:69]
.LBB150_91:                             ;   in Loop: Header=BB150_18 Depth=1
	s_sub_u32 s20, s56, s22
	s_subb_u32 s21, s21, s23
	s_mov_b32 s23, 0
	s_mov_b32 s22, 0
	s_mov_b32 s56, exec_lo
                                        ; implicit-def: $vgpr5
	v_cmpx_gt_u64_e64 s[20:21], v[0:1]
	s_cbranch_execz .LBB150_103
; %bb.92:                               ;   in Loop: Header=BB150_18 Depth=1
	v_mov_b32_e32 v3, v1
	v_mov_b32_e32 v6, v14
	;; [unrolled: 1-line block ×3, first 2 shown]
                                        ; implicit-def: $sgpr57
	s_inst_prefetch 0x1
	s_branch .LBB150_95
	.p2align	6
.LBB150_93:                             ;   in Loop: Header=BB150_95 Depth=2
	s_or_b32 exec_lo, exec_lo, s44
	s_waitcnt lgkmcnt(0)
	s_barrier
	buffer_gl0_inv
	ds_read_b64 v[4:5], v13 offset:3072
	s_mov_b32 s44, -1
	s_mov_b32 s45, -1
	s_waitcnt lgkmcnt(0)
	s_barrier
	buffer_gl0_inv
	v_cmp_ne_u32_e32 vcc_lo, 0, v4
	s_cbranch_vccz .LBB150_98
.LBB150_94:                             ;   in Loop: Header=BB150_95 Depth=2
	s_and_b32 s44, exec_lo, s44
	s_or_b32 s22, s44, s22
	s_andn2_b32 s44, s57, exec_lo
	s_and_b32 s45, s45, exec_lo
	s_or_b32 s57, s44, s45
	s_andn2_b32 exec_lo, exec_lo, s22
	s_cbranch_execz .LBB150_102
.LBB150_95:                             ;   Parent Loop BB150_18 Depth=1
                                        ; =>  This Inner Loop Header: Depth=2
	s_mov_b32 s44, exec_lo
	v_cmpx_gt_u64_e64 s[18:19], v[2:3]
	s_cbranch_execz .LBB150_93
; %bb.96:                               ;   in Loop: Header=BB150_95 Depth=2
	ds_read_b32 v17, v6
	s_waitcnt lgkmcnt(0)
	v_xor_b32_e32 v4, 0x80000000, v17
	v_and_b32_e32 v4, v4, v12
	v_cmp_eq_u32_e32 vcc_lo, v4, v9
	s_and_b32 exec_lo, exec_lo, vcc_lo
	s_cbranch_execz .LBB150_93
; %bb.97:                               ;   in Loop: Header=BB150_95 Depth=2
	ds_write_b64 v13, v[16:17] offset:3072
	s_branch .LBB150_93
.LBB150_98:                             ;   in Loop: Header=BB150_95 Depth=2
	v_add_co_u32 v2, vcc_lo, v2, s53
	v_add_co_ci_u32_e64 v3, null, 0, v3, vcc_lo
	v_add_nc_u32_e32 v6, s98, v6
	s_mov_b32 s45, 0
	v_cmp_le_u64_e32 vcc_lo, s[20:21], v[2:3]
	s_orn2_b32 s44, vcc_lo, exec_lo
	s_branch .LBB150_94
.LBB150_99:                             ;   in Loop: Header=BB150_18 Depth=1
	s_or_b32 exec_lo, exec_lo, s10
	s_waitcnt lgkmcnt(0)
	s_barrier
	buffer_gl0_inv
	s_and_saveexec_b32 s6, s3
	s_cbranch_execz .LBB150_101
; %bb.100:                              ;   in Loop: Header=BB150_18 Depth=1
	ds_read_b32 v2, v13 offset:5144
	s_waitcnt lgkmcnt(0)
	v_ashrrev_i32_e32 v3, 31, v2
	ds_write_b64 v13, v[2:3] offset:5120
.LBB150_101:                            ;   in Loop: Header=BB150_18 Depth=1
	s_or_b32 exec_lo, exec_lo, s6
	s_waitcnt lgkmcnt(0)
	s_mov_b32 s6, -1
	s_barrier
	s_and_b32 vcc_lo, exec_lo, s9
	s_cbranch_vccnz .LBB150_34
	s_branch .LBB150_43
.LBB150_102:                            ;   in Loop: Header=BB150_18 Depth=1
	s_inst_prefetch 0x2
	s_or_b32 exec_lo, exec_lo, s22
	s_and_b32 s22, s57, exec_lo
.LBB150_103:                            ;   in Loop: Header=BB150_18 Depth=1
	s_or_b32 exec_lo, exec_lo, s56
.LBB150_104:                            ;   in Loop: Header=BB150_18 Depth=1
	s_and_b32 vcc_lo, exec_lo, s23
	s_cbranch_vccz .LBB150_118
; %bb.105:                              ;   in Loop: Header=BB150_18 Depth=1
	s_mov_b32 s70, s69
	s_cmp_lg_u64 s[70:71], 0
	s_cbranch_scc0 .LBB150_146
; %bb.106:                              ;   in Loop: Header=BB150_18 Depth=1
	v_cvt_f32_u32_e32 v2, s53
	s_sub_u32 s20, 0, s53
	s_subb_u32 s21, 0, 0
	v_fmac_f32_e64 v2, 0x4f800000, 0
	v_rcp_f32_e32 v2, v2
	v_mul_f32_e32 v2, 0x5f7ffffc, v2
	v_mul_f32_e32 v3, 0x2f800000, v2
	v_trunc_f32_e32 v3, v3
	v_fmac_f32_e32 v2, 0xcf800000, v3
	v_cvt_u32_f32_e32 v3, v3
	v_cvt_u32_f32_e32 v2, v2
	v_readfirstlane_b32 s18, v3
	v_readfirstlane_b32 s19, v2
	s_mul_i32 s23, s20, s18
	s_mul_hi_u32 s45, s20, s19
	s_mul_i32 s44, s21, s19
	s_add_i32 s23, s45, s23
	s_mul_i32 s46, s20, s19
	s_add_i32 s23, s23, s44
	s_mul_hi_u32 s45, s19, s46
	s_mul_i32 s52, s19, s23
	s_mul_hi_u32 s47, s18, s46
	s_mul_i32 s44, s18, s46
	s_mul_hi_u32 s46, s19, s23
	s_add_u32 s45, s45, s52
	s_addc_u32 s46, 0, s46
	s_mul_hi_u32 s56, s18, s23
	s_add_u32 s44, s45, s44
	s_mul_i32 s23, s18, s23
	s_addc_u32 s44, s46, s47
	s_addc_u32 s45, s56, 0
	s_add_u32 s23, s44, s23
	s_addc_u32 s44, 0, s45
	s_add_u32 s19, s19, s23
	s_cselect_b32 s23, -1, 0
	s_mul_hi_u32 s45, s20, s19
	s_cmp_lg_u32 s23, 0
	s_mul_i32 s23, s20, s19
	s_addc_u32 s18, s18, s44
	s_mul_i32 s21, s21, s19
	s_mul_i32 s20, s20, s18
	s_mul_hi_u32 s44, s19, s23
	s_add_i32 s20, s45, s20
	s_mul_hi_u32 s45, s18, s23
	s_add_i32 s20, s20, s21
	s_mul_i32 s21, s18, s23
	s_mul_i32 s47, s19, s20
	s_mul_hi_u32 s46, s19, s20
	s_add_u32 s44, s44, s47
	s_addc_u32 s46, 0, s46
	s_mul_hi_u32 s23, s18, s20
	s_add_u32 s21, s44, s21
	s_mul_i32 s20, s18, s20
	s_addc_u32 s21, s46, s45
	s_addc_u32 s23, s23, 0
	s_add_u32 s20, s21, s20
	s_addc_u32 s21, 0, s23
	s_add_u32 s19, s19, s20
	s_cselect_b32 s20, -1, 0
	s_mul_hi_u32 s23, s94, s19
	s_cmp_lg_u32 s20, 0
	s_mul_hi_u32 s20, s71, s19
	s_addc_u32 s18, s18, s21
	s_mul_i32 s19, s71, s19
	s_mul_i32 s44, s94, s18
	s_mul_hi_u32 s21, s94, s18
	s_add_u32 s23, s23, s44
	s_addc_u32 s21, 0, s21
	s_mul_hi_u32 s45, s71, s18
	s_add_u32 s19, s23, s19
	s_mul_i32 s18, s71, s18
	s_addc_u32 s19, s21, s20
	s_addc_u32 s20, s45, 0
	s_add_u32 s18, s19, s18
	s_addc_u32 s19, 0, s20
	s_mul_hi_u32 s20, s53, s18
	s_mul_i32 s19, s53, s19
	s_mul_i32 s18, s53, s18
	s_add_i32 s20, s20, s19
	s_sub_u32 s18, s94, s18
	s_cselect_b32 s19, -1, 0
	s_cmp_lg_u32 s19, 0
	s_subb_u32 s19, s71, s20
	s_sub_u32 s20, s18, s53
	s_cselect_b32 s21, -1, 0
	s_cmp_lg_u32 s21, 0
	s_subb_u32 s21, s19, 0
	;; [unrolled: 4-line block ×3, first 2 shown]
	s_cmp_ge_u32 s20, s53
	s_cselect_b32 s45, -1, 0
	s_cmp_eq_u32 s21, 0
	s_cselect_b32 s45, s45, -1
	s_cmp_lg_u32 s45, 0
	s_cselect_b32 s21, s44, s21
	s_cselect_b32 s20, s23, s20
	s_cmp_ge_u32 s18, s53
	s_cselect_b32 s23, -1, 0
	s_cmp_eq_u32 s19, 0
	s_cselect_b32 s23, s23, -1
	s_cmp_lg_u32 s23, 0
	s_cselect_b32 s19, s21, s19
	s_cselect_b32 s18, s20, s18
	s_cbranch_execnz .LBB150_108
.LBB150_107:                            ;   in Loop: Header=BB150_18 Depth=1
	v_cvt_f32_u32_e32 v2, s53
	s_sub_i32 s19, 0, s53
	v_rcp_iflag_f32_e32 v2, v2
	v_mul_f32_e32 v2, 0x4f7ffffe, v2
	v_cvt_u32_f32_e32 v2, v2
	v_readfirstlane_b32 s18, v2
	s_mul_i32 s19, s19, s18
	s_mul_hi_u32 s19, s18, s19
	s_add_i32 s18, s18, s19
	s_mul_hi_u32 s18, s94, s18
	s_mul_i32 s18, s18, s53
	s_sub_i32 s18, s94, s18
	s_sub_i32 s19, s18, s53
	s_cmp_ge_u32 s18, s53
	s_cselect_b32 s18, s19, s18
	s_sub_i32 s19, s18, s53
	s_cmp_ge_u32 s18, s53
	s_cselect_b32 s68, s19, s18
	s_mov_b64 s[18:19], s[68:69]
.LBB150_108:                            ;   in Loop: Header=BB150_18 Depth=1
	s_sub_u32 s18, s94, s18
	s_subb_u32 s19, s71, s19
	s_mov_b32 s20, exec_lo
                                        ; implicit-def: $vgpr5
	v_cmpx_gt_u64_e64 s[18:19], v[0:1]
	s_cbranch_execz .LBB150_117
; %bb.109:                              ;   in Loop: Header=BB150_18 Depth=1
	v_mov_b32_e32 v3, v1
	v_mov_b32_e32 v2, v0
	s_mov_b32 s21, 0
                                        ; implicit-def: $sgpr23
	s_branch .LBB150_112
.LBB150_110:                            ;   in Loop: Header=BB150_112 Depth=2
	s_or_b32 exec_lo, exec_lo, s56
	s_waitcnt lgkmcnt(0)
	s_barrier
	buffer_gl0_inv
	ds_read_b64 v[4:5], v13 offset:3072
	s_mov_b32 s45, -1
	s_mov_b32 s44, -1
	s_waitcnt lgkmcnt(0)
	s_barrier
	buffer_gl0_inv
	v_cmp_ne_u32_e32 vcc_lo, 0, v4
	s_cbranch_vccz .LBB150_115
.LBB150_111:                            ;   in Loop: Header=BB150_112 Depth=2
	s_and_b32 s45, exec_lo, s45
	s_or_b32 s21, s45, s21
	s_andn2_b32 s23, s23, exec_lo
	s_and_b32 s44, s44, exec_lo
	s_or_b32 s23, s23, s44
	s_andn2_b32 exec_lo, exec_lo, s21
	s_cbranch_execz .LBB150_116
.LBB150_112:                            ;   Parent Loop BB150_18 Depth=1
                                        ; =>  This Inner Loop Header: Depth=2
	s_mov_b32 s56, exec_lo
	v_cmpx_gt_u64_e64 s[28:29], v[2:3]
	s_cbranch_execz .LBB150_110
; %bb.113:                              ;   in Loop: Header=BB150_112 Depth=2
	v_mul_lo_u32 v6, v3, s26
	v_mul_lo_u32 v7, v2, s27
	v_mad_u64_u32 v[4:5], null, v2, s26, 0
	v_add3_u32 v5, v5, v7, v6
	v_lshlrev_b64 v[4:5], 2, v[4:5]
	v_add_co_u32 v4, vcc_lo, s33, v4
	v_add_co_ci_u32_e64 v5, null, s35, v5, vcc_lo
	global_load_dword v17, v[4:5], off
	s_waitcnt vmcnt(0)
	v_xor_b32_e32 v4, 0x80000000, v17
	v_and_b32_e32 v4, v4, v12
	v_cmp_eq_u32_e32 vcc_lo, v4, v9
	s_and_b32 exec_lo, exec_lo, vcc_lo
	s_cbranch_execz .LBB150_110
; %bb.114:                              ;   in Loop: Header=BB150_112 Depth=2
	ds_write_b64 v13, v[16:17] offset:3072
	s_branch .LBB150_110
.LBB150_115:                            ;   in Loop: Header=BB150_112 Depth=2
	v_add_co_u32 v2, vcc_lo, v2, s53
	v_add_co_ci_u32_e64 v3, null, 0, v3, vcc_lo
	s_mov_b32 s44, 0
	v_cmp_le_u64_e32 vcc_lo, s[18:19], v[2:3]
	s_orn2_b32 s45, vcc_lo, exec_lo
	s_branch .LBB150_111
.LBB150_116:                            ;   in Loop: Header=BB150_18 Depth=1
	s_or_b32 exec_lo, exec_lo, s21
	s_andn2_b32 s18, s22, exec_lo
	s_and_b32 s19, s23, exec_lo
	s_or_b32 s22, s18, s19
.LBB150_117:                            ;   in Loop: Header=BB150_18 Depth=1
	s_or_b32 exec_lo, exec_lo, s20
	s_mov_b32 s74, 0
	s_mov_b32 s75, -1
.LBB150_118:                            ;   in Loop: Header=BB150_18 Depth=1
	s_orn2_b32 s18, s22, exec_lo
.LBB150_119:                            ;   in Loop: Header=BB150_18 Depth=1
	s_or_b32 exec_lo, exec_lo, s76
	s_mov_b32 s76, 0
	s_mov_b32 s23, 0
	;; [unrolled: 1-line block ×3, first 2 shown]
                                        ; implicit-def: $vgpr2_vgpr3
                                        ; implicit-def: $vgpr8
	s_and_saveexec_b32 s77, s18
	s_cbranch_execz .LBB150_277
; %bb.120:                              ;   in Loop: Header=BB150_18 Depth=1
	v_mov_b32_e32 v2, 1
	v_mov_b32_e32 v3, 0
	;; [unrolled: 1-line block ×3, first 2 shown]
	s_xor_b32 s18, s6, -1
	s_mov_b32 s19, 0
	s_and_saveexec_b32 s6, s18
	s_cbranch_execz .LBB150_129
; %bb.121:                              ;   in Loop: Header=BB150_18 Depth=1
	s_mov_b32 s18, exec_lo
	v_cmpx_ge_u64_e64 s[10:11], v[19:20]
	s_xor_b32 s18, exec_lo, s18
	s_cbranch_execz .LBB150_126
; %bb.122:                              ;   in Loop: Header=BB150_18 Depth=1
	ds_read_b64 v[2:3], v13 offset:5120
	v_and_b32_e32 v9, s24, v9
	v_or_b32_e32 v12, s9, v12
	s_waitcnt lgkmcnt(0)
	v_cmp_ne_u64_e32 vcc_lo, 0, v[2:3]
	s_cbranch_vccnz .LBB150_126
; %bb.123:                              ;   in Loop: Header=BB150_18 Depth=1
	s_and_saveexec_b32 s19, s3
; %bb.124:                              ;   in Loop: Header=BB150_18 Depth=1
	v_mov_b32_e32 v2, s10
	v_mov_b32_e32 v3, s11
	ds_write_b64 v13, v[2:3] offset:5128
; %bb.125:                              ;   in Loop: Header=BB150_18 Depth=1
	s_or_b32 exec_lo, exec_lo, s19
	s_waitcnt lgkmcnt(0)
	s_barrier
	buffer_gl0_inv
.LBB150_126:                            ;   in Loop: Header=BB150_18 Depth=1
	s_or_saveexec_b32 s18, s18
	v_mov_b32_e32 v2, v19
	v_mov_b32_e32 v8, 8
	;; [unrolled: 1-line block ×3, first 2 shown]
	s_mov_b32 s19, 0
	s_xor_b32 exec_lo, exec_lo, s18
; %bb.127:                              ;   in Loop: Header=BB150_18 Depth=1
	v_sub_co_u32 v2, vcc_lo, v19, s10
	v_subrev_co_ci_u32_e64 v3, null, s11, v20, vcc_lo
	v_mov_b32_e32 v8, 0
	s_mov_b32 s19, exec_lo
; %bb.128:                              ;   in Loop: Header=BB150_18 Depth=1
	s_or_b32 exec_lo, exec_lo, s18
	s_and_b32 s19, s19, exec_lo
.LBB150_129:                            ;   in Loop: Header=BB150_18 Depth=1
	s_or_b32 exec_lo, exec_lo, s6
	s_mov_b32 s18, -1
                                        ; implicit-def: $sgpr78
                                        ; implicit-def: $sgpr79
	s_and_saveexec_b32 s6, s19
	s_xor_b32 s6, exec_lo, s6
	s_cbranch_execz .LBB150_274
; %bb.130:                              ;   in Loop: Header=BB150_18 Depth=1
	v_cmp_eq_u64_e32 vcc_lo, 1, v[2:3]
	s_cmp_eq_u64 s[12:13], 1
                                        ; implicit-def: $sgpr79
                                        ; implicit-def: $sgpr78
	s_cselect_b32 s18, -1, 0
	s_and_b32 s81, s18, vcc_lo
	s_mov_b32 s18, -1
	s_and_saveexec_b32 s80, s81
	s_cbranch_execz .LBB150_164
; %bb.131:                              ;   in Loop: Header=BB150_18 Depth=1
	ds_read_b64 v[4:5], v13 offset:5120
	s_waitcnt lgkmcnt(0)
	s_barrier
	buffer_gl0_inv
	v_readfirstlane_b32 s18, v4
	v_readfirstlane_b32 s19, v5
	s_and_saveexec_b32 s20, s8
; %bb.132:                              ;   in Loop: Header=BB150_18 Depth=1
	ds_write_b32 v26, v13
; %bb.133:                              ;   in Loop: Header=BB150_18 Depth=1
	s_or_b32 exec_lo, exec_lo, s20
	s_lshl_b32 s20, 1, s63
	v_or_b32_e32 v12, s9, v12
	v_and_or_b32 v9, v9, s24, s20
	s_mov_b32 s78, -1
	s_mov_b32 s79, 0
	s_cmp_eq_u64 s[18:19], 0
	s_mov_b32 s23, -1
	s_waitcnt lgkmcnt(0)
	s_barrier
	buffer_gl0_inv
                                        ; implicit-def: $vgpr5
	s_cbranch_scc1 .LBB150_149
; %bb.134:                              ;   in Loop: Header=BB150_18 Depth=1
	s_add_u32 s56, s18, s92
	s_addc_u32 s21, s19, s93
	s_mov_b32 s20, s69
	s_cmp_lg_u64 s[20:21], 0
	s_cbranch_scc0 .LBB150_190
; %bb.135:                              ;   in Loop: Header=BB150_18 Depth=1
	v_cvt_f32_u32_e32 v4, s53
	s_sub_u32 s23, 0, s53
	s_subb_u32 s44, 0, 0
	v_fmac_f32_e64 v4, 0x4f800000, 0
	v_rcp_f32_e32 v4, v4
	v_mul_f32_e32 v4, 0x5f7ffffc, v4
	v_mul_f32_e32 v5, 0x2f800000, v4
	v_trunc_f32_e32 v5, v5
	v_fmac_f32_e32 v4, 0xcf800000, v5
	v_cvt_u32_f32_e32 v5, v5
	v_cvt_u32_f32_e32 v4, v4
	v_readfirstlane_b32 s20, v5
	v_readfirstlane_b32 s22, v4
	s_mul_i32 s45, s23, s20
	s_mul_hi_u32 s47, s23, s22
	s_mul_i32 s46, s44, s22
	s_add_i32 s45, s47, s45
	s_mul_i32 s57, s23, s22
	s_add_i32 s45, s45, s46
	s_mul_hi_u32 s47, s22, s57
	s_mul_i32 s70, s22, s45
	s_mul_hi_u32 s68, s20, s57
	s_mul_i32 s46, s20, s57
	s_mul_hi_u32 s57, s22, s45
	s_add_u32 s47, s47, s70
	s_addc_u32 s57, 0, s57
	s_mul_hi_u32 s82, s20, s45
	s_add_u32 s46, s47, s46
	s_mul_i32 s45, s20, s45
	s_addc_u32 s46, s57, s68
	s_addc_u32 s47, s82, 0
	s_add_u32 s45, s46, s45
	s_addc_u32 s46, 0, s47
	s_add_u32 s22, s22, s45
	s_cselect_b32 s45, -1, 0
	s_mul_hi_u32 s47, s23, s22
	s_cmp_lg_u32 s45, 0
	s_mul_i32 s45, s23, s22
	s_addc_u32 s20, s20, s46
	s_mul_i32 s44, s44, s22
	s_mul_i32 s23, s23, s20
	s_mul_hi_u32 s46, s22, s45
	s_add_i32 s23, s47, s23
	s_mul_hi_u32 s47, s20, s45
	s_add_i32 s23, s23, s44
	s_mul_i32 s44, s20, s45
	s_mul_i32 s68, s22, s23
	s_mul_hi_u32 s57, s22, s23
	s_add_u32 s46, s46, s68
	s_addc_u32 s57, 0, s57
	s_mul_hi_u32 s45, s20, s23
	s_add_u32 s44, s46, s44
	s_mul_i32 s23, s20, s23
	s_addc_u32 s44, s57, s47
	s_addc_u32 s45, s45, 0
	s_add_u32 s23, s44, s23
	s_addc_u32 s44, 0, s45
	s_add_u32 s22, s22, s23
	s_cselect_b32 s23, -1, 0
	s_mul_hi_u32 s45, s56, s22
	s_cmp_lg_u32 s23, 0
	s_mul_hi_u32 s23, s21, s22
	s_addc_u32 s20, s20, s44
	s_mul_i32 s22, s21, s22
	s_mul_i32 s46, s56, s20
	s_mul_hi_u32 s44, s56, s20
	s_add_u32 s45, s45, s46
	s_addc_u32 s44, 0, s44
	s_mul_hi_u32 s47, s21, s20
	s_add_u32 s22, s45, s22
	s_mul_i32 s20, s21, s20
	s_addc_u32 s22, s44, s23
	s_addc_u32 s23, s47, 0
	s_add_u32 s20, s22, s20
	s_addc_u32 s22, 0, s23
	s_mul_hi_u32 s23, s53, s20
	s_mul_i32 s22, s53, s22
	s_mul_i32 s20, s53, s20
	s_add_i32 s23, s23, s22
	s_sub_u32 s20, s56, s20
	s_cselect_b32 s22, -1, 0
	s_cmp_lg_u32 s22, 0
	s_subb_u32 s22, s21, s23
	s_sub_u32 s23, s20, s53
	s_cselect_b32 s44, -1, 0
	s_cmp_lg_u32 s44, 0
	s_subb_u32 s44, s22, 0
	;; [unrolled: 4-line block ×3, first 2 shown]
	s_cmp_ge_u32 s23, s53
	s_cselect_b32 s47, -1, 0
	s_cmp_eq_u32 s44, 0
	s_cselect_b32 s47, s47, -1
	s_cmp_lg_u32 s47, 0
	s_cselect_b32 s44, s46, s44
	s_cselect_b32 s45, s45, s23
	s_cmp_ge_u32 s20, s53
	s_cselect_b32 s23, -1, 0
	s_cmp_eq_u32 s22, 0
	s_cselect_b32 s23, s23, -1
	s_cmp_lg_u32 s23, 0
	s_cselect_b32 s23, s44, s22
	s_cselect_b32 s22, s45, s20
	s_cbranch_execnz .LBB150_137
.LBB150_136:                            ;   in Loop: Header=BB150_18 Depth=1
	v_cvt_f32_u32_e32 v4, s53
	s_sub_i32 s22, 0, s53
	v_rcp_iflag_f32_e32 v4, v4
	v_mul_f32_e32 v4, 0x4f7ffffe, v4
	v_cvt_u32_f32_e32 v4, v4
	v_readfirstlane_b32 s20, v4
	s_mul_i32 s22, s22, s20
	s_mul_hi_u32 s22, s20, s22
	s_add_i32 s20, s20, s22
	s_mul_hi_u32 s20, s56, s20
	s_mul_i32 s20, s20, s53
	s_sub_i32 s20, s56, s20
	s_sub_i32 s22, s20, s53
	s_cmp_ge_u32 s20, s53
	s_cselect_b32 s20, s22, s20
	s_sub_i32 s22, s20, s53
	s_cmp_ge_u32 s20, s53
	s_cselect_b32 s68, s22, s20
	s_mov_b64 s[22:23], s[68:69]
.LBB150_137:                            ;   in Loop: Header=BB150_18 Depth=1
	s_sub_u32 s20, s56, s22
	s_subb_u32 s21, s21, s23
	s_mov_b32 s23, 0
	s_mov_b32 s22, 0
	s_mov_b32 s56, exec_lo
                                        ; implicit-def: $vgpr5
	v_cmpx_gt_u64_e64 s[20:21], v[0:1]
	s_cbranch_execz .LBB150_148
; %bb.138:                              ;   in Loop: Header=BB150_18 Depth=1
	v_mov_b32_e32 v7, v1
	v_mov_b32_e32 v21, v14
	;; [unrolled: 1-line block ×3, first 2 shown]
                                        ; implicit-def: $sgpr57
	s_inst_prefetch 0x1
	s_branch .LBB150_141
	.p2align	6
.LBB150_139:                            ;   in Loop: Header=BB150_141 Depth=2
	s_or_b32 exec_lo, exec_lo, s68
	s_waitcnt lgkmcnt(0)
	s_barrier
	buffer_gl0_inv
	ds_read_b64 v[4:5], v13 offset:3072
	s_mov_b32 s44, -1
	s_mov_b32 s45, -1
	s_waitcnt lgkmcnt(0)
	s_barrier
	buffer_gl0_inv
	v_cmp_ne_u32_e32 vcc_lo, 0, v4
	s_cbranch_vccz .LBB150_144
.LBB150_140:                            ;   in Loop: Header=BB150_141 Depth=2
	s_and_b32 s44, exec_lo, s44
	s_or_b32 s22, s44, s22
	s_andn2_b32 s44, s57, exec_lo
	s_and_b32 s45, s45, exec_lo
	s_or_b32 s57, s44, s45
	s_andn2_b32 exec_lo, exec_lo, s22
	s_cbranch_execz .LBB150_147
.LBB150_141:                            ;   Parent Loop BB150_18 Depth=1
                                        ; =>  This Inner Loop Header: Depth=2
	s_mov_b32 s68, exec_lo
	v_cmpx_gt_u64_e64 s[18:19], v[6:7]
	s_cbranch_execz .LBB150_139
; %bb.142:                              ;   in Loop: Header=BB150_141 Depth=2
	ds_read_b32 v17, v21
	s_waitcnt lgkmcnt(0)
	v_xor_b32_e32 v4, 0x80000000, v17
	v_and_b32_e32 v4, v4, v12
	v_cmp_eq_u32_e32 vcc_lo, v4, v9
	s_and_b32 exec_lo, exec_lo, vcc_lo
	s_cbranch_execz .LBB150_139
; %bb.143:                              ;   in Loop: Header=BB150_141 Depth=2
	ds_write_b64 v13, v[16:17] offset:3072
	s_branch .LBB150_139
.LBB150_144:                            ;   in Loop: Header=BB150_141 Depth=2
	v_add_co_u32 v6, vcc_lo, v6, s53
	v_add_co_ci_u32_e64 v7, null, 0, v7, vcc_lo
	v_add_nc_u32_e32 v21, s98, v21
	s_mov_b32 s45, 0
	v_cmp_le_u64_e32 vcc_lo, s[20:21], v[6:7]
	s_orn2_b32 s44, vcc_lo, exec_lo
	s_branch .LBB150_140
.LBB150_145:                            ;   in Loop: Header=BB150_18 Depth=1
                                        ; implicit-def: $sgpr22_sgpr23
	s_branch .LBB150_90
.LBB150_146:                            ;   in Loop: Header=BB150_18 Depth=1
                                        ; implicit-def: $sgpr18_sgpr19
	s_branch .LBB150_107
.LBB150_147:                            ;   in Loop: Header=BB150_18 Depth=1
	s_inst_prefetch 0x2
	s_or_b32 exec_lo, exec_lo, s22
	s_and_b32 s22, s57, exec_lo
.LBB150_148:                            ;   in Loop: Header=BB150_18 Depth=1
	s_or_b32 exec_lo, exec_lo, s56
.LBB150_149:                            ;   in Loop: Header=BB150_18 Depth=1
	s_and_b32 vcc_lo, exec_lo, s23
	s_cbranch_vccz .LBB150_163
; %bb.150:                              ;   in Loop: Header=BB150_18 Depth=1
	s_mov_b32 s70, s69
	s_cmp_lg_u64 s[70:71], 0
	s_cbranch_scc0 .LBB150_191
; %bb.151:                              ;   in Loop: Header=BB150_18 Depth=1
	v_cvt_f32_u32_e32 v4, s53
	s_sub_u32 s20, 0, s53
	s_subb_u32 s21, 0, 0
	v_fmac_f32_e64 v4, 0x4f800000, 0
	v_rcp_f32_e32 v4, v4
	v_mul_f32_e32 v4, 0x5f7ffffc, v4
	v_mul_f32_e32 v5, 0x2f800000, v4
	v_trunc_f32_e32 v5, v5
	v_fmac_f32_e32 v4, 0xcf800000, v5
	v_cvt_u32_f32_e32 v5, v5
	v_cvt_u32_f32_e32 v4, v4
	v_readfirstlane_b32 s18, v5
	v_readfirstlane_b32 s19, v4
	s_mul_i32 s23, s20, s18
	s_mul_hi_u32 s45, s20, s19
	s_mul_i32 s44, s21, s19
	s_add_i32 s23, s45, s23
	s_mul_i32 s46, s20, s19
	s_add_i32 s23, s23, s44
	s_mul_hi_u32 s45, s19, s46
	s_mul_i32 s56, s19, s23
	s_mul_hi_u32 s47, s18, s46
	s_mul_i32 s44, s18, s46
	s_mul_hi_u32 s46, s19, s23
	s_add_u32 s45, s45, s56
	s_addc_u32 s46, 0, s46
	s_mul_hi_u32 s57, s18, s23
	s_add_u32 s44, s45, s44
	s_mul_i32 s23, s18, s23
	s_addc_u32 s44, s46, s47
	s_addc_u32 s45, s57, 0
	s_add_u32 s23, s44, s23
	s_addc_u32 s44, 0, s45
	s_add_u32 s19, s19, s23
	s_cselect_b32 s23, -1, 0
	s_mul_hi_u32 s45, s20, s19
	s_cmp_lg_u32 s23, 0
	s_mul_i32 s23, s20, s19
	s_addc_u32 s18, s18, s44
	s_mul_i32 s21, s21, s19
	s_mul_i32 s20, s20, s18
	s_mul_hi_u32 s44, s19, s23
	s_add_i32 s20, s45, s20
	s_mul_hi_u32 s45, s18, s23
	s_add_i32 s20, s20, s21
	s_mul_i32 s21, s18, s23
	s_mul_i32 s47, s19, s20
	s_mul_hi_u32 s46, s19, s20
	s_add_u32 s44, s44, s47
	s_addc_u32 s46, 0, s46
	s_mul_hi_u32 s23, s18, s20
	s_add_u32 s21, s44, s21
	s_mul_i32 s20, s18, s20
	s_addc_u32 s21, s46, s45
	s_addc_u32 s23, s23, 0
	s_add_u32 s20, s21, s20
	s_addc_u32 s21, 0, s23
	s_add_u32 s19, s19, s20
	s_cselect_b32 s20, -1, 0
	s_mul_hi_u32 s23, s94, s19
	s_cmp_lg_u32 s20, 0
	s_mul_hi_u32 s20, s71, s19
	s_addc_u32 s18, s18, s21
	s_mul_i32 s19, s71, s19
	s_mul_i32 s44, s94, s18
	s_mul_hi_u32 s21, s94, s18
	s_add_u32 s23, s23, s44
	s_addc_u32 s21, 0, s21
	s_mul_hi_u32 s45, s71, s18
	s_add_u32 s19, s23, s19
	s_mul_i32 s18, s71, s18
	s_addc_u32 s19, s21, s20
	s_addc_u32 s20, s45, 0
	s_add_u32 s18, s19, s18
	s_addc_u32 s19, 0, s20
	s_mul_hi_u32 s20, s53, s18
	s_mul_i32 s19, s53, s19
	s_mul_i32 s18, s53, s18
	s_add_i32 s20, s20, s19
	s_sub_u32 s18, s94, s18
	s_cselect_b32 s19, -1, 0
	s_cmp_lg_u32 s19, 0
	s_subb_u32 s19, s71, s20
	s_sub_u32 s20, s18, s53
	s_cselect_b32 s21, -1, 0
	s_cmp_lg_u32 s21, 0
	s_subb_u32 s21, s19, 0
	;; [unrolled: 4-line block ×3, first 2 shown]
	s_cmp_ge_u32 s20, s53
	s_cselect_b32 s45, -1, 0
	s_cmp_eq_u32 s21, 0
	s_cselect_b32 s45, s45, -1
	s_cmp_lg_u32 s45, 0
	s_cselect_b32 s21, s44, s21
	s_cselect_b32 s20, s23, s20
	s_cmp_ge_u32 s18, s53
	s_cselect_b32 s23, -1, 0
	s_cmp_eq_u32 s19, 0
	s_cselect_b32 s23, s23, -1
	s_cmp_lg_u32 s23, 0
	s_cselect_b32 s19, s21, s19
	s_cselect_b32 s18, s20, s18
	s_cbranch_execnz .LBB150_153
.LBB150_152:                            ;   in Loop: Header=BB150_18 Depth=1
	v_cvt_f32_u32_e32 v4, s53
	s_sub_i32 s19, 0, s53
	v_rcp_iflag_f32_e32 v4, v4
	v_mul_f32_e32 v4, 0x4f7ffffe, v4
	v_cvt_u32_f32_e32 v4, v4
	v_readfirstlane_b32 s18, v4
	s_mul_i32 s19, s19, s18
	s_mul_hi_u32 s19, s18, s19
	s_add_i32 s18, s18, s19
	s_mul_hi_u32 s18, s94, s18
	s_mul_i32 s18, s18, s53
	s_sub_i32 s18, s94, s18
	s_sub_i32 s19, s18, s53
	s_cmp_ge_u32 s18, s53
	s_cselect_b32 s18, s19, s18
	s_sub_i32 s19, s18, s53
	s_cmp_ge_u32 s18, s53
	s_cselect_b32 s68, s19, s18
	s_mov_b64 s[18:19], s[68:69]
.LBB150_153:                            ;   in Loop: Header=BB150_18 Depth=1
	s_sub_u32 s18, s94, s18
	s_subb_u32 s19, s71, s19
	s_mov_b32 s20, exec_lo
                                        ; implicit-def: $vgpr5
	v_cmpx_gt_u64_e64 s[18:19], v[0:1]
	s_cbranch_execz .LBB150_162
; %bb.154:                              ;   in Loop: Header=BB150_18 Depth=1
	v_mov_b32_e32 v7, v1
	v_mov_b32_e32 v6, v0
	s_mov_b32 s21, 0
                                        ; implicit-def: $sgpr23
	s_branch .LBB150_157
.LBB150_155:                            ;   in Loop: Header=BB150_157 Depth=2
	s_or_b32 exec_lo, exec_lo, s56
	s_waitcnt lgkmcnt(0)
	s_barrier
	buffer_gl0_inv
	ds_read_b64 v[4:5], v13 offset:3072
	s_mov_b32 s45, -1
	s_mov_b32 s44, -1
	s_waitcnt lgkmcnt(0)
	s_barrier
	buffer_gl0_inv
	v_cmp_eq_u32_e32 vcc_lo, 0, v4
	s_cbranch_vccnz .LBB150_160
.LBB150_156:                            ;   in Loop: Header=BB150_157 Depth=2
	s_and_b32 s45, exec_lo, s45
	s_or_b32 s21, s45, s21
	s_andn2_b32 s23, s23, exec_lo
	s_and_b32 s44, s44, exec_lo
	s_or_b32 s23, s23, s44
	s_andn2_b32 exec_lo, exec_lo, s21
	s_cbranch_execz .LBB150_161
.LBB150_157:                            ;   Parent Loop BB150_18 Depth=1
                                        ; =>  This Inner Loop Header: Depth=2
	s_mov_b32 s56, exec_lo
	v_cmpx_gt_u64_e64 s[28:29], v[6:7]
	s_cbranch_execz .LBB150_155
; %bb.158:                              ;   in Loop: Header=BB150_157 Depth=2
	v_mul_lo_u32 v17, v7, s26
	v_mul_lo_u32 v21, v6, s27
	v_mad_u64_u32 v[4:5], null, v6, s26, 0
	v_add3_u32 v5, v5, v21, v17
	v_lshlrev_b64 v[4:5], 2, v[4:5]
	v_add_co_u32 v4, vcc_lo, s33, v4
	v_add_co_ci_u32_e64 v5, null, s35, v5, vcc_lo
	global_load_dword v17, v[4:5], off
	s_waitcnt vmcnt(0)
	v_xor_b32_e32 v4, 0x80000000, v17
	v_and_b32_e32 v4, v4, v12
	v_cmp_eq_u32_e32 vcc_lo, v4, v9
	s_and_b32 exec_lo, exec_lo, vcc_lo
	s_cbranch_execz .LBB150_155
; %bb.159:                              ;   in Loop: Header=BB150_157 Depth=2
	ds_write_b64 v13, v[16:17] offset:3072
	s_branch .LBB150_155
.LBB150_160:                            ;   in Loop: Header=BB150_157 Depth=2
	v_add_co_u32 v6, vcc_lo, v6, s53
	v_add_co_ci_u32_e64 v7, null, 0, v7, vcc_lo
	s_mov_b32 s44, 0
	v_cmp_le_u64_e32 vcc_lo, s[18:19], v[6:7]
	s_orn2_b32 s45, vcc_lo, exec_lo
	s_branch .LBB150_156
.LBB150_161:                            ;   in Loop: Header=BB150_18 Depth=1
	s_or_b32 exec_lo, exec_lo, s21
	s_andn2_b32 s18, s22, exec_lo
	s_and_b32 s19, s23, exec_lo
	s_or_b32 s22, s18, s19
.LBB150_162:                            ;   in Loop: Header=BB150_18 Depth=1
	s_or_b32 exec_lo, exec_lo, s20
	s_mov_b32 s78, 0
	s_mov_b32 s79, -1
.LBB150_163:                            ;   in Loop: Header=BB150_18 Depth=1
	s_orn2_b32 s18, s22, exec_lo
.LBB150_164:                            ;   in Loop: Header=BB150_18 Depth=1
	s_or_b32 exec_lo, exec_lo, s80
	s_mov_b32 s19, 0
	s_and_saveexec_b32 s80, s18
	s_cbranch_execz .LBB150_273
; %bb.165:                              ;   in Loop: Header=BB150_18 Depth=1
	v_mov_b32_e32 v6, 1
	v_mov_b32_e32 v7, 0
	;; [unrolled: 1-line block ×3, first 2 shown]
	s_xor_b32 s20, s81, -1
	s_and_saveexec_b32 s18, s20
	s_cbranch_execz .LBB150_174
; %bb.166:                              ;   in Loop: Header=BB150_18 Depth=1
	s_mov_b32 s19, exec_lo
	v_cmpx_ge_u64_e64 s[12:13], v[2:3]
	s_xor_b32 s19, exec_lo, s19
	s_cbranch_execz .LBB150_171
; %bb.167:                              ;   in Loop: Header=BB150_18 Depth=1
	ds_read_b64 v[6:7], v13 offset:5120
	s_lshl_b32 s20, 1, s63
	v_or_b32_e32 v12, s9, v12
	v_and_or_b32 v9, v9, s24, s20
	s_waitcnt lgkmcnt(0)
	v_cmp_ne_u64_e32 vcc_lo, 0, v[6:7]
	s_cbranch_vccnz .LBB150_171
; %bb.168:                              ;   in Loop: Header=BB150_18 Depth=1
	s_and_saveexec_b32 s20, s3
; %bb.169:                              ;   in Loop: Header=BB150_18 Depth=1
	v_mov_b32_e32 v6, s12
	v_mov_b32_e32 v7, s13
	ds_write_b64 v13, v[6:7] offset:5128
; %bb.170:                              ;   in Loop: Header=BB150_18 Depth=1
	s_or_b32 exec_lo, exec_lo, s20
	s_waitcnt lgkmcnt(0)
	s_barrier
	buffer_gl0_inv
.LBB150_171:                            ;   in Loop: Header=BB150_18 Depth=1
	s_or_saveexec_b32 s19, s19
	v_mov_b32_e32 v8, 8
	s_mov_b32 s20, 0
	s_xor_b32 exec_lo, exec_lo, s19
; %bb.172:                              ;   in Loop: Header=BB150_18 Depth=1
	v_sub_co_u32 v2, vcc_lo, v2, s12
	v_subrev_co_ci_u32_e64 v3, null, s13, v3, vcc_lo
	v_mov_b32_e32 v8, 0
	s_mov_b32 s20, exec_lo
; %bb.173:                              ;   in Loop: Header=BB150_18 Depth=1
	s_or_b32 exec_lo, exec_lo, s19
	v_mov_b32_e32 v7, v3
	v_mov_b32_e32 v6, v2
	s_and_b32 s19, s20, exec_lo
.LBB150_174:                            ;   in Loop: Header=BB150_18 Depth=1
	s_or_b32 exec_lo, exec_lo, s18
	s_mov_b32 s18, -1
                                        ; implicit-def: $sgpr82
                                        ; implicit-def: $sgpr83
	s_and_saveexec_b32 s81, s19
	s_cbranch_execz .LBB150_272
; %bb.175:                              ;   in Loop: Header=BB150_18 Depth=1
	v_cmp_eq_u64_e32 vcc_lo, 1, v[6:7]
	s_cmp_eq_u64 s[14:15], 1
                                        ; implicit-def: $sgpr83
                                        ; implicit-def: $sgpr82
	s_cselect_b32 s18, -1, 0
	s_and_b32 s85, s18, vcc_lo
	s_mov_b32 s18, -1
	s_and_saveexec_b32 s84, s85
	s_cbranch_execz .LBB150_209
; %bb.176:                              ;   in Loop: Header=BB150_18 Depth=1
	ds_read_b64 v[2:3], v13 offset:5120
	s_waitcnt lgkmcnt(0)
	s_barrier
	buffer_gl0_inv
	v_readfirstlane_b32 s18, v2
	v_readfirstlane_b32 s19, v3
	s_and_saveexec_b32 s20, s8
; %bb.177:                              ;   in Loop: Header=BB150_18 Depth=1
	ds_write_b32 v26, v13
; %bb.178:                              ;   in Loop: Header=BB150_18 Depth=1
	s_or_b32 exec_lo, exec_lo, s20
	s_lshl_b32 s20, 2, s63
	v_or_b32_e32 v12, s9, v12
	v_and_or_b32 v9, v9, s24, s20
	s_mov_b32 s82, -1
	s_mov_b32 s83, 0
	s_cmp_eq_u64 s[18:19], 0
	s_mov_b32 s22, 0
	s_mov_b32 s23, -1
	s_waitcnt lgkmcnt(0)
	s_barrier
	buffer_gl0_inv
                                        ; implicit-def: $vgpr5
	s_cbranch_scc1 .LBB150_194
; %bb.179:                              ;   in Loop: Header=BB150_18 Depth=1
	s_add_u32 s56, s18, s92
	s_addc_u32 s21, s19, s93
	s_mov_b32 s20, s69
	s_cmp_lg_u64 s[20:21], 0
	s_cbranch_scc0 .LBB150_226
; %bb.180:                              ;   in Loop: Header=BB150_18 Depth=1
	v_cvt_f32_u32_e32 v2, s53
	s_sub_u32 s23, 0, s53
	s_subb_u32 s44, 0, 0
	v_fmac_f32_e64 v2, 0x4f800000, 0
	v_rcp_f32_e32 v2, v2
	v_mul_f32_e32 v2, 0x5f7ffffc, v2
	v_mul_f32_e32 v3, 0x2f800000, v2
	v_trunc_f32_e32 v3, v3
	v_fmac_f32_e32 v2, 0xcf800000, v3
	v_cvt_u32_f32_e32 v3, v3
	v_cvt_u32_f32_e32 v2, v2
	v_readfirstlane_b32 s20, v3
	v_readfirstlane_b32 s22, v2
	s_mul_i32 s45, s23, s20
	s_mul_hi_u32 s47, s23, s22
	s_mul_i32 s46, s44, s22
	s_add_i32 s45, s47, s45
	s_mul_i32 s57, s23, s22
	s_add_i32 s45, s45, s46
	s_mul_hi_u32 s47, s22, s57
	s_mul_i32 s70, s22, s45
	s_mul_hi_u32 s68, s20, s57
	s_mul_i32 s46, s20, s57
	s_mul_hi_u32 s57, s22, s45
	s_add_u32 s47, s47, s70
	s_addc_u32 s57, 0, s57
	s_mul_hi_u32 s86, s20, s45
	s_add_u32 s46, s47, s46
	s_mul_i32 s45, s20, s45
	s_addc_u32 s46, s57, s68
	s_addc_u32 s47, s86, 0
	s_add_u32 s45, s46, s45
	s_addc_u32 s46, 0, s47
	s_add_u32 s22, s22, s45
	s_cselect_b32 s45, -1, 0
	s_mul_hi_u32 s47, s23, s22
	s_cmp_lg_u32 s45, 0
	s_mul_i32 s45, s23, s22
	s_addc_u32 s20, s20, s46
	s_mul_i32 s44, s44, s22
	s_mul_i32 s23, s23, s20
	s_mul_hi_u32 s46, s22, s45
	s_add_i32 s23, s47, s23
	s_mul_hi_u32 s47, s20, s45
	s_add_i32 s23, s23, s44
	s_mul_i32 s44, s20, s45
	s_mul_i32 s68, s22, s23
	s_mul_hi_u32 s57, s22, s23
	s_add_u32 s46, s46, s68
	s_addc_u32 s57, 0, s57
	s_mul_hi_u32 s45, s20, s23
	s_add_u32 s44, s46, s44
	s_mul_i32 s23, s20, s23
	s_addc_u32 s44, s57, s47
	s_addc_u32 s45, s45, 0
	s_add_u32 s23, s44, s23
	s_addc_u32 s44, 0, s45
	s_add_u32 s22, s22, s23
	s_cselect_b32 s23, -1, 0
	s_mul_hi_u32 s45, s56, s22
	s_cmp_lg_u32 s23, 0
	s_mul_hi_u32 s23, s21, s22
	s_addc_u32 s20, s20, s44
	s_mul_i32 s22, s21, s22
	s_mul_i32 s46, s56, s20
	s_mul_hi_u32 s44, s56, s20
	s_add_u32 s45, s45, s46
	s_addc_u32 s44, 0, s44
	s_mul_hi_u32 s47, s21, s20
	s_add_u32 s22, s45, s22
	s_mul_i32 s20, s21, s20
	s_addc_u32 s22, s44, s23
	s_addc_u32 s23, s47, 0
	s_add_u32 s20, s22, s20
	s_addc_u32 s22, 0, s23
	s_mul_hi_u32 s23, s53, s20
	s_mul_i32 s22, s53, s22
	s_mul_i32 s20, s53, s20
	s_add_i32 s23, s23, s22
	s_sub_u32 s20, s56, s20
	s_cselect_b32 s22, -1, 0
	s_cmp_lg_u32 s22, 0
	s_subb_u32 s22, s21, s23
	s_sub_u32 s23, s20, s53
	s_cselect_b32 s44, -1, 0
	s_cmp_lg_u32 s44, 0
	s_subb_u32 s44, s22, 0
	s_sub_u32 s45, s23, s53
	s_cselect_b32 s46, -1, 0
	s_cmp_lg_u32 s46, 0
	s_subb_u32 s46, s44, 0
	s_cmp_ge_u32 s23, s53
	s_cselect_b32 s47, -1, 0
	s_cmp_eq_u32 s44, 0
	s_cselect_b32 s47, s47, -1
	s_cmp_lg_u32 s47, 0
	s_cselect_b32 s44, s46, s44
	s_cselect_b32 s45, s45, s23
	s_cmp_ge_u32 s20, s53
	s_cselect_b32 s23, -1, 0
	s_cmp_eq_u32 s22, 0
	s_cselect_b32 s23, s23, -1
	s_cmp_lg_u32 s23, 0
	s_cselect_b32 s23, s44, s22
	s_cselect_b32 s22, s45, s20
	s_cbranch_execnz .LBB150_182
.LBB150_181:                            ;   in Loop: Header=BB150_18 Depth=1
	v_cvt_f32_u32_e32 v2, s53
	s_sub_i32 s22, 0, s53
	v_rcp_iflag_f32_e32 v2, v2
	v_mul_f32_e32 v2, 0x4f7ffffe, v2
	v_cvt_u32_f32_e32 v2, v2
	v_readfirstlane_b32 s20, v2
	s_mul_i32 s22, s22, s20
	s_mul_hi_u32 s22, s20, s22
	s_add_i32 s20, s20, s22
	s_mul_hi_u32 s20, s56, s20
	s_mul_i32 s20, s20, s53
	s_sub_i32 s20, s56, s20
	s_sub_i32 s22, s20, s53
	s_cmp_ge_u32 s20, s53
	s_cselect_b32 s20, s22, s20
	s_sub_i32 s22, s20, s53
	s_cmp_ge_u32 s20, s53
	s_cselect_b32 s68, s22, s20
	s_mov_b64 s[22:23], s[68:69]
.LBB150_182:                            ;   in Loop: Header=BB150_18 Depth=1
	s_sub_u32 s20, s56, s22
	s_subb_u32 s21, s21, s23
	s_mov_b32 s23, 0
	s_mov_b32 s22, 0
	s_mov_b32 s56, exec_lo
                                        ; implicit-def: $vgpr5
	v_cmpx_gt_u64_e64 s[20:21], v[0:1]
	s_cbranch_execz .LBB150_193
; %bb.183:                              ;   in Loop: Header=BB150_18 Depth=1
	v_mov_b32_e32 v3, v1
	v_mov_b32_e32 v21, v14
	;; [unrolled: 1-line block ×3, first 2 shown]
                                        ; implicit-def: $sgpr57
	s_inst_prefetch 0x1
	s_branch .LBB150_186
	.p2align	6
.LBB150_184:                            ;   in Loop: Header=BB150_186 Depth=2
	s_or_b32 exec_lo, exec_lo, s68
	s_waitcnt lgkmcnt(0)
	s_barrier
	buffer_gl0_inv
	ds_read_b64 v[4:5], v13 offset:3072
	s_mov_b32 s44, -1
	s_mov_b32 s45, -1
	s_waitcnt lgkmcnt(0)
	s_barrier
	buffer_gl0_inv
	v_cmp_ne_u32_e32 vcc_lo, 0, v4
	s_cbranch_vccz .LBB150_189
.LBB150_185:                            ;   in Loop: Header=BB150_186 Depth=2
	s_and_b32 s44, exec_lo, s44
	s_or_b32 s22, s44, s22
	s_andn2_b32 s44, s57, exec_lo
	s_and_b32 s45, s45, exec_lo
	s_or_b32 s57, s44, s45
	s_andn2_b32 exec_lo, exec_lo, s22
	s_cbranch_execz .LBB150_192
.LBB150_186:                            ;   Parent Loop BB150_18 Depth=1
                                        ; =>  This Inner Loop Header: Depth=2
	s_mov_b32 s68, exec_lo
	v_cmpx_gt_u64_e64 s[18:19], v[2:3]
	s_cbranch_execz .LBB150_184
; %bb.187:                              ;   in Loop: Header=BB150_186 Depth=2
	ds_read_b32 v17, v21
	s_waitcnt lgkmcnt(0)
	v_xor_b32_e32 v4, 0x80000000, v17
	v_and_b32_e32 v4, v4, v12
	v_cmp_eq_u32_e32 vcc_lo, v4, v9
	s_and_b32 exec_lo, exec_lo, vcc_lo
	s_cbranch_execz .LBB150_184
; %bb.188:                              ;   in Loop: Header=BB150_186 Depth=2
	ds_write_b64 v13, v[16:17] offset:3072
	s_branch .LBB150_184
.LBB150_189:                            ;   in Loop: Header=BB150_186 Depth=2
	v_add_co_u32 v2, vcc_lo, v2, s53
	v_add_co_ci_u32_e64 v3, null, 0, v3, vcc_lo
	v_add_nc_u32_e32 v21, s98, v21
	s_mov_b32 s45, 0
	v_cmp_le_u64_e32 vcc_lo, s[20:21], v[2:3]
	s_orn2_b32 s44, vcc_lo, exec_lo
	s_branch .LBB150_185
.LBB150_190:                            ;   in Loop: Header=BB150_18 Depth=1
                                        ; implicit-def: $sgpr22_sgpr23
	s_branch .LBB150_136
.LBB150_191:                            ;   in Loop: Header=BB150_18 Depth=1
                                        ; implicit-def: $sgpr18_sgpr19
	s_branch .LBB150_152
.LBB150_192:                            ;   in Loop: Header=BB150_18 Depth=1
	s_inst_prefetch 0x2
	s_or_b32 exec_lo, exec_lo, s22
	s_and_b32 s22, s57, exec_lo
.LBB150_193:                            ;   in Loop: Header=BB150_18 Depth=1
	s_or_b32 exec_lo, exec_lo, s56
.LBB150_194:                            ;   in Loop: Header=BB150_18 Depth=1
	s_and_b32 vcc_lo, exec_lo, s23
	s_cbranch_vccz .LBB150_208
; %bb.195:                              ;   in Loop: Header=BB150_18 Depth=1
	s_mov_b32 s70, s69
	s_cmp_lg_u64 s[70:71], 0
	s_cbranch_scc0 .LBB150_227
; %bb.196:                              ;   in Loop: Header=BB150_18 Depth=1
	v_cvt_f32_u32_e32 v2, s53
	s_sub_u32 s20, 0, s53
	s_subb_u32 s21, 0, 0
	v_fmac_f32_e64 v2, 0x4f800000, 0
	v_rcp_f32_e32 v2, v2
	v_mul_f32_e32 v2, 0x5f7ffffc, v2
	v_mul_f32_e32 v3, 0x2f800000, v2
	v_trunc_f32_e32 v3, v3
	v_fmac_f32_e32 v2, 0xcf800000, v3
	v_cvt_u32_f32_e32 v3, v3
	v_cvt_u32_f32_e32 v2, v2
	v_readfirstlane_b32 s18, v3
	v_readfirstlane_b32 s19, v2
	s_mul_i32 s23, s20, s18
	s_mul_hi_u32 s45, s20, s19
	s_mul_i32 s44, s21, s19
	s_add_i32 s23, s45, s23
	s_mul_i32 s46, s20, s19
	s_add_i32 s23, s23, s44
	s_mul_hi_u32 s45, s19, s46
	s_mul_i32 s56, s19, s23
	s_mul_hi_u32 s47, s18, s46
	s_mul_i32 s44, s18, s46
	s_mul_hi_u32 s46, s19, s23
	s_add_u32 s45, s45, s56
	s_addc_u32 s46, 0, s46
	s_mul_hi_u32 s57, s18, s23
	s_add_u32 s44, s45, s44
	s_mul_i32 s23, s18, s23
	s_addc_u32 s44, s46, s47
	s_addc_u32 s45, s57, 0
	s_add_u32 s23, s44, s23
	s_addc_u32 s44, 0, s45
	s_add_u32 s19, s19, s23
	s_cselect_b32 s23, -1, 0
	s_mul_hi_u32 s45, s20, s19
	s_cmp_lg_u32 s23, 0
	s_mul_i32 s23, s20, s19
	s_addc_u32 s18, s18, s44
	s_mul_i32 s21, s21, s19
	s_mul_i32 s20, s20, s18
	s_mul_hi_u32 s44, s19, s23
	s_add_i32 s20, s45, s20
	s_mul_hi_u32 s45, s18, s23
	s_add_i32 s20, s20, s21
	s_mul_i32 s21, s18, s23
	s_mul_i32 s47, s19, s20
	s_mul_hi_u32 s46, s19, s20
	s_add_u32 s44, s44, s47
	s_addc_u32 s46, 0, s46
	s_mul_hi_u32 s23, s18, s20
	s_add_u32 s21, s44, s21
	s_mul_i32 s20, s18, s20
	s_addc_u32 s21, s46, s45
	s_addc_u32 s23, s23, 0
	s_add_u32 s20, s21, s20
	s_addc_u32 s21, 0, s23
	s_add_u32 s19, s19, s20
	s_cselect_b32 s20, -1, 0
	s_mul_hi_u32 s23, s94, s19
	s_cmp_lg_u32 s20, 0
	s_mul_hi_u32 s20, s71, s19
	s_addc_u32 s18, s18, s21
	s_mul_i32 s19, s71, s19
	s_mul_i32 s44, s94, s18
	s_mul_hi_u32 s21, s94, s18
	s_add_u32 s23, s23, s44
	s_addc_u32 s21, 0, s21
	s_mul_hi_u32 s45, s71, s18
	s_add_u32 s19, s23, s19
	s_mul_i32 s18, s71, s18
	s_addc_u32 s19, s21, s20
	s_addc_u32 s20, s45, 0
	s_add_u32 s18, s19, s18
	s_addc_u32 s19, 0, s20
	s_mul_hi_u32 s20, s53, s18
	s_mul_i32 s19, s53, s19
	s_mul_i32 s18, s53, s18
	s_add_i32 s20, s20, s19
	s_sub_u32 s18, s94, s18
	s_cselect_b32 s19, -1, 0
	s_cmp_lg_u32 s19, 0
	s_subb_u32 s19, s71, s20
	s_sub_u32 s20, s18, s53
	s_cselect_b32 s21, -1, 0
	s_cmp_lg_u32 s21, 0
	s_subb_u32 s21, s19, 0
	;; [unrolled: 4-line block ×3, first 2 shown]
	s_cmp_ge_u32 s20, s53
	s_cselect_b32 s45, -1, 0
	s_cmp_eq_u32 s21, 0
	s_cselect_b32 s45, s45, -1
	s_cmp_lg_u32 s45, 0
	s_cselect_b32 s21, s44, s21
	s_cselect_b32 s20, s23, s20
	s_cmp_ge_u32 s18, s53
	s_cselect_b32 s23, -1, 0
	s_cmp_eq_u32 s19, 0
	s_cselect_b32 s23, s23, -1
	s_cmp_lg_u32 s23, 0
	s_cselect_b32 s19, s21, s19
	s_cselect_b32 s18, s20, s18
	s_cbranch_execnz .LBB150_198
.LBB150_197:                            ;   in Loop: Header=BB150_18 Depth=1
	v_cvt_f32_u32_e32 v2, s53
	s_sub_i32 s19, 0, s53
	v_rcp_iflag_f32_e32 v2, v2
	v_mul_f32_e32 v2, 0x4f7ffffe, v2
	v_cvt_u32_f32_e32 v2, v2
	v_readfirstlane_b32 s18, v2
	s_mul_i32 s19, s19, s18
	s_mul_hi_u32 s19, s18, s19
	s_add_i32 s18, s18, s19
	s_mul_hi_u32 s18, s94, s18
	s_mul_i32 s18, s18, s53
	s_sub_i32 s18, s94, s18
	s_sub_i32 s19, s18, s53
	s_cmp_ge_u32 s18, s53
	s_cselect_b32 s18, s19, s18
	s_sub_i32 s19, s18, s53
	s_cmp_ge_u32 s18, s53
	s_cselect_b32 s68, s19, s18
	s_mov_b64 s[18:19], s[68:69]
.LBB150_198:                            ;   in Loop: Header=BB150_18 Depth=1
	s_sub_u32 s18, s94, s18
	s_subb_u32 s19, s71, s19
	s_mov_b32 s20, exec_lo
                                        ; implicit-def: $vgpr5
	v_cmpx_gt_u64_e64 s[18:19], v[0:1]
	s_cbranch_execz .LBB150_207
; %bb.199:                              ;   in Loop: Header=BB150_18 Depth=1
	v_mov_b32_e32 v3, v1
	v_mov_b32_e32 v2, v0
	s_mov_b32 s21, 0
                                        ; implicit-def: $sgpr23
	s_branch .LBB150_202
.LBB150_200:                            ;   in Loop: Header=BB150_202 Depth=2
	s_or_b32 exec_lo, exec_lo, s56
	s_waitcnt lgkmcnt(0)
	s_barrier
	buffer_gl0_inv
	ds_read_b64 v[4:5], v13 offset:3072
	s_mov_b32 s45, -1
	s_mov_b32 s44, -1
	s_waitcnt lgkmcnt(0)
	s_barrier
	buffer_gl0_inv
	v_cmp_eq_u32_e32 vcc_lo, 0, v4
	s_cbranch_vccnz .LBB150_205
.LBB150_201:                            ;   in Loop: Header=BB150_202 Depth=2
	s_and_b32 s45, exec_lo, s45
	s_or_b32 s21, s45, s21
	s_andn2_b32 s23, s23, exec_lo
	s_and_b32 s44, s44, exec_lo
	s_or_b32 s23, s23, s44
	s_andn2_b32 exec_lo, exec_lo, s21
	s_cbranch_execz .LBB150_206
.LBB150_202:                            ;   Parent Loop BB150_18 Depth=1
                                        ; =>  This Inner Loop Header: Depth=2
	s_mov_b32 s56, exec_lo
	v_cmpx_gt_u64_e64 s[28:29], v[2:3]
	s_cbranch_execz .LBB150_200
; %bb.203:                              ;   in Loop: Header=BB150_202 Depth=2
	v_mul_lo_u32 v17, v3, s26
	v_mul_lo_u32 v21, v2, s27
	v_mad_u64_u32 v[4:5], null, v2, s26, 0
	v_add3_u32 v5, v5, v21, v17
	v_lshlrev_b64 v[4:5], 2, v[4:5]
	v_add_co_u32 v4, vcc_lo, s33, v4
	v_add_co_ci_u32_e64 v5, null, s35, v5, vcc_lo
	global_load_dword v17, v[4:5], off
	s_waitcnt vmcnt(0)
	v_xor_b32_e32 v4, 0x80000000, v17
	v_and_b32_e32 v4, v4, v12
	v_cmp_eq_u32_e32 vcc_lo, v4, v9
	s_and_b32 exec_lo, exec_lo, vcc_lo
	s_cbranch_execz .LBB150_200
; %bb.204:                              ;   in Loop: Header=BB150_202 Depth=2
	ds_write_b64 v13, v[16:17] offset:3072
	s_branch .LBB150_200
.LBB150_205:                            ;   in Loop: Header=BB150_202 Depth=2
	v_add_co_u32 v2, vcc_lo, v2, s53
	v_add_co_ci_u32_e64 v3, null, 0, v3, vcc_lo
	s_mov_b32 s44, 0
	v_cmp_le_u64_e32 vcc_lo, s[18:19], v[2:3]
	s_orn2_b32 s45, vcc_lo, exec_lo
	s_branch .LBB150_201
.LBB150_206:                            ;   in Loop: Header=BB150_18 Depth=1
	s_or_b32 exec_lo, exec_lo, s21
	s_andn2_b32 s18, s22, exec_lo
	s_and_b32 s19, s23, exec_lo
	s_or_b32 s22, s18, s19
.LBB150_207:                            ;   in Loop: Header=BB150_18 Depth=1
	s_or_b32 exec_lo, exec_lo, s20
	s_mov_b32 s82, 0
	s_mov_b32 s83, -1
.LBB150_208:                            ;   in Loop: Header=BB150_18 Depth=1
	s_orn2_b32 s18, s22, exec_lo
.LBB150_209:                            ;   in Loop: Header=BB150_18 Depth=1
	s_or_b32 exec_lo, exec_lo, s84
	s_mov_b32 s19, 0
	s_and_saveexec_b32 s84, s18
	s_cbranch_execz .LBB150_271
; %bb.210:                              ;   in Loop: Header=BB150_18 Depth=1
	v_mov_b32_e32 v2, 1
	v_mov_b32_e32 v3, 0
	;; [unrolled: 1-line block ×3, first 2 shown]
	s_xor_b32 s20, s85, -1
	s_and_saveexec_b32 s18, s20
	s_cbranch_execz .LBB150_219
; %bb.211:                              ;   in Loop: Header=BB150_18 Depth=1
	s_mov_b32 s19, exec_lo
	v_cmpx_ge_u64_e64 s[14:15], v[6:7]
	s_xor_b32 s19, exec_lo, s19
	s_cbranch_execz .LBB150_216
; %bb.212:                              ;   in Loop: Header=BB150_18 Depth=1
	ds_read_b64 v[2:3], v13 offset:5120
	s_lshl_b32 s20, 2, s63
	v_or_b32_e32 v12, s9, v12
	v_and_or_b32 v9, v9, s24, s20
	s_waitcnt lgkmcnt(0)
	v_cmp_ne_u64_e32 vcc_lo, 0, v[2:3]
	s_cbranch_vccnz .LBB150_216
; %bb.213:                              ;   in Loop: Header=BB150_18 Depth=1
	s_and_saveexec_b32 s20, s3
; %bb.214:                              ;   in Loop: Header=BB150_18 Depth=1
	v_mov_b32_e32 v2, s14
	v_mov_b32_e32 v3, s15
	ds_write_b64 v13, v[2:3] offset:5128
; %bb.215:                              ;   in Loop: Header=BB150_18 Depth=1
	s_or_b32 exec_lo, exec_lo, s20
	s_waitcnt lgkmcnt(0)
	s_barrier
	buffer_gl0_inv
.LBB150_216:                            ;   in Loop: Header=BB150_18 Depth=1
	s_or_saveexec_b32 s19, s19
	v_mov_b32_e32 v8, 8
	s_mov_b32 s20, 0
	s_xor_b32 exec_lo, exec_lo, s19
; %bb.217:                              ;   in Loop: Header=BB150_18 Depth=1
	v_sub_co_u32 v6, vcc_lo, v6, s14
	v_subrev_co_ci_u32_e64 v7, null, s15, v7, vcc_lo
	v_mov_b32_e32 v8, 0
	s_mov_b32 s20, exec_lo
; %bb.218:                              ;   in Loop: Header=BB150_18 Depth=1
	s_or_b32 exec_lo, exec_lo, s19
	v_mov_b32_e32 v2, v6
	v_mov_b32_e32 v3, v7
	s_and_b32 s19, s20, exec_lo
.LBB150_219:                            ;   in Loop: Header=BB150_18 Depth=1
	s_or_b32 exec_lo, exec_lo, s18
	s_mov_b32 s18, -1
                                        ; implicit-def: $sgpr56
                                        ; implicit-def: $sgpr70
	s_and_saveexec_b32 s85, s19
	s_cbranch_execz .LBB150_270
; %bb.220:                              ;   in Loop: Header=BB150_18 Depth=1
	v_cmp_eq_u64_e32 vcc_lo, 1, v[2:3]
	s_cmp_eq_u64 s[16:17], 1
	s_mov_b32 s19, -1
	s_cselect_b32 s18, -1, 0
                                        ; implicit-def: $sgpr56
                                        ; implicit-def: $sgpr70
	s_and_b32 s86, s18, vcc_lo
	s_and_saveexec_b32 s87, s86
	s_cbranch_execz .LBB150_258
; %bb.221:                              ;   in Loop: Header=BB150_18 Depth=1
	ds_read_b64 v[4:5], v13 offset:5120
	s_waitcnt lgkmcnt(0)
	s_barrier
	buffer_gl0_inv
	v_readfirstlane_b32 s18, v4
	v_readfirstlane_b32 s19, v5
	s_and_saveexec_b32 s20, s8
; %bb.222:                              ;   in Loop: Header=BB150_18 Depth=1
	ds_write_b32 v26, v13
; %bb.223:                              ;   in Loop: Header=BB150_18 Depth=1
	s_or_b32 exec_lo, exec_lo, s20
	v_or_b32_e32 v9, s9, v9
	v_or_b32_e32 v12, s9, v12
	s_mov_b32 s70, -1
	s_mov_b32 s56, 0
	s_cmp_eq_u64 s[18:19], 0
	s_mov_b32 s22, 0
	s_mov_b32 s23, -1
	s_waitcnt lgkmcnt(0)
	s_barrier
	buffer_gl0_inv
                                        ; implicit-def: $vgpr5
	s_cbranch_scc1 .LBB150_241
; %bb.224:                              ;   in Loop: Header=BB150_18 Depth=1
	s_add_u32 s57, s18, s92
	s_addc_u32 s21, s19, s93
	s_mov_b32 s20, s69
	s_cmp_lg_u64 s[20:21], 0
	s_cbranch_scc0 .LBB150_228
; %bb.225:                              ;   in Loop: Header=BB150_18 Depth=1
	v_cvt_f32_u32_e32 v4, s53
	s_sub_u32 s23, 0, s53
	s_subb_u32 s44, 0, 0
	v_fmac_f32_e64 v4, 0x4f800000, 0
	v_rcp_f32_e32 v4, v4
	v_mul_f32_e32 v4, 0x5f7ffffc, v4
	v_mul_f32_e32 v5, 0x2f800000, v4
	v_trunc_f32_e32 v5, v5
	v_fmac_f32_e32 v4, 0xcf800000, v5
	v_cvt_u32_f32_e32 v5, v5
	v_cvt_u32_f32_e32 v4, v4
	v_readfirstlane_b32 s20, v5
	v_readfirstlane_b32 s22, v4
	s_mul_i32 s45, s23, s20
	s_mul_hi_u32 s47, s23, s22
	s_mul_i32 s46, s44, s22
	s_add_i32 s45, s47, s45
	s_mul_i32 s68, s23, s22
	s_add_i32 s45, s45, s46
	s_mul_hi_u32 s47, s22, s68
	s_mul_i32 s52, s22, s45
	s_mul_hi_u32 vcc_lo, s20, s68
	s_mul_i32 s46, s20, s68
	s_mul_hi_u32 s68, s22, s45
	s_add_u32 s47, s47, s52
	s_addc_u32 s52, 0, s68
	s_mul_hi_u32 s58, s20, s45
	s_add_u32 s46, s47, s46
	s_mul_i32 s45, s20, s45
	s_addc_u32 s46, s52, vcc_lo
	s_addc_u32 s47, s58, 0
	s_add_u32 s45, s46, s45
	s_addc_u32 s46, 0, s47
	s_add_u32 s22, s22, s45
	s_cselect_b32 s45, -1, 0
	s_mul_hi_u32 s47, s23, s22
	s_cmp_lg_u32 s45, 0
	s_mul_i32 s45, s23, s22
	s_addc_u32 s20, s20, s46
	s_mul_i32 s44, s44, s22
	s_mul_i32 s23, s23, s20
	s_mul_hi_u32 s46, s22, s45
	s_add_i32 s23, s47, s23
	s_mul_hi_u32 s47, s20, s45
	s_add_i32 s23, s23, s44
	s_mul_i32 s44, s20, s45
	s_mul_i32 s58, s22, s23
	s_mul_hi_u32 s52, s22, s23
	s_add_u32 s46, s46, s58
	s_addc_u32 s52, 0, s52
	s_mul_hi_u32 s45, s20, s23
	s_add_u32 s44, s46, s44
	s_mul_i32 s23, s20, s23
	s_addc_u32 s44, s52, s47
	s_addc_u32 s45, s45, 0
	s_add_u32 s23, s44, s23
	s_addc_u32 s44, 0, s45
	s_add_u32 s22, s22, s23
	s_cselect_b32 s23, -1, 0
	s_mul_hi_u32 s45, s57, s22
	s_cmp_lg_u32 s23, 0
	s_mul_hi_u32 s23, s21, s22
	s_addc_u32 s20, s20, s44
	s_mul_i32 s22, s21, s22
	s_mul_i32 s46, s57, s20
	s_mul_hi_u32 s44, s57, s20
	s_add_u32 s45, s45, s46
	s_addc_u32 s44, 0, s44
	s_mul_hi_u32 s47, s21, s20
	s_add_u32 s22, s45, s22
	s_mul_i32 s20, s21, s20
	s_addc_u32 s22, s44, s23
	s_addc_u32 s23, s47, 0
	s_add_u32 s20, s22, s20
	s_addc_u32 s22, 0, s23
	s_mul_hi_u32 s23, s53, s20
	s_mul_i32 s22, s53, s22
	s_mul_i32 s20, s53, s20
	s_add_i32 s23, s23, s22
	s_sub_u32 s20, s57, s20
	s_cselect_b32 s22, -1, 0
	s_cmp_lg_u32 s22, 0
	s_subb_u32 s22, s21, s23
	s_sub_u32 s23, s20, s53
	s_cselect_b32 s44, -1, 0
	s_cmp_lg_u32 s44, 0
	s_subb_u32 s44, s22, 0
	;; [unrolled: 4-line block ×3, first 2 shown]
	s_cmp_ge_u32 s23, s53
	s_cselect_b32 s47, -1, 0
	s_cmp_eq_u32 s44, 0
	s_cselect_b32 s47, s47, -1
	s_cmp_lg_u32 s47, 0
	s_cselect_b32 s44, s46, s44
	s_cselect_b32 s45, s45, s23
	s_cmp_ge_u32 s20, s53
	s_cselect_b32 s23, -1, 0
	s_cmp_eq_u32 s22, 0
	s_cselect_b32 s23, s23, -1
	s_cmp_lg_u32 s23, 0
	s_cselect_b32 s23, s44, s22
	s_cselect_b32 s22, s45, s20
	s_mov_b32 s20, 0
	s_branch .LBB150_229
.LBB150_226:                            ;   in Loop: Header=BB150_18 Depth=1
                                        ; implicit-def: $sgpr22_sgpr23
	s_branch .LBB150_181
.LBB150_227:                            ;   in Loop: Header=BB150_18 Depth=1
                                        ; implicit-def: $sgpr18_sgpr19
	s_branch .LBB150_197
.LBB150_228:                            ;   in Loop: Header=BB150_18 Depth=1
	s_mov_b32 s20, -1
                                        ; implicit-def: $sgpr22_sgpr23
.LBB150_229:                            ;   in Loop: Header=BB150_18 Depth=1
	s_andn2_b32 vcc_lo, exec_lo, s20
	s_cbranch_vccnz .LBB150_231
; %bb.230:                              ;   in Loop: Header=BB150_18 Depth=1
	v_cvt_f32_u32_e32 v4, s53
	s_sub_i32 s22, 0, s53
	v_rcp_iflag_f32_e32 v4, v4
	v_mul_f32_e32 v4, 0x4f7ffffe, v4
	v_cvt_u32_f32_e32 v4, v4
	v_readfirstlane_b32 s20, v4
	s_mul_i32 s22, s22, s20
	s_mul_hi_u32 s22, s20, s22
	s_add_i32 s20, s20, s22
	s_mul_hi_u32 s20, s57, s20
	s_mul_i32 s20, s20, s53
	s_sub_i32 s20, s57, s20
	s_sub_i32 s22, s20, s53
	s_cmp_ge_u32 s20, s53
	s_cselect_b32 s20, s22, s20
	s_sub_i32 s22, s20, s53
	s_cmp_ge_u32 s20, s53
	s_cselect_b32 s68, s22, s20
	s_mov_b64 s[22:23], s[68:69]
.LBB150_231:                            ;   in Loop: Header=BB150_18 Depth=1
	s_sub_u32 s20, s57, s22
	s_subb_u32 s21, s21, s23
	s_mov_b32 s23, 0
	s_mov_b32 s22, 0
	s_mov_b32 s57, exec_lo
                                        ; implicit-def: $vgpr5
	v_cmpx_gt_u64_e64 s[20:21], v[0:1]
	s_cbranch_execz .LBB150_240
; %bb.232:                              ;   in Loop: Header=BB150_18 Depth=1
	v_mov_b32_e32 v7, v1
	v_mov_b32_e32 v21, v14
	;; [unrolled: 1-line block ×3, first 2 shown]
                                        ; implicit-def: $sgpr68
	s_inst_prefetch 0x1
	s_branch .LBB150_235
	.p2align	6
.LBB150_233:                            ;   in Loop: Header=BB150_235 Depth=2
	s_or_b32 exec_lo, exec_lo, s44
	s_waitcnt lgkmcnt(0)
	s_barrier
	buffer_gl0_inv
	ds_read_b64 v[4:5], v13 offset:3072
	s_mov_b32 s44, -1
	s_mov_b32 s45, -1
	s_waitcnt lgkmcnt(0)
	s_barrier
	buffer_gl0_inv
	v_cmp_ne_u32_e32 vcc_lo, 0, v4
	s_cbranch_vccz .LBB150_238
.LBB150_234:                            ;   in Loop: Header=BB150_235 Depth=2
	s_and_b32 s44, exec_lo, s44
	s_or_b32 s22, s44, s22
	s_andn2_b32 s44, s68, exec_lo
	s_and_b32 s45, s45, exec_lo
	s_or_b32 s68, s44, s45
	s_andn2_b32 exec_lo, exec_lo, s22
	s_cbranch_execz .LBB150_239
.LBB150_235:                            ;   Parent Loop BB150_18 Depth=1
                                        ; =>  This Inner Loop Header: Depth=2
	s_mov_b32 s44, exec_lo
	v_cmpx_gt_u64_e64 s[18:19], v[6:7]
	s_cbranch_execz .LBB150_233
; %bb.236:                              ;   in Loop: Header=BB150_235 Depth=2
	ds_read_b32 v17, v21
	s_waitcnt lgkmcnt(0)
	v_xor_b32_e32 v4, 0x80000000, v17
	v_and_b32_e32 v4, v4, v12
	v_cmp_eq_u32_e32 vcc_lo, v4, v9
	s_and_b32 exec_lo, exec_lo, vcc_lo
	s_cbranch_execz .LBB150_233
; %bb.237:                              ;   in Loop: Header=BB150_235 Depth=2
	ds_write_b64 v13, v[16:17] offset:3072
	s_branch .LBB150_233
.LBB150_238:                            ;   in Loop: Header=BB150_235 Depth=2
	v_add_co_u32 v6, vcc_lo, v6, s53
	v_add_co_ci_u32_e64 v7, null, 0, v7, vcc_lo
	v_add_nc_u32_e32 v21, s98, v21
	s_mov_b32 s45, 0
	v_cmp_le_u64_e32 vcc_lo, s[20:21], v[6:7]
	s_orn2_b32 s44, vcc_lo, exec_lo
	s_branch .LBB150_234
.LBB150_239:                            ;   in Loop: Header=BB150_18 Depth=1
	s_inst_prefetch 0x2
	s_or_b32 exec_lo, exec_lo, s22
	s_and_b32 s22, s68, exec_lo
.LBB150_240:                            ;   in Loop: Header=BB150_18 Depth=1
	s_or_b32 exec_lo, exec_lo, s57
.LBB150_241:                            ;   in Loop: Header=BB150_18 Depth=1
	s_and_b32 vcc_lo, exec_lo, s23
	s_cbranch_vccz .LBB150_257
; %bb.242:                              ;   in Loop: Header=BB150_18 Depth=1
	s_mov_b32 s70, s69
	s_cmp_lg_u64 s[70:71], 0
	s_cbranch_scc0 .LBB150_244
; %bb.243:                              ;   in Loop: Header=BB150_18 Depth=1
	v_cvt_f32_u32_e32 v4, s53
	s_sub_u32 s20, 0, s53
	s_subb_u32 s21, 0, 0
	v_fmac_f32_e64 v4, 0x4f800000, 0
	v_rcp_f32_e32 v4, v4
	v_mul_f32_e32 v4, 0x5f7ffffc, v4
	v_mul_f32_e32 v5, 0x2f800000, v4
	v_trunc_f32_e32 v5, v5
	v_fmac_f32_e32 v4, 0xcf800000, v5
	v_cvt_u32_f32_e32 v5, v5
	v_cvt_u32_f32_e32 v4, v4
	v_readfirstlane_b32 s18, v5
	v_readfirstlane_b32 s19, v4
	s_mul_i32 s23, s20, s18
	s_mul_hi_u32 s45, s20, s19
	s_mul_i32 s44, s21, s19
	s_add_i32 s23, s45, s23
	s_mul_i32 s46, s20, s19
	s_add_i32 s23, s23, s44
	s_mul_hi_u32 s45, s19, s46
	s_mul_i32 s52, s19, s23
	s_mul_hi_u32 s47, s18, s46
	s_mul_i32 s44, s18, s46
	s_mul_hi_u32 s46, s19, s23
	s_add_u32 s45, s45, s52
	s_addc_u32 s46, 0, s46
	s_mul_hi_u32 s56, s18, s23
	s_add_u32 s44, s45, s44
	s_mul_i32 s23, s18, s23
	s_addc_u32 s44, s46, s47
	s_addc_u32 s45, s56, 0
	s_add_u32 s23, s44, s23
	s_addc_u32 s44, 0, s45
	s_add_u32 s19, s19, s23
	s_cselect_b32 s23, -1, 0
	s_mul_hi_u32 s45, s20, s19
	s_cmp_lg_u32 s23, 0
	s_mul_i32 s23, s20, s19
	s_addc_u32 s18, s18, s44
	s_mul_i32 s21, s21, s19
	s_mul_i32 s20, s20, s18
	s_mul_hi_u32 s44, s19, s23
	s_add_i32 s20, s45, s20
	s_mul_hi_u32 s45, s18, s23
	s_add_i32 s20, s20, s21
	s_mul_i32 s21, s18, s23
	s_mul_i32 s47, s19, s20
	s_mul_hi_u32 s46, s19, s20
	s_add_u32 s44, s44, s47
	s_addc_u32 s46, 0, s46
	s_mul_hi_u32 s23, s18, s20
	s_add_u32 s21, s44, s21
	s_mul_i32 s20, s18, s20
	s_addc_u32 s21, s46, s45
	s_addc_u32 s23, s23, 0
	s_add_u32 s20, s21, s20
	s_addc_u32 s21, 0, s23
	s_add_u32 s19, s19, s20
	s_cselect_b32 s20, -1, 0
	s_mul_hi_u32 s23, s94, s19
	s_cmp_lg_u32 s20, 0
	s_mul_hi_u32 s20, s71, s19
	s_addc_u32 s18, s18, s21
	s_mul_i32 s19, s71, s19
	s_mul_i32 s44, s94, s18
	s_mul_hi_u32 s21, s94, s18
	s_add_u32 s23, s23, s44
	s_addc_u32 s21, 0, s21
	s_mul_hi_u32 s45, s71, s18
	s_add_u32 s19, s23, s19
	s_mul_i32 s18, s71, s18
	s_addc_u32 s19, s21, s20
	s_addc_u32 s20, s45, 0
	s_add_u32 s18, s19, s18
	s_addc_u32 s19, 0, s20
	s_mul_hi_u32 s20, s53, s18
	s_mul_i32 s19, s53, s19
	s_mul_i32 s18, s53, s18
	s_add_i32 s20, s20, s19
	s_sub_u32 s18, s94, s18
	s_cselect_b32 s19, -1, 0
	s_cmp_lg_u32 s19, 0
	s_subb_u32 s19, s71, s20
	s_sub_u32 s20, s18, s53
	s_cselect_b32 s21, -1, 0
	s_cmp_lg_u32 s21, 0
	s_subb_u32 s21, s19, 0
	s_sub_u32 s23, s20, s53
	s_cselect_b32 s44, -1, 0
	s_cmp_lg_u32 s44, 0
	s_subb_u32 s44, s21, 0
	s_cmp_ge_u32 s20, s53
	s_cselect_b32 s45, -1, 0
	s_cmp_eq_u32 s21, 0
	s_cselect_b32 s45, s45, -1
	s_cmp_lg_u32 s45, 0
	s_cselect_b32 s21, s44, s21
	s_cselect_b32 s20, s23, s20
	s_cmp_ge_u32 s18, s53
	s_cselect_b32 s23, -1, 0
	s_cmp_eq_u32 s19, 0
	s_cselect_b32 s23, s23, -1
	s_cmp_lg_u32 s23, 0
	s_cselect_b32 s19, s21, s19
	s_cselect_b32 s18, s20, s18
	s_mov_b32 s20, 0
	s_branch .LBB150_245
.LBB150_244:                            ;   in Loop: Header=BB150_18 Depth=1
	s_mov_b32 s20, -1
                                        ; implicit-def: $sgpr18_sgpr19
.LBB150_245:                            ;   in Loop: Header=BB150_18 Depth=1
	s_andn2_b32 vcc_lo, exec_lo, s20
	s_cbranch_vccnz .LBB150_247
; %bb.246:                              ;   in Loop: Header=BB150_18 Depth=1
	v_cvt_f32_u32_e32 v4, s53
	s_sub_i32 s19, 0, s53
	v_rcp_iflag_f32_e32 v4, v4
	v_mul_f32_e32 v4, 0x4f7ffffe, v4
	v_cvt_u32_f32_e32 v4, v4
	v_readfirstlane_b32 s18, v4
	s_mul_i32 s19, s19, s18
	s_mul_hi_u32 s19, s18, s19
	s_add_i32 s18, s18, s19
	s_mul_hi_u32 s18, s94, s18
	s_mul_i32 s18, s18, s53
	s_sub_i32 s18, s94, s18
	s_sub_i32 s19, s18, s53
	s_cmp_ge_u32 s18, s53
	s_cselect_b32 s18, s19, s18
	s_sub_i32 s19, s18, s53
	s_cmp_ge_u32 s18, s53
	s_cselect_b32 s68, s19, s18
	s_mov_b64 s[18:19], s[68:69]
.LBB150_247:                            ;   in Loop: Header=BB150_18 Depth=1
	s_sub_u32 s18, s94, s18
	s_subb_u32 s19, s71, s19
	s_mov_b32 s20, exec_lo
                                        ; implicit-def: $vgpr5
	v_cmpx_gt_u64_e64 s[18:19], v[0:1]
	s_cbranch_execz .LBB150_256
; %bb.248:                              ;   in Loop: Header=BB150_18 Depth=1
	v_mov_b32_e32 v7, v1
	v_mov_b32_e32 v6, v0
	s_mov_b32 s21, 0
                                        ; implicit-def: $sgpr23
	s_branch .LBB150_251
.LBB150_249:                            ;   in Loop: Header=BB150_251 Depth=2
	s_or_b32 exec_lo, exec_lo, s56
	s_waitcnt lgkmcnt(0)
	s_barrier
	buffer_gl0_inv
	ds_read_b64 v[4:5], v13 offset:3072
	s_mov_b32 s45, -1
	s_mov_b32 s44, -1
	s_waitcnt lgkmcnt(0)
	s_barrier
	buffer_gl0_inv
	v_cmp_eq_u32_e32 vcc_lo, 0, v4
	s_cbranch_vccnz .LBB150_254
.LBB150_250:                            ;   in Loop: Header=BB150_251 Depth=2
	s_and_b32 s45, exec_lo, s45
	s_or_b32 s21, s45, s21
	s_andn2_b32 s23, s23, exec_lo
	s_and_b32 s44, s44, exec_lo
	s_or_b32 s23, s23, s44
	s_andn2_b32 exec_lo, exec_lo, s21
	s_cbranch_execz .LBB150_255
.LBB150_251:                            ;   Parent Loop BB150_18 Depth=1
                                        ; =>  This Inner Loop Header: Depth=2
	s_mov_b32 s56, exec_lo
	v_cmpx_gt_u64_e64 s[28:29], v[6:7]
	s_cbranch_execz .LBB150_249
; %bb.252:                              ;   in Loop: Header=BB150_251 Depth=2
	v_mul_lo_u32 v17, v7, s26
	v_mul_lo_u32 v21, v6, s27
	v_mad_u64_u32 v[4:5], null, v6, s26, 0
	v_add3_u32 v5, v5, v21, v17
	v_lshlrev_b64 v[4:5], 2, v[4:5]
	v_add_co_u32 v4, vcc_lo, s33, v4
	v_add_co_ci_u32_e64 v5, null, s35, v5, vcc_lo
	global_load_dword v17, v[4:5], off
	s_waitcnt vmcnt(0)
	v_xor_b32_e32 v4, 0x80000000, v17
	v_and_b32_e32 v4, v4, v12
	v_cmp_eq_u32_e32 vcc_lo, v4, v9
	s_and_b32 exec_lo, exec_lo, vcc_lo
	s_cbranch_execz .LBB150_249
; %bb.253:                              ;   in Loop: Header=BB150_251 Depth=2
	ds_write_b64 v13, v[16:17] offset:3072
	s_branch .LBB150_249
.LBB150_254:                            ;   in Loop: Header=BB150_251 Depth=2
	v_add_co_u32 v6, vcc_lo, v6, s53
	v_add_co_ci_u32_e64 v7, null, 0, v7, vcc_lo
	s_mov_b32 s44, 0
	v_cmp_le_u64_e32 vcc_lo, s[18:19], v[6:7]
	s_orn2_b32 s45, vcc_lo, exec_lo
	s_branch .LBB150_250
.LBB150_255:                            ;   in Loop: Header=BB150_18 Depth=1
	s_or_b32 exec_lo, exec_lo, s21
	s_andn2_b32 s18, s22, exec_lo
	s_and_b32 s19, s23, exec_lo
	s_or_b32 s22, s18, s19
.LBB150_256:                            ;   in Loop: Header=BB150_18 Depth=1
	s_or_b32 exec_lo, exec_lo, s20
	s_mov_b32 s70, 0
	s_mov_b32 s56, -1
.LBB150_257:                            ;   in Loop: Header=BB150_18 Depth=1
	s_orn2_b32 s19, s22, exec_lo
.LBB150_258:                            ;   in Loop: Header=BB150_18 Depth=1
	s_or_b32 exec_lo, exec_lo, s87
	s_mov_b32 s20, 0
	s_and_saveexec_b32 s18, s19
	s_cbranch_execz .LBB150_269
; %bb.259:                              ;   in Loop: Header=BB150_18 Depth=1
	v_mov_b32_e32 v6, 1
	v_mov_b32_e32 v7, 0
	v_mov_b32_e32 v8, 1
	s_xor_b32 s20, s86, -1
	s_and_saveexec_b32 s19, s20
	s_cbranch_execz .LBB150_268
; %bb.260:                              ;   in Loop: Header=BB150_18 Depth=1
	s_mov_b32 s20, exec_lo
	v_cmpx_ge_u64_e64 s[16:17], v[2:3]
	s_xor_b32 s20, exec_lo, s20
	s_cbranch_execz .LBB150_265
; %bb.261:                              ;   in Loop: Header=BB150_18 Depth=1
	ds_read_b64 v[6:7], v13 offset:5120
	v_or_b32_e32 v9, s9, v9
	v_or_b32_e32 v12, s9, v12
	s_waitcnt lgkmcnt(0)
	v_cmp_ne_u64_e32 vcc_lo, 0, v[6:7]
	s_cbranch_vccnz .LBB150_265
; %bb.262:                              ;   in Loop: Header=BB150_18 Depth=1
	s_and_saveexec_b32 s21, s3
; %bb.263:                              ;   in Loop: Header=BB150_18 Depth=1
	v_mov_b32_e32 v6, s16
	v_mov_b32_e32 v7, s17
	ds_write_b64 v13, v[6:7] offset:5128
; %bb.264:                              ;   in Loop: Header=BB150_18 Depth=1
	s_or_b32 exec_lo, exec_lo, s21
	s_waitcnt lgkmcnt(0)
	s_barrier
	buffer_gl0_inv
.LBB150_265:                            ;   in Loop: Header=BB150_18 Depth=1
	s_andn2_saveexec_b32 s20, s20
; %bb.266:                              ;   in Loop: Header=BB150_18 Depth=1
	v_sub_co_u32 v2, vcc_lo, v2, s16
	v_subrev_co_ci_u32_e64 v3, null, s17, v3, vcc_lo
; %bb.267:                              ;   in Loop: Header=BB150_18 Depth=1
	s_or_b32 exec_lo, exec_lo, s20
	v_mov_b32_e32 v7, v3
	v_mov_b32_e32 v8, 8
	;; [unrolled: 1-line block ×3, first 2 shown]
.LBB150_268:                            ;   in Loop: Header=BB150_18 Depth=1
	s_or_b32 exec_lo, exec_lo, s19
	v_mov_b32_e32 v2, v6
	v_mov_b32_e32 v3, v7
	s_mov_b32 s20, exec_lo
.LBB150_269:                            ;   in Loop: Header=BB150_18 Depth=1
	s_or_b32 exec_lo, exec_lo, s18
	s_orn2_b32 s18, s20, exec_lo
.LBB150_270:                            ;   in Loop: Header=BB150_18 Depth=1
	s_or_b32 exec_lo, exec_lo, s85
	v_mov_b32_e32 v7, v3
	v_mov_b32_e32 v6, v2
	s_andn2_b32 s19, s83, exec_lo
	s_and_b32 s20, s56, exec_lo
	s_andn2_b32 s21, s82, exec_lo
	s_and_b32 s22, s70, exec_lo
	s_or_b32 s83, s19, s20
	s_or_b32 s82, s21, s22
	s_and_b32 s19, s18, exec_lo
.LBB150_271:                            ;   in Loop: Header=BB150_18 Depth=1
	s_or_b32 exec_lo, exec_lo, s84
	s_orn2_b32 s18, s19, exec_lo
.LBB150_272:                            ;   in Loop: Header=BB150_18 Depth=1
	s_or_b32 exec_lo, exec_lo, s81
	v_mov_b32_e32 v2, v6
	v_mov_b32_e32 v3, v7
	s_andn2_b32 s19, s79, exec_lo
	s_and_b32 s20, s83, exec_lo
	s_andn2_b32 s21, s78, exec_lo
	s_and_b32 s22, s82, exec_lo
	s_or_b32 s79, s19, s20
	s_or_b32 s78, s21, s22
	s_and_b32 s19, s18, exec_lo
.LBB150_273:                            ;   in Loop: Header=BB150_18 Depth=1
	s_or_b32 exec_lo, exec_lo, s80
	s_orn2_b32 s18, s19, exec_lo
.LBB150_274:                            ;   in Loop: Header=BB150_18 Depth=1
	s_or_b32 exec_lo, exec_lo, s6
	s_mov_b32 s6, 0
	s_mov_b32 s19, 0
	s_and_saveexec_b32 s20, s18
	s_xor_b32 s18, exec_lo, s20
; %bb.275:                              ;   in Loop: Header=BB150_18 Depth=1
	v_cmp_ne_u32_e32 vcc_lo, 8, v8
	v_cmp_eq_u32_e64 s6, 8, v8
	s_and_b32 s19, vcc_lo, exec_lo
	s_and_b32 s6, s6, exec_lo
; %bb.276:                              ;   in Loop: Header=BB150_18 Depth=1
	s_or_b32 exec_lo, exec_lo, s18
	s_andn2_b32 s18, s75, exec_lo
	s_and_b32 s20, s79, exec_lo
	s_andn2_b32 s21, s74, exec_lo
	s_and_b32 s22, s78, exec_lo
	s_or_b32 s75, s18, s20
	s_or_b32 s74, s21, s22
	s_and_b32 s22, s19, exec_lo
	s_and_b32 s23, s6, exec_lo
.LBB150_277:                            ;   in Loop: Header=BB150_18 Depth=1
	s_or_b32 exec_lo, exec_lo, s77
.LBB150_278:                            ;   in Loop: Header=BB150_18 Depth=1
	s_and_b32 vcc_lo, exec_lo, s76
	s_cbranch_vccz .LBB150_294
; %bb.279:                              ;   in Loop: Header=BB150_18 Depth=1
	s_cmp_eq_u64 s[16:17], 1
                                        ; implicit-def: $sgpr76
                                        ; implicit-def: $sgpr25
	s_cselect_b32 s6, -1, 0
	s_and_b32 s74, s6, s7
	s_mov_b32 s6, -1
	s_and_saveexec_b32 s75, s74
	s_cbranch_execz .LBB150_312
; %bb.280:                              ;   in Loop: Header=BB150_18 Depth=1
	ds_read_b64 v[2:3], v13 offset:5120
	s_waitcnt lgkmcnt(0)
	s_barrier
	buffer_gl0_inv
	v_readfirstlane_b32 s6, v2
	v_readfirstlane_b32 s7, v3
	s_and_saveexec_b32 s18, s8
; %bb.281:                              ;   in Loop: Header=BB150_18 Depth=1
	ds_write_b32 v26, v13
; %bb.282:                              ;   in Loop: Header=BB150_18 Depth=1
	s_or_b32 exec_lo, exec_lo, s18
	v_or_b32_e32 v25, s9, v25
	v_or_b32_e32 v30, s9, v30
	s_mov_b32 s25, -1
	s_mov_b32 s76, 0
	s_cmp_eq_u64 s[6:7], 0
	s_mov_b32 s20, 0
	s_mov_b32 s21, -1
	s_waitcnt lgkmcnt(0)
	s_barrier
	buffer_gl0_inv
                                        ; implicit-def: $vgpr18
	s_cbranch_scc1 .LBB150_297
; %bb.283:                              ;   in Loop: Header=BB150_18 Depth=1
	s_add_u32 s56, s6, s92
	s_addc_u32 s19, s7, s93
	s_mov_b32 s18, s69
	s_cmp_lg_u64 s[18:19], 0
	s_cbranch_scc0 .LBB150_338
; %bb.284:                              ;   in Loop: Header=BB150_18 Depth=1
	v_cvt_f32_u32_e32 v2, s53
	s_sub_u32 s21, 0, s53
	s_subb_u32 s44, 0, 0
	v_fmac_f32_e64 v2, 0x4f800000, 0
	v_rcp_f32_e32 v2, v2
	v_mul_f32_e32 v2, 0x5f7ffffc, v2
	v_mul_f32_e32 v3, 0x2f800000, v2
	v_trunc_f32_e32 v3, v3
	v_fmac_f32_e32 v2, 0xcf800000, v3
	v_cvt_u32_f32_e32 v3, v3
	v_cvt_u32_f32_e32 v2, v2
	v_readfirstlane_b32 s18, v3
	v_readfirstlane_b32 s20, v2
	s_mul_i32 s45, s21, s18
	s_mul_hi_u32 s47, s21, s20
	s_mul_i32 s46, s44, s20
	s_add_i32 s45, s47, s45
	s_mul_i32 s57, s21, s20
	s_add_i32 s45, s45, s46
	s_mul_hi_u32 s47, s20, s57
	s_mul_i32 s70, s20, s45
	s_mul_hi_u32 s68, s18, s57
	s_mul_i32 s46, s18, s57
	s_mul_hi_u32 s57, s20, s45
	s_add_u32 s47, s47, s70
	s_addc_u32 s57, 0, s57
	s_mul_hi_u32 s77, s18, s45
	s_add_u32 s46, s47, s46
	s_mul_i32 s45, s18, s45
	s_addc_u32 s46, s57, s68
	s_addc_u32 s47, s77, 0
	s_add_u32 s45, s46, s45
	s_addc_u32 s46, 0, s47
	s_add_u32 s20, s20, s45
	s_cselect_b32 s45, -1, 0
	s_mul_hi_u32 s47, s21, s20
	s_cmp_lg_u32 s45, 0
	s_mul_i32 s45, s21, s20
	s_addc_u32 s18, s18, s46
	s_mul_i32 s44, s44, s20
	s_mul_i32 s21, s21, s18
	s_mul_hi_u32 s46, s20, s45
	s_add_i32 s21, s47, s21
	s_mul_hi_u32 s47, s18, s45
	s_add_i32 s21, s21, s44
	s_mul_i32 s44, s18, s45
	s_mul_i32 s68, s20, s21
	s_mul_hi_u32 s57, s20, s21
	s_add_u32 s46, s46, s68
	s_addc_u32 s57, 0, s57
	s_mul_hi_u32 s45, s18, s21
	s_add_u32 s44, s46, s44
	s_mul_i32 s21, s18, s21
	s_addc_u32 s44, s57, s47
	s_addc_u32 s45, s45, 0
	s_add_u32 s21, s44, s21
	s_addc_u32 s44, 0, s45
	s_add_u32 s20, s20, s21
	s_cselect_b32 s21, -1, 0
	s_mul_hi_u32 s45, s56, s20
	s_cmp_lg_u32 s21, 0
	s_mul_hi_u32 s21, s19, s20
	s_addc_u32 s18, s18, s44
	s_mul_i32 s20, s19, s20
	s_mul_i32 s46, s56, s18
	s_mul_hi_u32 s44, s56, s18
	s_add_u32 s45, s45, s46
	s_addc_u32 s44, 0, s44
	s_mul_hi_u32 s47, s19, s18
	s_add_u32 s20, s45, s20
	s_mul_i32 s18, s19, s18
	s_addc_u32 s20, s44, s21
	s_addc_u32 s21, s47, 0
	s_add_u32 s18, s20, s18
	s_addc_u32 s20, 0, s21
	s_mul_hi_u32 s21, s53, s18
	s_mul_i32 s20, s53, s20
	s_mul_i32 s18, s53, s18
	s_add_i32 s21, s21, s20
	s_sub_u32 s18, s56, s18
	s_cselect_b32 s20, -1, 0
	s_cmp_lg_u32 s20, 0
	s_subb_u32 s20, s19, s21
	s_sub_u32 s21, s18, s53
	s_cselect_b32 s44, -1, 0
	s_cmp_lg_u32 s44, 0
	s_subb_u32 s44, s20, 0
	;; [unrolled: 4-line block ×3, first 2 shown]
	s_cmp_ge_u32 s21, s53
	s_cselect_b32 s47, -1, 0
	s_cmp_eq_u32 s44, 0
	s_cselect_b32 s47, s47, -1
	s_cmp_lg_u32 s47, 0
	s_cselect_b32 s44, s46, s44
	s_cselect_b32 s45, s45, s21
	s_cmp_ge_u32 s18, s53
	s_cselect_b32 s21, -1, 0
	s_cmp_eq_u32 s20, 0
	s_cselect_b32 s21, s21, -1
	s_cmp_lg_u32 s21, 0
	s_cselect_b32 s21, s44, s20
	s_cselect_b32 s20, s45, s18
	s_cbranch_execnz .LBB150_286
.LBB150_285:                            ;   in Loop: Header=BB150_18 Depth=1
	v_cvt_f32_u32_e32 v2, s53
	s_sub_i32 s20, 0, s53
	v_rcp_iflag_f32_e32 v2, v2
	v_mul_f32_e32 v2, 0x4f7ffffe, v2
	v_cvt_u32_f32_e32 v2, v2
	v_readfirstlane_b32 s18, v2
	s_mul_i32 s20, s20, s18
	s_mul_hi_u32 s20, s18, s20
	s_add_i32 s18, s18, s20
	s_mul_hi_u32 s18, s56, s18
	s_mul_i32 s18, s18, s53
	s_sub_i32 s18, s56, s18
	s_sub_i32 s20, s18, s53
	s_cmp_ge_u32 s18, s53
	s_cselect_b32 s18, s20, s18
	s_sub_i32 s20, s18, s53
	s_cmp_ge_u32 s18, s53
	s_cselect_b32 s68, s20, s18
	s_mov_b64 s[20:21], s[68:69]
.LBB150_286:                            ;   in Loop: Header=BB150_18 Depth=1
	s_sub_u32 s18, s56, s20
	s_subb_u32 s19, s19, s21
	s_mov_b32 s21, 0
	s_mov_b32 s20, 0
	s_mov_b32 s56, exec_lo
                                        ; implicit-def: $vgpr18
	v_cmpx_gt_u64_e64 s[18:19], v[0:1]
	s_cbranch_execz .LBB150_296
; %bb.287:                              ;   in Loop: Header=BB150_18 Depth=1
	v_mov_b32_e32 v3, v1
	v_mov_b32_e32 v4, v14
	;; [unrolled: 1-line block ×3, first 2 shown]
                                        ; implicit-def: $sgpr57
	s_inst_prefetch 0x1
	s_branch .LBB150_290
	.p2align	6
.LBB150_288:                            ;   in Loop: Header=BB150_290 Depth=2
	s_or_b32 exec_lo, exec_lo, s68
	s_waitcnt lgkmcnt(0)
	s_barrier
	buffer_gl0_inv
	ds_read_b64 v[17:18], v13 offset:3072
	s_mov_b32 s44, -1
	s_mov_b32 s45, -1
	s_waitcnt lgkmcnt(0)
	s_barrier
	buffer_gl0_inv
	v_cmp_ne_u32_e32 vcc_lo, 0, v17
	s_cbranch_vccz .LBB150_293
.LBB150_289:                            ;   in Loop: Header=BB150_290 Depth=2
	s_and_b32 s44, exec_lo, s44
	s_or_b32 s20, s44, s20
	s_andn2_b32 s44, s57, exec_lo
	s_and_b32 s45, s45, exec_lo
	s_or_b32 s57, s44, s45
	s_andn2_b32 exec_lo, exec_lo, s20
	s_cbranch_execz .LBB150_295
.LBB150_290:                            ;   Parent Loop BB150_18 Depth=1
                                        ; =>  This Inner Loop Header: Depth=2
	s_mov_b32 s68, exec_lo
	v_cmpx_gt_u64_e64 s[6:7], v[2:3]
	s_cbranch_execz .LBB150_288
; %bb.291:                              ;   in Loop: Header=BB150_290 Depth=2
	ds_read_b32 v17, v4
	s_waitcnt lgkmcnt(0)
	v_xor_b32_e32 v5, 0x80000000, v17
	v_and_b32_e32 v5, v5, v30
	v_cmp_eq_u32_e32 vcc_lo, v5, v25
	s_and_b32 exec_lo, exec_lo, vcc_lo
	s_cbranch_execz .LBB150_288
; %bb.292:                              ;   in Loop: Header=BB150_290 Depth=2
	ds_write_b64 v13, v[16:17] offset:3072
	s_branch .LBB150_288
.LBB150_293:                            ;   in Loop: Header=BB150_290 Depth=2
	v_add_co_u32 v2, vcc_lo, v2, s53
	v_add_co_ci_u32_e64 v3, null, 0, v3, vcc_lo
	v_add_nc_u32_e32 v4, s98, v4
	s_mov_b32 s45, 0
	v_cmp_le_u64_e32 vcc_lo, s[18:19], v[2:3]
	s_orn2_b32 s44, vcc_lo, exec_lo
	s_branch .LBB150_289
.LBB150_294:                            ;   in Loop: Header=BB150_18 Depth=1
	v_mov_b32_e32 v25, v9
	v_mov_b32_e32 v30, v12
	;; [unrolled: 1-line block ×3, first 2 shown]
	s_mov_b32 s76, 0
	s_and_saveexec_b32 s6, s23
	s_cbranch_execnz .LBB150_471
	s_branch .LBB150_472
.LBB150_295:                            ;   in Loop: Header=BB150_18 Depth=1
	s_inst_prefetch 0x2
	s_or_b32 exec_lo, exec_lo, s20
	s_and_b32 s20, s57, exec_lo
.LBB150_296:                            ;   in Loop: Header=BB150_18 Depth=1
	s_or_b32 exec_lo, exec_lo, s56
.LBB150_297:                            ;   in Loop: Header=BB150_18 Depth=1
	s_and_b32 vcc_lo, exec_lo, s21
	s_cbranch_vccz .LBB150_311
; %bb.298:                              ;   in Loop: Header=BB150_18 Depth=1
	s_mov_b32 s70, s69
	s_cmp_lg_u64 s[70:71], 0
	s_cbranch_scc0 .LBB150_339
; %bb.299:                              ;   in Loop: Header=BB150_18 Depth=1
	v_cvt_f32_u32_e32 v2, s53
	s_sub_u32 s18, 0, s53
	s_subb_u32 s19, 0, 0
	v_fmac_f32_e64 v2, 0x4f800000, 0
	v_rcp_f32_e32 v2, v2
	v_mul_f32_e32 v2, 0x5f7ffffc, v2
	v_mul_f32_e32 v3, 0x2f800000, v2
	v_trunc_f32_e32 v3, v3
	v_fmac_f32_e32 v2, 0xcf800000, v3
	v_cvt_u32_f32_e32 v3, v3
	v_cvt_u32_f32_e32 v2, v2
	v_readfirstlane_b32 s6, v3
	v_readfirstlane_b32 s7, v2
	s_mul_i32 s21, s18, s6
	s_mul_hi_u32 s44, s18, s7
	s_mul_i32 s25, s19, s7
	s_add_i32 s21, s44, s21
	s_mul_i32 s45, s18, s7
	s_add_i32 s21, s21, s25
	s_mul_hi_u32 s44, s7, s45
	s_mul_i32 s47, s7, s21
	s_mul_hi_u32 s46, s6, s45
	s_mul_i32 s25, s6, s45
	s_mul_hi_u32 s45, s7, s21
	s_add_u32 s44, s44, s47
	s_addc_u32 s45, 0, s45
	s_mul_hi_u32 s56, s6, s21
	s_add_u32 s25, s44, s25
	s_mul_i32 s21, s6, s21
	s_addc_u32 s25, s45, s46
	s_addc_u32 s44, s56, 0
	s_add_u32 s21, s25, s21
	s_addc_u32 s25, 0, s44
	s_add_u32 s7, s7, s21
	s_cselect_b32 s21, -1, 0
	s_mul_hi_u32 s44, s18, s7
	s_cmp_lg_u32 s21, 0
	s_mul_i32 s21, s18, s7
	s_addc_u32 s6, s6, s25
	s_mul_i32 s19, s19, s7
	s_mul_i32 s18, s18, s6
	s_mul_hi_u32 s25, s7, s21
	s_add_i32 s18, s44, s18
	s_mul_hi_u32 s44, s6, s21
	s_add_i32 s18, s18, s19
	s_mul_i32 s19, s6, s21
	s_mul_i32 s46, s7, s18
	s_mul_hi_u32 s45, s7, s18
	s_add_u32 s25, s25, s46
	s_addc_u32 s45, 0, s45
	s_mul_hi_u32 s21, s6, s18
	s_add_u32 s19, s25, s19
	s_mul_i32 s18, s6, s18
	s_addc_u32 s19, s45, s44
	s_addc_u32 s21, s21, 0
	s_add_u32 s18, s19, s18
	s_addc_u32 s19, 0, s21
	s_add_u32 s7, s7, s18
	s_cselect_b32 s18, -1, 0
	s_mul_hi_u32 s21, s94, s7
	s_cmp_lg_u32 s18, 0
	s_mul_hi_u32 s18, s71, s7
	s_addc_u32 s6, s6, s19
	s_mul_i32 s7, s71, s7
	s_mul_i32 s25, s94, s6
	s_mul_hi_u32 s19, s94, s6
	s_add_u32 s21, s21, s25
	s_addc_u32 s19, 0, s19
	s_mul_hi_u32 s44, s71, s6
	s_add_u32 s7, s21, s7
	s_mul_i32 s6, s71, s6
	s_addc_u32 s7, s19, s18
	s_addc_u32 s18, s44, 0
	s_add_u32 s6, s7, s6
	s_addc_u32 s7, 0, s18
	s_mul_hi_u32 s18, s53, s6
	s_mul_i32 s7, s53, s7
	s_mul_i32 s6, s53, s6
	s_add_i32 s18, s18, s7
	s_sub_u32 s6, s94, s6
	s_cselect_b32 s7, -1, 0
	s_cmp_lg_u32 s7, 0
	s_subb_u32 s7, s71, s18
	s_sub_u32 s18, s6, s53
	s_cselect_b32 s19, -1, 0
	s_cmp_lg_u32 s19, 0
	s_subb_u32 s19, s7, 0
	s_sub_u32 s21, s18, s53
	s_cselect_b32 s25, -1, 0
	s_cmp_lg_u32 s25, 0
	s_subb_u32 s25, s19, 0
	s_cmp_ge_u32 s18, s53
	s_cselect_b32 s44, -1, 0
	s_cmp_eq_u32 s19, 0
	s_cselect_b32 s44, s44, -1
	s_cmp_lg_u32 s44, 0
	s_cselect_b32 s19, s25, s19
	s_cselect_b32 s18, s21, s18
	s_cmp_ge_u32 s6, s53
	s_cselect_b32 s21, -1, 0
	s_cmp_eq_u32 s7, 0
	s_cselect_b32 s21, s21, -1
	s_cmp_lg_u32 s21, 0
	s_cselect_b32 s7, s19, s7
	s_cselect_b32 s6, s18, s6
	s_cbranch_execnz .LBB150_301
.LBB150_300:                            ;   in Loop: Header=BB150_18 Depth=1
	v_cvt_f32_u32_e32 v2, s53
	s_sub_i32 s7, 0, s53
	v_rcp_iflag_f32_e32 v2, v2
	v_mul_f32_e32 v2, 0x4f7ffffe, v2
	v_cvt_u32_f32_e32 v2, v2
	v_readfirstlane_b32 s6, v2
	s_mul_i32 s7, s7, s6
	s_mul_hi_u32 s7, s6, s7
	s_add_i32 s6, s6, s7
	s_mul_hi_u32 s6, s94, s6
	s_mul_i32 s6, s6, s53
	s_sub_i32 s6, s94, s6
	s_sub_i32 s7, s6, s53
	s_cmp_ge_u32 s6, s53
	s_cselect_b32 s6, s7, s6
	s_sub_i32 s7, s6, s53
	s_cmp_ge_u32 s6, s53
	s_cselect_b32 s68, s7, s6
	s_mov_b64 s[6:7], s[68:69]
.LBB150_301:                            ;   in Loop: Header=BB150_18 Depth=1
	s_sub_u32 s6, s94, s6
	s_subb_u32 s7, s71, s7
	s_mov_b32 s18, exec_lo
                                        ; implicit-def: $vgpr18
	v_cmpx_gt_u64_e64 s[6:7], v[0:1]
	s_cbranch_execz .LBB150_310
; %bb.302:                              ;   in Loop: Header=BB150_18 Depth=1
	v_mov_b32_e32 v3, v1
	v_mov_b32_e32 v2, v0
	s_mov_b32 s19, 0
                                        ; implicit-def: $sgpr21
	s_branch .LBB150_305
.LBB150_303:                            ;   in Loop: Header=BB150_305 Depth=2
	s_or_b32 exec_lo, exec_lo, s25
	s_waitcnt lgkmcnt(0)
	s_barrier
	buffer_gl0_inv
	ds_read_b64 v[17:18], v13 offset:3072
	s_mov_b32 s44, -1
	s_mov_b32 s25, -1
	s_waitcnt lgkmcnt(0)
	s_barrier
	buffer_gl0_inv
	v_cmp_ne_u32_e32 vcc_lo, 0, v17
	s_cbranch_vccz .LBB150_308
.LBB150_304:                            ;   in Loop: Header=BB150_305 Depth=2
	s_and_b32 s44, exec_lo, s44
	s_or_b32 s19, s44, s19
	s_andn2_b32 s21, s21, exec_lo
	s_and_b32 s25, s25, exec_lo
	s_or_b32 s21, s21, s25
	s_andn2_b32 exec_lo, exec_lo, s19
	s_cbranch_execz .LBB150_309
.LBB150_305:                            ;   Parent Loop BB150_18 Depth=1
                                        ; =>  This Inner Loop Header: Depth=2
	s_mov_b32 s25, exec_lo
	v_cmpx_gt_u64_e64 s[28:29], v[2:3]
	s_cbranch_execz .LBB150_303
; %bb.306:                              ;   in Loop: Header=BB150_305 Depth=2
	v_mul_lo_u32 v6, v3, s26
	v_mul_lo_u32 v7, v2, s27
	v_mad_u64_u32 v[4:5], null, v2, s26, 0
	v_add3_u32 v5, v5, v7, v6
	v_lshlrev_b64 v[4:5], 2, v[4:5]
	v_add_co_u32 v4, vcc_lo, s33, v4
	v_add_co_ci_u32_e64 v5, null, s35, v5, vcc_lo
	global_load_dword v17, v[4:5], off
	s_waitcnt vmcnt(0)
	v_xor_b32_e32 v4, 0x80000000, v17
	v_and_b32_e32 v4, v4, v30
	v_cmp_eq_u32_e32 vcc_lo, v4, v25
	s_and_b32 exec_lo, exec_lo, vcc_lo
	s_cbranch_execz .LBB150_303
; %bb.307:                              ;   in Loop: Header=BB150_305 Depth=2
	ds_write_b64 v13, v[16:17] offset:3072
	s_branch .LBB150_303
.LBB150_308:                            ;   in Loop: Header=BB150_305 Depth=2
	v_add_co_u32 v2, vcc_lo, v2, s53
	v_add_co_ci_u32_e64 v3, null, 0, v3, vcc_lo
	s_mov_b32 s25, 0
	v_cmp_le_u64_e32 vcc_lo, s[6:7], v[2:3]
	s_orn2_b32 s44, vcc_lo, exec_lo
	s_branch .LBB150_304
.LBB150_309:                            ;   in Loop: Header=BB150_18 Depth=1
	s_or_b32 exec_lo, exec_lo, s19
	s_andn2_b32 s6, s20, exec_lo
	s_and_b32 s7, s21, exec_lo
	s_or_b32 s20, s6, s7
.LBB150_310:                            ;   in Loop: Header=BB150_18 Depth=1
	s_or_b32 exec_lo, exec_lo, s18
	s_mov_b32 s25, 0
	s_mov_b32 s76, -1
.LBB150_311:                            ;   in Loop: Header=BB150_18 Depth=1
	s_orn2_b32 s6, s20, exec_lo
.LBB150_312:                            ;   in Loop: Header=BB150_18 Depth=1
	s_or_b32 exec_lo, exec_lo, s75
                                        ; implicit-def: $vgpr2_vgpr3
                                        ; implicit-def: $vgpr8
	s_and_saveexec_b32 s20, s6
	s_cbranch_execz .LBB150_470
; %bb.313:                              ;   in Loop: Header=BB150_18 Depth=1
	v_mov_b32_e32 v2, 1
	v_mov_b32_e32 v3, 0
	v_mov_b32_e32 v8, 1
	s_xor_b32 s18, s74, -1
	s_mov_b32 s7, 0
	s_and_saveexec_b32 s6, s18
	s_cbranch_execz .LBB150_322
; %bb.314:                              ;   in Loop: Header=BB150_18 Depth=1
	s_mov_b32 s7, exec_lo
	v_cmpx_ge_u64_e64 s[16:17], v[19:20]
	s_xor_b32 s7, exec_lo, s7
	s_cbranch_execz .LBB150_319
; %bb.315:                              ;   in Loop: Header=BB150_18 Depth=1
	ds_read_b64 v[2:3], v13 offset:5120
	v_or_b32_e32 v25, s9, v25
	v_or_b32_e32 v30, s9, v30
	s_waitcnt lgkmcnt(0)
	v_cmp_ne_u64_e32 vcc_lo, 0, v[2:3]
	s_cbranch_vccnz .LBB150_319
; %bb.316:                              ;   in Loop: Header=BB150_18 Depth=1
	s_and_saveexec_b32 s18, s3
; %bb.317:                              ;   in Loop: Header=BB150_18 Depth=1
	v_mov_b32_e32 v2, s16
	v_mov_b32_e32 v3, s17
	ds_write_b64 v13, v[2:3] offset:5128
; %bb.318:                              ;   in Loop: Header=BB150_18 Depth=1
	s_or_b32 exec_lo, exec_lo, s18
	s_waitcnt lgkmcnt(0)
	s_barrier
	buffer_gl0_inv
.LBB150_319:                            ;   in Loop: Header=BB150_18 Depth=1
	s_or_saveexec_b32 s7, s7
	v_mov_b32_e32 v8, 5
	s_mov_b32 s18, 0
	s_xor_b32 exec_lo, exec_lo, s7
; %bb.320:                              ;   in Loop: Header=BB150_18 Depth=1
	v_sub_co_u32 v19, vcc_lo, v19, s16
	v_subrev_co_ci_u32_e64 v20, null, s17, v20, vcc_lo
	v_mov_b32_e32 v8, 0
	s_mov_b32 s18, exec_lo
; %bb.321:                              ;   in Loop: Header=BB150_18 Depth=1
	s_or_b32 exec_lo, exec_lo, s7
	v_mov_b32_e32 v2, v19
	v_mov_b32_e32 v3, v20
	s_and_b32 s7, s18, exec_lo
.LBB150_322:                            ;   in Loop: Header=BB150_18 Depth=1
	s_or_b32 exec_lo, exec_lo, s6
	s_mov_b32 s6, -1
                                        ; implicit-def: $sgpr74
                                        ; implicit-def: $sgpr75
	s_and_saveexec_b32 s16, s7
	s_xor_b32 s21, exec_lo, s16
	s_cbranch_execz .LBB150_467
; %bb.323:                              ;   in Loop: Header=BB150_18 Depth=1
	v_cmp_eq_u64_e32 vcc_lo, 1, v[2:3]
	s_cmp_eq_u64 s[14:15], 1
                                        ; implicit-def: $sgpr75
                                        ; implicit-def: $sgpr74
	s_cselect_b32 s6, -1, 0
	s_and_b32 s77, s6, vcc_lo
	s_mov_b32 s6, -1
	s_and_saveexec_b32 s78, s77
	s_cbranch_execz .LBB150_357
; %bb.324:                              ;   in Loop: Header=BB150_18 Depth=1
	ds_read_b64 v[4:5], v13 offset:5120
	s_waitcnt lgkmcnt(0)
	s_barrier
	buffer_gl0_inv
	v_readfirstlane_b32 s6, v4
	v_readfirstlane_b32 s7, v5
	s_and_saveexec_b32 s16, s8
; %bb.325:                              ;   in Loop: Header=BB150_18 Depth=1
	ds_write_b32 v26, v13
; %bb.326:                              ;   in Loop: Header=BB150_18 Depth=1
	s_or_b32 exec_lo, exec_lo, s16
	s_lshl_b32 s16, 2, s63
	v_or_b32_e32 v30, s9, v30
	v_and_or_b32 v25, v25, s24, s16
	s_mov_b32 s74, -1
	s_mov_b32 s75, 0
	s_cmp_eq_u64 s[6:7], 0
	s_mov_b32 s18, 0
	s_mov_b32 s19, -1
	s_waitcnt lgkmcnt(0)
	s_barrier
	buffer_gl0_inv
                                        ; implicit-def: $vgpr18
	s_cbranch_scc1 .LBB150_342
; %bb.327:                              ;   in Loop: Header=BB150_18 Depth=1
	s_add_u32 s56, s6, s92
	s_addc_u32 s17, s7, s93
	s_mov_b32 s16, s69
	s_cmp_lg_u64 s[16:17], 0
	s_cbranch_scc0 .LBB150_383
; %bb.328:                              ;   in Loop: Header=BB150_18 Depth=1
	v_cvt_f32_u32_e32 v4, s53
	s_sub_u32 s19, 0, s53
	s_subb_u32 s44, 0, 0
	v_fmac_f32_e64 v4, 0x4f800000, 0
	v_rcp_f32_e32 v4, v4
	v_mul_f32_e32 v4, 0x5f7ffffc, v4
	v_mul_f32_e32 v5, 0x2f800000, v4
	v_trunc_f32_e32 v5, v5
	v_fmac_f32_e32 v4, 0xcf800000, v5
	v_cvt_u32_f32_e32 v5, v5
	v_cvt_u32_f32_e32 v4, v4
	v_readfirstlane_b32 s16, v5
	v_readfirstlane_b32 s18, v4
	s_mul_i32 s45, s19, s16
	s_mul_hi_u32 s47, s19, s18
	s_mul_i32 s46, s44, s18
	s_add_i32 s45, s47, s45
	s_mul_i32 s57, s19, s18
	s_add_i32 s45, s45, s46
	s_mul_hi_u32 s47, s18, s57
	s_mul_i32 s70, s18, s45
	s_mul_hi_u32 s68, s16, s57
	s_mul_i32 s46, s16, s57
	s_mul_hi_u32 s57, s18, s45
	s_add_u32 s47, s47, s70
	s_addc_u32 s57, 0, s57
	s_mul_hi_u32 s79, s16, s45
	s_add_u32 s46, s47, s46
	s_mul_i32 s45, s16, s45
	s_addc_u32 s46, s57, s68
	s_addc_u32 s47, s79, 0
	s_add_u32 s45, s46, s45
	s_addc_u32 s46, 0, s47
	s_add_u32 s18, s18, s45
	s_cselect_b32 s45, -1, 0
	s_mul_hi_u32 s47, s19, s18
	s_cmp_lg_u32 s45, 0
	s_mul_i32 s45, s19, s18
	s_addc_u32 s16, s16, s46
	s_mul_i32 s44, s44, s18
	s_mul_i32 s19, s19, s16
	s_mul_hi_u32 s46, s18, s45
	s_add_i32 s19, s47, s19
	s_mul_hi_u32 s47, s16, s45
	s_add_i32 s19, s19, s44
	s_mul_i32 s44, s16, s45
	s_mul_i32 s68, s18, s19
	s_mul_hi_u32 s57, s18, s19
	s_add_u32 s46, s46, s68
	s_addc_u32 s57, 0, s57
	s_mul_hi_u32 s45, s16, s19
	s_add_u32 s44, s46, s44
	s_mul_i32 s19, s16, s19
	s_addc_u32 s44, s57, s47
	s_addc_u32 s45, s45, 0
	s_add_u32 s19, s44, s19
	s_addc_u32 s44, 0, s45
	s_add_u32 s18, s18, s19
	s_cselect_b32 s19, -1, 0
	s_mul_hi_u32 s45, s56, s18
	s_cmp_lg_u32 s19, 0
	s_mul_hi_u32 s19, s17, s18
	s_addc_u32 s16, s16, s44
	s_mul_i32 s18, s17, s18
	s_mul_i32 s46, s56, s16
	s_mul_hi_u32 s44, s56, s16
	s_add_u32 s45, s45, s46
	s_addc_u32 s44, 0, s44
	s_mul_hi_u32 s47, s17, s16
	s_add_u32 s18, s45, s18
	s_mul_i32 s16, s17, s16
	s_addc_u32 s18, s44, s19
	s_addc_u32 s19, s47, 0
	s_add_u32 s16, s18, s16
	s_addc_u32 s18, 0, s19
	s_mul_hi_u32 s19, s53, s16
	s_mul_i32 s18, s53, s18
	s_mul_i32 s16, s53, s16
	s_add_i32 s19, s19, s18
	s_sub_u32 s16, s56, s16
	s_cselect_b32 s18, -1, 0
	s_cmp_lg_u32 s18, 0
	s_subb_u32 s18, s17, s19
	s_sub_u32 s19, s16, s53
	s_cselect_b32 s44, -1, 0
	s_cmp_lg_u32 s44, 0
	s_subb_u32 s44, s18, 0
	;; [unrolled: 4-line block ×3, first 2 shown]
	s_cmp_ge_u32 s19, s53
	s_cselect_b32 s47, -1, 0
	s_cmp_eq_u32 s44, 0
	s_cselect_b32 s47, s47, -1
	s_cmp_lg_u32 s47, 0
	s_cselect_b32 s44, s46, s44
	s_cselect_b32 s45, s45, s19
	s_cmp_ge_u32 s16, s53
	s_cselect_b32 s19, -1, 0
	s_cmp_eq_u32 s18, 0
	s_cselect_b32 s19, s19, -1
	s_cmp_lg_u32 s19, 0
	s_cselect_b32 s19, s44, s18
	s_cselect_b32 s18, s45, s16
	s_cbranch_execnz .LBB150_330
.LBB150_329:                            ;   in Loop: Header=BB150_18 Depth=1
	v_cvt_f32_u32_e32 v4, s53
	s_sub_i32 s18, 0, s53
	v_rcp_iflag_f32_e32 v4, v4
	v_mul_f32_e32 v4, 0x4f7ffffe, v4
	v_cvt_u32_f32_e32 v4, v4
	v_readfirstlane_b32 s16, v4
	s_mul_i32 s18, s18, s16
	s_mul_hi_u32 s18, s16, s18
	s_add_i32 s16, s16, s18
	s_mul_hi_u32 s16, s56, s16
	s_mul_i32 s16, s16, s53
	s_sub_i32 s16, s56, s16
	s_sub_i32 s18, s16, s53
	s_cmp_ge_u32 s16, s53
	s_cselect_b32 s16, s18, s16
	s_sub_i32 s18, s16, s53
	s_cmp_ge_u32 s16, s53
	s_cselect_b32 s68, s18, s16
	s_mov_b64 s[18:19], s[68:69]
.LBB150_330:                            ;   in Loop: Header=BB150_18 Depth=1
	s_sub_u32 s16, s56, s18
	s_subb_u32 s17, s17, s19
	s_mov_b32 s19, 0
	s_mov_b32 s18, 0
	s_mov_b32 s56, exec_lo
                                        ; implicit-def: $vgpr18
	v_cmpx_gt_u64_e64 s[16:17], v[0:1]
	s_cbranch_execz .LBB150_341
; %bb.331:                              ;   in Loop: Header=BB150_18 Depth=1
	v_mov_b32_e32 v5, v1
	v_mov_b32_e32 v6, v14
	;; [unrolled: 1-line block ×3, first 2 shown]
                                        ; implicit-def: $sgpr57
	s_inst_prefetch 0x1
	s_branch .LBB150_334
	.p2align	6
.LBB150_332:                            ;   in Loop: Header=BB150_334 Depth=2
	s_or_b32 exec_lo, exec_lo, s68
	s_waitcnt lgkmcnt(0)
	s_barrier
	buffer_gl0_inv
	ds_read_b64 v[17:18], v13 offset:3072
	s_mov_b32 s44, -1
	s_mov_b32 s45, -1
	s_waitcnt lgkmcnt(0)
	s_barrier
	buffer_gl0_inv
	v_cmp_ne_u32_e32 vcc_lo, 0, v17
	s_cbranch_vccz .LBB150_337
.LBB150_333:                            ;   in Loop: Header=BB150_334 Depth=2
	s_and_b32 s44, exec_lo, s44
	s_or_b32 s18, s44, s18
	s_andn2_b32 s44, s57, exec_lo
	s_and_b32 s45, s45, exec_lo
	s_or_b32 s57, s44, s45
	s_andn2_b32 exec_lo, exec_lo, s18
	s_cbranch_execz .LBB150_340
.LBB150_334:                            ;   Parent Loop BB150_18 Depth=1
                                        ; =>  This Inner Loop Header: Depth=2
	s_mov_b32 s68, exec_lo
	v_cmpx_gt_u64_e64 s[6:7], v[4:5]
	s_cbranch_execz .LBB150_332
; %bb.335:                              ;   in Loop: Header=BB150_334 Depth=2
	ds_read_b32 v17, v6
	s_waitcnt lgkmcnt(0)
	v_xor_b32_e32 v7, 0x80000000, v17
	v_and_b32_e32 v7, v7, v30
	v_cmp_eq_u32_e32 vcc_lo, v7, v25
	s_and_b32 exec_lo, exec_lo, vcc_lo
	s_cbranch_execz .LBB150_332
; %bb.336:                              ;   in Loop: Header=BB150_334 Depth=2
	ds_write_b64 v13, v[16:17] offset:3072
	s_branch .LBB150_332
.LBB150_337:                            ;   in Loop: Header=BB150_334 Depth=2
	v_add_co_u32 v4, vcc_lo, v4, s53
	v_add_co_ci_u32_e64 v5, null, 0, v5, vcc_lo
	v_add_nc_u32_e32 v6, s98, v6
	s_mov_b32 s45, 0
	v_cmp_le_u64_e32 vcc_lo, s[16:17], v[4:5]
	s_orn2_b32 s44, vcc_lo, exec_lo
	s_branch .LBB150_333
.LBB150_338:                            ;   in Loop: Header=BB150_18 Depth=1
                                        ; implicit-def: $sgpr20_sgpr21
	s_branch .LBB150_285
.LBB150_339:                            ;   in Loop: Header=BB150_18 Depth=1
                                        ; implicit-def: $sgpr6_sgpr7
	s_branch .LBB150_300
.LBB150_340:                            ;   in Loop: Header=BB150_18 Depth=1
	s_inst_prefetch 0x2
	s_or_b32 exec_lo, exec_lo, s18
	s_and_b32 s18, s57, exec_lo
.LBB150_341:                            ;   in Loop: Header=BB150_18 Depth=1
	s_or_b32 exec_lo, exec_lo, s56
.LBB150_342:                            ;   in Loop: Header=BB150_18 Depth=1
	s_and_b32 vcc_lo, exec_lo, s19
	s_cbranch_vccz .LBB150_356
; %bb.343:                              ;   in Loop: Header=BB150_18 Depth=1
	s_mov_b32 s70, s69
	s_cmp_lg_u64 s[70:71], 0
	s_cbranch_scc0 .LBB150_384
; %bb.344:                              ;   in Loop: Header=BB150_18 Depth=1
	v_cvt_f32_u32_e32 v4, s53
	s_sub_u32 s16, 0, s53
	s_subb_u32 s17, 0, 0
	v_fmac_f32_e64 v4, 0x4f800000, 0
	v_rcp_f32_e32 v4, v4
	v_mul_f32_e32 v4, 0x5f7ffffc, v4
	v_mul_f32_e32 v5, 0x2f800000, v4
	v_trunc_f32_e32 v5, v5
	v_fmac_f32_e32 v4, 0xcf800000, v5
	v_cvt_u32_f32_e32 v5, v5
	v_cvt_u32_f32_e32 v4, v4
	v_readfirstlane_b32 s6, v5
	v_readfirstlane_b32 s7, v4
	s_mul_i32 s19, s16, s6
	s_mul_hi_u32 s45, s16, s7
	s_mul_i32 s44, s17, s7
	s_add_i32 s19, s45, s19
	s_mul_i32 s46, s16, s7
	s_add_i32 s19, s19, s44
	s_mul_hi_u32 s45, s7, s46
	s_mul_i32 s56, s7, s19
	s_mul_hi_u32 s47, s6, s46
	s_mul_i32 s44, s6, s46
	s_mul_hi_u32 s46, s7, s19
	s_add_u32 s45, s45, s56
	s_addc_u32 s46, 0, s46
	s_mul_hi_u32 s57, s6, s19
	s_add_u32 s44, s45, s44
	s_mul_i32 s19, s6, s19
	s_addc_u32 s44, s46, s47
	s_addc_u32 s45, s57, 0
	s_add_u32 s19, s44, s19
	s_addc_u32 s44, 0, s45
	s_add_u32 s7, s7, s19
	s_cselect_b32 s19, -1, 0
	s_mul_hi_u32 s45, s16, s7
	s_cmp_lg_u32 s19, 0
	s_mul_i32 s19, s16, s7
	s_addc_u32 s6, s6, s44
	s_mul_i32 s17, s17, s7
	s_mul_i32 s16, s16, s6
	s_mul_hi_u32 s44, s7, s19
	s_add_i32 s16, s45, s16
	s_mul_hi_u32 s45, s6, s19
	s_add_i32 s16, s16, s17
	s_mul_i32 s17, s6, s19
	s_mul_i32 s47, s7, s16
	s_mul_hi_u32 s46, s7, s16
	s_add_u32 s44, s44, s47
	s_addc_u32 s46, 0, s46
	s_mul_hi_u32 s19, s6, s16
	s_add_u32 s17, s44, s17
	s_mul_i32 s16, s6, s16
	s_addc_u32 s17, s46, s45
	s_addc_u32 s19, s19, 0
	s_add_u32 s16, s17, s16
	s_addc_u32 s17, 0, s19
	s_add_u32 s7, s7, s16
	s_cselect_b32 s16, -1, 0
	s_mul_hi_u32 s19, s94, s7
	s_cmp_lg_u32 s16, 0
	s_mul_hi_u32 s16, s71, s7
	s_addc_u32 s6, s6, s17
	s_mul_i32 s7, s71, s7
	s_mul_i32 s44, s94, s6
	s_mul_hi_u32 s17, s94, s6
	s_add_u32 s19, s19, s44
	s_addc_u32 s17, 0, s17
	s_mul_hi_u32 s45, s71, s6
	s_add_u32 s7, s19, s7
	s_mul_i32 s6, s71, s6
	s_addc_u32 s7, s17, s16
	s_addc_u32 s16, s45, 0
	s_add_u32 s6, s7, s6
	s_addc_u32 s7, 0, s16
	s_mul_hi_u32 s16, s53, s6
	s_mul_i32 s7, s53, s7
	s_mul_i32 s6, s53, s6
	s_add_i32 s16, s16, s7
	s_sub_u32 s6, s94, s6
	s_cselect_b32 s7, -1, 0
	s_cmp_lg_u32 s7, 0
	s_subb_u32 s7, s71, s16
	s_sub_u32 s16, s6, s53
	s_cselect_b32 s17, -1, 0
	s_cmp_lg_u32 s17, 0
	s_subb_u32 s17, s7, 0
	s_sub_u32 s19, s16, s53
	s_cselect_b32 s44, -1, 0
	s_cmp_lg_u32 s44, 0
	s_subb_u32 s44, s17, 0
	s_cmp_ge_u32 s16, s53
	s_cselect_b32 s45, -1, 0
	s_cmp_eq_u32 s17, 0
	s_cselect_b32 s45, s45, -1
	s_cmp_lg_u32 s45, 0
	s_cselect_b32 s17, s44, s17
	s_cselect_b32 s16, s19, s16
	s_cmp_ge_u32 s6, s53
	s_cselect_b32 s19, -1, 0
	s_cmp_eq_u32 s7, 0
	s_cselect_b32 s19, s19, -1
	s_cmp_lg_u32 s19, 0
	s_cselect_b32 s7, s17, s7
	s_cselect_b32 s6, s16, s6
	s_cbranch_execnz .LBB150_346
.LBB150_345:                            ;   in Loop: Header=BB150_18 Depth=1
	v_cvt_f32_u32_e32 v4, s53
	s_sub_i32 s7, 0, s53
	v_rcp_iflag_f32_e32 v4, v4
	v_mul_f32_e32 v4, 0x4f7ffffe, v4
	v_cvt_u32_f32_e32 v4, v4
	v_readfirstlane_b32 s6, v4
	s_mul_i32 s7, s7, s6
	s_mul_hi_u32 s7, s6, s7
	s_add_i32 s6, s6, s7
	s_mul_hi_u32 s6, s94, s6
	s_mul_i32 s6, s6, s53
	s_sub_i32 s6, s94, s6
	s_sub_i32 s7, s6, s53
	s_cmp_ge_u32 s6, s53
	s_cselect_b32 s6, s7, s6
	s_sub_i32 s7, s6, s53
	s_cmp_ge_u32 s6, s53
	s_cselect_b32 s68, s7, s6
	s_mov_b64 s[6:7], s[68:69]
.LBB150_346:                            ;   in Loop: Header=BB150_18 Depth=1
	s_sub_u32 s6, s94, s6
	s_subb_u32 s7, s71, s7
	s_mov_b32 s16, exec_lo
                                        ; implicit-def: $vgpr18
	v_cmpx_gt_u64_e64 s[6:7], v[0:1]
	s_cbranch_execz .LBB150_355
; %bb.347:                              ;   in Loop: Header=BB150_18 Depth=1
	v_mov_b32_e32 v5, v1
	v_mov_b32_e32 v4, v0
	s_mov_b32 s17, 0
                                        ; implicit-def: $sgpr19
	s_branch .LBB150_350
.LBB150_348:                            ;   in Loop: Header=BB150_350 Depth=2
	s_or_b32 exec_lo, exec_lo, s56
	s_waitcnt lgkmcnt(0)
	s_barrier
	buffer_gl0_inv
	ds_read_b64 v[17:18], v13 offset:3072
	s_mov_b32 s45, -1
	s_mov_b32 s44, -1
	s_waitcnt lgkmcnt(0)
	s_barrier
	buffer_gl0_inv
	v_cmp_eq_u32_e32 vcc_lo, 0, v17
	s_cbranch_vccnz .LBB150_353
.LBB150_349:                            ;   in Loop: Header=BB150_350 Depth=2
	s_and_b32 s45, exec_lo, s45
	s_or_b32 s17, s45, s17
	s_andn2_b32 s19, s19, exec_lo
	s_and_b32 s44, s44, exec_lo
	s_or_b32 s19, s19, s44
	s_andn2_b32 exec_lo, exec_lo, s17
	s_cbranch_execz .LBB150_354
.LBB150_350:                            ;   Parent Loop BB150_18 Depth=1
                                        ; =>  This Inner Loop Header: Depth=2
	s_mov_b32 s56, exec_lo
	v_cmpx_gt_u64_e64 s[28:29], v[4:5]
	s_cbranch_execz .LBB150_348
; %bb.351:                              ;   in Loop: Header=BB150_350 Depth=2
	v_mul_lo_u32 v9, v5, s26
	v_mul_lo_u32 v12, v4, s27
	v_mad_u64_u32 v[6:7], null, v4, s26, 0
	v_add3_u32 v7, v7, v12, v9
	v_lshlrev_b64 v[6:7], 2, v[6:7]
	v_add_co_u32 v6, vcc_lo, s33, v6
	v_add_co_ci_u32_e64 v7, null, s35, v7, vcc_lo
	global_load_dword v17, v[6:7], off
	s_waitcnt vmcnt(0)
	v_xor_b32_e32 v6, 0x80000000, v17
	v_and_b32_e32 v6, v6, v30
	v_cmp_eq_u32_e32 vcc_lo, v6, v25
	s_and_b32 exec_lo, exec_lo, vcc_lo
	s_cbranch_execz .LBB150_348
; %bb.352:                              ;   in Loop: Header=BB150_350 Depth=2
	ds_write_b64 v13, v[16:17] offset:3072
	s_branch .LBB150_348
.LBB150_353:                            ;   in Loop: Header=BB150_350 Depth=2
	v_add_co_u32 v4, vcc_lo, v4, s53
	v_add_co_ci_u32_e64 v5, null, 0, v5, vcc_lo
	s_mov_b32 s44, 0
	v_cmp_le_u64_e32 vcc_lo, s[6:7], v[4:5]
	s_orn2_b32 s45, vcc_lo, exec_lo
	s_branch .LBB150_349
.LBB150_354:                            ;   in Loop: Header=BB150_18 Depth=1
	s_or_b32 exec_lo, exec_lo, s17
	s_andn2_b32 s6, s18, exec_lo
	s_and_b32 s7, s19, exec_lo
	s_or_b32 s18, s6, s7
.LBB150_355:                            ;   in Loop: Header=BB150_18 Depth=1
	s_or_b32 exec_lo, exec_lo, s16
	s_mov_b32 s74, 0
	s_mov_b32 s75, -1
.LBB150_356:                            ;   in Loop: Header=BB150_18 Depth=1
	s_orn2_b32 s6, s18, exec_lo
.LBB150_357:                            ;   in Loop: Header=BB150_18 Depth=1
	s_or_b32 exec_lo, exec_lo, s78
	s_mov_b32 s7, 0
	s_and_saveexec_b32 s18, s6
	s_cbranch_execz .LBB150_466
; %bb.358:                              ;   in Loop: Header=BB150_18 Depth=1
	v_mov_b32_e32 v4, 1
	v_mov_b32_e32 v5, 0
	;; [unrolled: 1-line block ×3, first 2 shown]
	s_xor_b32 s16, s77, -1
	s_and_saveexec_b32 s6, s16
	s_cbranch_execz .LBB150_367
; %bb.359:                              ;   in Loop: Header=BB150_18 Depth=1
	s_mov_b32 s7, exec_lo
	v_cmpx_ge_u64_e64 s[14:15], v[2:3]
	s_xor_b32 s7, exec_lo, s7
	s_cbranch_execz .LBB150_364
; %bb.360:                              ;   in Loop: Header=BB150_18 Depth=1
	ds_read_b64 v[4:5], v13 offset:5120
	s_lshl_b32 s16, 2, s63
	v_or_b32_e32 v30, s9, v30
	v_and_or_b32 v25, v25, s24, s16
	s_waitcnt lgkmcnt(0)
	v_cmp_ne_u64_e32 vcc_lo, 0, v[4:5]
	s_cbranch_vccnz .LBB150_364
; %bb.361:                              ;   in Loop: Header=BB150_18 Depth=1
	s_and_saveexec_b32 s16, s3
; %bb.362:                              ;   in Loop: Header=BB150_18 Depth=1
	v_mov_b32_e32 v4, s14
	v_mov_b32_e32 v5, s15
	ds_write_b64 v13, v[4:5] offset:5128
; %bb.363:                              ;   in Loop: Header=BB150_18 Depth=1
	s_or_b32 exec_lo, exec_lo, s16
	s_waitcnt lgkmcnt(0)
	s_barrier
	buffer_gl0_inv
.LBB150_364:                            ;   in Loop: Header=BB150_18 Depth=1
	s_or_saveexec_b32 s7, s7
	v_mov_b32_e32 v8, 5
	s_mov_b32 s16, 0
	s_xor_b32 exec_lo, exec_lo, s7
; %bb.365:                              ;   in Loop: Header=BB150_18 Depth=1
	v_sub_co_u32 v2, vcc_lo, v2, s14
	v_subrev_co_ci_u32_e64 v3, null, s15, v3, vcc_lo
	v_mov_b32_e32 v8, 0
	s_mov_b32 s16, exec_lo
; %bb.366:                              ;   in Loop: Header=BB150_18 Depth=1
	s_or_b32 exec_lo, exec_lo, s7
	v_mov_b32_e32 v5, v3
	v_mov_b32_e32 v4, v2
	s_and_b32 s7, s16, exec_lo
.LBB150_367:                            ;   in Loop: Header=BB150_18 Depth=1
	s_or_b32 exec_lo, exec_lo, s6
	s_mov_b32 s6, -1
                                        ; implicit-def: $sgpr77
                                        ; implicit-def: $sgpr78
	s_and_saveexec_b32 s19, s7
	s_cbranch_execz .LBB150_465
; %bb.368:                              ;   in Loop: Header=BB150_18 Depth=1
	v_cmp_eq_u64_e32 vcc_lo, 1, v[4:5]
	s_cmp_eq_u64 s[12:13], 1
                                        ; implicit-def: $sgpr78
                                        ; implicit-def: $sgpr77
	s_cselect_b32 s6, -1, 0
	s_and_b32 s79, s6, vcc_lo
	s_mov_b32 s6, -1
	s_and_saveexec_b32 s80, s79
	s_cbranch_execz .LBB150_402
; %bb.369:                              ;   in Loop: Header=BB150_18 Depth=1
	ds_read_b64 v[2:3], v13 offset:5120
	s_waitcnt lgkmcnt(0)
	s_barrier
	buffer_gl0_inv
	v_readfirstlane_b32 s6, v2
	v_readfirstlane_b32 s7, v3
	s_and_saveexec_b32 s14, s8
; %bb.370:                              ;   in Loop: Header=BB150_18 Depth=1
	ds_write_b32 v26, v13
; %bb.371:                              ;   in Loop: Header=BB150_18 Depth=1
	s_or_b32 exec_lo, exec_lo, s14
	s_lshl_b32 s14, 1, s63
	v_or_b32_e32 v30, s9, v30
	v_and_or_b32 v25, v25, s24, s14
	s_mov_b32 s77, -1
	s_mov_b32 s78, 0
	s_cmp_eq_u64 s[6:7], 0
	s_mov_b32 s16, 0
	s_mov_b32 s17, -1
	s_waitcnt lgkmcnt(0)
	s_barrier
	buffer_gl0_inv
                                        ; implicit-def: $vgpr18
	s_cbranch_scc1 .LBB150_387
; %bb.372:                              ;   in Loop: Header=BB150_18 Depth=1
	s_add_u32 s56, s6, s92
	s_addc_u32 s15, s7, s93
	s_mov_b32 s14, s69
	s_cmp_lg_u64 s[14:15], 0
	s_cbranch_scc0 .LBB150_419
; %bb.373:                              ;   in Loop: Header=BB150_18 Depth=1
	v_cvt_f32_u32_e32 v2, s53
	s_sub_u32 s17, 0, s53
	s_subb_u32 s44, 0, 0
	v_fmac_f32_e64 v2, 0x4f800000, 0
	v_rcp_f32_e32 v2, v2
	v_mul_f32_e32 v2, 0x5f7ffffc, v2
	v_mul_f32_e32 v3, 0x2f800000, v2
	v_trunc_f32_e32 v3, v3
	v_fmac_f32_e32 v2, 0xcf800000, v3
	v_cvt_u32_f32_e32 v3, v3
	v_cvt_u32_f32_e32 v2, v2
	v_readfirstlane_b32 s14, v3
	v_readfirstlane_b32 s16, v2
	s_mul_i32 s45, s17, s14
	s_mul_hi_u32 s47, s17, s16
	s_mul_i32 s46, s44, s16
	s_add_i32 s45, s47, s45
	s_mul_i32 s57, s17, s16
	s_add_i32 s45, s45, s46
	s_mul_hi_u32 s47, s16, s57
	s_mul_i32 s70, s16, s45
	s_mul_hi_u32 s68, s14, s57
	s_mul_i32 s46, s14, s57
	s_mul_hi_u32 s57, s16, s45
	s_add_u32 s47, s47, s70
	s_addc_u32 s57, 0, s57
	s_mul_hi_u32 s81, s14, s45
	s_add_u32 s46, s47, s46
	s_mul_i32 s45, s14, s45
	s_addc_u32 s46, s57, s68
	s_addc_u32 s47, s81, 0
	s_add_u32 s45, s46, s45
	s_addc_u32 s46, 0, s47
	s_add_u32 s16, s16, s45
	s_cselect_b32 s45, -1, 0
	s_mul_hi_u32 s47, s17, s16
	s_cmp_lg_u32 s45, 0
	s_mul_i32 s45, s17, s16
	s_addc_u32 s14, s14, s46
	s_mul_i32 s44, s44, s16
	s_mul_i32 s17, s17, s14
	s_mul_hi_u32 s46, s16, s45
	s_add_i32 s17, s47, s17
	s_mul_hi_u32 s47, s14, s45
	s_add_i32 s17, s17, s44
	s_mul_i32 s44, s14, s45
	s_mul_i32 s68, s16, s17
	s_mul_hi_u32 s57, s16, s17
	s_add_u32 s46, s46, s68
	s_addc_u32 s57, 0, s57
	s_mul_hi_u32 s45, s14, s17
	s_add_u32 s44, s46, s44
	s_mul_i32 s17, s14, s17
	s_addc_u32 s44, s57, s47
	s_addc_u32 s45, s45, 0
	s_add_u32 s17, s44, s17
	s_addc_u32 s44, 0, s45
	s_add_u32 s16, s16, s17
	s_cselect_b32 s17, -1, 0
	s_mul_hi_u32 s45, s56, s16
	s_cmp_lg_u32 s17, 0
	s_mul_hi_u32 s17, s15, s16
	s_addc_u32 s14, s14, s44
	s_mul_i32 s16, s15, s16
	s_mul_i32 s46, s56, s14
	s_mul_hi_u32 s44, s56, s14
	s_add_u32 s45, s45, s46
	s_addc_u32 s44, 0, s44
	s_mul_hi_u32 s47, s15, s14
	s_add_u32 s16, s45, s16
	s_mul_i32 s14, s15, s14
	s_addc_u32 s16, s44, s17
	s_addc_u32 s17, s47, 0
	s_add_u32 s14, s16, s14
	s_addc_u32 s16, 0, s17
	s_mul_hi_u32 s17, s53, s14
	s_mul_i32 s16, s53, s16
	s_mul_i32 s14, s53, s14
	s_add_i32 s17, s17, s16
	s_sub_u32 s14, s56, s14
	s_cselect_b32 s16, -1, 0
	s_cmp_lg_u32 s16, 0
	s_subb_u32 s16, s15, s17
	s_sub_u32 s17, s14, s53
	s_cselect_b32 s44, -1, 0
	s_cmp_lg_u32 s44, 0
	s_subb_u32 s44, s16, 0
	;; [unrolled: 4-line block ×3, first 2 shown]
	s_cmp_ge_u32 s17, s53
	s_cselect_b32 s47, -1, 0
	s_cmp_eq_u32 s44, 0
	s_cselect_b32 s47, s47, -1
	s_cmp_lg_u32 s47, 0
	s_cselect_b32 s44, s46, s44
	s_cselect_b32 s45, s45, s17
	s_cmp_ge_u32 s14, s53
	s_cselect_b32 s17, -1, 0
	s_cmp_eq_u32 s16, 0
	s_cselect_b32 s17, s17, -1
	s_cmp_lg_u32 s17, 0
	s_cselect_b32 s17, s44, s16
	s_cselect_b32 s16, s45, s14
	s_cbranch_execnz .LBB150_375
.LBB150_374:                            ;   in Loop: Header=BB150_18 Depth=1
	v_cvt_f32_u32_e32 v2, s53
	s_sub_i32 s16, 0, s53
	v_rcp_iflag_f32_e32 v2, v2
	v_mul_f32_e32 v2, 0x4f7ffffe, v2
	v_cvt_u32_f32_e32 v2, v2
	v_readfirstlane_b32 s14, v2
	s_mul_i32 s16, s16, s14
	s_mul_hi_u32 s16, s14, s16
	s_add_i32 s14, s14, s16
	s_mul_hi_u32 s14, s56, s14
	s_mul_i32 s14, s14, s53
	s_sub_i32 s14, s56, s14
	s_sub_i32 s16, s14, s53
	s_cmp_ge_u32 s14, s53
	s_cselect_b32 s14, s16, s14
	s_sub_i32 s16, s14, s53
	s_cmp_ge_u32 s14, s53
	s_cselect_b32 s68, s16, s14
	s_mov_b64 s[16:17], s[68:69]
.LBB150_375:                            ;   in Loop: Header=BB150_18 Depth=1
	s_sub_u32 s14, s56, s16
	s_subb_u32 s15, s15, s17
	s_mov_b32 s17, 0
	s_mov_b32 s16, 0
	s_mov_b32 s56, exec_lo
                                        ; implicit-def: $vgpr18
	v_cmpx_gt_u64_e64 s[14:15], v[0:1]
	s_cbranch_execz .LBB150_386
; %bb.376:                              ;   in Loop: Header=BB150_18 Depth=1
	v_mov_b32_e32 v3, v1
	v_mov_b32_e32 v6, v14
	;; [unrolled: 1-line block ×3, first 2 shown]
                                        ; implicit-def: $sgpr57
	s_inst_prefetch 0x1
	s_branch .LBB150_379
	.p2align	6
.LBB150_377:                            ;   in Loop: Header=BB150_379 Depth=2
	s_or_b32 exec_lo, exec_lo, s68
	s_waitcnt lgkmcnt(0)
	s_barrier
	buffer_gl0_inv
	ds_read_b64 v[17:18], v13 offset:3072
	s_mov_b32 s44, -1
	s_mov_b32 s45, -1
	s_waitcnt lgkmcnt(0)
	s_barrier
	buffer_gl0_inv
	v_cmp_ne_u32_e32 vcc_lo, 0, v17
	s_cbranch_vccz .LBB150_382
.LBB150_378:                            ;   in Loop: Header=BB150_379 Depth=2
	s_and_b32 s44, exec_lo, s44
	s_or_b32 s16, s44, s16
	s_andn2_b32 s44, s57, exec_lo
	s_and_b32 s45, s45, exec_lo
	s_or_b32 s57, s44, s45
	s_andn2_b32 exec_lo, exec_lo, s16
	s_cbranch_execz .LBB150_385
.LBB150_379:                            ;   Parent Loop BB150_18 Depth=1
                                        ; =>  This Inner Loop Header: Depth=2
	s_mov_b32 s68, exec_lo
	v_cmpx_gt_u64_e64 s[6:7], v[2:3]
	s_cbranch_execz .LBB150_377
; %bb.380:                              ;   in Loop: Header=BB150_379 Depth=2
	ds_read_b32 v17, v6
	s_waitcnt lgkmcnt(0)
	v_xor_b32_e32 v7, 0x80000000, v17
	v_and_b32_e32 v7, v7, v30
	v_cmp_eq_u32_e32 vcc_lo, v7, v25
	s_and_b32 exec_lo, exec_lo, vcc_lo
	s_cbranch_execz .LBB150_377
; %bb.381:                              ;   in Loop: Header=BB150_379 Depth=2
	ds_write_b64 v13, v[16:17] offset:3072
	s_branch .LBB150_377
.LBB150_382:                            ;   in Loop: Header=BB150_379 Depth=2
	v_add_co_u32 v2, vcc_lo, v2, s53
	v_add_co_ci_u32_e64 v3, null, 0, v3, vcc_lo
	v_add_nc_u32_e32 v6, s98, v6
	s_mov_b32 s45, 0
	v_cmp_le_u64_e32 vcc_lo, s[14:15], v[2:3]
	s_orn2_b32 s44, vcc_lo, exec_lo
	s_branch .LBB150_378
.LBB150_383:                            ;   in Loop: Header=BB150_18 Depth=1
                                        ; implicit-def: $sgpr18_sgpr19
	s_branch .LBB150_329
.LBB150_384:                            ;   in Loop: Header=BB150_18 Depth=1
                                        ; implicit-def: $sgpr6_sgpr7
	s_branch .LBB150_345
.LBB150_385:                            ;   in Loop: Header=BB150_18 Depth=1
	s_inst_prefetch 0x2
	s_or_b32 exec_lo, exec_lo, s16
	s_and_b32 s16, s57, exec_lo
.LBB150_386:                            ;   in Loop: Header=BB150_18 Depth=1
	s_or_b32 exec_lo, exec_lo, s56
.LBB150_387:                            ;   in Loop: Header=BB150_18 Depth=1
	s_and_b32 vcc_lo, exec_lo, s17
	s_cbranch_vccz .LBB150_401
; %bb.388:                              ;   in Loop: Header=BB150_18 Depth=1
	s_mov_b32 s70, s69
	s_cmp_lg_u64 s[70:71], 0
	s_cbranch_scc0 .LBB150_420
; %bb.389:                              ;   in Loop: Header=BB150_18 Depth=1
	v_cvt_f32_u32_e32 v2, s53
	s_sub_u32 s14, 0, s53
	s_subb_u32 s15, 0, 0
	v_fmac_f32_e64 v2, 0x4f800000, 0
	v_rcp_f32_e32 v2, v2
	v_mul_f32_e32 v2, 0x5f7ffffc, v2
	v_mul_f32_e32 v3, 0x2f800000, v2
	v_trunc_f32_e32 v3, v3
	v_fmac_f32_e32 v2, 0xcf800000, v3
	v_cvt_u32_f32_e32 v3, v3
	v_cvt_u32_f32_e32 v2, v2
	v_readfirstlane_b32 s6, v3
	v_readfirstlane_b32 s7, v2
	s_mul_i32 s17, s14, s6
	s_mul_hi_u32 s45, s14, s7
	s_mul_i32 s44, s15, s7
	s_add_i32 s17, s45, s17
	s_mul_i32 s46, s14, s7
	s_add_i32 s17, s17, s44
	s_mul_hi_u32 s45, s7, s46
	s_mul_i32 s56, s7, s17
	s_mul_hi_u32 s47, s6, s46
	s_mul_i32 s44, s6, s46
	s_mul_hi_u32 s46, s7, s17
	s_add_u32 s45, s45, s56
	s_addc_u32 s46, 0, s46
	s_mul_hi_u32 s57, s6, s17
	s_add_u32 s44, s45, s44
	s_mul_i32 s17, s6, s17
	s_addc_u32 s44, s46, s47
	s_addc_u32 s45, s57, 0
	s_add_u32 s17, s44, s17
	s_addc_u32 s44, 0, s45
	s_add_u32 s7, s7, s17
	s_cselect_b32 s17, -1, 0
	s_mul_hi_u32 s45, s14, s7
	s_cmp_lg_u32 s17, 0
	s_mul_i32 s17, s14, s7
	s_addc_u32 s6, s6, s44
	s_mul_i32 s15, s15, s7
	s_mul_i32 s14, s14, s6
	s_mul_hi_u32 s44, s7, s17
	s_add_i32 s14, s45, s14
	s_mul_hi_u32 s45, s6, s17
	s_add_i32 s14, s14, s15
	s_mul_i32 s15, s6, s17
	s_mul_i32 s47, s7, s14
	s_mul_hi_u32 s46, s7, s14
	s_add_u32 s44, s44, s47
	s_addc_u32 s46, 0, s46
	s_mul_hi_u32 s17, s6, s14
	s_add_u32 s15, s44, s15
	s_mul_i32 s14, s6, s14
	s_addc_u32 s15, s46, s45
	s_addc_u32 s17, s17, 0
	s_add_u32 s14, s15, s14
	s_addc_u32 s15, 0, s17
	s_add_u32 s7, s7, s14
	s_cselect_b32 s14, -1, 0
	s_mul_hi_u32 s17, s94, s7
	s_cmp_lg_u32 s14, 0
	s_mul_hi_u32 s14, s71, s7
	s_addc_u32 s6, s6, s15
	s_mul_i32 s7, s71, s7
	s_mul_i32 s44, s94, s6
	s_mul_hi_u32 s15, s94, s6
	s_add_u32 s17, s17, s44
	s_addc_u32 s15, 0, s15
	s_mul_hi_u32 s45, s71, s6
	s_add_u32 s7, s17, s7
	s_mul_i32 s6, s71, s6
	s_addc_u32 s7, s15, s14
	s_addc_u32 s14, s45, 0
	s_add_u32 s6, s7, s6
	s_addc_u32 s7, 0, s14
	s_mul_hi_u32 s14, s53, s6
	s_mul_i32 s7, s53, s7
	s_mul_i32 s6, s53, s6
	s_add_i32 s14, s14, s7
	s_sub_u32 s6, s94, s6
	s_cselect_b32 s7, -1, 0
	s_cmp_lg_u32 s7, 0
	s_subb_u32 s7, s71, s14
	s_sub_u32 s14, s6, s53
	s_cselect_b32 s15, -1, 0
	s_cmp_lg_u32 s15, 0
	s_subb_u32 s15, s7, 0
	;; [unrolled: 4-line block ×3, first 2 shown]
	s_cmp_ge_u32 s14, s53
	s_cselect_b32 s45, -1, 0
	s_cmp_eq_u32 s15, 0
	s_cselect_b32 s45, s45, -1
	s_cmp_lg_u32 s45, 0
	s_cselect_b32 s15, s44, s15
	s_cselect_b32 s14, s17, s14
	s_cmp_ge_u32 s6, s53
	s_cselect_b32 s17, -1, 0
	s_cmp_eq_u32 s7, 0
	s_cselect_b32 s17, s17, -1
	s_cmp_lg_u32 s17, 0
	s_cselect_b32 s7, s15, s7
	s_cselect_b32 s6, s14, s6
	s_cbranch_execnz .LBB150_391
.LBB150_390:                            ;   in Loop: Header=BB150_18 Depth=1
	v_cvt_f32_u32_e32 v2, s53
	s_sub_i32 s7, 0, s53
	v_rcp_iflag_f32_e32 v2, v2
	v_mul_f32_e32 v2, 0x4f7ffffe, v2
	v_cvt_u32_f32_e32 v2, v2
	v_readfirstlane_b32 s6, v2
	s_mul_i32 s7, s7, s6
	s_mul_hi_u32 s7, s6, s7
	s_add_i32 s6, s6, s7
	s_mul_hi_u32 s6, s94, s6
	s_mul_i32 s6, s6, s53
	s_sub_i32 s6, s94, s6
	s_sub_i32 s7, s6, s53
	s_cmp_ge_u32 s6, s53
	s_cselect_b32 s6, s7, s6
	s_sub_i32 s7, s6, s53
	s_cmp_ge_u32 s6, s53
	s_cselect_b32 s68, s7, s6
	s_mov_b64 s[6:7], s[68:69]
.LBB150_391:                            ;   in Loop: Header=BB150_18 Depth=1
	s_sub_u32 s6, s94, s6
	s_subb_u32 s7, s71, s7
	s_mov_b32 s14, exec_lo
                                        ; implicit-def: $vgpr18
	v_cmpx_gt_u64_e64 s[6:7], v[0:1]
	s_cbranch_execz .LBB150_400
; %bb.392:                              ;   in Loop: Header=BB150_18 Depth=1
	v_mov_b32_e32 v3, v1
	v_mov_b32_e32 v2, v0
	s_mov_b32 s15, 0
                                        ; implicit-def: $sgpr17
	s_branch .LBB150_395
.LBB150_393:                            ;   in Loop: Header=BB150_395 Depth=2
	s_or_b32 exec_lo, exec_lo, s56
	s_waitcnt lgkmcnt(0)
	s_barrier
	buffer_gl0_inv
	ds_read_b64 v[17:18], v13 offset:3072
	s_mov_b32 s45, -1
	s_mov_b32 s44, -1
	s_waitcnt lgkmcnt(0)
	s_barrier
	buffer_gl0_inv
	v_cmp_eq_u32_e32 vcc_lo, 0, v17
	s_cbranch_vccnz .LBB150_398
.LBB150_394:                            ;   in Loop: Header=BB150_395 Depth=2
	s_and_b32 s45, exec_lo, s45
	s_or_b32 s15, s45, s15
	s_andn2_b32 s17, s17, exec_lo
	s_and_b32 s44, s44, exec_lo
	s_or_b32 s17, s17, s44
	s_andn2_b32 exec_lo, exec_lo, s15
	s_cbranch_execz .LBB150_399
.LBB150_395:                            ;   Parent Loop BB150_18 Depth=1
                                        ; =>  This Inner Loop Header: Depth=2
	s_mov_b32 s56, exec_lo
	v_cmpx_gt_u64_e64 s[28:29], v[2:3]
	s_cbranch_execz .LBB150_393
; %bb.396:                              ;   in Loop: Header=BB150_395 Depth=2
	v_mul_lo_u32 v9, v3, s26
	v_mul_lo_u32 v12, v2, s27
	v_mad_u64_u32 v[6:7], null, v2, s26, 0
	v_add3_u32 v7, v7, v12, v9
	v_lshlrev_b64 v[6:7], 2, v[6:7]
	v_add_co_u32 v6, vcc_lo, s33, v6
	v_add_co_ci_u32_e64 v7, null, s35, v7, vcc_lo
	global_load_dword v17, v[6:7], off
	s_waitcnt vmcnt(0)
	v_xor_b32_e32 v6, 0x80000000, v17
	v_and_b32_e32 v6, v6, v30
	v_cmp_eq_u32_e32 vcc_lo, v6, v25
	s_and_b32 exec_lo, exec_lo, vcc_lo
	s_cbranch_execz .LBB150_393
; %bb.397:                              ;   in Loop: Header=BB150_395 Depth=2
	ds_write_b64 v13, v[16:17] offset:3072
	s_branch .LBB150_393
.LBB150_398:                            ;   in Loop: Header=BB150_395 Depth=2
	v_add_co_u32 v2, vcc_lo, v2, s53
	v_add_co_ci_u32_e64 v3, null, 0, v3, vcc_lo
	s_mov_b32 s44, 0
	v_cmp_le_u64_e32 vcc_lo, s[6:7], v[2:3]
	s_orn2_b32 s45, vcc_lo, exec_lo
	s_branch .LBB150_394
.LBB150_399:                            ;   in Loop: Header=BB150_18 Depth=1
	s_or_b32 exec_lo, exec_lo, s15
	s_andn2_b32 s6, s16, exec_lo
	s_and_b32 s7, s17, exec_lo
	s_or_b32 s16, s6, s7
.LBB150_400:                            ;   in Loop: Header=BB150_18 Depth=1
	s_or_b32 exec_lo, exec_lo, s14
	s_mov_b32 s77, 0
	s_mov_b32 s78, -1
.LBB150_401:                            ;   in Loop: Header=BB150_18 Depth=1
	s_orn2_b32 s6, s16, exec_lo
.LBB150_402:                            ;   in Loop: Header=BB150_18 Depth=1
	s_or_b32 exec_lo, exec_lo, s80
	s_mov_b32 s7, 0
	s_and_saveexec_b32 s16, s6
	s_cbranch_execz .LBB150_464
; %bb.403:                              ;   in Loop: Header=BB150_18 Depth=1
	v_mov_b32_e32 v2, 1
	v_mov_b32_e32 v3, 0
	;; [unrolled: 1-line block ×3, first 2 shown]
	s_xor_b32 s14, s79, -1
	s_and_saveexec_b32 s6, s14
	s_cbranch_execz .LBB150_412
; %bb.404:                              ;   in Loop: Header=BB150_18 Depth=1
	s_mov_b32 s7, exec_lo
	v_cmpx_ge_u64_e64 s[12:13], v[4:5]
	s_xor_b32 s7, exec_lo, s7
	s_cbranch_execz .LBB150_409
; %bb.405:                              ;   in Loop: Header=BB150_18 Depth=1
	ds_read_b64 v[2:3], v13 offset:5120
	s_lshl_b32 s14, 1, s63
	v_or_b32_e32 v30, s9, v30
	v_and_or_b32 v25, v25, s24, s14
	s_waitcnt lgkmcnt(0)
	v_cmp_ne_u64_e32 vcc_lo, 0, v[2:3]
	s_cbranch_vccnz .LBB150_409
; %bb.406:                              ;   in Loop: Header=BB150_18 Depth=1
	s_and_saveexec_b32 s14, s3
; %bb.407:                              ;   in Loop: Header=BB150_18 Depth=1
	v_mov_b32_e32 v2, s12
	v_mov_b32_e32 v3, s13
	ds_write_b64 v13, v[2:3] offset:5128
; %bb.408:                              ;   in Loop: Header=BB150_18 Depth=1
	s_or_b32 exec_lo, exec_lo, s14
	s_waitcnt lgkmcnt(0)
	s_barrier
	buffer_gl0_inv
.LBB150_409:                            ;   in Loop: Header=BB150_18 Depth=1
	s_or_saveexec_b32 s7, s7
	v_mov_b32_e32 v8, 5
	s_mov_b32 s14, 0
	s_xor_b32 exec_lo, exec_lo, s7
; %bb.410:                              ;   in Loop: Header=BB150_18 Depth=1
	v_sub_co_u32 v4, vcc_lo, v4, s12
	v_subrev_co_ci_u32_e64 v5, null, s13, v5, vcc_lo
	v_mov_b32_e32 v8, 0
	s_mov_b32 s14, exec_lo
; %bb.411:                              ;   in Loop: Header=BB150_18 Depth=1
	s_or_b32 exec_lo, exec_lo, s7
	v_mov_b32_e32 v2, v4
	v_mov_b32_e32 v3, v5
	s_and_b32 s7, s14, exec_lo
.LBB150_412:                            ;   in Loop: Header=BB150_18 Depth=1
	s_or_b32 exec_lo, exec_lo, s6
	s_mov_b32 s6, -1
                                        ; implicit-def: $sgpr56
                                        ; implicit-def: $sgpr70
	s_and_saveexec_b32 s17, s7
	s_cbranch_execz .LBB150_463
; %bb.413:                              ;   in Loop: Header=BB150_18 Depth=1
	v_cmp_eq_u64_e32 vcc_lo, 1, v[2:3]
	s_cmp_eq_u64 s[10:11], 1
	s_mov_b32 s7, -1
	s_cselect_b32 s6, -1, 0
                                        ; implicit-def: $sgpr56
                                        ; implicit-def: $sgpr70
	s_and_b32 s79, s6, vcc_lo
	s_and_saveexec_b32 s80, s79
	s_cbranch_execz .LBB150_451
; %bb.414:                              ;   in Loop: Header=BB150_18 Depth=1
	ds_read_b64 v[4:5], v13 offset:5120
	s_waitcnt lgkmcnt(0)
	s_barrier
	buffer_gl0_inv
	v_readfirstlane_b32 s6, v4
	v_readfirstlane_b32 s7, v5
	s_and_saveexec_b32 s12, s8
; %bb.415:                              ;   in Loop: Header=BB150_18 Depth=1
	ds_write_b32 v26, v13
; %bb.416:                              ;   in Loop: Header=BB150_18 Depth=1
	s_or_b32 exec_lo, exec_lo, s12
	v_and_b32_e32 v25, s24, v25
	v_or_b32_e32 v30, s9, v30
	s_mov_b32 s70, -1
	s_mov_b32 s56, 0
	s_cmp_eq_u64 s[6:7], 0
	s_mov_b32 s14, 0
	s_mov_b32 s15, -1
	s_waitcnt lgkmcnt(0)
	s_barrier
	buffer_gl0_inv
                                        ; implicit-def: $vgpr18
	s_cbranch_scc1 .LBB150_434
; %bb.417:                              ;   in Loop: Header=BB150_18 Depth=1
	s_add_u32 s57, s6, s92
	s_addc_u32 s13, s7, s93
	s_mov_b32 s12, s69
	s_cmp_lg_u64 s[12:13], 0
	s_cbranch_scc0 .LBB150_421
; %bb.418:                              ;   in Loop: Header=BB150_18 Depth=1
	v_cvt_f32_u32_e32 v4, s53
	s_sub_u32 s15, 0, s53
	s_subb_u32 s44, 0, 0
	v_fmac_f32_e64 v4, 0x4f800000, 0
	v_rcp_f32_e32 v4, v4
	v_mul_f32_e32 v4, 0x5f7ffffc, v4
	v_mul_f32_e32 v5, 0x2f800000, v4
	v_trunc_f32_e32 v5, v5
	v_fmac_f32_e32 v4, 0xcf800000, v5
	v_cvt_u32_f32_e32 v5, v5
	v_cvt_u32_f32_e32 v4, v4
	v_readfirstlane_b32 s12, v5
	v_readfirstlane_b32 s14, v4
	s_mul_i32 s45, s15, s12
	s_mul_hi_u32 s47, s15, s14
	s_mul_i32 s46, s44, s14
	s_add_i32 s45, s47, s45
	s_mul_i32 s68, s15, s14
	s_add_i32 s45, s45, s46
	s_mul_hi_u32 s47, s14, s68
	s_mul_i32 s82, s14, s45
	s_mul_hi_u32 s81, s12, s68
	s_mul_i32 s46, s12, s68
	s_mul_hi_u32 s68, s14, s45
	s_add_u32 s47, s47, s82
	s_addc_u32 s68, 0, s68
	s_mul_hi_u32 s83, s12, s45
	s_add_u32 s46, s47, s46
	s_mul_i32 s45, s12, s45
	s_addc_u32 s46, s68, s81
	s_addc_u32 s47, s83, 0
	s_add_u32 s45, s46, s45
	s_addc_u32 s46, 0, s47
	s_add_u32 s14, s14, s45
	s_cselect_b32 s45, -1, 0
	s_mul_hi_u32 s47, s15, s14
	s_cmp_lg_u32 s45, 0
	s_mul_i32 s45, s15, s14
	s_addc_u32 s12, s12, s46
	s_mul_i32 s44, s44, s14
	s_mul_i32 s15, s15, s12
	s_mul_hi_u32 s46, s14, s45
	s_add_i32 s15, s47, s15
	s_mul_hi_u32 s47, s12, s45
	s_add_i32 s15, s15, s44
	s_mul_i32 s44, s12, s45
	s_mul_i32 s81, s14, s15
	s_mul_hi_u32 s68, s14, s15
	s_add_u32 s46, s46, s81
	s_addc_u32 s68, 0, s68
	s_mul_hi_u32 s45, s12, s15
	s_add_u32 s44, s46, s44
	s_mul_i32 s15, s12, s15
	s_addc_u32 s44, s68, s47
	s_addc_u32 s45, s45, 0
	s_add_u32 s15, s44, s15
	s_addc_u32 s44, 0, s45
	s_add_u32 s14, s14, s15
	s_cselect_b32 s15, -1, 0
	s_mul_hi_u32 s45, s57, s14
	s_cmp_lg_u32 s15, 0
	s_mul_hi_u32 s15, s13, s14
	s_addc_u32 s12, s12, s44
	s_mul_i32 s14, s13, s14
	s_mul_i32 s46, s57, s12
	s_mul_hi_u32 s44, s57, s12
	s_add_u32 s45, s45, s46
	s_addc_u32 s44, 0, s44
	s_mul_hi_u32 s47, s13, s12
	s_add_u32 s14, s45, s14
	s_mul_i32 s12, s13, s12
	s_addc_u32 s14, s44, s15
	s_addc_u32 s15, s47, 0
	s_add_u32 s12, s14, s12
	s_addc_u32 s14, 0, s15
	s_mul_hi_u32 s15, s53, s12
	s_mul_i32 s14, s53, s14
	s_mul_i32 s12, s53, s12
	s_add_i32 s15, s15, s14
	s_sub_u32 s12, s57, s12
	s_cselect_b32 s14, -1, 0
	s_cmp_lg_u32 s14, 0
	s_subb_u32 s14, s13, s15
	s_sub_u32 s15, s12, s53
	s_cselect_b32 s44, -1, 0
	s_cmp_lg_u32 s44, 0
	s_subb_u32 s44, s14, 0
	;; [unrolled: 4-line block ×3, first 2 shown]
	s_cmp_ge_u32 s15, s53
	s_cselect_b32 s47, -1, 0
	s_cmp_eq_u32 s44, 0
	s_cselect_b32 s47, s47, -1
	s_cmp_lg_u32 s47, 0
	s_cselect_b32 s44, s46, s44
	s_cselect_b32 s45, s45, s15
	s_cmp_ge_u32 s12, s53
	s_cselect_b32 s15, -1, 0
	s_cmp_eq_u32 s14, 0
	s_cselect_b32 s15, s15, -1
	s_cmp_lg_u32 s15, 0
	s_cselect_b32 s15, s44, s14
	s_cselect_b32 s14, s45, s12
	s_mov_b32 s12, 0
	s_branch .LBB150_422
.LBB150_419:                            ;   in Loop: Header=BB150_18 Depth=1
                                        ; implicit-def: $sgpr16_sgpr17
	s_branch .LBB150_374
.LBB150_420:                            ;   in Loop: Header=BB150_18 Depth=1
                                        ; implicit-def: $sgpr6_sgpr7
	s_branch .LBB150_390
.LBB150_421:                            ;   in Loop: Header=BB150_18 Depth=1
	s_mov_b32 s12, -1
                                        ; implicit-def: $sgpr14_sgpr15
.LBB150_422:                            ;   in Loop: Header=BB150_18 Depth=1
	s_andn2_b32 vcc_lo, exec_lo, s12
	s_cbranch_vccnz .LBB150_424
; %bb.423:                              ;   in Loop: Header=BB150_18 Depth=1
	v_cvt_f32_u32_e32 v4, s53
	s_sub_i32 s14, 0, s53
	v_rcp_iflag_f32_e32 v4, v4
	v_mul_f32_e32 v4, 0x4f7ffffe, v4
	v_cvt_u32_f32_e32 v4, v4
	v_readfirstlane_b32 s12, v4
	s_mul_i32 s14, s14, s12
	s_mul_hi_u32 s14, s12, s14
	s_add_i32 s12, s12, s14
	s_mul_hi_u32 s12, s57, s12
	s_mul_i32 s12, s12, s53
	s_sub_i32 s12, s57, s12
	s_sub_i32 s14, s12, s53
	s_cmp_ge_u32 s12, s53
	s_cselect_b32 s12, s14, s12
	s_sub_i32 s14, s12, s53
	s_cmp_ge_u32 s12, s53
	s_cselect_b32 s68, s14, s12
	s_mov_b64 s[14:15], s[68:69]
.LBB150_424:                            ;   in Loop: Header=BB150_18 Depth=1
	s_sub_u32 s12, s57, s14
	s_subb_u32 s13, s13, s15
	s_mov_b32 s15, 0
	s_mov_b32 s14, 0
	s_mov_b32 s57, exec_lo
                                        ; implicit-def: $vgpr18
	v_cmpx_gt_u64_e64 s[12:13], v[0:1]
	s_cbranch_execz .LBB150_433
; %bb.425:                              ;   in Loop: Header=BB150_18 Depth=1
	v_mov_b32_e32 v5, v1
	v_mov_b32_e32 v6, v14
	;; [unrolled: 1-line block ×3, first 2 shown]
                                        ; implicit-def: $sgpr68
	s_inst_prefetch 0x1
	s_branch .LBB150_428
	.p2align	6
.LBB150_426:                            ;   in Loop: Header=BB150_428 Depth=2
	s_or_b32 exec_lo, exec_lo, s81
	s_waitcnt lgkmcnt(0)
	s_barrier
	buffer_gl0_inv
	ds_read_b64 v[17:18], v13 offset:3072
	s_mov_b32 s44, -1
	s_mov_b32 s45, -1
	s_waitcnt lgkmcnt(0)
	s_barrier
	buffer_gl0_inv
	v_cmp_ne_u32_e32 vcc_lo, 0, v17
	s_cbranch_vccz .LBB150_431
.LBB150_427:                            ;   in Loop: Header=BB150_428 Depth=2
	s_and_b32 s44, exec_lo, s44
	s_or_b32 s14, s44, s14
	s_andn2_b32 s44, s68, exec_lo
	s_and_b32 s45, s45, exec_lo
	s_or_b32 s68, s44, s45
	s_andn2_b32 exec_lo, exec_lo, s14
	s_cbranch_execz .LBB150_432
.LBB150_428:                            ;   Parent Loop BB150_18 Depth=1
                                        ; =>  This Inner Loop Header: Depth=2
	s_mov_b32 s81, exec_lo
	v_cmpx_gt_u64_e64 s[6:7], v[4:5]
	s_cbranch_execz .LBB150_426
; %bb.429:                              ;   in Loop: Header=BB150_428 Depth=2
	ds_read_b32 v17, v6
	s_waitcnt lgkmcnt(0)
	v_xor_b32_e32 v7, 0x80000000, v17
	v_and_b32_e32 v7, v7, v30
	v_cmp_eq_u32_e32 vcc_lo, v7, v25
	s_and_b32 exec_lo, exec_lo, vcc_lo
	s_cbranch_execz .LBB150_426
; %bb.430:                              ;   in Loop: Header=BB150_428 Depth=2
	ds_write_b64 v13, v[16:17] offset:3072
	s_branch .LBB150_426
.LBB150_431:                            ;   in Loop: Header=BB150_428 Depth=2
	v_add_co_u32 v4, vcc_lo, v4, s53
	v_add_co_ci_u32_e64 v5, null, 0, v5, vcc_lo
	v_add_nc_u32_e32 v6, s98, v6
	s_mov_b32 s45, 0
	v_cmp_le_u64_e32 vcc_lo, s[12:13], v[4:5]
	s_orn2_b32 s44, vcc_lo, exec_lo
	s_branch .LBB150_427
.LBB150_432:                            ;   in Loop: Header=BB150_18 Depth=1
	s_inst_prefetch 0x2
	s_or_b32 exec_lo, exec_lo, s14
	s_and_b32 s14, s68, exec_lo
.LBB150_433:                            ;   in Loop: Header=BB150_18 Depth=1
	s_or_b32 exec_lo, exec_lo, s57
.LBB150_434:                            ;   in Loop: Header=BB150_18 Depth=1
	s_and_b32 vcc_lo, exec_lo, s15
	s_cbranch_vccz .LBB150_450
; %bb.435:                              ;   in Loop: Header=BB150_18 Depth=1
	s_mov_b32 s70, s69
	s_cmp_lg_u64 s[70:71], 0
	s_cbranch_scc0 .LBB150_437
; %bb.436:                              ;   in Loop: Header=BB150_18 Depth=1
	v_cvt_f32_u32_e32 v4, s53
	s_sub_u32 s12, 0, s53
	s_subb_u32 s13, 0, 0
	v_fmac_f32_e64 v4, 0x4f800000, 0
	v_rcp_f32_e32 v4, v4
	v_mul_f32_e32 v4, 0x5f7ffffc, v4
	v_mul_f32_e32 v5, 0x2f800000, v4
	v_trunc_f32_e32 v5, v5
	v_fmac_f32_e32 v4, 0xcf800000, v5
	v_cvt_u32_f32_e32 v5, v5
	v_cvt_u32_f32_e32 v4, v4
	v_readfirstlane_b32 s6, v5
	v_readfirstlane_b32 s7, v4
	s_mul_i32 s15, s12, s6
	s_mul_hi_u32 s45, s12, s7
	s_mul_i32 s44, s13, s7
	s_add_i32 s15, s45, s15
	s_mul_i32 s46, s12, s7
	s_add_i32 s15, s15, s44
	s_mul_hi_u32 s45, s7, s46
	s_mul_i32 s56, s7, s15
	s_mul_hi_u32 s47, s6, s46
	s_mul_i32 s44, s6, s46
	s_mul_hi_u32 s46, s7, s15
	s_add_u32 s45, s45, s56
	s_addc_u32 s46, 0, s46
	s_mul_hi_u32 s57, s6, s15
	s_add_u32 s44, s45, s44
	s_mul_i32 s15, s6, s15
	s_addc_u32 s44, s46, s47
	s_addc_u32 s45, s57, 0
	s_add_u32 s15, s44, s15
	s_addc_u32 s44, 0, s45
	s_add_u32 s7, s7, s15
	s_cselect_b32 s15, -1, 0
	s_mul_hi_u32 s45, s12, s7
	s_cmp_lg_u32 s15, 0
	s_mul_i32 s15, s12, s7
	s_addc_u32 s6, s6, s44
	s_mul_i32 s13, s13, s7
	s_mul_i32 s12, s12, s6
	s_mul_hi_u32 s44, s7, s15
	s_add_i32 s12, s45, s12
	s_mul_hi_u32 s45, s6, s15
	s_add_i32 s12, s12, s13
	s_mul_i32 s13, s6, s15
	s_mul_i32 s47, s7, s12
	s_mul_hi_u32 s46, s7, s12
	s_add_u32 s44, s44, s47
	s_addc_u32 s46, 0, s46
	s_mul_hi_u32 s15, s6, s12
	s_add_u32 s13, s44, s13
	s_mul_i32 s12, s6, s12
	s_addc_u32 s13, s46, s45
	s_addc_u32 s15, s15, 0
	s_add_u32 s12, s13, s12
	s_addc_u32 s13, 0, s15
	s_add_u32 s7, s7, s12
	s_cselect_b32 s12, -1, 0
	s_mul_hi_u32 s15, s94, s7
	s_cmp_lg_u32 s12, 0
	s_mul_hi_u32 s12, s71, s7
	s_addc_u32 s6, s6, s13
	s_mul_i32 s7, s71, s7
	s_mul_i32 s44, s94, s6
	s_mul_hi_u32 s13, s94, s6
	s_add_u32 s15, s15, s44
	s_addc_u32 s13, 0, s13
	s_mul_hi_u32 s45, s71, s6
	s_add_u32 s7, s15, s7
	s_mul_i32 s6, s71, s6
	s_addc_u32 s7, s13, s12
	s_addc_u32 s12, s45, 0
	s_add_u32 s6, s7, s6
	s_addc_u32 s7, 0, s12
	s_mul_hi_u32 s12, s53, s6
	s_mul_i32 s7, s53, s7
	s_mul_i32 s6, s53, s6
	s_add_i32 s12, s12, s7
	s_sub_u32 s6, s94, s6
	s_cselect_b32 s7, -1, 0
	s_cmp_lg_u32 s7, 0
	s_subb_u32 s7, s71, s12
	s_sub_u32 s12, s6, s53
	s_cselect_b32 s13, -1, 0
	s_cmp_lg_u32 s13, 0
	s_subb_u32 s13, s7, 0
	;; [unrolled: 4-line block ×3, first 2 shown]
	s_cmp_ge_u32 s12, s53
	s_cselect_b32 s45, -1, 0
	s_cmp_eq_u32 s13, 0
	s_cselect_b32 s45, s45, -1
	s_cmp_lg_u32 s45, 0
	s_cselect_b32 s13, s44, s13
	s_cselect_b32 s12, s15, s12
	s_cmp_ge_u32 s6, s53
	s_cselect_b32 s15, -1, 0
	s_cmp_eq_u32 s7, 0
	s_cselect_b32 s15, s15, -1
	s_cmp_lg_u32 s15, 0
	s_cselect_b32 s7, s13, s7
	s_cselect_b32 s6, s12, s6
	s_mov_b32 s12, 0
	s_branch .LBB150_438
.LBB150_437:                            ;   in Loop: Header=BB150_18 Depth=1
	s_mov_b32 s12, -1
                                        ; implicit-def: $sgpr6_sgpr7
.LBB150_438:                            ;   in Loop: Header=BB150_18 Depth=1
	s_andn2_b32 vcc_lo, exec_lo, s12
	s_cbranch_vccnz .LBB150_440
; %bb.439:                              ;   in Loop: Header=BB150_18 Depth=1
	v_cvt_f32_u32_e32 v4, s53
	s_sub_i32 s7, 0, s53
	v_rcp_iflag_f32_e32 v4, v4
	v_mul_f32_e32 v4, 0x4f7ffffe, v4
	v_cvt_u32_f32_e32 v4, v4
	v_readfirstlane_b32 s6, v4
	s_mul_i32 s7, s7, s6
	s_mul_hi_u32 s7, s6, s7
	s_add_i32 s6, s6, s7
	s_mul_hi_u32 s6, s94, s6
	s_mul_i32 s6, s6, s53
	s_sub_i32 s6, s94, s6
	s_sub_i32 s7, s6, s53
	s_cmp_ge_u32 s6, s53
	s_cselect_b32 s6, s7, s6
	s_sub_i32 s7, s6, s53
	s_cmp_ge_u32 s6, s53
	s_cselect_b32 s68, s7, s6
	s_mov_b64 s[6:7], s[68:69]
.LBB150_440:                            ;   in Loop: Header=BB150_18 Depth=1
	s_sub_u32 s6, s94, s6
	s_subb_u32 s7, s71, s7
	s_mov_b32 s12, exec_lo
                                        ; implicit-def: $vgpr18
	v_cmpx_gt_u64_e64 s[6:7], v[0:1]
	s_cbranch_execz .LBB150_449
; %bb.441:                              ;   in Loop: Header=BB150_18 Depth=1
	v_mov_b32_e32 v5, v1
	v_mov_b32_e32 v4, v0
	s_mov_b32 s13, 0
                                        ; implicit-def: $sgpr15
	s_branch .LBB150_444
.LBB150_442:                            ;   in Loop: Header=BB150_444 Depth=2
	s_or_b32 exec_lo, exec_lo, s56
	s_waitcnt lgkmcnt(0)
	s_barrier
	buffer_gl0_inv
	ds_read_b64 v[17:18], v13 offset:3072
	s_mov_b32 s45, -1
	s_mov_b32 s44, -1
	s_waitcnt lgkmcnt(0)
	s_barrier
	buffer_gl0_inv
	v_cmp_eq_u32_e32 vcc_lo, 0, v17
	s_cbranch_vccnz .LBB150_447
.LBB150_443:                            ;   in Loop: Header=BB150_444 Depth=2
	s_and_b32 s45, exec_lo, s45
	s_or_b32 s13, s45, s13
	s_andn2_b32 s15, s15, exec_lo
	s_and_b32 s44, s44, exec_lo
	s_or_b32 s15, s15, s44
	s_andn2_b32 exec_lo, exec_lo, s13
	s_cbranch_execz .LBB150_448
.LBB150_444:                            ;   Parent Loop BB150_18 Depth=1
                                        ; =>  This Inner Loop Header: Depth=2
	s_mov_b32 s56, exec_lo
	v_cmpx_gt_u64_e64 s[28:29], v[4:5]
	s_cbranch_execz .LBB150_442
; %bb.445:                              ;   in Loop: Header=BB150_444 Depth=2
	v_mul_lo_u32 v9, v5, s26
	v_mul_lo_u32 v12, v4, s27
	v_mad_u64_u32 v[6:7], null, v4, s26, 0
	v_add3_u32 v7, v7, v12, v9
	v_lshlrev_b64 v[6:7], 2, v[6:7]
	v_add_co_u32 v6, vcc_lo, s33, v6
	v_add_co_ci_u32_e64 v7, null, s35, v7, vcc_lo
	global_load_dword v17, v[6:7], off
	s_waitcnt vmcnt(0)
	v_xor_b32_e32 v6, 0x80000000, v17
	v_and_b32_e32 v6, v6, v30
	v_cmp_eq_u32_e32 vcc_lo, v6, v25
	s_and_b32 exec_lo, exec_lo, vcc_lo
	s_cbranch_execz .LBB150_442
; %bb.446:                              ;   in Loop: Header=BB150_444 Depth=2
	ds_write_b64 v13, v[16:17] offset:3072
	s_branch .LBB150_442
.LBB150_447:                            ;   in Loop: Header=BB150_444 Depth=2
	v_add_co_u32 v4, vcc_lo, v4, s53
	v_add_co_ci_u32_e64 v5, null, 0, v5, vcc_lo
	s_mov_b32 s44, 0
	v_cmp_le_u64_e32 vcc_lo, s[6:7], v[4:5]
	s_orn2_b32 s45, vcc_lo, exec_lo
	s_branch .LBB150_443
.LBB150_448:                            ;   in Loop: Header=BB150_18 Depth=1
	s_or_b32 exec_lo, exec_lo, s13
	s_andn2_b32 s6, s14, exec_lo
	s_and_b32 s7, s15, exec_lo
	s_or_b32 s14, s6, s7
.LBB150_449:                            ;   in Loop: Header=BB150_18 Depth=1
	s_or_b32 exec_lo, exec_lo, s12
	s_mov_b32 s70, 0
	s_mov_b32 s56, -1
.LBB150_450:                            ;   in Loop: Header=BB150_18 Depth=1
	s_orn2_b32 s7, s14, exec_lo
.LBB150_451:                            ;   in Loop: Header=BB150_18 Depth=1
	s_or_b32 exec_lo, exec_lo, s80
	s_mov_b32 s12, 0
	s_and_saveexec_b32 s6, s7
	s_cbranch_execz .LBB150_462
; %bb.452:                              ;   in Loop: Header=BB150_18 Depth=1
	v_mov_b32_e32 v4, 1
	v_mov_b32_e32 v5, 0
	;; [unrolled: 1-line block ×3, first 2 shown]
	s_xor_b32 s12, s79, -1
	s_and_saveexec_b32 s7, s12
	s_cbranch_execz .LBB150_461
; %bb.453:                              ;   in Loop: Header=BB150_18 Depth=1
	s_mov_b32 s12, exec_lo
	v_cmpx_ge_u64_e64 s[10:11], v[2:3]
	s_xor_b32 s12, exec_lo, s12
	s_cbranch_execz .LBB150_458
; %bb.454:                              ;   in Loop: Header=BB150_18 Depth=1
	ds_read_b64 v[4:5], v13 offset:5120
	v_and_b32_e32 v25, s24, v25
	v_or_b32_e32 v30, s9, v30
	s_waitcnt lgkmcnt(0)
	v_cmp_ne_u64_e32 vcc_lo, 0, v[4:5]
	s_cbranch_vccnz .LBB150_458
; %bb.455:                              ;   in Loop: Header=BB150_18 Depth=1
	s_and_saveexec_b32 s9, s3
; %bb.456:                              ;   in Loop: Header=BB150_18 Depth=1
	v_mov_b32_e32 v4, s10
	v_mov_b32_e32 v5, s11
	ds_write_b64 v13, v[4:5] offset:5128
; %bb.457:                              ;   in Loop: Header=BB150_18 Depth=1
	s_or_b32 exec_lo, exec_lo, s9
	s_waitcnt lgkmcnt(0)
	s_barrier
	buffer_gl0_inv
.LBB150_458:                            ;   in Loop: Header=BB150_18 Depth=1
	s_andn2_saveexec_b32 s9, s12
; %bb.459:                              ;   in Loop: Header=BB150_18 Depth=1
	v_sub_co_u32 v2, vcc_lo, v2, s10
	v_subrev_co_ci_u32_e64 v3, null, s11, v3, vcc_lo
; %bb.460:                              ;   in Loop: Header=BB150_18 Depth=1
	s_or_b32 exec_lo, exec_lo, s9
	v_mov_b32_e32 v5, v3
	v_mov_b32_e32 v8, 5
	;; [unrolled: 1-line block ×3, first 2 shown]
.LBB150_461:                            ;   in Loop: Header=BB150_18 Depth=1
	s_or_b32 exec_lo, exec_lo, s7
	v_mov_b32_e32 v2, v4
	v_mov_b32_e32 v3, v5
	s_mov_b32 s12, exec_lo
.LBB150_462:                            ;   in Loop: Header=BB150_18 Depth=1
	s_or_b32 exec_lo, exec_lo, s6
	s_orn2_b32 s6, s12, exec_lo
.LBB150_463:                            ;   in Loop: Header=BB150_18 Depth=1
	s_or_b32 exec_lo, exec_lo, s17
	v_mov_b32_e32 v5, v3
	v_mov_b32_e32 v4, v2
	s_andn2_b32 s7, s78, exec_lo
	s_and_b32 s9, s56, exec_lo
	s_andn2_b32 s10, s77, exec_lo
	s_and_b32 s11, s70, exec_lo
	s_or_b32 s78, s7, s9
	s_or_b32 s77, s10, s11
	s_and_b32 s7, s6, exec_lo
.LBB150_464:                            ;   in Loop: Header=BB150_18 Depth=1
	s_or_b32 exec_lo, exec_lo, s16
	s_orn2_b32 s6, s7, exec_lo
.LBB150_465:                            ;   in Loop: Header=BB150_18 Depth=1
	s_or_b32 exec_lo, exec_lo, s19
	v_mov_b32_e32 v2, v4
	v_mov_b32_e32 v3, v5
	s_andn2_b32 s7, s75, exec_lo
	s_and_b32 s9, s78, exec_lo
	s_andn2_b32 s10, s74, exec_lo
	s_and_b32 s11, s77, exec_lo
	s_or_b32 s75, s7, s9
	s_or_b32 s74, s10, s11
	s_and_b32 s7, s6, exec_lo
.LBB150_466:                            ;   in Loop: Header=BB150_18 Depth=1
	s_or_b32 exec_lo, exec_lo, s18
	s_orn2_b32 s6, s7, exec_lo
.LBB150_467:                            ;   in Loop: Header=BB150_18 Depth=1
	s_or_b32 exec_lo, exec_lo, s21
	s_mov_b32 s7, s23
	s_mov_b32 s9, s22
	s_and_saveexec_b32 s10, s6
; %bb.468:                              ;   in Loop: Header=BB150_18 Depth=1
	v_cmp_ne_u32_e32 vcc_lo, 5, v8
	v_cmp_eq_u32_e64 s6, 5, v8
	s_andn2_b32 s7, s22, exec_lo
	s_andn2_b32 s11, s23, exec_lo
	s_and_b32 s9, vcc_lo, exec_lo
	s_and_b32 s6, s6, exec_lo
	s_or_b32 s9, s7, s9
	s_or_b32 s7, s11, s6
; %bb.469:                              ;   in Loop: Header=BB150_18 Depth=1
	s_or_b32 exec_lo, exec_lo, s10
	s_andn2_b32 s6, s76, exec_lo
	s_and_b32 s10, s75, exec_lo
	s_andn2_b32 s11, s25, exec_lo
	s_and_b32 s12, s74, exec_lo
	s_or_b32 s76, s6, s10
	s_andn2_b32 s6, s22, exec_lo
	s_and_b32 s9, s9, exec_lo
	s_andn2_b32 s10, s23, exec_lo
	s_and_b32 s7, s7, exec_lo
	s_or_b32 s25, s11, s12
	s_or_b32 s22, s6, s9
	;; [unrolled: 1-line block ×3, first 2 shown]
.LBB150_470:                            ;   in Loop: Header=BB150_18 Depth=1
	s_or_b32 exec_lo, exec_lo, s20
	s_mov_b32 s74, 0
	s_mov_b32 s75, 0
	s_and_saveexec_b32 s6, s23
.LBB150_471:                            ;   in Loop: Header=BB150_18 Depth=1
	v_mov_b32_e32 v8, 0
	s_or_b32 s22, s22, exec_lo
.LBB150_472:                            ;   in Loop: Header=BB150_18 Depth=1
	s_or_b32 exec_lo, exec_lo, s6
	s_andn2_b32 s6, s51, exec_lo
	s_and_b32 s9, s76, exec_lo
	s_andn2_b32 s10, s49, exec_lo
	s_and_b32 s11, s25, exec_lo
	v_mov_b32_e32 v20, v3
	v_mov_b32_e32 v19, v2
	s_or_b32 s51, s6, s9
	s_or_b32 s49, s10, s11
	s_andn2_b32 s6, s65, exec_lo
	s_and_b32 s9, s75, exec_lo
	s_andn2_b32 s10, s64, exec_lo
	s_and_b32 s11, s74, exec_lo
	s_mov_b32 s7, -1
	s_andn2_b32 s50, s50, exec_lo
	s_or_b32 s65, s6, s9
	s_or_b32 s64, s10, s11
	s_and_saveexec_b32 s6, s22
	s_xor_b32 s6, exec_lo, s6
	s_cbranch_execz .LBB150_17
; %bb.473:                              ;   in Loop: Header=BB150_18 Depth=1
	s_mov_b32 s9, -1
	s_mov_b32 s10, exec_lo
	v_cmpx_eq_u32_e32 0, v8
	s_cbranch_execz .LBB150_16
; %bb.474:                              ;   in Loop: Header=BB150_18 Depth=1
	s_xor_b32 vcc_hi, vcc_hi, 1
	s_add_i32 s11, s63, -2
	s_cmp_eq_u32 s63, 0
	s_mov_b32 s63, s11
	s_cselect_b32 s7, -1, 0
	s_xor_b32 s9, exec_lo, -1
	s_orn2_b32 s7, s7, exec_lo
	s_branch .LBB150_16
.LBB150_475:
	s_or_b32 exec_lo, exec_lo, s99
	s_xor_b32 s7, s48, -1
	s_xor_b32 s9, s67, -1
	;; [unrolled: 1-line block ×5, first 2 shown]
	s_mov_b32 s8, 0
	s_and_saveexec_b32 s12, s11
	s_xor_b32 s12, exec_lo, s12
	s_cbranch_execnz .LBB150_480
; %bb.476:
	s_andn2_saveexec_b32 s0, s12
	s_cbranch_execnz .LBB150_499
.LBB150_477:
	s_or_b32 exec_lo, exec_lo, s0
	s_and_saveexec_b32 s0, s8
.LBB150_478:
	; divergent unreachable
.LBB150_479:
	s_endpgm
.LBB150_480:
	s_and_saveexec_b32 s11, s10
	s_xor_b32 s13, exec_lo, s11
	s_cbranch_execz .LBB150_497
; %bb.481:
	s_and_saveexec_b32 s10, s9
	s_xor_b32 s14, exec_lo, s10
	s_cbranch_execz .LBB150_495
; %bb.482:
	;; [unrolled: 4-line block ×3, first 2 shown]
	s_and_saveexec_b32 s7, s6
	s_xor_b32 s6, exec_lo, s7
; %bb.484:
	v_xor_b32_e32 v18, 0x80000000, v25
; %bb.485:
	s_or_b32 exec_lo, exec_lo, s6
	s_and_saveexec_b32 s6, s3
; %bb.486:
	v_mov_b32_e32 v2, 0
	v_mov_b32_e32 v3, v2
	ds_write_b64 v2, v[2:3] offset:5136
; %bb.487:
	s_or_b32 exec_lo, exec_lo, s6
	v_mov_b32_e32 v14, 0
	s_waitcnt lgkmcnt(0)
	s_barrier
	buffer_gl0_inv
	s_and_saveexec_b32 s3, s1
	s_cbranch_execz .LBB150_489
; %bb.488:
	global_load_dword v14, v[10:11], off
.LBB150_489:
	s_or_b32 exec_lo, exec_lo, s3
	s_add_u32 s3, s28, 31
	s_addc_u32 s7, s29, 0
	s_and_b32 s6, s3, 0xffffffe0
	s_mul_i32 s3, s60, s43
	s_mul_hi_u32 s8, s60, s42
	s_mul_i32 s9, s60, s42
	s_clause 0x2
	s_load_dwordx2 s[42:43], s[4:5], 0x450
	s_load_dwordx4 s[48:51], s[4:5], 0x298
	s_load_dwordx2 s[44:45], s[4:5], 0x2a8
	s_add_i32 s8, s8, s3
	s_sub_u32 s3, s34, s9
	s_subb_u32 s8, 0, s8
	s_mul_i32 s17, s54, s38
	v_readlane_b32 s20, v39, 2
	v_readlane_b32 s21, v39, 3
	v_cmp_gt_u64_e32 vcc_lo, s[6:7], v[0:1]
	s_mov_b32 s24, s20
	s_waitcnt lgkmcnt(0)
	s_mul_i32 s9, s3, s43
	s_mul_hi_u32 s10, s3, s42
	s_mul_i32 s8, s8, s42
	s_add_i32 s9, s10, s9
	s_add_i32 s19, s9, s8
	v_readlane_b32 s8, v39, 0
	v_readlane_b32 s9, v39, 1
	s_mov_b32 s22, s8
	s_mul_i32 s8, s8, s37
	s_mul_hi_u32 s9, s22, s36
	s_mul_i32 s10, s22, s36
	s_add_i32 s9, s9, s8
	s_sub_u32 s8, s54, s10
	s_subb_u32 s9, s55, s9
	s_mul_i32 s10, s8, s51
	s_mul_hi_u32 s11, s8, s50
	s_mul_i32 s9, s9, s50
	s_add_i32 s10, s11, s10
	s_mul_i32 s11, s22, s49
	s_mul_hi_u32 s16, s22, s48
	s_add_i32 s9, s10, s9
	s_add_i32 s11, s16, s11
	s_mul_i32 s10, s54, s39
	s_mul_hi_u32 s16, s54, s38
	s_load_dwordx4 s[36:39], s[4:5], 0x440
	s_add_i32 s16, s16, s10
	s_sub_u32 s18, s34, s17
	s_subb_u32 s16, 0, s16
	s_mul_i32 s10, s18, s45
	s_mul_hi_u32 s17, s18, s44
	s_mul_i32 s16, s16, s44
	s_add_i32 s10, s17, s10
	s_mul_i32 s8, s8, s50
	s_add_i32 s17, s10, s16
	s_mul_i32 s10, s20, s41
	s_mul_hi_u32 s16, s20, s40
	s_mul_i32 s20, s20, s40
	s_load_dwordx2 s[40:41], s[4:5], 0x1c8
	s_add_i32 s16, s16, s10
	s_sub_u32 s20, s60, s20
	s_mul_i32 s10, s22, s48
	s_subb_u32 s16, s61, s16
	s_lshl_b64 s[10:11], s[10:11], 2
	s_waitcnt lgkmcnt(0)
	s_mul_i32 s21, s20, s39
	s_mul_hi_u32 s22, s20, s38
	s_mul_i32 s20, s20, s38
	s_add_i32 s21, s22, s21
	s_mul_i32 s22, s16, s38
	s_mul_i32 s16, s18, s44
	s_add_i32 s21, s21, s22
	s_mul_i32 s18, s24, s37
	s_mul_hi_u32 s22, s24, s36
	s_add_i32 s23, s22, s18
	s_mul_i32 s22, s24, s36
	s_add_u32 s10, s40, s10
	s_addc_u32 s11, s41, s11
	s_lshl_b64 s[8:9], s[8:9], 2
	s_add_u32 s18, s10, s8
	s_addc_u32 s24, s11, s9
	s_clause 0x1
	s_load_dwordx2 s[8:9], s[4:5], 0x368
	s_load_dwordx2 s[10:11], s[4:5], 0x510
	s_lshl_b64 s[16:17], s[16:17], 2
	s_add_u32 s5, s18, s16
	s_addc_u32 s16, s24, s17
	v_readlane_b32 s24, v39, 4
	v_readlane_b32 s25, v39, 5
	s_lshl_b64 s[22:23], s[22:23], 3
	s_mul_i32 s18, s3, s42
	s_add_u32 s4, s24, s22
	s_addc_u32 s17, s25, s23
	s_lshl_b64 s[20:21], s[20:21], 3
	s_add_u32 s3, s4, s20
	s_addc_u32 s4, s17, s21
	s_lshl_b64 s[18:19], s[18:19], 3
	s_add_u32 s17, s3, s18
	s_addc_u32 s18, s4, s19
	s_mov_b32 s4, -1
	s_mov_b32 s19, 0
	s_mov_b32 s3, 0
	s_and_saveexec_b32 s20, vcc_lo
	s_cbranch_execnz .LBB150_500
; %bb.490:
	s_or_b32 exec_lo, exec_lo, s20
	s_and_saveexec_b32 s2, s4
	s_cbranch_execnz .LBB150_515
.LBB150_491:
	s_or_b32 exec_lo, exec_lo, s2
	s_and_saveexec_b32 s0, s3
	s_xor_b32 s0, exec_lo, s0
	s_cbranch_execnz .LBB150_538
.LBB150_492:
	s_or_b32 exec_lo, exec_lo, s0
	s_waitcnt lgkmcnt(0)
	s_and_b32 s8, s19, exec_lo
.LBB150_493:
	s_andn2_saveexec_b32 s0, s15
	s_cbranch_execnz .LBB150_540
.LBB150_494:
	s_or_b32 exec_lo, exec_lo, s0
	s_and_b32 s8, s8, exec_lo
.LBB150_495:
	s_andn2_saveexec_b32 s0, s14
	s_cbranch_execnz .LBB150_539
.LBB150_496:
	s_or_b32 exec_lo, exec_lo, s0
	s_and_b32 s8, s8, exec_lo
.LBB150_497:
	s_andn2_saveexec_b32 s0, s13
	s_cbranch_execnz .LBB150_534
.LBB150_498:
	s_or_b32 exec_lo, exec_lo, s0
	s_and_b32 s8, s8, exec_lo
	s_andn2_saveexec_b32 s0, s12
	s_cbranch_execz .LBB150_477
.LBB150_499:
	s_or_b32 s8, s8, exec_lo
	s_trap 2
	s_or_b32 exec_lo, exec_lo, s0
	s_and_saveexec_b32 s0, s8
	s_cbranch_execnz .LBB150_478
	s_branch .LBB150_479
.LBB150_500:
	v_mov_b32_e32 v9, v1
	v_xor_b32_e32 v15, 0x80000000, v18
	v_mov_b32_e32 v3, 0
	v_mov_b32_e32 v8, v0
	s_mov_b32 s21, 0
                                        ; implicit-def: $sgpr22
                                        ; implicit-def: $vgpr6_vgpr7
	s_branch .LBB150_502
.LBB150_501:                            ;   in Loop: Header=BB150_502 Depth=1
	s_or_b32 exec_lo, exec_lo, s24
	s_xor_b32 s3, s23, -1
	s_and_b32 s4, exec_lo, s4
	v_mov_b32_e32 v9, v5
	v_mov_b32_e32 v14, v16
	s_or_b32 s21, s4, s21
	v_mov_b32_e32 v8, v4
	s_andn2_b32 s4, s22, exec_lo
	s_and_b32 s3, s3, exec_lo
	s_or_b32 s22, s4, s3
	s_andn2_b32 exec_lo, exec_lo, s21
	s_cbranch_execz .LBB150_514
.LBB150_502:                            ; =>This Inner Loop Header: Depth=1
	v_add_co_u32 v4, s3, v8, s53
	v_add_co_ci_u32_e64 v5, null, 0, v9, s3
	v_mov_b32_e32 v16, 0
	s_mov_b32 s4, exec_lo
	v_cmpx_gt_u64_e64 s[28:29], v[4:5]
	s_cbranch_execz .LBB150_504
; %bb.503:                              ;   in Loop: Header=BB150_502 Depth=1
	v_mul_lo_u32 v2, v5, s26
	v_mul_lo_u32 v16, v4, s27
	v_mad_u64_u32 v[12:13], null, v4, s26, 0
	v_add3_u32 v13, v13, v16, v2
	v_lshlrev_b64 v[12:13], 2, v[12:13]
	v_add_co_u32 v12, s3, s33, v12
	v_add_co_ci_u32_e64 v13, null, s35, v13, s3
	global_load_dword v16, v[12:13], off
.LBB150_504:                            ;   in Loop: Header=BB150_502 Depth=1
	s_or_b32 exec_lo, exec_lo, s4
	s_waitcnt vmcnt(0)
	v_xor_b32_e32 v2, 0x80000000, v14
	v_cmp_gt_u32_e64 s3, v2, v15
	v_cndmask_b32_e64 v12, 0, 1, s3
	v_cmp_lt_u32_e64 s3, v2, v15
	v_cndmask_b32_e64 v2, 0, 1, s3
	v_cmp_gt_u64_e64 s3, s[28:29], v[8:9]
	v_cndmask_b32_e64 v2, v2, v12, s2
	v_and_b32_e32 v2, 1, v2
	v_cmp_eq_u32_e64 s4, 1, v2
	s_and_b32 s24, s3, s4
	v_cndmask_b32_e64 v2, 0, 1, s24
	v_cmp_ne_u32_e64 s3, 0, v2
	s_cmp_lg_u32 s3, 0
	s_cselect_b32 s4, -1, 0
	s_and_b32 s4, s0, s4
	s_and_saveexec_b32 s23, s4
	s_cbranch_execz .LBB150_508
; %bb.505:                              ;   in Loop: Header=BB150_502 Depth=1
	s_mov_b32 s36, exec_lo
	s_bcnt1_i32_b32 s25, s3
	v_mbcnt_lo_u32_b32 v12, s36, 0
	s_mov_b32 s34, exec_lo
                                        ; implicit-def: $vgpr6_vgpr7
	v_cmpx_eq_u32_e32 0, v12
	s_cbranch_execz .LBB150_507
; %bb.506:                              ;   in Loop: Header=BB150_502 Depth=1
	s_bcnt1_i32_b32 s4, s36
	s_mul_i32 s4, s25, s4
	v_mov_b32_e32 v2, s4
	s_waitcnt lgkmcnt(0)
	ds_add_rtn_u64 v[6:7], v3, v[2:3] offset:5136
.LBB150_507:                            ;   in Loop: Header=BB150_502 Depth=1
	s_or_b32 exec_lo, exec_lo, s34
	s_waitcnt lgkmcnt(0)
	v_readfirstlane_b32 s37, v7
	v_readfirstlane_b32 s36, v6
	v_mad_u64_u32 v[6:7], null, s25, v12, s[36:37]
.LBB150_508:                            ;   in Loop: Header=BB150_502 Depth=1
	s_or_b32 exec_lo, exec_lo, s23
	s_waitcnt lgkmcnt(0)
	ds_bpermute_b32 v6, v3, v6
	ds_bpermute_b32 v7, v3, v7
	s_mov_b32 s4, -1
	s_mov_b32 s25, -1
	s_and_saveexec_b32 s23, s24
	s_cbranch_execz .LBB150_512
; %bb.509:                              ;   in Loop: Header=BB150_502 Depth=1
	v_and_b32_e32 v2, s3, v23
	s_mov_b32 s24, 0
	s_mov_b32 s25, exec_lo
	v_bcnt_u32_b32 v2, v2, 0
	s_waitcnt lgkmcnt(0)
	v_add_co_u32 v12, s3, v6, v2
	v_add_co_ci_u32_e64 v13, null, 0, v7, s3
	v_cmpx_gt_u64_e64 s[30:31], v[12:13]
; %bb.510:                              ;   in Loop: Header=BB150_502 Depth=1
	v_mul_lo_u32 v2, v13, s8
	v_mul_lo_u32 v17, v12, s9
	v_mad_u64_u32 v[19:20], null, v12, s8, 0
	v_mul_lo_u32 v21, v13, s10
	v_mul_lo_u32 v22, v12, s11
	v_mad_u64_u32 v[12:13], null, v12, s10, 0
	s_mov_b32 s24, exec_lo
	v_add3_u32 v20, v20, v17, v2
	v_add3_u32 v13, v13, v22, v21
	v_lshlrev_b64 v[19:20], 2, v[19:20]
	v_lshlrev_b64 v[12:13], 3, v[12:13]
	v_add_co_u32 v19, s3, s5, v19
	v_add_co_ci_u32_e64 v20, null, s16, v20, s3
	v_add_co_u32 v12, s3, s17, v12
	v_add_co_ci_u32_e64 v13, null, s18, v13, s3
	global_store_dword v[19:20], v14, off
	global_store_dwordx2 v[12:13], v[8:9], off
; %bb.511:                              ;   in Loop: Header=BB150_502 Depth=1
	s_or_b32 exec_lo, exec_lo, s25
	s_orn2_b32 s25, s24, exec_lo
.LBB150_512:                            ;   in Loop: Header=BB150_502 Depth=1
	s_or_b32 exec_lo, exec_lo, s23
	s_mov_b32 s23, -1
	s_and_saveexec_b32 s24, s25
	s_cbranch_execz .LBB150_501
; %bb.513:                              ;   in Loop: Header=BB150_502 Depth=1
	v_cmp_le_u64_e64 s3, s[6:7], v[4:5]
	s_xor_b32 s23, exec_lo, -1
	s_orn2_b32 s4, s3, exec_lo
	s_branch .LBB150_501
.LBB150_514:
	s_or_b32 exec_lo, exec_lo, s21
	s_mov_b32 s3, exec_lo
	s_orn2_b32 s4, s22, exec_lo
	s_or_b32 exec_lo, exec_lo, s20
	s_and_saveexec_b32 s2, s4
	s_cbranch_execz .LBB150_491
.LBB150_515:
	v_mov_b32_e32 v2, 0
	s_waitcnt vmcnt(0) lgkmcnt(0)
	s_waitcnt_vscnt null, 0x0
	s_barrier
	buffer_gl0_inv
	s_and_saveexec_b32 s4, s1
	s_cbranch_execz .LBB150_517
; %bb.516:
	global_load_dword v2, v[10:11], off
.LBB150_517:
	s_or_b32 exec_lo, exec_lo, s4
	s_mov_b32 s1, 0
	s_and_saveexec_b32 s4, vcc_lo
	s_cbranch_execz .LBB150_537
; %bb.518:
	v_mov_b32_e32 v3, 0
	s_mov_b32 s19, 0
                                        ; implicit-def: $sgpr20
                                        ; implicit-def: $vgpr6_vgpr7
	s_branch .LBB150_521
.LBB150_519:                            ;   in Loop: Header=BB150_521 Depth=1
	s_or_b32 exec_lo, exec_lo, s21
	s_orn2_b32 s23, s24, exec_lo
	s_orn2_b32 s22, s22, exec_lo
.LBB150_520:                            ;   in Loop: Header=BB150_521 Depth=1
	s_or_b32 exec_lo, exec_lo, s1
	s_xor_b32 s1, s23, -1
	s_and_b32 s21, exec_lo, s22
	v_mov_b32_e32 v0, v4
	v_mov_b32_e32 v1, v5
	s_or_b32 s19, s21, s19
	v_mov_b32_e32 v2, v10
	s_andn2_b32 s20, s20, exec_lo
	s_and_b32 s1, s1, exec_lo
	s_or_b32 s20, s20, s1
	s_andn2_b32 exec_lo, exec_lo, s19
	s_cbranch_execz .LBB150_535
.LBB150_521:                            ; =>This Inner Loop Header: Depth=1
	v_add_co_u32 v4, vcc_lo, v0, s53
	v_add_co_ci_u32_e64 v5, null, 0, v1, vcc_lo
	v_mov_b32_e32 v10, 0
	s_mov_b32 s1, exec_lo
	v_cmpx_gt_u64_e64 s[28:29], v[4:5]
	s_cbranch_execz .LBB150_523
; %bb.522:                              ;   in Loop: Header=BB150_521 Depth=1
	v_mul_lo_u32 v10, v5, s26
	v_mul_lo_u32 v11, v4, s27
	v_mad_u64_u32 v[8:9], null, v4, s26, 0
	v_add3_u32 v9, v9, v11, v10
	v_lshlrev_b64 v[8:9], 2, v[8:9]
	v_add_co_u32 v8, vcc_lo, s33, v8
	v_add_co_ci_u32_e64 v9, null, s35, v9, vcc_lo
	global_load_dword v10, v[8:9], off
.LBB150_523:                            ;   in Loop: Header=BB150_521 Depth=1
	s_or_b32 exec_lo, exec_lo, s1
	v_cmp_gt_u64_e32 vcc_lo, s[28:29], v[0:1]
	s_waitcnt vmcnt(0)
	v_cmp_eq_u32_e64 s1, v2, v18
	s_and_b32 s21, vcc_lo, s1
	v_cndmask_b32_e64 v2, 0, 1, s21
	v_cmp_ne_u32_e32 vcc_lo, 0, v2
	s_cmp_lg_u32 vcc_lo, 0
	s_cselect_b32 s1, -1, 0
	s_and_b32 s1, s0, s1
	s_and_saveexec_b32 s22, s1
	s_cbranch_execz .LBB150_527
; %bb.524:                              ;   in Loop: Header=BB150_521 Depth=1
	s_mov_b32 s25, exec_lo
	s_bcnt1_i32_b32 s23, vcc_lo
	v_mbcnt_lo_u32_b32 v8, s25, 0
	s_mov_b32 s24, exec_lo
                                        ; implicit-def: $vgpr6_vgpr7
	v_cmpx_eq_u32_e32 0, v8
; %bb.525:                              ;   in Loop: Header=BB150_521 Depth=1
	s_bcnt1_i32_b32 s1, s25
	s_mul_i32 s1, s23, s1
	v_mov_b32_e32 v2, s1
	ds_add_rtn_u64 v[6:7], v3, v[2:3] offset:5136
; %bb.526:                              ;   in Loop: Header=BB150_521 Depth=1
	s_or_b32 exec_lo, exec_lo, s24
	s_waitcnt lgkmcnt(0)
	v_readfirstlane_b32 s25, v7
	v_readfirstlane_b32 s24, v6
	v_mad_u64_u32 v[6:7], null, s23, v8, s[24:25]
.LBB150_527:                            ;   in Loop: Header=BB150_521 Depth=1
	s_or_b32 exec_lo, exec_lo, s22
	ds_bpermute_b32 v6, v3, v6
	ds_bpermute_b32 v7, v3, v7
	s_cmp_eq_u32 vcc_lo, 0
	s_mov_b32 s22, -1
	s_cselect_b32 s23, -1, 0
	s_waitcnt lgkmcnt(0)
	v_cmp_gt_u64_e64 s1, s[30:31], v[6:7]
	s_or_b32 s24, s23, s1
	s_mov_b32 s23, -1
	s_and_saveexec_b32 s1, s24
	s_cbranch_execz .LBB150_520
; %bb.528:                              ;   in Loop: Header=BB150_521 Depth=1
	v_and_b32_e32 v2, vcc_lo, v23
	v_sub_co_u32 v8, vcc_lo, s30, v6
	v_sub_co_ci_u32_e64 v9, null, s31, v7, vcc_lo
	v_bcnt_u32_b32 v2, v2, 0
	s_mov_b32 s24, -1
	v_bcnt_u32_b32 v2, 0, v2
	v_cmp_gt_u64_e32 vcc_lo, v[8:9], v[2:3]
	s_and_b32 s25, s21, vcc_lo
	s_and_saveexec_b32 s21, s25
	s_cbranch_execz .LBB150_532
; %bb.529:                              ;   in Loop: Header=BB150_521 Depth=1
	v_add_co_u32 v8, vcc_lo, v6, v2
	v_add_co_ci_u32_e64 v9, null, 0, v7, vcc_lo
	s_mov_b32 s23, 0
	s_mov_b32 s24, exec_lo
	v_cmpx_gt_u64_e64 s[30:31], v[8:9]
; %bb.530:                              ;   in Loop: Header=BB150_521 Depth=1
	v_mul_lo_u32 v2, v9, s8
	v_mul_lo_u32 v13, v8, s9
	v_mad_u64_u32 v[11:12], null, v8, s8, 0
	v_mul_lo_u32 v14, v9, s10
	v_mul_lo_u32 v15, v8, s11
	v_mad_u64_u32 v[8:9], null, v8, s10, 0
	s_mov_b32 s23, exec_lo
	v_add3_u32 v12, v12, v13, v2
	v_add3_u32 v9, v9, v15, v14
	v_lshlrev_b64 v[11:12], 2, v[11:12]
	v_lshlrev_b64 v[8:9], 3, v[8:9]
	v_add_co_u32 v11, vcc_lo, s5, v11
	v_add_co_ci_u32_e64 v12, null, s16, v12, vcc_lo
	v_add_co_u32 v8, vcc_lo, s17, v8
	v_add_co_ci_u32_e64 v9, null, s18, v9, vcc_lo
	global_store_dword v[11:12], v18, off
	global_store_dwordx2 v[8:9], v[0:1], off
; %bb.531:                              ;   in Loop: Header=BB150_521 Depth=1
	s_or_b32 exec_lo, exec_lo, s24
	s_xor_b32 s24, exec_lo, -1
	s_orn2_b32 s23, s23, exec_lo
.LBB150_532:                            ;   in Loop: Header=BB150_521 Depth=1
	s_or_b32 exec_lo, exec_lo, s21
	s_and_saveexec_b32 s21, s23
	s_cbranch_execz .LBB150_519
; %bb.533:                              ;   in Loop: Header=BB150_521 Depth=1
	v_cmp_le_u64_e32 vcc_lo, s[6:7], v[4:5]
	s_or_b32 s24, s24, exec_lo
	s_orn2_b32 s22, vcc_lo, exec_lo
	s_branch .LBB150_519
.LBB150_534:
	s_or_b32 s8, s8, exec_lo
	s_trap 2
	s_branch .LBB150_498
.LBB150_535:
	s_or_b32 exec_lo, exec_lo, s19
	s_mov_b32 s0, 0
	s_and_saveexec_b32 s1, s20
	s_xor_b32 s1, exec_lo, s1
	s_cbranch_execnz .LBB150_541
.LBB150_536:
	s_or_b32 exec_lo, exec_lo, s1
	s_and_b32 s1, s0, exec_lo
.LBB150_537:
	s_or_b32 exec_lo, exec_lo, s4
	s_and_b32 s19, s1, exec_lo
	s_andn2_b32 s3, s3, exec_lo
	s_or_b32 exec_lo, exec_lo, s2
	s_and_saveexec_b32 s0, s3
	s_xor_b32 s0, exec_lo, s0
	s_cbranch_execz .LBB150_492
.LBB150_538:
	s_or_b32 s19, s19, exec_lo
	s_trap 2
	s_branch .LBB150_492
.LBB150_539:
	s_or_b32 s8, s8, exec_lo
	s_trap 2
	s_branch .LBB150_496
.LBB150_540:
	s_or_b32 s8, s8, exec_lo
	s_trap 2
	s_branch .LBB150_494
.LBB150_541:
	s_mov_b32 s0, exec_lo
	s_trap 2
	s_branch .LBB150_536
	.section	.rodata,"a",@progbits
	.p2align	6, 0x0
	.amdhsa_kernel _ZN2at6native6sbtopk10gatherTopKIimLi3ELb0EEEvNS_4cuda6detail10TensorInfoIKT_T0_EES8_S8_bS8_S8_NS5_IS6_S8_EES8_NS5_IlS8_EES8_PS6_
		.amdhsa_group_segment_fixed_size 5152
		.amdhsa_private_segment_fixed_size 0
		.amdhsa_kernarg_size 1568
		.amdhsa_user_sgpr_count 6
		.amdhsa_user_sgpr_private_segment_buffer 1
		.amdhsa_user_sgpr_dispatch_ptr 0
		.amdhsa_user_sgpr_queue_ptr 0
		.amdhsa_user_sgpr_kernarg_segment_ptr 1
		.amdhsa_user_sgpr_dispatch_id 0
		.amdhsa_user_sgpr_flat_scratch_init 0
		.amdhsa_user_sgpr_private_segment_size 0
		.amdhsa_wavefront_size32 1
		.amdhsa_uses_dynamic_stack 0
		.amdhsa_system_sgpr_private_segment_wavefront_offset 0
		.amdhsa_system_sgpr_workgroup_id_x 1
		.amdhsa_system_sgpr_workgroup_id_y 1
		.amdhsa_system_sgpr_workgroup_id_z 1
		.amdhsa_system_sgpr_workgroup_info 0
		.amdhsa_system_vgpr_workitem_id 0
		.amdhsa_next_free_vgpr 40
		.amdhsa_next_free_sgpr 105
		.amdhsa_reserve_vcc 1
		.amdhsa_reserve_flat_scratch 0
		.amdhsa_float_round_mode_32 0
		.amdhsa_float_round_mode_16_64 0
		.amdhsa_float_denorm_mode_32 3
		.amdhsa_float_denorm_mode_16_64 3
		.amdhsa_dx10_clamp 1
		.amdhsa_ieee_mode 1
		.amdhsa_fp16_overflow 0
		.amdhsa_workgroup_processor_mode 1
		.amdhsa_memory_ordered 1
		.amdhsa_forward_progress 1
		.amdhsa_shared_vgpr_count 0
		.amdhsa_exception_fp_ieee_invalid_op 0
		.amdhsa_exception_fp_denorm_src 0
		.amdhsa_exception_fp_ieee_div_zero 0
		.amdhsa_exception_fp_ieee_overflow 0
		.amdhsa_exception_fp_ieee_underflow 0
		.amdhsa_exception_fp_ieee_inexact 0
		.amdhsa_exception_int_div_zero 0
	.end_amdhsa_kernel
	.section	.text._ZN2at6native6sbtopk10gatherTopKIimLi3ELb0EEEvNS_4cuda6detail10TensorInfoIKT_T0_EES8_S8_bS8_S8_NS5_IS6_S8_EES8_NS5_IlS8_EES8_PS6_,"axG",@progbits,_ZN2at6native6sbtopk10gatherTopKIimLi3ELb0EEEvNS_4cuda6detail10TensorInfoIKT_T0_EES8_S8_bS8_S8_NS5_IS6_S8_EES8_NS5_IlS8_EES8_PS6_,comdat
.Lfunc_end150:
	.size	_ZN2at6native6sbtopk10gatherTopKIimLi3ELb0EEEvNS_4cuda6detail10TensorInfoIKT_T0_EES8_S8_bS8_S8_NS5_IS6_S8_EES8_NS5_IlS8_EES8_PS6_, .Lfunc_end150-_ZN2at6native6sbtopk10gatherTopKIimLi3ELb0EEEvNS_4cuda6detail10TensorInfoIKT_T0_EES8_S8_bS8_S8_NS5_IS6_S8_EES8_NS5_IlS8_EES8_PS6_
                                        ; -- End function
	.set _ZN2at6native6sbtopk10gatherTopKIimLi3ELb0EEEvNS_4cuda6detail10TensorInfoIKT_T0_EES8_S8_bS8_S8_NS5_IS6_S8_EES8_NS5_IlS8_EES8_PS6_.num_vgpr, 40
	.set _ZN2at6native6sbtopk10gatherTopKIimLi3ELb0EEEvNS_4cuda6detail10TensorInfoIKT_T0_EES8_S8_bS8_S8_NS5_IS6_S8_EES8_NS5_IlS8_EES8_PS6_.num_agpr, 0
	.set _ZN2at6native6sbtopk10gatherTopKIimLi3ELb0EEEvNS_4cuda6detail10TensorInfoIKT_T0_EES8_S8_bS8_S8_NS5_IS6_S8_EES8_NS5_IlS8_EES8_PS6_.numbered_sgpr, 105
	.set _ZN2at6native6sbtopk10gatherTopKIimLi3ELb0EEEvNS_4cuda6detail10TensorInfoIKT_T0_EES8_S8_bS8_S8_NS5_IS6_S8_EES8_NS5_IlS8_EES8_PS6_.num_named_barrier, 0
	.set _ZN2at6native6sbtopk10gatherTopKIimLi3ELb0EEEvNS_4cuda6detail10TensorInfoIKT_T0_EES8_S8_bS8_S8_NS5_IS6_S8_EES8_NS5_IlS8_EES8_PS6_.private_seg_size, 0
	.set _ZN2at6native6sbtopk10gatherTopKIimLi3ELb0EEEvNS_4cuda6detail10TensorInfoIKT_T0_EES8_S8_bS8_S8_NS5_IS6_S8_EES8_NS5_IlS8_EES8_PS6_.uses_vcc, 1
	.set _ZN2at6native6sbtopk10gatherTopKIimLi3ELb0EEEvNS_4cuda6detail10TensorInfoIKT_T0_EES8_S8_bS8_S8_NS5_IS6_S8_EES8_NS5_IlS8_EES8_PS6_.uses_flat_scratch, 0
	.set _ZN2at6native6sbtopk10gatherTopKIimLi3ELb0EEEvNS_4cuda6detail10TensorInfoIKT_T0_EES8_S8_bS8_S8_NS5_IS6_S8_EES8_NS5_IlS8_EES8_PS6_.has_dyn_sized_stack, 0
	.set _ZN2at6native6sbtopk10gatherTopKIimLi3ELb0EEEvNS_4cuda6detail10TensorInfoIKT_T0_EES8_S8_bS8_S8_NS5_IS6_S8_EES8_NS5_IlS8_EES8_PS6_.has_recursion, 0
	.set _ZN2at6native6sbtopk10gatherTopKIimLi3ELb0EEEvNS_4cuda6detail10TensorInfoIKT_T0_EES8_S8_bS8_S8_NS5_IS6_S8_EES8_NS5_IlS8_EES8_PS6_.has_indirect_call, 0
	.section	.AMDGPU.csdata,"",@progbits
; Kernel info:
; codeLenInByte = 25456
; TotalNumSgprs: 107
; NumVgprs: 40
; ScratchSize: 0
; MemoryBound: 0
; FloatMode: 240
; IeeeMode: 1
; LDSByteSize: 5152 bytes/workgroup (compile time only)
; SGPRBlocks: 0
; VGPRBlocks: 4
; NumSGPRsForWavesPerEU: 107
; NumVGPRsForWavesPerEU: 40
; Occupancy: 16
; WaveLimiterHint : 1
; COMPUTE_PGM_RSRC2:SCRATCH_EN: 0
; COMPUTE_PGM_RSRC2:USER_SGPR: 6
; COMPUTE_PGM_RSRC2:TRAP_HANDLER: 0
; COMPUTE_PGM_RSRC2:TGID_X_EN: 1
; COMPUTE_PGM_RSRC2:TGID_Y_EN: 1
; COMPUTE_PGM_RSRC2:TGID_Z_EN: 1
; COMPUTE_PGM_RSRC2:TIDIG_COMP_CNT: 0
	.section	.text._ZN2at6native6mbtopk23computeBlockDigitCountsIimjLin1EEEvNS_4cuda6detail10TensorInfoIKT_T0_EEjPjjS8_iijT1_PSB_Ps,"axG",@progbits,_ZN2at6native6mbtopk23computeBlockDigitCountsIimjLin1EEEvNS_4cuda6detail10TensorInfoIKT_T0_EEjPjjS8_iijT1_PSB_Ps,comdat
	.protected	_ZN2at6native6mbtopk23computeBlockDigitCountsIimjLin1EEEvNS_4cuda6detail10TensorInfoIKT_T0_EEjPjjS8_iijT1_PSB_Ps ; -- Begin function _ZN2at6native6mbtopk23computeBlockDigitCountsIimjLin1EEEvNS_4cuda6detail10TensorInfoIKT_T0_EEjPjjS8_iijT1_PSB_Ps
	.globl	_ZN2at6native6mbtopk23computeBlockDigitCountsIimjLin1EEEvNS_4cuda6detail10TensorInfoIKT_T0_EEjPjjS8_iijT1_PSB_Ps
	.p2align	8
	.type	_ZN2at6native6mbtopk23computeBlockDigitCountsIimjLin1EEEvNS_4cuda6detail10TensorInfoIKT_T0_EEjPjjS8_iijT1_PSB_Ps,@function
_ZN2at6native6mbtopk23computeBlockDigitCountsIimjLin1EEEvNS_4cuda6detail10TensorInfoIKT_T0_EEjPjjS8_iijT1_PSB_Ps: ; @_ZN2at6native6mbtopk23computeBlockDigitCountsIimjLin1EEEvNS_4cuda6detail10TensorInfoIKT_T0_EEjPjjS8_iijT1_PSB_Ps
; %bb.0:
	s_clause 0x2
	s_load_dwordx4 s[0:3], s[4:5], 0x1c0
	s_load_dword s13, s[4:5], 0x1b0
	s_load_dwordx2 s[10:11], s[4:5], 0x1e0
	s_waitcnt lgkmcnt(0)
	v_cvt_f32_u32_e32 v1, s2
	s_mul_i32 s8, s11, s8
	s_sub_i32 s11, 0, s2
	s_add_i32 s7, s8, s7
	v_rcp_iflag_f32_e32 v1, v1
	s_mul_i32 s24, s7, s10
	s_add_i32 s24, s24, s6
	v_mul_f32_e32 v1, 0x4f7ffffe, v1
	v_cvt_u32_f32_e32 v1, v1
	v_readfirstlane_b32 s9, v1
	s_mul_i32 s11, s11, s9
	s_mul_hi_u32 s7, s9, s11
	s_add_i32 s9, s9, s7
	s_mul_hi_u32 s6, s24, s9
	s_mul_i32 s7, s6, s2
	s_add_i32 s8, s6, 1
	s_sub_i32 s7, s24, s7
	s_sub_i32 s9, s7, s2
	s_cmp_ge_u32 s7, s2
	s_cselect_b32 s6, s8, s6
	s_cselect_b32 s7, s9, s7
	s_add_i32 s8, s6, 1
	s_cmp_ge_u32 s7, s2
	s_cselect_b32 s12, s8, s6
	s_cmp_ge_u32 s12, s13
	s_mov_b32 s13, 0
	s_cbranch_scc1 .LBB151_28
; %bb.1:
	s_clause 0x1
	s_load_dwordx4 s[8:11], s[4:5], 0x1d0
	s_load_dword s14, s[4:5], 0x198
	s_lshl_b64 s[6:7], s[12:13], 2
	s_mov_b64 s[20:21], s[12:13]
	s_waitcnt lgkmcnt(0)
	s_add_u32 s8, s8, s6
	s_addc_u32 s9, s9, s7
	s_cmp_lt_i32 s14, 2
	s_mov_b64 s[6:7], 0
	s_cbranch_scc1 .LBB151_7
; %bb.2:
	s_add_i32 s16, s14, -1
	s_mov_b32 s17, 0
	s_add_i32 s13, s14, 1
	s_lshl_b64 s[6:7], s[16:17], 3
	s_add_u32 s6, s4, s6
	s_addc_u32 s7, s5, s7
	s_add_u32 s18, s6, 8
	s_addc_u32 s19, s7, 0
	s_mov_b64 s[6:7], 0
.LBB151_3:                              ; =>This Inner Loop Header: Depth=1
	s_load_dwordx2 s[22:23], s[18:19], 0x0
	s_waitcnt lgkmcnt(0)
	v_cmp_lt_u64_e64 s14, s[20:21], s[22:23]
	s_and_b32 vcc_lo, exec_lo, s14
	s_mov_b64 s[14:15], 0
	s_cbranch_vccnz .LBB151_5
; %bb.4:                                ;   in Loop: Header=BB151_3 Depth=1
	v_cvt_f32_u32_e32 v1, s22
	s_sub_i32 s15, 0, s22
	v_rcp_iflag_f32_e32 v1, v1
	v_mul_f32_e32 v1, 0x4f7ffffe, v1
	v_cvt_u32_f32_e32 v1, v1
	v_readfirstlane_b32 s14, v1
	s_mul_i32 s15, s15, s14
	s_mul_hi_u32 s15, s14, s15
	s_add_i32 s14, s14, s15
	s_mul_hi_u32 s14, s20, s14
	s_mul_i32 s15, s14, s22
	s_add_i32 s16, s14, 1
	s_sub_i32 s15, s20, s15
	s_sub_i32 s25, s15, s22
	s_cmp_ge_u32 s15, s22
	s_cselect_b32 s14, s16, s14
	s_cselect_b32 s15, s25, s15
	s_add_i32 s16, s14, 1
	s_cmp_ge_u32 s15, s22
	s_cselect_b32 s16, s16, s14
	s_mov_b64 s[14:15], s[16:17]
.LBB151_5:                              ;   in Loop: Header=BB151_3 Depth=1
	s_load_dwordx2 s[26:27], s[18:19], 0xc8
	s_mul_i32 s16, s14, s23
	s_mul_hi_u32 s23, s14, s22
	s_mul_i32 s22, s14, s22
	s_add_i32 s23, s23, s16
	s_sub_u32 s16, s20, s22
	s_subb_u32 s20, s21, s23
	s_waitcnt lgkmcnt(0)
	s_mul_i32 s20, s26, s20
	s_mul_hi_u32 s21, s26, s16
	s_mul_i32 s22, s27, s16
	s_add_i32 s20, s21, s20
	s_mul_i32 s16, s26, s16
	s_add_i32 s20, s20, s22
	s_add_u32 s6, s16, s6
	s_addc_u32 s7, s20, s7
	s_add_i32 s13, s13, -1
	s_add_u32 s18, s18, -8
	s_addc_u32 s19, s19, -1
	s_cmp_gt_u32 s13, 2
	s_cbranch_scc0 .LBB151_8
; %bb.6:                                ;   in Loop: Header=BB151_3 Depth=1
	s_mov_b64 s[20:21], s[14:15]
	s_branch .LBB151_3
.LBB151_7:
	s_mov_b64 s[14:15], s[20:21]
.LBB151_8:
	s_load_dword s13, s[8:9], 0x0
	v_cmp_gt_u32_e32 vcc_lo, 0x100, v0
	v_lshlrev_b32_e32 v1, 2, v0
	s_and_saveexec_b32 s8, vcc_lo
; %bb.9:
	v_mov_b32_e32 v2, 0
	ds_write_b32 v1, v2
; %bb.10:
	s_or_b32 exec_lo, exec_lo, s8
	s_load_dword s15, s[4:5], 0x1a0
	s_mul_i32 s8, s12, s2
	s_waitcnt lgkmcnt(0)
	s_sub_i32 s8, s24, s8
	s_barrier
	s_mul_i32 s9, s1, s8
	s_add_i32 s12, s8, 1
	s_lshl_b32 s16, s9, 8
	buffer_gl0_inv
	s_sub_i32 s9, s15, s16
	s_add_u32 s8, s9, 0xff
	s_addc_u32 s9, 0, 0
	s_lshr_b64 s[8:9], s[8:9], 8
	s_cmp_lt_u32 s12, s2
	s_mov_b32 s12, 0
	s_cselect_b32 s1, s1, s8
	s_cmp_lt_i32 s1, 1
	s_cbranch_scc1 .LBB151_26
; %bb.11:
	s_clause 0x2
	s_load_dwordx2 s[18:19], s[4:5], 0xd0
	s_load_dwordx2 s[8:9], s[4:5], 0x1b8
	;; [unrolled: 1-line block ×3, first 2 shown]
	v_add_nc_u32_e32 v2, s16, v0
	s_waitcnt lgkmcnt(0)
	s_mul_i32 s2, s19, s14
	s_mul_hi_u32 s17, s18, s14
	s_mul_i32 s18, s18, s14
	s_add_i32 s19, s17, s2
	s_lshl_b64 s[18:19], s[18:19], 2
	s_add_u32 s2, s4, s18
	s_addc_u32 s14, s5, s19
	s_lshl_b64 s[4:5], s[6:7], 2
	s_add_u32 s4, s2, s4
	s_addc_u32 s5, s14, s5
	s_and_b32 s2, s0, 0xff
	s_cmp_eq_u32 s1, 1
	s_cbranch_scc1 .LBB151_21
; %bb.12:
	v_mov_b32_e32 v3, 1
	v_mov_b32_e32 v4, v2
	s_and_b32 s6, s1, 0x7ffffffe
	s_mov_b32 s7, 0
	s_branch .LBB151_14
.LBB151_13:                             ;   in Loop: Header=BB151_14 Depth=1
	s_or_b32 exec_lo, exec_lo, s12
	v_add_nc_u32_e32 v4, 0x200, v4
	s_add_i32 s7, s7, 2
	s_cmp_eq_u32 s6, s7
	s_cbranch_scc1 .LBB151_20
.LBB151_14:                             ; =>This Inner Loop Header: Depth=1
	s_mov_b32 s12, exec_lo
	v_cmpx_gt_u32_e64 s15, v4
	s_cbranch_execz .LBB151_17
; %bb.15:                               ;   in Loop: Header=BB151_14 Depth=1
	v_mad_u64_u32 v[5:6], null, s8, v4, 0
	v_mad_u64_u32 v[6:7], null, s9, v4, v[6:7]
	v_lshlrev_b64 v[5:6], 2, v[5:6]
	v_add_co_u32 v5, s0, s4, v5
	v_add_co_ci_u32_e64 v6, null, s5, v6, s0
	global_load_dword v5, v[5:6], off
	s_waitcnt vmcnt(0)
	v_xor_b32_e32 v5, 0x80000000, v5
	v_xor_b32_e32 v6, s13, v5
	v_and_b32_e32 v6, s3, v6
	v_cmp_eq_u32_e64 s0, 0, v6
	s_and_b32 exec_lo, exec_lo, s0
; %bb.16:                               ;   in Loop: Header=BB151_14 Depth=1
	v_bfe_u32 v5, v5, s2, 8
	v_lshlrev_b32_e32 v5, 2, v5
	ds_add_u32 v5, v3
.LBB151_17:                             ;   in Loop: Header=BB151_14 Depth=1
	s_or_b32 exec_lo, exec_lo, s12
	v_add_nc_u32_e32 v5, 0x100, v4
	s_mov_b32 s12, exec_lo
	v_cmpx_gt_u32_e64 s15, v5
	s_cbranch_execz .LBB151_13
; %bb.18:                               ;   in Loop: Header=BB151_14 Depth=1
	v_mad_u64_u32 v[6:7], null, s8, v5, 0
	v_mad_u64_u32 v[7:8], null, s9, v5, v[7:8]
	v_lshlrev_b64 v[5:6], 2, v[6:7]
	v_add_co_u32 v5, s0, s4, v5
	v_add_co_ci_u32_e64 v6, null, s5, v6, s0
	global_load_dword v5, v[5:6], off
	s_waitcnt vmcnt(0)
	v_xor_b32_e32 v5, 0x80000000, v5
	v_xor_b32_e32 v6, s13, v5
	v_and_b32_e32 v6, s3, v6
	v_cmp_eq_u32_e64 s0, 0, v6
	s_and_b32 exec_lo, exec_lo, s0
	s_cbranch_execz .LBB151_13
; %bb.19:                               ;   in Loop: Header=BB151_14 Depth=1
	v_bfe_u32 v5, v5, s2, 8
	v_lshlrev_b32_e32 v5, 2, v5
	ds_add_u32 v5, v3
	s_branch .LBB151_13
.LBB151_20:
	s_lshl_b32 s12, s6, 8
.LBB151_21:
	s_bitcmp0_b32 s1, 0
	s_cbranch_scc1 .LBB151_26
; %bb.22:
	v_add_nc_u32_e32 v2, s12, v2
	s_mov_b32 s1, exec_lo
	v_cmpx_gt_u32_e64 s15, v2
	s_cbranch_execz .LBB151_25
; %bb.23:
	v_mad_u64_u32 v[3:4], null, s8, v2, 0
	v_mad_u64_u32 v[4:5], null, s9, v2, v[4:5]
	v_lshlrev_b64 v[2:3], 2, v[3:4]
	v_add_co_u32 v2, s0, s4, v2
	v_add_co_ci_u32_e64 v3, null, s5, v3, s0
	global_load_dword v2, v[2:3], off
	s_waitcnt vmcnt(0)
	v_xor_b32_e32 v2, 0x80000000, v2
	v_xor_b32_e32 v3, s13, v2
	v_and_b32_e32 v3, s3, v3
	v_cmp_eq_u32_e64 s0, 0, v3
	s_and_b32 exec_lo, exec_lo, s0
	s_cbranch_execz .LBB151_25
; %bb.24:
	v_bfe_u32 v2, v2, s2, 8
	v_mov_b32_e32 v3, 1
	v_lshlrev_b32_e32 v2, 2, v2
	ds_add_u32 v2, v3
.LBB151_25:
	s_or_b32 exec_lo, exec_lo, s1
.LBB151_26:
	s_waitcnt lgkmcnt(0)
	s_barrier
	buffer_gl0_inv
	s_and_saveexec_b32 s0, vcc_lo
	s_cbranch_execz .LBB151_28
; %bb.27:
	ds_read_b32 v2, v1
	v_lshl_or_b32 v0, s24, 8, v0
	v_mov_b32_e32 v1, 0
	v_lshlrev_b64 v[0:1], 1, v[0:1]
	v_add_co_u32 v0, vcc_lo, s10, v0
	v_add_co_ci_u32_e64 v1, null, s11, v1, vcc_lo
	s_waitcnt lgkmcnt(0)
	global_store_short v[0:1], v2, off
.LBB151_28:
	s_endpgm
	.section	.rodata,"a",@progbits
	.p2align	6, 0x0
	.amdhsa_kernel _ZN2at6native6mbtopk23computeBlockDigitCountsIimjLin1EEEvNS_4cuda6detail10TensorInfoIKT_T0_EEjPjjS8_iijT1_PSB_Ps
		.amdhsa_group_segment_fixed_size 1024
		.amdhsa_private_segment_fixed_size 0
		.amdhsa_kernarg_size 736
		.amdhsa_user_sgpr_count 6
		.amdhsa_user_sgpr_private_segment_buffer 1
		.amdhsa_user_sgpr_dispatch_ptr 0
		.amdhsa_user_sgpr_queue_ptr 0
		.amdhsa_user_sgpr_kernarg_segment_ptr 1
		.amdhsa_user_sgpr_dispatch_id 0
		.amdhsa_user_sgpr_flat_scratch_init 0
		.amdhsa_user_sgpr_private_segment_size 0
		.amdhsa_wavefront_size32 1
		.amdhsa_uses_dynamic_stack 0
		.amdhsa_system_sgpr_private_segment_wavefront_offset 0
		.amdhsa_system_sgpr_workgroup_id_x 1
		.amdhsa_system_sgpr_workgroup_id_y 1
		.amdhsa_system_sgpr_workgroup_id_z 1
		.amdhsa_system_sgpr_workgroup_info 0
		.amdhsa_system_vgpr_workitem_id 0
		.amdhsa_next_free_vgpr 9
		.amdhsa_next_free_sgpr 28
		.amdhsa_reserve_vcc 1
		.amdhsa_reserve_flat_scratch 0
		.amdhsa_float_round_mode_32 0
		.amdhsa_float_round_mode_16_64 0
		.amdhsa_float_denorm_mode_32 3
		.amdhsa_float_denorm_mode_16_64 3
		.amdhsa_dx10_clamp 1
		.amdhsa_ieee_mode 1
		.amdhsa_fp16_overflow 0
		.amdhsa_workgroup_processor_mode 1
		.amdhsa_memory_ordered 1
		.amdhsa_forward_progress 1
		.amdhsa_shared_vgpr_count 0
		.amdhsa_exception_fp_ieee_invalid_op 0
		.amdhsa_exception_fp_denorm_src 0
		.amdhsa_exception_fp_ieee_div_zero 0
		.amdhsa_exception_fp_ieee_overflow 0
		.amdhsa_exception_fp_ieee_underflow 0
		.amdhsa_exception_fp_ieee_inexact 0
		.amdhsa_exception_int_div_zero 0
	.end_amdhsa_kernel
	.section	.text._ZN2at6native6mbtopk23computeBlockDigitCountsIimjLin1EEEvNS_4cuda6detail10TensorInfoIKT_T0_EEjPjjS8_iijT1_PSB_Ps,"axG",@progbits,_ZN2at6native6mbtopk23computeBlockDigitCountsIimjLin1EEEvNS_4cuda6detail10TensorInfoIKT_T0_EEjPjjS8_iijT1_PSB_Ps,comdat
.Lfunc_end151:
	.size	_ZN2at6native6mbtopk23computeBlockDigitCountsIimjLin1EEEvNS_4cuda6detail10TensorInfoIKT_T0_EEjPjjS8_iijT1_PSB_Ps, .Lfunc_end151-_ZN2at6native6mbtopk23computeBlockDigitCountsIimjLin1EEEvNS_4cuda6detail10TensorInfoIKT_T0_EEjPjjS8_iijT1_PSB_Ps
                                        ; -- End function
	.set _ZN2at6native6mbtopk23computeBlockDigitCountsIimjLin1EEEvNS_4cuda6detail10TensorInfoIKT_T0_EEjPjjS8_iijT1_PSB_Ps.num_vgpr, 9
	.set _ZN2at6native6mbtopk23computeBlockDigitCountsIimjLin1EEEvNS_4cuda6detail10TensorInfoIKT_T0_EEjPjjS8_iijT1_PSB_Ps.num_agpr, 0
	.set _ZN2at6native6mbtopk23computeBlockDigitCountsIimjLin1EEEvNS_4cuda6detail10TensorInfoIKT_T0_EEjPjjS8_iijT1_PSB_Ps.numbered_sgpr, 28
	.set _ZN2at6native6mbtopk23computeBlockDigitCountsIimjLin1EEEvNS_4cuda6detail10TensorInfoIKT_T0_EEjPjjS8_iijT1_PSB_Ps.num_named_barrier, 0
	.set _ZN2at6native6mbtopk23computeBlockDigitCountsIimjLin1EEEvNS_4cuda6detail10TensorInfoIKT_T0_EEjPjjS8_iijT1_PSB_Ps.private_seg_size, 0
	.set _ZN2at6native6mbtopk23computeBlockDigitCountsIimjLin1EEEvNS_4cuda6detail10TensorInfoIKT_T0_EEjPjjS8_iijT1_PSB_Ps.uses_vcc, 1
	.set _ZN2at6native6mbtopk23computeBlockDigitCountsIimjLin1EEEvNS_4cuda6detail10TensorInfoIKT_T0_EEjPjjS8_iijT1_PSB_Ps.uses_flat_scratch, 0
	.set _ZN2at6native6mbtopk23computeBlockDigitCountsIimjLin1EEEvNS_4cuda6detail10TensorInfoIKT_T0_EEjPjjS8_iijT1_PSB_Ps.has_dyn_sized_stack, 0
	.set _ZN2at6native6mbtopk23computeBlockDigitCountsIimjLin1EEEvNS_4cuda6detail10TensorInfoIKT_T0_EEjPjjS8_iijT1_PSB_Ps.has_recursion, 0
	.set _ZN2at6native6mbtopk23computeBlockDigitCountsIimjLin1EEEvNS_4cuda6detail10TensorInfoIKT_T0_EEjPjjS8_iijT1_PSB_Ps.has_indirect_call, 0
	.section	.AMDGPU.csdata,"",@progbits
; Kernel info:
; codeLenInByte = 1196
; TotalNumSgprs: 30
; NumVgprs: 9
; ScratchSize: 0
; MemoryBound: 0
; FloatMode: 240
; IeeeMode: 1
; LDSByteSize: 1024 bytes/workgroup (compile time only)
; SGPRBlocks: 0
; VGPRBlocks: 1
; NumSGPRsForWavesPerEU: 30
; NumVGPRsForWavesPerEU: 9
; Occupancy: 16
; WaveLimiterHint : 0
; COMPUTE_PGM_RSRC2:SCRATCH_EN: 0
; COMPUTE_PGM_RSRC2:USER_SGPR: 6
; COMPUTE_PGM_RSRC2:TRAP_HANDLER: 0
; COMPUTE_PGM_RSRC2:TGID_X_EN: 1
; COMPUTE_PGM_RSRC2:TGID_Y_EN: 1
; COMPUTE_PGM_RSRC2:TGID_Z_EN: 1
; COMPUTE_PGM_RSRC2:TIDIG_COMP_CNT: 0
	.section	.text._ZN2at6native6mbtopk10gatherTopKIimLin1EEEvNS_4cuda6detail10TensorInfoIKT_T0_EES8_S8_bjS8_NS5_IS6_S8_EES8_NS5_IlS8_EES8_jjPS6_PjSD_j,"axG",@progbits,_ZN2at6native6mbtopk10gatherTopKIimLin1EEEvNS_4cuda6detail10TensorInfoIKT_T0_EES8_S8_bjS8_NS5_IS6_S8_EES8_NS5_IlS8_EES8_jjPS6_PjSD_j,comdat
	.protected	_ZN2at6native6mbtopk10gatherTopKIimLin1EEEvNS_4cuda6detail10TensorInfoIKT_T0_EES8_S8_bjS8_NS5_IS6_S8_EES8_NS5_IlS8_EES8_jjPS6_PjSD_j ; -- Begin function _ZN2at6native6mbtopk10gatherTopKIimLin1EEEvNS_4cuda6detail10TensorInfoIKT_T0_EES8_S8_bjS8_NS5_IS6_S8_EES8_NS5_IlS8_EES8_jjPS6_PjSD_j
	.globl	_ZN2at6native6mbtopk10gatherTopKIimLin1EEEvNS_4cuda6detail10TensorInfoIKT_T0_EES8_S8_bjS8_NS5_IS6_S8_EES8_NS5_IlS8_EES8_jjPS6_PjSD_j
	.p2align	8
	.type	_ZN2at6native6mbtopk10gatherTopKIimLin1EEEvNS_4cuda6detail10TensorInfoIKT_T0_EES8_S8_bjS8_NS5_IS6_S8_EES8_NS5_IlS8_EES8_jjPS6_PjSD_j,@function
_ZN2at6native6mbtopk10gatherTopKIimLin1EEEvNS_4cuda6detail10TensorInfoIKT_T0_EES8_S8_bjS8_NS5_IS6_S8_EES8_NS5_IlS8_EES8_jjPS6_PjSD_j: ; @_ZN2at6native6mbtopk10gatherTopKIimLin1EEEvNS_4cuda6detail10TensorInfoIKT_T0_EES8_S8_bjS8_NS5_IS6_S8_EES8_NS5_IlS8_EES8_jjPS6_PjSD_j
; %bb.0:
	s_clause 0x1
	s_load_dwordx2 s[0:1], s[4:5], 0x538
	s_load_dword s2, s[4:5], 0x530
	s_waitcnt lgkmcnt(0)
	s_mul_i32 s1, s1, s8
	s_add_i32 s1, s1, s7
	s_mul_i32 s0, s1, s0
	s_add_i32 s0, s0, s6
	s_cmp_ge_u32 s0, s2
	s_cbranch_scc1 .LBB152_61
; %bb.1:
	s_clause 0x1
	s_load_dwordx2 s[6:7], s[4:5], 0x510
	s_load_dwordx4 s[8:11], s[4:5], 0x1a0
	s_mov_b32 s13, 0
	s_waitcnt lgkmcnt(0)
	v_cvt_f32_u32_e32 v1, s7
	s_sub_i32 s2, 0, s7
	s_lshl_b32 s33, s6, 8
	v_rcp_iflag_f32_e32 v1, v1
	v_mul_f32_e32 v1, 0x4f7ffffe, v1
	v_cvt_u32_f32_e32 v1, v1
	v_readfirstlane_b32 s1, v1
	s_mul_i32 s2, s2, s1
	s_mul_hi_u32 s2, s1, s2
	s_add_i32 s1, s1, s2
	s_mul_hi_u32 s1, s0, s1
	s_mul_i32 s2, s1, s7
	s_add_i32 s3, s1, 1
	s_sub_i32 s2, s0, s2
	s_sub_i32 s12, s2, s7
	s_cmp_ge_u32 s2, s7
	s_cselect_b32 s1, s3, s1
	s_cselect_b32 s2, s12, s2
	s_add_i32 s3, s1, 1
	s_cmp_ge_u32 s2, s7
	s_cselect_b32 s12, s3, s1
	s_mul_i32 s18, s12, s7
	s_sub_i32 s50, s0, s18
	s_add_i32 s0, s50, 1
	s_cmp_lt_u32 s0, s7
	s_cbranch_scc1 .LBB152_3
; %bb.2:
	s_mul_i32 s0, s50, s33
	s_sub_u32 s0, s8, s0
	s_subb_u32 s1, s9, 0
	s_add_u32 s0, s0, 0xff
	s_addc_u32 s1, s1, 0
	s_ashr_i32 s2, s1, 31
	s_lshr_b32 s2, s2, 24
	s_add_u32 s0, s0, s2
	s_addc_u32 s1, s1, 0
	s_lshr_b64 s[0:1], s[0:1], 8
	s_mov_b32 s6, s0
.LBB152_3:
	s_load_dword s2, s[4:5], 0x198
	s_mov_b64 s[16:17], 0
	s_mov_b64 s[20:21], s[12:13]
	s_waitcnt lgkmcnt(0)
	s_cmp_lt_i32 s2, 2
	s_cbranch_scc1 .LBB152_9
; %bb.4:
	s_add_i32 s0, s2, -1
	s_mov_b32 s1, 0
	s_add_i32 s19, s2, 1
	s_lshl_b64 s[14:15], s[0:1], 3
	s_add_u32 s0, s4, s14
	s_addc_u32 s3, s5, s15
	s_add_u32 s2, s0, 8
	s_addc_u32 s3, s3, 0
	s_mov_b64 s[14:15], s[12:13]
.LBB152_5:                              ; =>This Inner Loop Header: Depth=1
	s_load_dwordx2 s[22:23], s[2:3], 0x0
	s_mov_b64 s[20:21], 0
	s_waitcnt lgkmcnt(0)
	v_cmp_lt_u64_e64 s0, s[14:15], s[22:23]
	s_and_b32 vcc_lo, exec_lo, s0
	s_cbranch_vccnz .LBB152_7
; %bb.6:                                ;   in Loop: Header=BB152_5 Depth=1
	v_cvt_f32_u32_e32 v1, s22
	s_sub_i32 s20, 0, s22
	v_rcp_iflag_f32_e32 v1, v1
	v_mul_f32_e32 v1, 0x4f7ffffe, v1
	v_cvt_u32_f32_e32 v1, v1
	v_readfirstlane_b32 s0, v1
	s_mul_i32 s20, s20, s0
	s_mul_hi_u32 s20, s0, s20
	s_add_i32 s0, s0, s20
	s_mul_hi_u32 s0, s14, s0
	s_mul_i32 s20, s0, s22
	s_add_i32 s21, s0, 1
	s_sub_i32 s20, s14, s20
	s_sub_i32 s24, s20, s22
	s_cmp_ge_u32 s20, s22
	s_cselect_b32 s0, s21, s0
	s_cselect_b32 s20, s24, s20
	s_add_i32 s21, s0, 1
	s_cmp_ge_u32 s20, s22
	s_cselect_b32 s0, s21, s0
	s_mov_b64 s[20:21], s[0:1]
.LBB152_7:                              ;   in Loop: Header=BB152_5 Depth=1
	s_load_dwordx2 s[24:25], s[2:3], 0xc8
	s_mul_i32 s0, s20, s23
	s_mul_hi_u32 s23, s20, s22
	s_mul_i32 s22, s20, s22
	s_add_i32 s23, s23, s0
	s_sub_u32 s0, s14, s22
	s_subb_u32 s14, s15, s23
	s_waitcnt lgkmcnt(0)
	s_mul_i32 s14, s24, s14
	s_mul_hi_u32 s15, s24, s0
	s_mul_i32 s22, s25, s0
	s_add_i32 s14, s15, s14
	s_mul_i32 s0, s24, s0
	s_add_i32 s14, s14, s22
	s_add_u32 s16, s0, s16
	s_addc_u32 s17, s14, s17
	s_add_i32 s19, s19, -1
	s_add_u32 s2, s2, -8
	s_addc_u32 s3, s3, -1
	s_cmp_gt_u32 s19, 2
	s_cbranch_scc0 .LBB152_9
; %bb.8:                                ;   in Loop: Header=BB152_5 Depth=1
	s_mov_b64 s[14:15], s[20:21]
	s_branch .LBB152_5
.LBB152_9:
	s_clause 0x1
	s_load_dword s14, s[4:5], 0x358
	s_load_dwordx2 s[24:25], s[4:5], 0xd0
	s_add_u32 s0, s4, 0x1c0
	s_addc_u32 s1, s5, 0
	s_mov_b64 s[22:23], 0
	s_mov_b64 s[26:27], s[12:13]
	s_waitcnt lgkmcnt(0)
	s_cmp_lt_i32 s14, 2
	s_cbranch_scc1 .LBB152_15
; %bb.10:
	s_add_i32 s2, s14, -1
	s_mov_b32 s3, 0
	s_add_i32 s19, s14, 1
	s_lshl_b64 s[22:23], s[2:3], 3
	s_mov_b64 s[28:29], s[12:13]
	s_add_u32 s2, s0, s22
	s_addc_u32 s15, s1, s23
	s_add_u32 s14, s2, 8
	s_addc_u32 s15, s15, 0
	s_mov_b64 s[22:23], 0
.LBB152_11:                             ; =>This Inner Loop Header: Depth=1
	s_load_dwordx2 s[30:31], s[14:15], 0x0
	s_mov_b64 s[26:27], 0
	s_waitcnt lgkmcnt(0)
	v_cmp_lt_u64_e64 s2, s[28:29], s[30:31]
	s_and_b32 vcc_lo, exec_lo, s2
	s_cbranch_vccnz .LBB152_13
; %bb.12:                               ;   in Loop: Header=BB152_11 Depth=1
	v_cvt_f32_u32_e32 v1, s30
	s_sub_i32 s21, 0, s30
	v_rcp_iflag_f32_e32 v1, v1
	v_mul_f32_e32 v1, 0x4f7ffffe, v1
	v_cvt_u32_f32_e32 v1, v1
	v_readfirstlane_b32 s2, v1
	s_mul_i32 s21, s21, s2
	s_mul_hi_u32 s21, s2, s21
	s_add_i32 s2, s2, s21
	s_mul_hi_u32 s2, s28, s2
	s_mul_i32 s21, s2, s30
	s_add_i32 s26, s2, 1
	s_sub_i32 s21, s28, s21
	s_sub_i32 s27, s21, s30
	s_cmp_ge_u32 s21, s30
	s_cselect_b32 s2, s26, s2
	s_cselect_b32 s21, s27, s21
	s_add_i32 s26, s2, 1
	s_cmp_ge_u32 s21, s30
	s_cselect_b32 s2, s26, s2
	s_mov_b64 s[26:27], s[2:3]
.LBB152_13:                             ;   in Loop: Header=BB152_11 Depth=1
	s_load_dwordx2 s[34:35], s[14:15], 0xc8
	s_mul_i32 s2, s26, s31
	s_mul_hi_u32 s21, s26, s30
	s_mul_i32 s30, s26, s30
	s_add_i32 s21, s21, s2
	s_sub_u32 s2, s28, s30
	s_subb_u32 s21, s29, s21
	s_waitcnt lgkmcnt(0)
	s_mul_i32 s21, s34, s21
	s_mul_hi_u32 s28, s34, s2
	s_mul_i32 s29, s35, s2
	s_add_i32 s21, s28, s21
	s_mul_i32 s2, s34, s2
	s_add_i32 s21, s21, s29
	s_add_u32 s22, s2, s22
	s_addc_u32 s23, s21, s23
	s_add_i32 s19, s19, -1
	s_add_u32 s14, s14, -8
	s_addc_u32 s15, s15, -1
	s_cmp_gt_u32 s19, 2
	s_cbranch_scc0 .LBB152_15
; %bb.14:                               ;   in Loop: Header=BB152_11 Depth=1
	s_mov_b64 s[28:29], s[26:27]
	s_branch .LBB152_11
.LBB152_15:
	s_clause 0x1
	s_load_dword s2, s[4:5], 0x500
	s_load_dwordx2 s[30:31], s[0:1], 0xd0
	s_add_u32 s3, s4, 0x368
	s_addc_u32 s14, s5, 0
	s_mov_b64 s[28:29], 0
	s_waitcnt lgkmcnt(0)
	s_cmp_lt_i32 s2, 2
	s_cbranch_scc1 .LBB152_21
; %bb.16:
	s_add_i32 s0, s2, -1
	s_mov_b32 s1, 0
	s_add_i32 s19, s2, 1
	s_lshl_b64 s[28:29], s[0:1], 3
	s_add_u32 s0, s3, s28
	s_addc_u32 s3, s14, s29
	s_add_u32 s2, s0, 8
	s_addc_u32 s3, s3, 0
	s_mov_b64 s[28:29], 0
	s_mov_b64 s[14:15], s[12:13]
.LBB152_17:                             ; =>This Inner Loop Header: Depth=1
	s_load_dwordx2 s[36:37], s[2:3], 0x0
	s_mov_b64 s[34:35], 0
	s_waitcnt lgkmcnt(0)
	v_cmp_lt_u64_e64 s0, s[14:15], s[36:37]
	s_and_b32 vcc_lo, exec_lo, s0
	s_cbranch_vccnz .LBB152_19
; %bb.18:                               ;   in Loop: Header=BB152_17 Depth=1
	v_cvt_f32_u32_e32 v1, s36
	s_sub_i32 s21, 0, s36
	v_rcp_iflag_f32_e32 v1, v1
	v_mul_f32_e32 v1, 0x4f7ffffe, v1
	v_cvt_u32_f32_e32 v1, v1
	v_readfirstlane_b32 s0, v1
	s_mul_i32 s21, s21, s0
	s_mul_hi_u32 s21, s0, s21
	s_add_i32 s0, s0, s21
	s_mul_hi_u32 s0, s14, s0
	s_mul_i32 s21, s0, s36
	s_add_i32 s27, s0, 1
	s_sub_i32 s21, s14, s21
	s_sub_i32 s34, s21, s36
	s_cmp_ge_u32 s21, s36
	s_cselect_b32 s0, s27, s0
	s_cselect_b32 s21, s34, s21
	s_add_i32 s27, s0, 1
	s_cmp_ge_u32 s21, s36
	s_cselect_b32 s0, s27, s0
	s_mov_b64 s[34:35], s[0:1]
.LBB152_19:                             ;   in Loop: Header=BB152_17 Depth=1
	s_load_dwordx2 s[38:39], s[2:3], 0xc8
	s_mul_i32 s0, s34, s37
	s_mul_hi_u32 s21, s34, s36
	s_mul_i32 s27, s34, s36
	s_add_i32 s21, s21, s0
	s_sub_u32 s0, s14, s27
	s_subb_u32 s14, s15, s21
	s_waitcnt lgkmcnt(0)
	s_mul_i32 s14, s38, s14
	s_mul_hi_u32 s15, s38, s0
	s_mul_i32 s21, s39, s0
	s_add_i32 s14, s15, s14
	s_mul_i32 s0, s38, s0
	s_add_i32 s14, s14, s21
	s_add_u32 s28, s0, s28
	s_addc_u32 s29, s14, s29
	s_add_i32 s19, s19, -1
	s_add_u32 s2, s2, -8
	s_addc_u32 s3, s3, -1
	s_cmp_gt_u32 s19, 2
	s_cbranch_scc0 .LBB152_22
; %bb.20:                               ;   in Loop: Header=BB152_17 Depth=1
	s_mov_b64 s[14:15], s[34:35]
	s_branch .LBB152_17
.LBB152_21:
	s_mov_b64 s[34:35], s[12:13]
.LBB152_22:
	s_load_dwordx4 s[0:3], s[4:5], 0x518
	s_lshl_b64 s[12:13], s[12:13], 2
	s_mov_b32 s19, 0
	s_waitcnt lgkmcnt(0)
	s_add_u32 s0, s0, s12
	s_addc_u32 s1, s1, s13
	s_clause 0x3
	s_load_dwordx2 s[38:39], s[4:5], 0x438
	s_load_dwordx2 s[42:43], s[4:5], 0x0
	;; [unrolled: 1-line block ×4, first 2 shown]
	s_load_dword s21, s[0:1], 0x0
	v_cmp_ne_u32_e64 s0, 0, v0
	v_cmp_eq_u32_e64 s1, 0, v0
	s_and_saveexec_b32 s27, s1
	s_cbranch_execz .LBB152_38
; %bb.23:
	s_load_dwordx2 s[44:45], s[4:5], 0x528
	s_lshl_b64 s[46:47], s[18:19], 2
	s_mov_b32 s18, 0
	s_add_u32 s12, s2, s46
	s_addc_u32 s13, s3, s47
	s_mov_b32 s35, 0
	s_waitcnt lgkmcnt(0)
	s_add_u32 s14, s44, s46
	s_addc_u32 s15, s45, s47
	s_cmp_lt_u32 s7, 4
	s_cbranch_scc1 .LBB152_35
; %bb.24:
	s_mov_b32 s51, 0
.LBB152_25:                             ; =>This Inner Loop Header: Depth=1
	s_add_u32 s12, s2, s46
	s_addc_u32 s13, s3, s47
	s_add_u32 s48, s44, s46
	s_load_dwordx4 s[12:15], s[12:13], 0x0
	s_addc_u32 s49, s45, s47
	s_cmp_ge_u32 s51, s50
	s_cbranch_scc0 .LBB152_32
; %bb.26:                               ;   in Loop: Header=BB152_25 Depth=1
	s_add_i32 s52, s51, 1
	s_cmp_ge_u32 s52, s50
	s_cbranch_scc0 .LBB152_33
.LBB152_27:                             ;   in Loop: Header=BB152_25 Depth=1
	s_add_i32 s52, s52, 1
	s_cmp_ge_u32 s52, s50
	s_cbranch_scc0 .LBB152_34
.LBB152_28:                             ;   in Loop: Header=BB152_25 Depth=1
	s_add_i32 s52, s52, 1
	s_cmp_ge_u32 s52, s50
	s_cbranch_scc1 .LBB152_30
.LBB152_29:                             ;   in Loop: Header=BB152_25 Depth=1
	s_load_dword s48, s[48:49], 0xc
	s_waitcnt lgkmcnt(0)
	s_add_i32 s19, s19, s15
	s_add_i32 s18, s48, s18
.LBB152_30:                             ;   in Loop: Header=BB152_25 Depth=1
	s_waitcnt lgkmcnt(0)
	s_add_i32 s12, s12, s35
	s_add_i32 s12, s12, s13
	;; [unrolled: 1-line block ×4, first 2 shown]
	s_add_u32 s2, s2, 16
	s_addc_u32 s3, s3, 0
	s_add_u32 s44, s44, 16
	s_addc_u32 s45, s45, 0
	s_add_i32 s49, s52, 4
	s_add_u32 s14, s44, s46
	s_addc_u32 s15, s45, s47
	s_add_u32 s12, s2, s46
	s_addc_u32 s13, s3, s47
	s_add_i32 s48, s52, 1
	s_cmp_ge_u32 s49, s7
	s_cbranch_scc1 .LBB152_36
; %bb.31:                               ;   in Loop: Header=BB152_25 Depth=1
	s_mov_b32 s51, s48
	s_branch .LBB152_25
.LBB152_32:                             ;   in Loop: Header=BB152_25 Depth=1
	s_load_dword s52, s[48:49], 0x0
	s_waitcnt lgkmcnt(0)
	s_add_i32 s19, s12, s19
	s_add_i32 s18, s52, s18
	;; [unrolled: 1-line block ×3, first 2 shown]
	s_cmp_ge_u32 s52, s50
	s_cbranch_scc1 .LBB152_27
.LBB152_33:                             ;   in Loop: Header=BB152_25 Depth=1
	s_load_dword s53, s[48:49], 0x4
	s_waitcnt lgkmcnt(0)
	s_add_i32 s19, s19, s13
	s_add_i32 s18, s53, s18
	;; [unrolled: 1-line block ×3, first 2 shown]
	s_cmp_ge_u32 s52, s50
	s_cbranch_scc1 .LBB152_28
.LBB152_34:                             ;   in Loop: Header=BB152_25 Depth=1
	s_load_dword s53, s[48:49], 0x8
	s_waitcnt lgkmcnt(0)
	s_add_i32 s19, s19, s14
	s_add_i32 s18, s53, s18
	;; [unrolled: 1-line block ×3, first 2 shown]
	s_cmp_ge_u32 s52, s50
	s_cbranch_scc0 .LBB152_29
	s_branch .LBB152_30
.LBB152_35:
	s_mov_b32 s2, 0
	s_cmp_ge_u32 s2, s7
	s_cbranch_scc0 .LBB152_59
	s_branch .LBB152_37
.LBB152_36:
	s_add_i32 s2, s51, 4
	s_cmp_ge_u32 s2, s7
	s_cbranch_scc0 .LBB152_59
.LBB152_37:
	v_mov_b32_e32 v1, s18
	v_mov_b32_e32 v2, s35
	v_mov_b32_e32 v3, s19
	v_mov_b32_e32 v4, 0
	ds_write_b96 v4, v[1:3] offset:1056
.LBB152_38:
	s_or_b32 exec_lo, exec_lo, s27
	s_cmp_eq_u32 s6, 0
	s_waitcnt lgkmcnt(0)
	s_barrier
	buffer_gl0_inv
	s_cbranch_scc1 .LBB152_61
; %bb.39:
	s_mul_i32 s7, s25, s20
	s_mul_hi_u32 s12, s24, s20
	v_mov_b32_e32 v5, 0
	s_mul_i32 s2, s31, s26
	s_mul_hi_u32 s3, s30, s26
	s_add_i32 s13, s12, s7
	s_mul_i32 s12, s24, s20
	s_add_i32 s3, s3, s2
	s_mul_i32 s2, s39, s34
	s_mul_hi_u32 s7, s38, s34
	s_lshl_b64 s[12:13], s[12:13], 2
	s_add_i32 s15, s7, s2
	ds_read_b96 v[1:3], v5 offset:1056
	s_add_u32 s7, s42, s12
	s_addc_u32 s14, s43, s13
	s_lshl_b64 s[12:13], s[16:17], 2
	s_mul_i32 s2, s30, s26
	s_add_u32 s7, s7, s12
	s_addc_u32 s16, s14, s13
	s_lshl_b64 s[2:3], s[2:3], 2
	s_mul_i32 s14, s38, s34
	s_add_u32 s12, s40, s2
	s_addc_u32 s13, s41, s3
	s_lshl_b64 s[2:3], s[22:23], 2
	v_add_nc_u32_e32 v10, -1, v0
	s_add_u32 s17, s12, s2
	s_addc_u32 s18, s13, s3
	s_lshl_b64 s[2:3], s[14:15], 3
	v_lshrrev_b32_e32 v4, 3, v0
	s_add_u32 s12, s36, s2
	s_addc_u32 s13, s37, s3
	s_lshl_b64 s[2:3], s[28:29], 3
	v_lshrrev_b32_e32 v6, 3, v10
	s_add_u32 s19, s12, s2
	s_addc_u32 s20, s13, s3
	s_clause 0x3
	s_load_dword s3, s[4:5], 0x1b0
	s_load_dwordx2 s[12:13], s[4:5], 0x1b8
	s_load_dwordx2 s[14:15], s[4:5], 0x360
	;; [unrolled: 1-line block ×3, first 2 shown]
	s_waitcnt lgkmcnt(0)
	v_add_nc_u32_e32 v1, v1, v2
	v_and_b32_e32 v12, 0x1ffffffc, v6
	v_and_b32_e32 v2, 28, v4
	;; [unrolled: 1-line block ×3, first 2 shown]
	v_lshlrev_b32_e32 v11, 5, v0
	v_mad_u64_u32 v[6:7], null, s50, s33, v[0:1]
	v_mbcnt_lo_u32_b32 v8, -1, 0
	s_xor_b32 s22, s21, 0x80000000
	v_lshl_add_u32 v9, v0, 2, v2
	v_cmp_gt_u32_e64 s2, 32, v0
	v_lshl_add_u32 v0, v10, 2, v12
	v_add_nc_u32_e32 v10, v4, v11
	v_and_b32_e32 v11, 15, v8
	v_bfe_i32 v12, v8, 4, 1
	v_add_nc_u32_e32 v13, -1, v8
	v_mov_b32_e32 v4, v6
	s_bitcmp1_b32 s3, 0
                                        ; implicit-def: $vgpr14
	s_cselect_b32 s3, -1, 0
	s_branch .LBB152_42
.LBB152_40:                             ;   in Loop: Header=BB152_42 Depth=1
	s_or_b32 exec_lo, exec_lo, s23
	v_add_nc_u32_e32 v1, v2, v1
.LBB152_41:                             ;   in Loop: Header=BB152_42 Depth=1
	v_add_nc_u32_e32 v3, v15, v3
	v_add_nc_u32_e32 v4, 0x100, v4
	s_add_i32 s6, s6, -1
	s_cmp_lg_u32 s6, 0
	s_cbranch_scc0 .LBB152_61
.LBB152_42:                             ; =>This Inner Loop Header: Depth=1
	v_mov_b32_e32 v2, v5
	v_mov_b32_e32 v6, v5
	s_mov_b32 s23, exec_lo
	v_cmpx_gt_u64_e64 s[8:9], v[4:5]
	s_cbranch_execz .LBB152_44
; %bb.43:                               ;   in Loop: Header=BB152_42 Depth=1
	v_mad_u64_u32 v[6:7], null, s12, v4, 0
	v_mov_b32_e32 v2, v7
	v_mad_u64_u32 v[14:15], null, s13, v4, v[2:3]
	v_mov_b32_e32 v7, v14
	v_lshlrev_b64 v[6:7], 2, v[6:7]
	v_add_co_u32 v6, vcc_lo, s7, v6
	v_add_co_ci_u32_e64 v7, null, s16, v7, vcc_lo
	global_load_dword v14, v[6:7], off
	s_waitcnt vmcnt(0)
	v_xor_b32_e32 v2, 0x80000000, v14
	v_cmp_lt_u32_e32 vcc_lo, s22, v2
	v_cndmask_b32_e64 v6, 0, 1, vcc_lo
	v_cmp_gt_u32_e32 vcc_lo, s22, v2
	v_cndmask_b32_e64 v2, 0, 1, vcc_lo
	v_cmp_eq_u32_e32 vcc_lo, s21, v14
	v_cndmask_b32_e64 v2, v2, v6, s3
	v_cndmask_b32_e64 v6, 0, 1, vcc_lo
	v_and_b32_e32 v2, 1, v2
.LBB152_44:                             ;   in Loop: Header=BB152_42 Depth=1
	s_or_b32 exec_lo, exec_lo, s23
	ds_write_b32 v9, v2
	s_waitcnt lgkmcnt(0)
	s_barrier
	buffer_gl0_inv
	s_and_saveexec_b32 s23, s2
	s_cbranch_execz .LBB152_46
; %bb.45:                               ;   in Loop: Header=BB152_42 Depth=1
	ds_read2_b32 v[15:16], v10 offset1:1
	ds_read2_b32 v[17:18], v10 offset0:2 offset1:3
	ds_read2_b32 v[19:20], v10 offset0:4 offset1:5
	;; [unrolled: 1-line block ×3, first 2 shown]
	v_cmp_ne_u32_e32 vcc_lo, 0, v11
	; wave barrier
	s_waitcnt lgkmcnt(3)
	v_add_nc_u32_e32 v7, v16, v15
	s_waitcnt lgkmcnt(2)
	v_add3_u32 v7, v7, v17, v18
	s_waitcnt lgkmcnt(1)
	v_add3_u32 v7, v7, v19, v20
	;; [unrolled: 2-line block ×3, first 2 shown]
	v_mov_b32_dpp v16, v7 row_shr:1 row_mask:0xf bank_mask:0xf
	v_cndmask_b32_e32 v16, 0, v16, vcc_lo
	v_cmp_lt_u32_e32 vcc_lo, 1, v11
	v_add_nc_u32_e32 v7, v16, v7
	v_mov_b32_dpp v16, v7 row_shr:2 row_mask:0xf bank_mask:0xf
	v_cndmask_b32_e32 v16, 0, v16, vcc_lo
	v_cmp_lt_u32_e32 vcc_lo, 3, v11
	v_add_nc_u32_e32 v7, v7, v16
	;; [unrolled: 4-line block ×3, first 2 shown]
	v_mov_b32_dpp v16, v7 row_shr:8 row_mask:0xf bank_mask:0xf
	v_cndmask_b32_e32 v16, 0, v16, vcc_lo
	v_cmp_gt_i32_e32 vcc_lo, 0, v13
	v_add_nc_u32_e32 v7, v7, v16
	v_cndmask_b32_e32 v17, v13, v8, vcc_lo
	ds_swizzle_b32 v16, v7 offset:swizzle(BROADCAST,32,15)
	v_lshlrev_b32_e32 v17, 2, v17
	s_waitcnt lgkmcnt(0)
	v_and_b32_e32 v16, v12, v16
	v_add_nc_u32_e32 v7, v7, v16
	ds_bpermute_b32 v7, v17, v7
	s_waitcnt lgkmcnt(0)
	v_add_nc_u32_e32 v7, v7, v15
	v_cndmask_b32_e64 v7, v7, v2, s1
	ds_write_b32 v10, v7
	; wave barrier
	ds_read2_b32 v[15:16], v10 offset0:1 offset1:2
	ds_read2_b32 v[17:18], v10 offset0:3 offset1:4
	;; [unrolled: 1-line block ×3, first 2 shown]
	ds_read_b32 v21, v10 offset:28
	s_waitcnt lgkmcnt(3)
	v_add_nc_u32_e32 v7, v15, v7
	v_add_nc_u32_e32 v15, v16, v7
	s_waitcnt lgkmcnt(2)
	v_add_nc_u32_e32 v16, v17, v15
	v_add_nc_u32_e32 v17, v18, v16
	;; [unrolled: 3-line block ×3, first 2 shown]
	s_waitcnt lgkmcnt(0)
	v_add_nc_u32_e32 v20, v21, v19
	ds_write2_b32 v10, v7, v15 offset0:1 offset1:2
	ds_write2_b32 v10, v16, v17 offset0:3 offset1:4
	ds_write2_b32 v10, v18, v19 offset0:5 offset1:6
	ds_write_b32 v10, v20 offset:28
.LBB152_46:                             ;   in Loop: Header=BB152_42 Depth=1
	s_or_b32 exec_lo, exec_lo, s23
	v_mov_b32_e32 v7, 0
	s_waitcnt lgkmcnt(0)
	s_barrier
	buffer_gl0_inv
	s_and_saveexec_b32 s23, s0
; %bb.47:                               ;   in Loop: Header=BB152_42 Depth=1
	ds_read_b32 v7, v0
; %bb.48:                               ;   in Loop: Header=BB152_42 Depth=1
	s_or_b32 exec_lo, exec_lo, s23
	ds_read_b32 v15, v5 offset:1048
	s_mov_b32 s23, exec_lo
	s_waitcnt lgkmcnt(0)
	s_barrier
	buffer_gl0_inv
	v_cmpx_ne_u32_e32 0, v2
	s_cbranch_execz .LBB152_50
; %bb.49:                               ;   in Loop: Header=BB152_42 Depth=1
	v_add_nc_u32_e32 v21, v7, v3
	v_mad_u64_u32 v[16:17], null, s14, v21, 0
	v_mad_u64_u32 v[18:19], null, s4, v21, 0
	v_mov_b32_e32 v2, v17
	v_mov_b32_e32 v7, v19
	v_mad_u64_u32 v[19:20], null, s15, v21, v[2:3]
	v_mad_u64_u32 v[20:21], null, s5, v21, v[7:8]
	v_mov_b32_e32 v17, v19
	v_mov_b32_e32 v19, v20
	v_lshlrev_b64 v[16:17], 2, v[16:17]
	v_lshlrev_b64 v[18:19], 3, v[18:19]
	v_add_co_u32 v16, vcc_lo, s17, v16
	v_add_co_ci_u32_e64 v17, null, s18, v17, vcc_lo
	v_add_co_u32 v18, vcc_lo, s19, v18
	v_add_co_ci_u32_e64 v19, null, s20, v19, vcc_lo
	global_store_dword v[16:17], v14, off
	global_store_dwordx2 v[18:19], v[4:5], off
.LBB152_50:                             ;   in Loop: Header=BB152_42 Depth=1
	s_or_b32 exec_lo, exec_lo, s23
	v_mov_b32_e32 v2, v5
	v_cmp_le_u64_e32 vcc_lo, s[10:11], v[1:2]
	s_cbranch_vccnz .LBB152_41
; %bb.51:                               ;   in Loop: Header=BB152_42 Depth=1
	ds_write_b32 v9, v6
	s_waitcnt lgkmcnt(0)
	s_waitcnt_vscnt null, 0x0
	s_barrier
	buffer_gl0_inv
	s_and_saveexec_b32 s23, s2
	s_cbranch_execz .LBB152_53
; %bb.52:                               ;   in Loop: Header=BB152_42 Depth=1
	ds_read2_b32 v[16:17], v10 offset1:1
	ds_read2_b32 v[18:19], v10 offset0:2 offset1:3
	ds_read2_b32 v[20:21], v10 offset0:4 offset1:5
	;; [unrolled: 1-line block ×3, first 2 shown]
	v_cmp_ne_u32_e32 vcc_lo, 0, v11
	; wave barrier
	s_waitcnt lgkmcnt(3)
	v_add_nc_u32_e32 v2, v17, v16
	s_waitcnt lgkmcnt(2)
	v_add3_u32 v2, v2, v18, v19
	s_waitcnt lgkmcnt(1)
	v_add3_u32 v2, v2, v20, v21
	;; [unrolled: 2-line block ×3, first 2 shown]
	v_mov_b32_dpp v7, v2 row_shr:1 row_mask:0xf bank_mask:0xf
	v_cndmask_b32_e32 v7, 0, v7, vcc_lo
	v_cmp_lt_u32_e32 vcc_lo, 1, v11
	v_add_nc_u32_e32 v2, v7, v2
	v_mov_b32_dpp v7, v2 row_shr:2 row_mask:0xf bank_mask:0xf
	v_cndmask_b32_e32 v7, 0, v7, vcc_lo
	v_cmp_lt_u32_e32 vcc_lo, 3, v11
	v_add_nc_u32_e32 v2, v2, v7
	;; [unrolled: 4-line block ×3, first 2 shown]
	v_mov_b32_dpp v7, v2 row_shr:8 row_mask:0xf bank_mask:0xf
	v_cndmask_b32_e32 v7, 0, v7, vcc_lo
	v_cmp_gt_i32_e32 vcc_lo, 0, v13
	v_add_nc_u32_e32 v2, v2, v7
	v_cndmask_b32_e32 v17, v13, v8, vcc_lo
	ds_swizzle_b32 v7, v2 offset:swizzle(BROADCAST,32,15)
	v_lshlrev_b32_e32 v17, 2, v17
	s_waitcnt lgkmcnt(0)
	v_and_b32_e32 v7, v12, v7
	v_add_nc_u32_e32 v2, v2, v7
	ds_bpermute_b32 v2, v17, v2
	s_waitcnt lgkmcnt(0)
	v_add_nc_u32_e32 v2, v2, v16
	v_cndmask_b32_e64 v2, v2, v6, s1
	ds_write_b32 v10, v2
	; wave barrier
	ds_read2_b32 v[16:17], v10 offset0:1 offset1:2
	ds_read2_b32 v[18:19], v10 offset0:3 offset1:4
	;; [unrolled: 1-line block ×3, first 2 shown]
	ds_read_b32 v7, v10 offset:28
	s_waitcnt lgkmcnt(3)
	v_add_nc_u32_e32 v2, v16, v2
	v_add_nc_u32_e32 v16, v17, v2
	s_waitcnt lgkmcnt(2)
	v_add_nc_u32_e32 v17, v18, v16
	v_add_nc_u32_e32 v18, v19, v17
	;; [unrolled: 3-line block ×3, first 2 shown]
	s_waitcnt lgkmcnt(0)
	v_add_nc_u32_e32 v7, v7, v20
	ds_write2_b32 v10, v2, v16 offset0:1 offset1:2
	ds_write2_b32 v10, v17, v18 offset0:3 offset1:4
	;; [unrolled: 1-line block ×3, first 2 shown]
	ds_write_b32 v10, v7 offset:28
.LBB152_53:                             ;   in Loop: Header=BB152_42 Depth=1
	s_or_b32 exec_lo, exec_lo, s23
	v_mov_b32_e32 v7, 0
	s_waitcnt lgkmcnt(0)
	s_barrier
	buffer_gl0_inv
	s_and_saveexec_b32 s23, s0
; %bb.54:                               ;   in Loop: Header=BB152_42 Depth=1
	ds_read_b32 v7, v0
; %bb.55:                               ;   in Loop: Header=BB152_42 Depth=1
	s_or_b32 exec_lo, exec_lo, s23
	ds_read_b32 v2, v5 offset:1048
	s_mov_b32 s23, exec_lo
	s_waitcnt lgkmcnt(0)
	s_barrier
	buffer_gl0_inv
	v_cmpx_ne_u32_e32 0, v6
	s_cbranch_execz .LBB152_40
; %bb.56:                               ;   in Loop: Header=BB152_42 Depth=1
	v_add_nc_u32_e32 v6, v7, v1
	v_mov_b32_e32 v7, v5
	v_cmp_gt_u64_e32 vcc_lo, s[10:11], v[6:7]
	s_and_b32 exec_lo, exec_lo, vcc_lo
	s_cbranch_execz .LBB152_40
; %bb.57:                               ;   in Loop: Header=BB152_42 Depth=1
	v_mad_u64_u32 v[16:17], null, s14, v6, 0
	v_mad_u64_u32 v[18:19], null, s4, v6, 0
	v_mov_b32_e32 v7, v17
	v_mov_b32_e32 v17, v19
	v_mad_u64_u32 v[19:20], null, s15, v6, v[7:8]
	v_mad_u64_u32 v[6:7], null, s5, v6, v[17:18]
	v_mov_b32_e32 v17, v19
	v_mov_b32_e32 v19, v6
	v_lshlrev_b64 v[6:7], 2, v[16:17]
	v_lshlrev_b64 v[16:17], 3, v[18:19]
	v_add_co_u32 v6, vcc_lo, s17, v6
	v_add_co_ci_u32_e64 v7, null, s18, v7, vcc_lo
	v_add_co_u32 v16, vcc_lo, s19, v16
	v_add_co_ci_u32_e64 v17, null, s20, v17, vcc_lo
	global_store_dword v[6:7], v14, off
	global_store_dwordx2 v[16:17], v[4:5], off
	s_branch .LBB152_40
	.p2align	6
.LBB152_58:                             ;   in Loop: Header=BB152_59 Depth=1
	s_add_u32 s12, s12, 4
	s_addc_u32 s13, s13, 0
	s_waitcnt lgkmcnt(0)
	s_add_i32 s35, s3, s35
	s_add_u32 s14, s14, 4
	s_addc_u32 s15, s15, 0
	s_add_i32 s2, s2, 1
	s_cmp_lt_u32 s2, s7
	s_cbranch_scc0 .LBB152_37
.LBB152_59:                             ; =>This Inner Loop Header: Depth=1
	s_load_dword s3, s[12:13], 0x0
	s_cmp_ge_u32 s2, s50
	s_cbranch_scc1 .LBB152_58
; %bb.60:                               ;   in Loop: Header=BB152_59 Depth=1
	s_load_dword s44, s[14:15], 0x0
	s_waitcnt lgkmcnt(0)
	s_add_i32 s19, s3, s19
	s_add_i32 s18, s44, s18
	s_branch .LBB152_58
.LBB152_61:
	s_endpgm
	.section	.rodata,"a",@progbits
	.p2align	6, 0x0
	.amdhsa_kernel _ZN2at6native6mbtopk10gatherTopKIimLin1EEEvNS_4cuda6detail10TensorInfoIKT_T0_EES8_S8_bjS8_NS5_IS6_S8_EES8_NS5_IlS8_EES8_jjPS6_PjSD_j
		.amdhsa_group_segment_fixed_size 1068
		.amdhsa_private_segment_fixed_size 0
		.amdhsa_kernarg_size 1592
		.amdhsa_user_sgpr_count 6
		.amdhsa_user_sgpr_private_segment_buffer 1
		.amdhsa_user_sgpr_dispatch_ptr 0
		.amdhsa_user_sgpr_queue_ptr 0
		.amdhsa_user_sgpr_kernarg_segment_ptr 1
		.amdhsa_user_sgpr_dispatch_id 0
		.amdhsa_user_sgpr_flat_scratch_init 0
		.amdhsa_user_sgpr_private_segment_size 0
		.amdhsa_wavefront_size32 1
		.amdhsa_uses_dynamic_stack 0
		.amdhsa_system_sgpr_private_segment_wavefront_offset 0
		.amdhsa_system_sgpr_workgroup_id_x 1
		.amdhsa_system_sgpr_workgroup_id_y 1
		.amdhsa_system_sgpr_workgroup_id_z 1
		.amdhsa_system_sgpr_workgroup_info 0
		.amdhsa_system_vgpr_workitem_id 0
		.amdhsa_next_free_vgpr 24
		.amdhsa_next_free_sgpr 54
		.amdhsa_reserve_vcc 1
		.amdhsa_reserve_flat_scratch 0
		.amdhsa_float_round_mode_32 0
		.amdhsa_float_round_mode_16_64 0
		.amdhsa_float_denorm_mode_32 3
		.amdhsa_float_denorm_mode_16_64 3
		.amdhsa_dx10_clamp 1
		.amdhsa_ieee_mode 1
		.amdhsa_fp16_overflow 0
		.amdhsa_workgroup_processor_mode 1
		.amdhsa_memory_ordered 1
		.amdhsa_forward_progress 1
		.amdhsa_shared_vgpr_count 0
		.amdhsa_exception_fp_ieee_invalid_op 0
		.amdhsa_exception_fp_denorm_src 0
		.amdhsa_exception_fp_ieee_div_zero 0
		.amdhsa_exception_fp_ieee_overflow 0
		.amdhsa_exception_fp_ieee_underflow 0
		.amdhsa_exception_fp_ieee_inexact 0
		.amdhsa_exception_int_div_zero 0
	.end_amdhsa_kernel
	.section	.text._ZN2at6native6mbtopk10gatherTopKIimLin1EEEvNS_4cuda6detail10TensorInfoIKT_T0_EES8_S8_bjS8_NS5_IS6_S8_EES8_NS5_IlS8_EES8_jjPS6_PjSD_j,"axG",@progbits,_ZN2at6native6mbtopk10gatherTopKIimLin1EEEvNS_4cuda6detail10TensorInfoIKT_T0_EES8_S8_bjS8_NS5_IS6_S8_EES8_NS5_IlS8_EES8_jjPS6_PjSD_j,comdat
.Lfunc_end152:
	.size	_ZN2at6native6mbtopk10gatherTopKIimLin1EEEvNS_4cuda6detail10TensorInfoIKT_T0_EES8_S8_bjS8_NS5_IS6_S8_EES8_NS5_IlS8_EES8_jjPS6_PjSD_j, .Lfunc_end152-_ZN2at6native6mbtopk10gatherTopKIimLin1EEEvNS_4cuda6detail10TensorInfoIKT_T0_EES8_S8_bjS8_NS5_IS6_S8_EES8_NS5_IlS8_EES8_jjPS6_PjSD_j
                                        ; -- End function
	.set _ZN2at6native6mbtopk10gatherTopKIimLin1EEEvNS_4cuda6detail10TensorInfoIKT_T0_EES8_S8_bjS8_NS5_IS6_S8_EES8_NS5_IlS8_EES8_jjPS6_PjSD_j.num_vgpr, 24
	.set _ZN2at6native6mbtopk10gatherTopKIimLin1EEEvNS_4cuda6detail10TensorInfoIKT_T0_EES8_S8_bjS8_NS5_IS6_S8_EES8_NS5_IlS8_EES8_jjPS6_PjSD_j.num_agpr, 0
	.set _ZN2at6native6mbtopk10gatherTopKIimLin1EEEvNS_4cuda6detail10TensorInfoIKT_T0_EES8_S8_bjS8_NS5_IS6_S8_EES8_NS5_IlS8_EES8_jjPS6_PjSD_j.numbered_sgpr, 54
	.set _ZN2at6native6mbtopk10gatherTopKIimLin1EEEvNS_4cuda6detail10TensorInfoIKT_T0_EES8_S8_bjS8_NS5_IS6_S8_EES8_NS5_IlS8_EES8_jjPS6_PjSD_j.num_named_barrier, 0
	.set _ZN2at6native6mbtopk10gatherTopKIimLin1EEEvNS_4cuda6detail10TensorInfoIKT_T0_EES8_S8_bjS8_NS5_IS6_S8_EES8_NS5_IlS8_EES8_jjPS6_PjSD_j.private_seg_size, 0
	.set _ZN2at6native6mbtopk10gatherTopKIimLin1EEEvNS_4cuda6detail10TensorInfoIKT_T0_EES8_S8_bjS8_NS5_IS6_S8_EES8_NS5_IlS8_EES8_jjPS6_PjSD_j.uses_vcc, 1
	.set _ZN2at6native6mbtopk10gatherTopKIimLin1EEEvNS_4cuda6detail10TensorInfoIKT_T0_EES8_S8_bjS8_NS5_IS6_S8_EES8_NS5_IlS8_EES8_jjPS6_PjSD_j.uses_flat_scratch, 0
	.set _ZN2at6native6mbtopk10gatherTopKIimLin1EEEvNS_4cuda6detail10TensorInfoIKT_T0_EES8_S8_bjS8_NS5_IS6_S8_EES8_NS5_IlS8_EES8_jjPS6_PjSD_j.has_dyn_sized_stack, 0
	.set _ZN2at6native6mbtopk10gatherTopKIimLin1EEEvNS_4cuda6detail10TensorInfoIKT_T0_EES8_S8_bjS8_NS5_IS6_S8_EES8_NS5_IlS8_EES8_jjPS6_PjSD_j.has_recursion, 0
	.set _ZN2at6native6mbtopk10gatherTopKIimLin1EEEvNS_4cuda6detail10TensorInfoIKT_T0_EES8_S8_bjS8_NS5_IS6_S8_EES8_NS5_IlS8_EES8_jjPS6_PjSD_j.has_indirect_call, 0
	.section	.AMDGPU.csdata,"",@progbits
; Kernel info:
; codeLenInByte = 3344
; TotalNumSgprs: 56
; NumVgprs: 24
; ScratchSize: 0
; MemoryBound: 0
; FloatMode: 240
; IeeeMode: 1
; LDSByteSize: 1068 bytes/workgroup (compile time only)
; SGPRBlocks: 0
; VGPRBlocks: 2
; NumSGPRsForWavesPerEU: 56
; NumVGPRsForWavesPerEU: 24
; Occupancy: 16
; WaveLimiterHint : 1
; COMPUTE_PGM_RSRC2:SCRATCH_EN: 0
; COMPUTE_PGM_RSRC2:USER_SGPR: 6
; COMPUTE_PGM_RSRC2:TRAP_HANDLER: 0
; COMPUTE_PGM_RSRC2:TGID_X_EN: 1
; COMPUTE_PGM_RSRC2:TGID_Y_EN: 1
; COMPUTE_PGM_RSRC2:TGID_Z_EN: 1
; COMPUTE_PGM_RSRC2:TIDIG_COMP_CNT: 0
	.section	.text._ZN2at6native6sbtopk10gatherTopKIimLin1ELb0EEEvNS_4cuda6detail10TensorInfoIKT_T0_EES8_S8_bS8_S8_NS5_IS6_S8_EES8_NS5_IlS8_EES8_PS6_,"axG",@progbits,_ZN2at6native6sbtopk10gatherTopKIimLin1ELb0EEEvNS_4cuda6detail10TensorInfoIKT_T0_EES8_S8_bS8_S8_NS5_IS6_S8_EES8_NS5_IlS8_EES8_PS6_,comdat
	.protected	_ZN2at6native6sbtopk10gatherTopKIimLin1ELb0EEEvNS_4cuda6detail10TensorInfoIKT_T0_EES8_S8_bS8_S8_NS5_IS6_S8_EES8_NS5_IlS8_EES8_PS6_ ; -- Begin function _ZN2at6native6sbtopk10gatherTopKIimLin1ELb0EEEvNS_4cuda6detail10TensorInfoIKT_T0_EES8_S8_bS8_S8_NS5_IS6_S8_EES8_NS5_IlS8_EES8_PS6_
	.globl	_ZN2at6native6sbtopk10gatherTopKIimLin1ELb0EEEvNS_4cuda6detail10TensorInfoIKT_T0_EES8_S8_bS8_S8_NS5_IS6_S8_EES8_NS5_IlS8_EES8_PS6_
	.p2align	8
	.type	_ZN2at6native6sbtopk10gatherTopKIimLin1ELb0EEEvNS_4cuda6detail10TensorInfoIKT_T0_EES8_S8_bS8_S8_NS5_IS6_S8_EES8_NS5_IlS8_EES8_PS6_,@function
_ZN2at6native6sbtopk10gatherTopKIimLin1ELb0EEEvNS_4cuda6detail10TensorInfoIKT_T0_EES8_S8_bS8_S8_NS5_IS6_S8_EES8_NS5_IlS8_EES8_PS6_: ; @_ZN2at6native6sbtopk10gatherTopKIimLin1ELb0EEEvNS_4cuda6detail10TensorInfoIKT_T0_EES8_S8_bS8_S8_NS5_IS6_S8_EES8_NS5_IlS8_EES8_PS6_
; %bb.0:
	s_clause 0x1
	s_load_dwordx2 s[12:13], s[4:5], 0x520
	s_load_dwordx4 s[24:27], s[4:5], 0x1b8
	s_add_u32 s10, s4, 0x520
	s_addc_u32 s11, s5, 0
	s_mov_b32 s3, 0
	s_waitcnt lgkmcnt(0)
	s_mul_i32 s0, s13, s8
	s_add_i32 s0, s0, s7
	s_mul_i32 s0, s0, s12
	s_add_i32 s2, s0, s6
	v_cmp_le_u64_e64 s0, s[24:25], s[2:3]
	s_and_b32 vcc_lo, exec_lo, s0
	s_cbranch_vccnz .LBB153_492
; %bb.1:
	s_load_dword s7, s[4:5], 0x198
	s_mov_b64 s[0:1], 0
	s_mov_b64 s[8:9], s[2:3]
	s_waitcnt lgkmcnt(0)
	s_cmp_lt_i32 s7, 2
	s_cbranch_scc1 .LBB153_9
; %bb.2:
	s_mov_b32 s14, 0
	s_add_i32 s0, s7, -1
	s_mov_b32 s1, s14
	s_add_i32 s7, s7, 1
	s_lshl_b64 s[8:9], s[0:1], 3
	s_mov_b64 s[0:1], 0
	s_add_u32 s8, s4, s8
	s_addc_u32 s9, s5, s9
	s_add_u32 s16, s8, 8
	s_addc_u32 s17, s9, 0
	s_mov_b64 s[18:19], s[2:3]
.LBB153_3:                              ; =>This Inner Loop Header: Depth=1
	s_load_dwordx2 s[20:21], s[16:17], 0x0
	s_mov_b32 s13, -1
	s_waitcnt lgkmcnt(0)
	s_or_b64 s[8:9], s[18:19], s[20:21]
	s_mov_b32 s15, s9
                                        ; implicit-def: $sgpr8_sgpr9
	s_cmp_lg_u64 s[14:15], 0
	s_cbranch_scc0 .LBB153_5
; %bb.4:                                ;   in Loop: Header=BB153_3 Depth=1
	v_cvt_f32_u32_e32 v1, s20
	v_cvt_f32_u32_e32 v2, s21
	s_sub_u32 s13, 0, s20
	s_subb_u32 s15, 0, s21
	v_fmac_f32_e32 v1, 0x4f800000, v2
	v_rcp_f32_e32 v1, v1
	v_mul_f32_e32 v1, 0x5f7ffffc, v1
	v_mul_f32_e32 v2, 0x2f800000, v1
	v_trunc_f32_e32 v2, v2
	v_fmac_f32_e32 v1, 0xcf800000, v2
	v_cvt_u32_f32_e32 v2, v2
	v_cvt_u32_f32_e32 v1, v1
	v_readfirstlane_b32 s8, v2
	v_readfirstlane_b32 s9, v1
	s_mul_i32 s22, s13, s8
	s_mul_hi_u32 s24, s13, s9
	s_mul_i32 s23, s15, s9
	s_add_i32 s22, s24, s22
	s_mul_i32 s25, s13, s9
	s_add_i32 s22, s22, s23
	s_mul_hi_u32 s24, s9, s25
	s_mul_i32 s29, s9, s22
	s_mul_hi_u32 s28, s8, s25
	s_mul_i32 s23, s8, s25
	s_mul_hi_u32 s25, s9, s22
	s_add_u32 s24, s24, s29
	s_addc_u32 s25, 0, s25
	s_mul_hi_u32 s30, s8, s22
	s_add_u32 s23, s24, s23
	s_mul_i32 s22, s8, s22
	s_addc_u32 s23, s25, s28
	s_addc_u32 s24, s30, 0
	s_add_u32 s22, s23, s22
	s_addc_u32 s23, 0, s24
	s_add_u32 s9, s9, s22
	s_cselect_b32 s22, -1, 0
	s_mul_hi_u32 s24, s13, s9
	s_cmp_lg_u32 s22, 0
	s_mul_i32 s22, s13, s9
	s_addc_u32 s8, s8, s23
	s_mul_i32 s15, s15, s9
	s_mul_i32 s13, s13, s8
	s_mul_hi_u32 s23, s9, s22
	s_add_i32 s13, s24, s13
	s_mul_hi_u32 s24, s8, s22
	s_add_i32 s13, s13, s15
	s_mul_i32 s15, s8, s22
	s_mul_i32 s28, s9, s13
	s_mul_hi_u32 s25, s9, s13
	s_add_u32 s23, s23, s28
	s_addc_u32 s25, 0, s25
	s_mul_hi_u32 s22, s8, s13
	s_add_u32 s15, s23, s15
	s_mul_i32 s13, s8, s13
	s_addc_u32 s15, s25, s24
	s_addc_u32 s22, s22, 0
	s_add_u32 s13, s15, s13
	s_addc_u32 s15, 0, s22
	s_add_u32 s9, s9, s13
	s_cselect_b32 s13, -1, 0
	s_mul_hi_u32 s22, s18, s9
	s_cmp_lg_u32 s13, 0
	s_mul_hi_u32 s13, s19, s9
	s_addc_u32 s8, s8, s15
	s_mul_i32 s9, s19, s9
	s_mul_i32 s23, s18, s8
	s_mul_hi_u32 s15, s18, s8
	s_add_u32 s22, s22, s23
	s_addc_u32 s15, 0, s15
	s_mul_hi_u32 s24, s19, s8
	s_add_u32 s9, s22, s9
	s_mul_i32 s8, s19, s8
	s_addc_u32 s9, s15, s13
	s_addc_u32 s13, s24, 0
	s_add_u32 s8, s9, s8
	s_addc_u32 s9, 0, s13
	s_mul_hi_u32 s13, s20, s8
	s_mul_i32 s15, s20, s9
	s_mul_i32 s22, s21, s8
	s_add_i32 s13, s13, s15
	s_mul_i32 s15, s20, s8
	s_add_i32 s13, s13, s22
	s_sub_i32 s22, s19, s13
	s_sub_u32 s15, s18, s15
	s_cselect_b32 s23, -1, 0
	s_cmp_lg_u32 s23, 0
	s_subb_u32 s22, s22, s21
	s_sub_u32 s24, s15, s20
	s_cselect_b32 s25, -1, 0
	s_cmp_lg_u32 s25, 0
	s_subb_u32 s22, s22, 0
	s_cmp_ge_u32 s22, s21
	s_cselect_b32 s25, -1, 0
	s_cmp_ge_u32 s24, s20
	s_cselect_b32 s24, -1, 0
	s_cmp_eq_u32 s22, s21
	s_cselect_b32 s22, s24, s25
	s_add_u32 s24, s8, 1
	s_addc_u32 s25, s9, 0
	s_add_u32 s28, s8, 2
	s_addc_u32 s29, s9, 0
	s_cmp_lg_u32 s22, 0
	s_cselect_b32 s22, s28, s24
	s_cselect_b32 s24, s29, s25
	s_cmp_lg_u32 s23, 0
	s_subb_u32 s13, s19, s13
	s_cmp_ge_u32 s13, s21
	s_cselect_b32 s23, -1, 0
	s_cmp_ge_u32 s15, s20
	s_cselect_b32 s15, -1, 0
	s_cmp_eq_u32 s13, s21
	s_cselect_b32 s13, s15, s23
	s_cmp_lg_u32 s13, 0
	s_mov_b32 s13, 0
	s_cselect_b32 s9, s24, s9
	s_cselect_b32 s8, s22, s8
.LBB153_5:                              ;   in Loop: Header=BB153_3 Depth=1
	s_andn2_b32 vcc_lo, exec_lo, s13
	s_cbranch_vccnz .LBB153_7
; %bb.6:                                ;   in Loop: Header=BB153_3 Depth=1
	v_cvt_f32_u32_e32 v1, s20
	s_sub_i32 s9, 0, s20
	v_rcp_iflag_f32_e32 v1, v1
	v_mul_f32_e32 v1, 0x4f7ffffe, v1
	v_cvt_u32_f32_e32 v1, v1
	v_readfirstlane_b32 s8, v1
	s_mul_i32 s9, s9, s8
	s_mul_hi_u32 s9, s8, s9
	s_add_i32 s8, s8, s9
	s_mul_hi_u32 s8, s18, s8
	s_mul_i32 s9, s8, s20
	s_add_i32 s13, s8, 1
	s_sub_i32 s9, s18, s9
	s_sub_i32 s15, s9, s20
	s_cmp_ge_u32 s9, s20
	s_cselect_b32 s8, s13, s8
	s_cselect_b32 s9, s15, s9
	s_add_i32 s13, s8, 1
	s_cmp_ge_u32 s9, s20
	s_mov_b32 s9, s14
	s_cselect_b32 s8, s13, s8
.LBB153_7:                              ;   in Loop: Header=BB153_3 Depth=1
	s_load_dwordx2 s[22:23], s[16:17], 0xc8
	s_mul_i32 s13, s8, s21
	s_mul_hi_u32 s15, s8, s20
	s_mul_i32 s21, s9, s20
	s_add_i32 s13, s15, s13
	s_mul_i32 s15, s8, s20
	s_add_i32 s13, s13, s21
	s_sub_u32 s15, s18, s15
	s_subb_u32 s13, s19, s13
	s_waitcnt lgkmcnt(0)
	s_mul_i32 s13, s22, s13
	s_mul_hi_u32 s18, s22, s15
	s_mul_i32 s19, s23, s15
	s_add_i32 s13, s18, s13
	s_mul_i32 s15, s22, s15
	s_add_i32 s13, s13, s19
	s_add_u32 s0, s15, s0
	s_addc_u32 s1, s13, s1
	s_add_i32 s7, s7, -1
	s_add_u32 s16, s16, -8
	s_addc_u32 s17, s17, -1
	s_cmp_gt_u32 s7, 2
	s_cbranch_scc0 .LBB153_9
; %bb.8:                                ;   in Loop: Header=BB153_3 Depth=1
	s_mov_b64 s[18:19], s[8:9]
	s_branch .LBB153_3
.LBB153_9:
	s_clause 0x1
	s_load_dword s7, s[4:5], 0x360
	s_load_dwordx2 s[14:15], s[4:5], 0xd0
	s_add_u32 s16, s4, 0x1c8
	s_addc_u32 s17, s5, 0
	s_mov_b64 s[34:35], 0
	s_mov_b64 s[36:37], s[2:3]
	s_waitcnt lgkmcnt(0)
	s_cmp_lt_i32 s7, 2
	s_cbranch_scc1 .LBB153_17
; %bb.10:
	s_mov_b32 s18, 0
	s_add_i32 s20, s7, -1
	s_mov_b32 s21, s18
	s_add_i32 s7, s7, 1
	s_lshl_b64 s[20:21], s[20:21], 3
	s_mov_b64 s[22:23], s[2:3]
	s_add_u32 s13, s16, s20
	s_addc_u32 s19, s17, s21
	s_add_u32 s20, s13, 8
	s_addc_u32 s21, s19, 0
.LBB153_11:                             ; =>This Inner Loop Header: Depth=1
	s_load_dwordx2 s[24:25], s[20:21], 0x0
	s_mov_b32 s13, -1
                                        ; implicit-def: $sgpr36_sgpr37
	s_waitcnt lgkmcnt(0)
	s_or_b64 s[28:29], s[22:23], s[24:25]
	s_mov_b32 s19, s29
	s_cmp_lg_u64 s[18:19], 0
	s_cbranch_scc0 .LBB153_13
; %bb.12:                               ;   in Loop: Header=BB153_11 Depth=1
	v_cvt_f32_u32_e32 v1, s24
	v_cvt_f32_u32_e32 v2, s25
	s_sub_u32 s28, 0, s24
	s_subb_u32 s29, 0, s25
	v_fmac_f32_e32 v1, 0x4f800000, v2
	v_rcp_f32_e32 v1, v1
	v_mul_f32_e32 v1, 0x5f7ffffc, v1
	v_mul_f32_e32 v2, 0x2f800000, v1
	v_trunc_f32_e32 v2, v2
	v_fmac_f32_e32 v1, 0xcf800000, v2
	v_cvt_u32_f32_e32 v2, v2
	v_cvt_u32_f32_e32 v1, v1
	v_readfirstlane_b32 s13, v2
	v_readfirstlane_b32 s19, v1
	s_mul_i32 s30, s28, s13
	s_mul_hi_u32 s33, s28, s19
	s_mul_i32 s31, s29, s19
	s_add_i32 s30, s33, s30
	s_mul_i32 s36, s28, s19
	s_add_i32 s30, s30, s31
	s_mul_hi_u32 s33, s19, s36
	s_mul_i32 s38, s19, s30
	s_mul_hi_u32 s37, s13, s36
	s_mul_i32 s31, s13, s36
	s_mul_hi_u32 s36, s19, s30
	s_add_u32 s33, s33, s38
	s_addc_u32 s36, 0, s36
	s_mul_hi_u32 s39, s13, s30
	s_add_u32 s31, s33, s31
	s_mul_i32 s30, s13, s30
	s_addc_u32 s31, s36, s37
	s_addc_u32 s33, s39, 0
	s_add_u32 s30, s31, s30
	s_addc_u32 s31, 0, s33
	s_add_u32 s19, s19, s30
	s_cselect_b32 s30, -1, 0
	s_mul_hi_u32 s33, s28, s19
	s_cmp_lg_u32 s30, 0
	s_mul_i32 s30, s28, s19
	s_addc_u32 s13, s13, s31
	s_mul_i32 s29, s29, s19
	s_mul_i32 s28, s28, s13
	s_mul_hi_u32 s31, s19, s30
	s_add_i32 s28, s33, s28
	s_mul_hi_u32 s33, s13, s30
	s_add_i32 s28, s28, s29
	s_mul_i32 s29, s13, s30
	s_mul_i32 s37, s19, s28
	s_mul_hi_u32 s36, s19, s28
	s_add_u32 s31, s31, s37
	s_addc_u32 s36, 0, s36
	s_mul_hi_u32 s30, s13, s28
	s_add_u32 s29, s31, s29
	s_mul_i32 s28, s13, s28
	s_addc_u32 s29, s36, s33
	s_addc_u32 s30, s30, 0
	s_add_u32 s28, s29, s28
	s_addc_u32 s29, 0, s30
	s_add_u32 s19, s19, s28
	s_cselect_b32 s28, -1, 0
	s_mul_hi_u32 s30, s22, s19
	s_cmp_lg_u32 s28, 0
	s_mul_hi_u32 s28, s23, s19
	s_addc_u32 s13, s13, s29
	s_mul_i32 s19, s23, s19
	s_mul_i32 s31, s22, s13
	s_mul_hi_u32 s29, s22, s13
	s_add_u32 s30, s30, s31
	s_addc_u32 s29, 0, s29
	s_mul_hi_u32 s33, s23, s13
	s_add_u32 s19, s30, s19
	s_mul_i32 s13, s23, s13
	s_addc_u32 s19, s29, s28
	s_addc_u32 s28, s33, 0
	s_add_u32 s13, s19, s13
	s_addc_u32 s19, 0, s28
	s_mul_hi_u32 s28, s24, s13
	s_mul_i32 s29, s24, s19
	s_mul_i32 s30, s25, s13
	s_add_i32 s28, s28, s29
	s_mul_i32 s29, s24, s13
	s_add_i32 s28, s28, s30
	s_sub_i32 s30, s23, s28
	s_sub_u32 s29, s22, s29
	s_cselect_b32 s31, -1, 0
	s_cmp_lg_u32 s31, 0
	s_subb_u32 s30, s30, s25
	s_sub_u32 s33, s29, s24
	s_cselect_b32 s36, -1, 0
	s_cmp_lg_u32 s36, 0
	s_subb_u32 s30, s30, 0
	s_cmp_ge_u32 s30, s25
	s_cselect_b32 s36, -1, 0
	s_cmp_ge_u32 s33, s24
	s_cselect_b32 s33, -1, 0
	s_cmp_eq_u32 s30, s25
	s_cselect_b32 s30, s33, s36
	s_add_u32 s33, s13, 1
	s_addc_u32 s36, s19, 0
	s_add_u32 s37, s13, 2
	s_addc_u32 s38, s19, 0
	s_cmp_lg_u32 s30, 0
	s_cselect_b32 s30, s37, s33
	s_cselect_b32 s33, s38, s36
	s_cmp_lg_u32 s31, 0
	s_subb_u32 s28, s23, s28
	s_cmp_ge_u32 s28, s25
	s_cselect_b32 s31, -1, 0
	s_cmp_ge_u32 s29, s24
	s_cselect_b32 s29, -1, 0
	s_cmp_eq_u32 s28, s25
	s_cselect_b32 s28, s29, s31
	s_cmp_lg_u32 s28, 0
	s_cselect_b32 s37, s33, s19
	s_cselect_b32 s36, s30, s13
	s_mov_b32 s13, 0
.LBB153_13:                             ;   in Loop: Header=BB153_11 Depth=1
	s_andn2_b32 vcc_lo, exec_lo, s13
	s_cbranch_vccnz .LBB153_15
; %bb.14:                               ;   in Loop: Header=BB153_11 Depth=1
	v_cvt_f32_u32_e32 v1, s24
	s_sub_i32 s19, 0, s24
	s_mov_b32 s37, s18
	v_rcp_iflag_f32_e32 v1, v1
	v_mul_f32_e32 v1, 0x4f7ffffe, v1
	v_cvt_u32_f32_e32 v1, v1
	v_readfirstlane_b32 s13, v1
	s_mul_i32 s19, s19, s13
	s_mul_hi_u32 s19, s13, s19
	s_add_i32 s13, s13, s19
	s_mul_hi_u32 s13, s22, s13
	s_mul_i32 s19, s13, s24
	s_add_i32 s28, s13, 1
	s_sub_i32 s19, s22, s19
	s_sub_i32 s29, s19, s24
	s_cmp_ge_u32 s19, s24
	s_cselect_b32 s13, s28, s13
	s_cselect_b32 s19, s29, s19
	s_add_i32 s28, s13, 1
	s_cmp_ge_u32 s19, s24
	s_cselect_b32 s36, s28, s13
.LBB153_15:                             ;   in Loop: Header=BB153_11 Depth=1
	s_load_dwordx2 s[28:29], s[20:21], 0xc8
	s_mul_i32 s13, s36, s25
	s_mul_hi_u32 s19, s36, s24
	s_mul_i32 s25, s37, s24
	s_add_i32 s13, s19, s13
	s_mul_i32 s19, s36, s24
	s_add_i32 s13, s13, s25
	s_sub_u32 s19, s22, s19
	s_subb_u32 s13, s23, s13
	s_waitcnt lgkmcnt(0)
	s_mul_i32 s13, s28, s13
	s_mul_hi_u32 s22, s28, s19
	s_mul_i32 s23, s29, s19
	s_add_i32 s13, s22, s13
	s_mul_i32 s19, s28, s19
	s_add_i32 s13, s13, s23
	s_add_u32 s34, s19, s34
	s_addc_u32 s35, s13, s35
	s_add_i32 s7, s7, -1
	s_add_u32 s20, s20, -8
	s_addc_u32 s21, s21, -1
	s_cmp_gt_u32 s7, 2
	s_cbranch_scc0 .LBB153_17
; %bb.16:                               ;   in Loop: Header=BB153_11 Depth=1
	s_mov_b64 s[22:23], s[36:37]
	s_branch .LBB153_11
.LBB153_17:
	s_clause 0x1
	s_load_dword s7, s[4:5], 0x508
	s_load_dwordx2 s[16:17], s[16:17], 0xd0
                                        ; implicit-def: $vgpr49 : SGPR spill to VGPR lane
	s_add_u32 s13, s4, 0x370
	s_mov_b64 s[42:43], 0
	s_waitcnt lgkmcnt(0)
	v_writelane_b32 v49, s16, 0
	v_writelane_b32 v49, s17, 1
	s_addc_u32 s17, s5, 0
	s_cmp_lt_i32 s7, 2
	s_cbranch_scc1 .LBB153_25
; %bb.18:
	s_mov_b32 s16, 0
	s_add_i32 s18, s7, -1
	s_mov_b32 s19, s16
	s_add_i32 s7, s7, 1
	s_lshl_b64 s[18:19], s[18:19], 3
	s_add_u32 s13, s13, s18
	s_addc_u32 s17, s17, s19
	s_add_u32 s18, s13, 8
	s_addc_u32 s19, s17, 0
.LBB153_19:                             ; =>This Inner Loop Header: Depth=1
	s_load_dwordx2 s[20:21], s[18:19], 0x0
	s_mov_b32 s13, -1
                                        ; implicit-def: $sgpr50_sgpr51
	s_waitcnt lgkmcnt(0)
	s_or_b64 s[22:23], s[2:3], s[20:21]
	s_mov_b32 s17, s23
	s_cmp_lg_u64 s[16:17], 0
	s_cbranch_scc0 .LBB153_21
; %bb.20:                               ;   in Loop: Header=BB153_19 Depth=1
	v_cvt_f32_u32_e32 v1, s20
	v_cvt_f32_u32_e32 v2, s21
	s_sub_u32 s22, 0, s20
	s_subb_u32 s23, 0, s21
	v_fmac_f32_e32 v1, 0x4f800000, v2
	v_rcp_f32_e32 v1, v1
	v_mul_f32_e32 v1, 0x5f7ffffc, v1
	v_mul_f32_e32 v2, 0x2f800000, v1
	v_trunc_f32_e32 v2, v2
	v_fmac_f32_e32 v1, 0xcf800000, v2
	v_cvt_u32_f32_e32 v2, v2
	v_cvt_u32_f32_e32 v1, v1
	v_readfirstlane_b32 s13, v2
	v_readfirstlane_b32 s17, v1
	s_mul_i32 s24, s22, s13
	s_mul_hi_u32 s28, s22, s17
	s_mul_i32 s25, s23, s17
	s_add_i32 s24, s28, s24
	s_mul_i32 s29, s22, s17
	s_add_i32 s24, s24, s25
	s_mul_hi_u32 s28, s17, s29
	s_mul_i32 s31, s17, s24
	s_mul_hi_u32 s30, s13, s29
	s_mul_i32 s25, s13, s29
	s_mul_hi_u32 s29, s17, s24
	s_add_u32 s28, s28, s31
	s_addc_u32 s29, 0, s29
	s_mul_hi_u32 s33, s13, s24
	s_add_u32 s25, s28, s25
	s_mul_i32 s24, s13, s24
	s_addc_u32 s25, s29, s30
	s_addc_u32 s28, s33, 0
	s_add_u32 s24, s25, s24
	s_addc_u32 s25, 0, s28
	s_add_u32 s17, s17, s24
	s_cselect_b32 s24, -1, 0
	s_mul_hi_u32 s28, s22, s17
	s_cmp_lg_u32 s24, 0
	s_mul_i32 s24, s22, s17
	s_addc_u32 s13, s13, s25
	s_mul_i32 s23, s23, s17
	s_mul_i32 s22, s22, s13
	s_mul_hi_u32 s25, s17, s24
	s_add_i32 s22, s28, s22
	s_mul_hi_u32 s28, s13, s24
	s_add_i32 s22, s22, s23
	s_mul_i32 s23, s13, s24
	s_mul_i32 s30, s17, s22
	s_mul_hi_u32 s29, s17, s22
	s_add_u32 s25, s25, s30
	s_addc_u32 s29, 0, s29
	s_mul_hi_u32 s24, s13, s22
	s_add_u32 s23, s25, s23
	s_mul_i32 s22, s13, s22
	s_addc_u32 s23, s29, s28
	s_addc_u32 s24, s24, 0
	s_add_u32 s22, s23, s22
	s_addc_u32 s23, 0, s24
	s_add_u32 s17, s17, s22
	s_cselect_b32 s22, -1, 0
	s_mul_hi_u32 s24, s2, s17
	s_cmp_lg_u32 s22, 0
	s_mul_hi_u32 s22, s3, s17
	s_addc_u32 s13, s13, s23
	s_mul_i32 s17, s3, s17
	s_mul_i32 s25, s2, s13
	s_mul_hi_u32 s23, s2, s13
	s_add_u32 s24, s24, s25
	s_addc_u32 s23, 0, s23
	s_mul_hi_u32 s28, s3, s13
	s_add_u32 s17, s24, s17
	s_mul_i32 s13, s3, s13
	s_addc_u32 s17, s23, s22
	s_addc_u32 s22, s28, 0
	s_add_u32 s13, s17, s13
	s_addc_u32 s17, 0, s22
	s_mul_hi_u32 s22, s20, s13
	s_mul_i32 s23, s20, s17
	s_mul_i32 s24, s21, s13
	s_add_i32 s22, s22, s23
	s_mul_i32 s23, s20, s13
	s_add_i32 s22, s22, s24
	s_sub_i32 s24, s3, s22
	s_sub_u32 s23, s2, s23
	s_cselect_b32 s25, -1, 0
	s_cmp_lg_u32 s25, 0
	s_subb_u32 s24, s24, s21
	s_sub_u32 s28, s23, s20
	s_cselect_b32 s29, -1, 0
	s_cmp_lg_u32 s29, 0
	s_subb_u32 s24, s24, 0
	s_cmp_ge_u32 s24, s21
	s_cselect_b32 s29, -1, 0
	s_cmp_ge_u32 s28, s20
	s_cselect_b32 s28, -1, 0
	s_cmp_eq_u32 s24, s21
	s_cselect_b32 s24, s28, s29
	s_add_u32 s28, s13, 1
	s_addc_u32 s29, s17, 0
	s_add_u32 s30, s13, 2
	s_addc_u32 s31, s17, 0
	s_cmp_lg_u32 s24, 0
	s_cselect_b32 s24, s30, s28
	s_cselect_b32 s28, s31, s29
	s_cmp_lg_u32 s25, 0
	s_subb_u32 s22, s3, s22
	s_cmp_ge_u32 s22, s21
	s_cselect_b32 s25, -1, 0
	s_cmp_ge_u32 s23, s20
	s_cselect_b32 s23, -1, 0
	s_cmp_eq_u32 s22, s21
	s_cselect_b32 s22, s23, s25
	s_cmp_lg_u32 s22, 0
	s_cselect_b32 s51, s28, s17
	s_cselect_b32 s50, s24, s13
	s_mov_b32 s13, 0
.LBB153_21:                             ;   in Loop: Header=BB153_19 Depth=1
	s_andn2_b32 vcc_lo, exec_lo, s13
	s_cbranch_vccnz .LBB153_23
; %bb.22:                               ;   in Loop: Header=BB153_19 Depth=1
	v_cvt_f32_u32_e32 v1, s20
	s_sub_i32 s17, 0, s20
	s_mov_b32 s51, s16
	v_rcp_iflag_f32_e32 v1, v1
	v_mul_f32_e32 v1, 0x4f7ffffe, v1
	v_cvt_u32_f32_e32 v1, v1
	v_readfirstlane_b32 s13, v1
	s_mul_i32 s17, s17, s13
	s_mul_hi_u32 s17, s13, s17
	s_add_i32 s13, s13, s17
	s_mul_hi_u32 s13, s2, s13
	s_mul_i32 s17, s13, s20
	s_add_i32 s22, s13, 1
	s_sub_i32 s17, s2, s17
	s_sub_i32 s23, s17, s20
	s_cmp_ge_u32 s17, s20
	s_cselect_b32 s13, s22, s13
	s_cselect_b32 s17, s23, s17
	s_add_i32 s22, s13, 1
	s_cmp_ge_u32 s17, s20
	s_cselect_b32 s50, s22, s13
.LBB153_23:                             ;   in Loop: Header=BB153_19 Depth=1
	s_load_dwordx2 s[22:23], s[18:19], 0xc8
	s_mul_i32 s13, s50, s21
	s_mul_hi_u32 s17, s50, s20
	s_mul_i32 s21, s51, s20
	s_add_i32 s13, s17, s13
	s_mul_i32 s17, s50, s20
	s_add_i32 s13, s13, s21
	s_sub_u32 s2, s2, s17
	s_subb_u32 s3, s3, s13
	s_waitcnt lgkmcnt(0)
	s_mul_i32 s3, s22, s3
	s_mul_hi_u32 s13, s22, s2
	s_mul_i32 s17, s23, s2
	s_add_i32 s3, s13, s3
	s_mul_i32 s2, s22, s2
	s_add_i32 s3, s3, s17
	s_add_u32 s42, s2, s42
	s_addc_u32 s43, s3, s43
	s_add_i32 s7, s7, -1
	s_add_u32 s18, s18, -8
	s_addc_u32 s19, s19, -1
	s_cmp_gt_u32 s7, 2
	s_cbranch_scc0 .LBB153_26
; %bb.24:                               ;   in Loop: Header=BB153_19 Depth=1
	s_mov_b64 s[2:3], s[50:51]
	s_branch .LBB153_19
.LBB153_25:
	s_mov_b64 s[50:51], s[2:3]
.LBB153_26:
	s_clause 0x2
	s_load_dwordx4 s[28:31], s[4:5], 0x1a0
	s_load_dwordx2 s[16:17], s[4:5], 0x0
	s_load_dwordx2 s[2:3], s[4:5], 0x1c8
	s_mov_b32 s59, 0
	s_waitcnt lgkmcnt(0)
	v_writelane_b32 v49, s2, 2
	v_writelane_b32 v49, s3, 3
	s_load_dwordx2 s[2:3], s[4:5], 0x370
	s_waitcnt lgkmcnt(0)
	v_writelane_b32 v49, s2, 4
	v_writelane_b32 v49, s3, 5
	v_cmp_eq_u32_e64 s3, 0, v0
	s_and_saveexec_b32 s2, s3
	s_cbranch_execz .LBB153_28
; %bb.27:
	v_mov_b32_e32 v1, 0
	v_mov_b32_e32 v3, s28
	v_mov_b32_e32 v4, s29
	v_mov_b32_e32 v2, v1
	ds_write_b32 v1, v1 offset:5144
	ds_write_b128 v1, v[1:4] offset:5120
.LBB153_28:
	s_or_b32 exec_lo, exec_lo, s2
	s_mul_i32 s2, s14, s9
	s_mul_hi_u32 s7, s14, s8
	s_load_dword s13, s[4:5], 0x1b0
	s_add_i32 s2, s7, s2
	s_mul_i32 s7, s15, s8
	s_waitcnt lgkmcnt(0)
	s_add_i32 s9, s2, s7
	s_barrier
	buffer_gl0_inv
	s_load_dword s2, s[10:11], 0xc
	s_mul_i32 s8, s14, s8
	v_mbcnt_lo_u32_b32 v42, -1, 0
	s_lshl_b64 s[18:19], s[8:9], 2
	v_cmp_gt_u32_e32 vcc_lo, 32, v0
	s_add_u32 s14, s16, s18
	s_addc_u32 s15, s17, s19
	s_lshl_b64 s[48:49], s[0:1], 2
	v_cmp_gt_i32_e64 s1, 4, v42
	s_add_u32 s84, s14, s48
	s_addc_u32 s85, s15, s49
	v_mad_u64_u32 v[2:3], null, s26, v0, 0
	s_bitcmp1_b32 s13, 0
	v_lshlrev_b32_e32 v44, 4, v0
	s_cselect_b32 s94, -1, 0
	s_and_b32 s87, vcc_lo, s1
	s_xor_b32 s86, s94, -1
	v_lshlrev_b64 v[6:7], v42, -1
	v_or_b32_e32 v9, 12, v44
	s_waitcnt lgkmcnt(0)
	s_and_b32 s33, s2, 0xffff
	s_bfe_u32 s2, s2, 0xb0005
	s_bfe_u32 s7, s33, 0x80008
	v_or_b32_e32 v12, 8, v44
	s_lshl_b32 s89, s7, 3
	s_cmp_gt_u32 s33, 31
	v_or_b32_e32 v23, 4, v44
	s_cselect_b32 s90, -1, 0
	s_add_u32 s91, s33, -1
	s_addc_u32 s92, 0, -1
	s_add_u32 s93, s91, s28
	s_addc_u32 s61, s92, s29
	s_cmp_lt_u32 s6, s12
	v_mov_b32_e32 v1, v3
	s_cselect_b32 s6, 12, 18
	v_mad_u64_u32 v[16:17], null, s26, v9, s[14:15]
	s_add_u32 s62, s10, s6
	s_addc_u32 s63, s11, 0
	s_add_i32 s2, s2, -1
	v_mad_u64_u32 v[18:19], null, s26, v12, s[14:15]
	s_and_b32 s2, s2, 0xffff
	v_mad_u64_u32 v[20:21], null, s26, v23, s[14:15]
	s_bfe_u32 s7, s33, 0x30005
	v_mad_u64_u32 v[3:4], null, s27, v0, v[1:2]
	s_cmp_gt_u32 s2, 6
	s_movk_i32 s6, 0x3e0
	s_cselect_b32 s95, -1, 0
	s_cmp_lg_u32 s7, 0
	v_writelane_b32 v49, s7, 6
	s_cselect_b32 s96, -1, 0
	s_add_u32 s2, s18, s48
	v_and_or_b32 v45, v0, s6, 0xc00
	s_addc_u32 s6, s19, s49
	v_not_b32_e32 v41, v6
	v_mov_b32_e32 v6, v17
	v_mov_b32_e32 v7, v19
	;; [unrolled: 1-line block ×3, first 2 shown]
	s_add_u32 s10, s16, s2
	s_addc_u32 s11, s17, s6
	v_lshlrev_b64 v[4:5], 2, v[2:3]
	v_writelane_b32 v49, s10, 7
	v_mov_b32_e32 v13, 0
	v_lshlrev_b64 v[2:3], 4, v[2:3]
	v_mad_u64_u32 v[21:22], null, s27, v9, v[6:7]
	v_mad_u64_u32 v[6:7], null, s27, v12, v[7:8]
	;; [unrolled: 1-line block ×3, first 2 shown]
	v_writelane_b32 v49, s11, 8
	s_lshl_b64 s[66:67], s[26:27], 2
	s_lshl_b64 s[68:69], s[26:27], 4
	s_lshl_b32 s97, s33, 2
	v_mov_b32_e32 v1, v13
	v_add_co_u32 v10, vcc_lo, s84, v4
	s_add_u32 s2, s16, s48
	v_lshlrev_b32_e32 v14, 2, v0
	s_addc_u32 s6, s17, s49
	v_add_co_ci_u32_e64 v11, null, s85, v5, vcc_lo
	v_add_co_u32 v22, vcc_lo, s14, v2
	s_add_u32 s2, s2, s18
	v_add_co_ci_u32_e64 v23, null, s15, v3, vcc_lo
	v_writelane_b32 v49, s18, 9
	s_addc_u32 s10, s6, s19
	v_add_co_u32 v24, vcc_lo, s2, v4
	v_cmp_lt_u64_e64 s88, 0x300, s[28:29]
	v_cmp_gt_u64_e64 s1, s[28:29], v[0:1]
	s_mul_i32 s7, s27, s33
	s_mul_hi_u32 s9, s26, s33
	v_mov_b32_e32 v29, s30
	v_cmp_eq_u32_e64 s0, 0, v42
	v_mov_b32_e32 v15, v13
	v_cmp_gt_u32_e64 s8, 2, v0
	v_add_nc_u32_e32 v43, 0xc00, v14
	v_mov_b32_e32 v17, v21
	v_mov_b32_e32 v19, v6
	;; [unrolled: 1-line block ×3, first 2 shown]
	v_lshl_or_b32 v47, v42, 3, 0xc00
	v_add_co_ci_u32_e64 v25, null, s10, v5, vcc_lo
	v_mov_b32_e32 v30, s31
	v_mov_b32_e32 v26, 1
	;; [unrolled: 1-line block ×5, first 2 shown]
	s_add_i32 s7, s9, s7
	s_mul_i32 s6, s26, s33
	s_mov_b32 s56, 30
	s_lshl_b64 s[38:39], s[6:7], 2
	s_mov_b32 s98, 0
	s_mov_b32 s104, 0
	v_writelane_b32 v49, s19, 10
                                        ; implicit-def: $sgpr99
                                        ; implicit-def: $sgpr53
                                        ; implicit-def: $sgpr52
                                        ; implicit-def: $sgpr57
                                        ; implicit-def: $vcc_hi
                                        ; implicit-def: $sgpr55
                                        ; implicit-def: $sgpr2
                                        ; implicit-def: $sgpr44
                                        ; implicit-def: $sgpr54
                                        ; implicit-def: $sgpr45
	s_branch .LBB153_31
.LBB153_29:                             ;   in Loop: Header=BB153_31 Depth=1
	s_or_b32 exec_lo, exec_lo, s10
	v_mov_b32_e32 v30, v3
	v_mov_b32_e32 v29, v2
	s_andn2_b32 s10, s45, exec_lo
	s_and_b32 s9, s9, exec_lo
	s_andn2_b32 s54, s54, exec_lo
	s_or_b32 s45, s10, s9
	s_andn2_b32 s44, s44, exec_lo
	s_andn2_b32 s2, s2, exec_lo
	;; [unrolled: 1-line block ×3, first 2 shown]
	s_orn2_b32 s7, s7, exec_lo
.LBB153_30:                             ;   in Loop: Header=BB153_31 Depth=1
	s_or_b32 exec_lo, exec_lo, s6
	s_and_b32 s6, exec_lo, s7
	s_or_b32 s98, s6, s98
	s_andn2_b32 s6, vcc_hi, exec_lo
	s_and_b32 s7, s45, exec_lo
	s_andn2_b32 s9, s57, exec_lo
	s_or_b32 vcc_hi, s6, s7
	s_and_b32 s6, s54, exec_lo
	s_andn2_b32 s7, s52, exec_lo
	s_and_b32 s10, s44, exec_lo
	s_or_b32 s57, s9, s6
	s_or_b32 s52, s7, s10
	s_andn2_b32 s6, s53, exec_lo
	s_and_b32 s7, s2, exec_lo
	s_andn2_b32 s9, s99, exec_lo
	s_and_b32 s10, s55, exec_lo
	s_or_b32 s53, s6, s7
	s_or_b32 s99, s9, s10
	s_andn2_b32 exec_lo, exec_lo, s98
	s_cbranch_execz .LBB153_488
.LBB153_31:                             ; =>This Loop Header: Depth=1
                                        ;     Child Loop BB153_37 Depth 2
                                        ;     Child Loop BB153_50 Depth 2
	;; [unrolled: 1-line block ×24, first 2 shown]
	ds_read_b128 v[2:5], v13 offset:5120
	s_waitcnt lgkmcnt(0)
	v_readfirstlane_b32 s71, v3
	v_readfirstlane_b32 s70, v2
	s_cmp_lg_u64 s[70:71], 0
	s_cbranch_scc1 .LBB153_58
; %bb.32:                               ;   in Loop: Header=BB153_31 Depth=1
	s_and_b32 vcc_lo, exec_lo, s88
	s_cbranch_vccz .LBB153_45
; %bb.33:                               ;   in Loop: Header=BB153_31 Depth=1
	v_cmp_gt_u64_e32 vcc_lo, 0x301, v[4:5]
	s_mov_b32 s9, 0
	s_mov_b32 s6, 0
	s_cbranch_vccz .LBB153_46
; %bb.34:                               ;   in Loop: Header=BB153_31 Depth=1
	s_and_saveexec_b32 s10, s1
	s_cbranch_execz .LBB153_112
; %bb.35:                               ;   in Loop: Header=BB153_31 Depth=1
	global_load_ushort v5, v13, s[62:63]
	global_load_dword v6, v[10:11], off
	v_readlane_b32 s12, v49, 7
	v_readlane_b32 s13, v49, 8
	s_waitcnt vmcnt(1)
	v_readfirstlane_b32 s6, v5
	v_and_b32_e32 v7, 0xffff, v5
	s_and_b32 s6, 0xffff, s6
	v_add_nc_u32_e32 v4, s6, v0
	s_mul_i32 s7, s67, s6
	s_mul_hi_u32 s11, s66, s6
	s_add_i32 s11, s11, s7
	v_mad_u64_u32 v[2:3], null, s66, v4, s[12:13]
	s_mul_i32 s12, s66, s6
	s_mov_b32 s13, 0
	v_mad_u64_u32 v[3:4], null, s67, v4, v[3:4]
	v_mov_b32_e32 v5, v1
	v_mov_b32_e32 v4, v0
	s_branch .LBB153_37
.LBB153_36:                             ;   in Loop: Header=BB153_37 Depth=2
	s_or_b32 exec_lo, exec_lo, s7
	v_add_co_u32 v2, vcc_lo, v2, s12
	v_add_co_ci_u32_e64 v3, null, s11, v3, vcc_lo
	v_mov_b32_e32 v6, v8
	s_andn2_b32 exec_lo, exec_lo, s13
	s_cbranch_execz .LBB153_112
.LBB153_37:                             ;   Parent Loop BB153_31 Depth=1
                                        ; =>  This Inner Loop Header: Depth=2
	v_add_co_u32 v4, vcc_lo, v4, v7
	v_add_co_ci_u32_e64 v5, null, 0, v5, vcc_lo
	s_waitcnt lgkmcnt(0)
	v_mov_b32_e32 v9, 0
	v_mov_b32_e32 v8, 0
	s_mov_b32 s7, exec_lo
	v_cmp_le_u64_e32 vcc_lo, s[28:29], v[4:5]
	v_cmpx_gt_u64_e64 s[28:29], v[4:5]
	s_cbranch_execz .LBB153_39
; %bb.38:                               ;   in Loop: Header=BB153_37 Depth=2
	global_load_dword v8, v[2:3], off
.LBB153_39:                             ;   in Loop: Header=BB153_37 Depth=2
	s_or_b32 exec_lo, exec_lo, s7
	s_waitcnt vmcnt(0)
	v_xor_b32_e32 v12, 0x80000000, v6
	v_and_b32_e32 v12, v12, v48
	v_cmp_eq_u32_e64 s6, v12, v46
	s_cmp_lg_u32 s6, 0
	s_cselect_b32 s7, -1, 0
	s_and_b32 s7, s0, s7
	s_and_saveexec_b32 s14, s7
	s_cbranch_execz .LBB153_43
; %bb.40:                               ;   in Loop: Header=BB153_37 Depth=2
	s_mov_b32 s17, exec_lo
	s_bcnt1_i32_b32 s15, s6
	v_mbcnt_lo_u32_b32 v9, s17, 0
	s_mov_b32 s16, exec_lo
                                        ; implicit-def: $vgpr12
	v_cmpx_eq_u32_e32 0, v9
; %bb.41:                               ;   in Loop: Header=BB153_37 Depth=2
	s_bcnt1_i32_b32 s7, s17
	s_mul_i32 s7, s15, s7
	v_mov_b32_e32 v12, s7
	ds_add_rtn_u32 v12, v13, v12 offset:5144
; %bb.42:                               ;   in Loop: Header=BB153_37 Depth=2
	s_or_b32 exec_lo, exec_lo, s16
	s_waitcnt lgkmcnt(0)
	v_readfirstlane_b32 s7, v12
	v_mad_u32_u24 v9, s15, v9, s7
.LBB153_43:                             ;   in Loop: Header=BB153_37 Depth=2
	s_or_b32 exec_lo, exec_lo, s14
	ds_bpermute_b32 v9, v13, v9
	s_and_b32 s7, exec_lo, vcc_lo
	s_or_b32 s13, s7, s13
	s_and_saveexec_b32 s7, s6
	s_cbranch_execz .LBB153_36
; %bb.44:                               ;   in Loop: Header=BB153_37 Depth=2
	v_and_b32_e32 v12, s6, v41
	v_bcnt_u32_b32 v12, v12, 0
	v_lshlrev_b32_e32 v12, 2, v12
	s_waitcnt lgkmcnt(0)
	v_lshl_add_u32 v9, v9, 2, v12
	ds_write_b32 v9, v6
	s_branch .LBB153_36
.LBB153_45:                             ;   in Loop: Header=BB153_31 Depth=1
	s_mov_b32 s9, -1
	s_mov_b32 s6, 0
.LBB153_46:                             ;   in Loop: Header=BB153_31 Depth=1
	s_and_b32 vcc_lo, exec_lo, s9
	s_cbranch_vccz .LBB153_56
.LBB153_47:                             ;   in Loop: Header=BB153_31 Depth=1
	s_and_saveexec_b32 s7, s1
	s_cbranch_execz .LBB153_53
; %bb.48:                               ;   in Loop: Header=BB153_31 Depth=1
	global_load_ushort v2, v13, s[62:63]
	global_load_dword v8, v[10:11], off
	s_mov_b32 s9, exec_lo
	s_waitcnt vmcnt(1)
	v_add_nc_u32_sdwa v12, v2, v0 dst_sel:DWORD dst_unused:UNUSED_PAD src0_sel:WORD_0 src1_sel:DWORD
	v_readfirstlane_b32 s6, v2
	v_mov_b32_e32 v2, v0
	v_cmpx_gt_u64_e64 s[28:29], v[12:13]
	s_cbranch_execz .LBB153_52
; %bb.49:                               ;   in Loop: Header=BB153_31 Depth=1
	v_readlane_b32 s10, v49, 7
	v_readlane_b32 s11, v49, 8
	v_mov_b32_e32 v7, v1
	v_mov_b32_e32 v6, v0
	s_mov_b32 s12, 0
	v_mad_u64_u32 v[2:3], null, s66, v12, s[10:11]
	s_and_b32 s10, s6, 0xffff
	s_mul_i32 s6, s67, s10
	s_mul_hi_u32 s11, s66, s10
	s_mul_i32 s13, s66, s10
	s_add_i32 s11, s11, s6
	v_mad_u64_u32 v[3:4], null, s67, v12, v[3:4]
	v_mov_b32_e32 v4, v12
	v_mov_b32_e32 v5, v13
	.p2align	6
.LBB153_50:                             ;   Parent Loop BB153_31 Depth=1
                                        ; =>  This Inner Loop Header: Depth=2
	global_load_dword v9, v[2:3], off
	v_mov_b32_e32 v32, v5
	v_mov_b32_e32 v31, v4
	v_lshlrev_b32_e32 v6, 2, v6
	v_add_co_u32 v4, vcc_lo, v31, s10
	v_add_co_ci_u32_e64 v5, null, 0, v32, vcc_lo
	v_add_co_u32 v2, vcc_lo, v2, s13
	v_add_co_ci_u32_e64 v3, null, s11, v3, vcc_lo
	v_cmp_le_u64_e64 s6, s[28:29], v[4:5]
	s_waitcnt vmcnt(1)
	ds_write_b32 v6, v8
	v_mov_b32_e32 v6, v31
	v_mov_b32_e32 v7, v32
	s_or_b32 s12, s6, s12
	s_waitcnt vmcnt(0)
	v_mov_b32_e32 v8, v9
	s_andn2_b32 exec_lo, exec_lo, s12
	s_cbranch_execnz .LBB153_50
; %bb.51:                               ;   in Loop: Header=BB153_31 Depth=1
	s_or_b32 exec_lo, exec_lo, s12
	v_subrev_nc_u32_e32 v2, s10, v4
	v_mov_b32_e32 v8, v9
.LBB153_52:                             ;   in Loop: Header=BB153_31 Depth=1
	s_or_b32 exec_lo, exec_lo, s9
	v_lshlrev_b32_e32 v2, 2, v2
	s_waitcnt vmcnt(0)
	ds_write_b32 v2, v8
.LBB153_53:                             ;   in Loop: Header=BB153_31 Depth=1
	s_or_b32 exec_lo, exec_lo, s7
	s_waitcnt lgkmcnt(0)
	s_barrier
	buffer_gl0_inv
	s_and_saveexec_b32 s6, s3
; %bb.54:                               ;   in Loop: Header=BB153_31 Depth=1
	v_mov_b32_e32 v2, s28
	v_mov_b32_e32 v3, s29
	ds_write_b64 v13, v[2:3] offset:5120
; %bb.55:                               ;   in Loop: Header=BB153_31 Depth=1
	s_or_b32 exec_lo, exec_lo, s6
	s_waitcnt lgkmcnt(0)
	s_mov_b32 s6, -1
	s_barrier
.LBB153_56:                             ;   in Loop: Header=BB153_31 Depth=1
	s_and_b32 vcc_lo, exec_lo, s6
	s_mov_b64 s[70:71], 0
	s_cbranch_vccz .LBB153_58
; %bb.57:                               ;   in Loop: Header=BB153_31 Depth=1
	buffer_gl0_inv
	ds_read_b64 v[2:3], v13 offset:5120
	s_waitcnt lgkmcnt(0)
	v_readfirstlane_b32 s70, v2
.LBB153_58:                             ;   in Loop: Header=BB153_31 Depth=1
	s_cmp_lt_i32 s70, 1
	s_mov_b32 s6, -1
                                        ; implicit-def: $vgpr2_vgpr3
                                        ; implicit-def: $vgpr6_vgpr7
	s_cbranch_scc1 .LBB153_68
; %bb.59:                               ;   in Loop: Header=BB153_31 Depth=1
	s_and_b32 vcc_lo, exec_lo, s6
	s_cbranch_vccnz .LBB153_82
.LBB153_60:                             ;   in Loop: Header=BB153_31 Depth=1
	s_lshl_b32 s6, s104, 7
	s_and_saveexec_b32 s7, s0
	s_cbranch_execz .LBB153_62
.LBB153_61:                             ;   in Loop: Header=BB153_31 Depth=1
	v_lshl_add_u32 v12, s6, 3, v45
	ds_write_b128 v12, v[2:5]
	ds_write_b128 v12, v[6:9] offset:16
.LBB153_62:                             ;   in Loop: Header=BB153_31 Depth=1
	s_or_b32 exec_lo, exec_lo, s7
	s_waitcnt lgkmcnt(0)
	s_barrier
	buffer_gl0_inv
	s_and_saveexec_b32 s7, s87
	s_cbranch_execz .LBB153_96
; %bb.63:                               ;   in Loop: Header=BB153_31 Depth=1
	v_mov_b32_e32 v2, 0
	v_mov_b32_e32 v3, 0
	s_andn2_b32 vcc_lo, exec_lo, s90
	s_cbranch_vccnz .LBB153_95
; %bb.64:                               ;   in Loop: Header=BB153_31 Depth=1
	v_mov_b32_e32 v2, 0
	v_mov_b32_e32 v3, 0
	s_andn2_b32 vcc_lo, exec_lo, s95
	s_cbranch_vccnz .LBB153_92
; %bb.65:                               ;   in Loop: Header=BB153_31 Depth=1
	v_lshl_add_u32 v4, s104, 10, v47
	s_mov_b32 s9, 0
	s_inst_prefetch 0x1
	.p2align	6
.LBB153_66:                             ;   Parent Loop BB153_31 Depth=1
                                        ; =>  This Inner Loop Header: Depth=2
	ds_read2_b64 v[5:8], v4 offset1:4
	ds_read2_b64 v[31:34], v4 offset0:8 offset1:12
	ds_read2_b64 v[35:38], v4 offset0:16 offset1:20
	s_add_i32 s9, s9, 8
	s_cmp_eq_u32 s89, s9
	s_waitcnt lgkmcnt(2)
	v_add_co_u32 v2, vcc_lo, v5, v2
	v_add_co_ci_u32_e64 v3, null, v6, v3, vcc_lo
	v_add_co_u32 v2, vcc_lo, v7, v2
	v_add_co_ci_u32_e64 v3, null, v8, v3, vcc_lo
	ds_read2_b64 v[5:8], v4 offset0:24 offset1:28
	s_waitcnt lgkmcnt(2)
	v_add_co_u32 v2, vcc_lo, v31, v2
	v_add_co_ci_u32_e64 v3, null, v32, v3, vcc_lo
	v_add_nc_u32_e32 v4, 0x100, v4
	v_add_co_u32 v2, vcc_lo, v33, v2
	v_add_co_ci_u32_e64 v3, null, v34, v3, vcc_lo
	s_waitcnt lgkmcnt(1)
	v_add_co_u32 v2, vcc_lo, v35, v2
	v_add_co_ci_u32_e64 v3, null, v36, v3, vcc_lo
	v_add_co_u32 v2, vcc_lo, v37, v2
	v_add_co_ci_u32_e64 v3, null, v38, v3, vcc_lo
	s_waitcnt lgkmcnt(0)
	v_add_co_u32 v2, vcc_lo, v5, v2
	v_add_co_ci_u32_e64 v3, null, v6, v3, vcc_lo
	v_add_co_u32 v2, vcc_lo, v7, v2
	v_add_co_ci_u32_e64 v3, null, v8, v3, vcc_lo
	s_cbranch_scc0 .LBB153_66
; %bb.67:                               ;   in Loop: Header=BB153_31 Depth=1
	s_inst_prefetch 0x2
	s_mov_b32 s9, s89
	s_andn2_b32 vcc_lo, exec_lo, s96
	s_cbranch_vccz .LBB153_93
	s_branch .LBB153_95
.LBB153_68:                             ;   in Loop: Header=BB153_31 Depth=1
	global_load_ushort v2, v13, s[62:63]
	s_mov_b32 s7, s29
	s_waitcnt vmcnt(0)
	v_readfirstlane_b32 s6, v2
	s_and_b32 s60, s6, 0xffff
	s_mov_b32 s6, s59
	s_lshl_b32 s64, s60, 2
	s_cmp_lg_u64 s[6:7], 0
	s_cbranch_scc0 .LBB153_91
; %bb.69:                               ;   in Loop: Header=BB153_31 Depth=1
	v_cvt_f32_u32_e32 v2, s64
	s_sub_u32 s9, 0, s64
	s_subb_u32 s10, 0, 0
	v_fmac_f32_e64 v2, 0x4f800000, 0
	v_rcp_f32_e32 v2, v2
	v_mul_f32_e32 v2, 0x5f7ffffc, v2
	v_mul_f32_e32 v3, 0x2f800000, v2
	v_trunc_f32_e32 v3, v3
	v_fmac_f32_e32 v2, 0xcf800000, v3
	v_cvt_u32_f32_e32 v3, v3
	v_cvt_u32_f32_e32 v2, v2
	v_readfirstlane_b32 s6, v3
	v_readfirstlane_b32 s7, v2
	s_mul_i32 s11, s9, s6
	s_mul_hi_u32 s13, s9, s7
	s_mul_i32 s12, s10, s7
	s_add_i32 s11, s13, s11
	s_mul_i32 s14, s9, s7
	s_add_i32 s11, s11, s12
	s_mul_hi_u32 s13, s7, s14
	s_mul_i32 s16, s7, s11
	s_mul_hi_u32 s15, s6, s14
	s_mul_i32 s12, s6, s14
	s_mul_hi_u32 s14, s7, s11
	s_add_u32 s13, s13, s16
	s_addc_u32 s14, 0, s14
	s_mul_hi_u32 s17, s6, s11
	s_add_u32 s12, s13, s12
	s_mul_i32 s11, s6, s11
	s_addc_u32 s12, s14, s15
	s_addc_u32 s13, s17, 0
	s_add_u32 s11, s12, s11
	s_addc_u32 s12, 0, s13
	s_add_u32 s7, s7, s11
	s_cselect_b32 s11, -1, 0
	s_mul_hi_u32 s13, s9, s7
	s_cmp_lg_u32 s11, 0
	s_mul_i32 s11, s9, s7
	s_addc_u32 s6, s6, s12
	s_mul_i32 s10, s10, s7
	s_mul_i32 s9, s9, s6
	s_mul_hi_u32 s12, s7, s11
	s_add_i32 s9, s13, s9
	s_mul_hi_u32 s13, s6, s11
	s_add_i32 s9, s9, s10
	s_mul_i32 s10, s6, s11
	s_mul_i32 s15, s7, s9
	s_mul_hi_u32 s14, s7, s9
	s_add_u32 s12, s12, s15
	s_addc_u32 s14, 0, s14
	s_mul_hi_u32 s11, s6, s9
	s_add_u32 s10, s12, s10
	s_mul_i32 s9, s6, s9
	s_addc_u32 s10, s14, s13
	s_addc_u32 s11, s11, 0
	s_add_u32 s9, s10, s9
	s_addc_u32 s10, 0, s11
	s_add_u32 s7, s7, s9
	s_cselect_b32 s9, -1, 0
	s_mul_hi_u32 s11, s28, s7
	s_cmp_lg_u32 s9, 0
	s_mul_hi_u32 s9, s29, s7
	s_addc_u32 s6, s6, s10
	s_mul_i32 s7, s29, s7
	s_mul_i32 s12, s28, s6
	s_mul_hi_u32 s10, s28, s6
	s_add_u32 s11, s11, s12
	s_addc_u32 s10, 0, s10
	s_mul_hi_u32 s13, s29, s6
	s_add_u32 s7, s11, s7
	s_mul_i32 s6, s29, s6
	s_addc_u32 s7, s10, s9
	s_addc_u32 s9, s13, 0
	s_add_u32 s6, s7, s6
	s_addc_u32 s7, 0, s9
	s_mul_hi_u32 s9, s64, s6
	s_mul_i32 s7, s64, s7
	s_mul_i32 s6, s64, s6
	s_add_i32 s9, s9, s7
	s_sub_u32 s6, s28, s6
	s_cselect_b32 s7, -1, 0
	s_cmp_lg_u32 s7, 0
	s_subb_u32 s7, s29, s9
	s_sub_u32 s9, s6, s64
	s_cselect_b32 s10, -1, 0
	s_cmp_lg_u32 s10, 0
	s_subb_u32 s10, s7, 0
	s_sub_u32 s11, s9, s64
	s_cselect_b32 s12, -1, 0
	s_cmp_lg_u32 s12, 0
	s_subb_u32 s12, s10, 0
	s_cmp_ge_u32 s9, s64
	s_cselect_b32 s13, -1, 0
	s_cmp_eq_u32 s10, 0
	s_cselect_b32 s13, s13, -1
	s_cmp_lg_u32 s13, 0
	s_cselect_b32 s10, s12, s10
	s_cselect_b32 s9, s11, s9
	s_cmp_ge_u32 s6, s64
	s_cselect_b32 s11, -1, 0
	s_cmp_eq_u32 s7, 0
	s_cselect_b32 s11, s11, -1
	s_cmp_lg_u32 s11, 0
	s_cselect_b32 s7, s10, s7
	s_cselect_b32 s6, s9, s6
	s_cbranch_execnz .LBB153_71
.LBB153_70:                             ;   in Loop: Header=BB153_31 Depth=1
	v_cvt_f32_u32_e32 v2, s64
	s_sub_i32 s7, 0, s64
	v_rcp_iflag_f32_e32 v2, v2
	v_mul_f32_e32 v2, 0x4f7ffffe, v2
	v_cvt_u32_f32_e32 v2, v2
	v_readfirstlane_b32 s6, v2
	s_mul_i32 s7, s7, s6
	s_mul_hi_u32 s7, s6, s7
	s_add_i32 s6, s6, s7
	s_mul_hi_u32 s6, s28, s6
	s_mul_i32 s6, s6, s64
	s_sub_i32 s6, s28, s6
	s_sub_i32 s7, s6, s64
	s_cmp_ge_u32 s6, s64
	s_cselect_b32 s6, s7, s6
	s_sub_i32 s7, s6, s64
	s_cmp_ge_u32 s6, s64
	s_cselect_b32 s58, s7, s6
	s_mov_b64 s[6:7], s[58:59]
.LBB153_71:                             ;   in Loop: Header=BB153_31 Depth=1
	v_mov_b32_e32 v2, 0
	v_mov_b32_e32 v4, 0
	;; [unrolled: 1-line block ×8, first 2 shown]
	s_sub_u32 s72, s28, s6
	s_subb_u32 s73, s29, s7
	s_mov_b32 s58, exec_lo
	v_cmpx_gt_u64_e64 s[72:73], v[14:15]
	s_cbranch_execz .LBB153_75
; %bb.72:                               ;   in Loop: Header=BB153_31 Depth=1
	v_mov_b32_e32 v32, v23
	v_mov_b32_e32 v34, v21
	v_mov_b32_e32 v36, v19
	v_mov_b32_e32 v38, v17
	v_mov_b32_e32 v40, v15
	v_mov_b32_e32 v31, v22
	v_mov_b32_e32 v33, v20
	v_mov_b32_e32 v35, v18
	v_mov_b32_e32 v37, v16
	v_mov_b32_e32 v39, v14
	s_mul_i32 s6, s69, s60
	s_mul_hi_u32 s7, s68, s60
	s_mul_i32 s71, s68, s60
	s_add_i32 s65, s7, s6
	s_mov_b64 s[74:75], 0
	s_mov_b32 s82, 0
	s_mov_b64 s[76:77], 0
	s_mov_b64 s[78:79], 0
	;; [unrolled: 1-line block ×3, first 2 shown]
.LBB153_73:                             ;   Parent Loop BB153_31 Depth=1
                                        ; =>  This Inner Loop Header: Depth=2
	v_add_co_u32 v2, vcc_lo, v31, s48
	v_add_co_ci_u32_e64 v3, null, s49, v32, vcc_lo
	global_load_dword v4, v[2:3], off
	v_add_co_u32 v2, vcc_lo, v33, s48
	v_add_co_ci_u32_e64 v3, null, s49, v34, vcc_lo
	global_load_dword v5, v[2:3], off
	;; [unrolled: 3-line block ×4, first 2 shown]
	s_waitcnt vmcnt(3)
	v_xor_b32_e32 v3, 0x80000000, v4
	v_and_b32_e32 v4, v3, v48
	v_bfe_u32 v3, v3, s56, 2
	v_cmp_eq_u32_e32 vcc_lo, v4, v46
	s_waitcnt vmcnt(2)
	v_xor_b32_e32 v4, 0x80000000, v5
	v_cmp_eq_u32_e64 s10, 0, v3
	v_cmp_eq_u32_e64 s11, 1, v3
	;; [unrolled: 1-line block ×4, first 2 shown]
	v_and_b32_e32 v5, v4, v48
	v_bfe_u32 v3, v4, s56, 2
	s_and_b32 s10, vcc_lo, s10
	v_cmp_eq_u32_e64 s6, v5, v46
	s_waitcnt vmcnt(1)
	v_xor_b32_e32 v5, 0x80000000, v6
	v_cmp_eq_u32_e64 s14, 0, v3
	s_waitcnt vmcnt(0)
	v_xor_b32_e32 v2, 0x80000000, v2
	v_cmp_eq_u32_e64 s15, 1, v3
	v_cmp_eq_u32_e64 s16, 2, v3
	v_and_b32_e32 v6, v5, v48
	v_cmp_eq_u32_e64 s17, 3, v3
	v_bfe_u32 v3, v5, s56, 2
	s_and_b32 s14, s6, s14
	v_cmp_eq_u32_e64 s7, v6, v46
	v_and_b32_e32 v6, v2, v48
	v_bfe_u32 v2, v2, s56, 2
	v_cmp_eq_u32_e64 s18, 0, v3
	v_cmp_eq_u32_e64 s19, 1, v3
	;; [unrolled: 1-line block ×8, first 2 shown]
	v_cndmask_b32_e64 v2, 0, 1, s10
	s_and_b32 s18, s7, s18
	s_and_b32 s22, s9, s22
	v_cmp_eq_u32_e64 s21, 3, v3
	v_cmp_ne_u32_e64 s10, 0, v2
	v_cndmask_b32_e64 v2, 0, 1, s14
	s_bcnt1_i32_b32 s10, s10
	v_cmp_ne_u32_e64 s14, 0, v2
	v_cndmask_b32_e64 v2, 0, 1, s18
	s_bcnt1_i32_b32 s14, s14
	v_cmp_ne_u32_e64 s18, 0, v2
	v_cndmask_b32_e64 v2, 0, 1, s22
	s_add_i32 s10, s14, s10
	s_bcnt1_i32_b32 s18, s18
	v_cmp_ne_u32_e64 s22, 0, v2
	s_add_i32 s10, s10, s18
	s_bcnt1_i32_b32 s22, s22
	s_add_i32 s10, s10, s22
	s_add_u32 s80, s80, s10
	s_addc_u32 s81, s81, 0
	s_and_b32 s10, vcc_lo, s11
	s_and_b32 s11, s6, s15
	v_cndmask_b32_e64 v2, 0, 1, s10
	s_and_b32 s14, s7, s19
	s_and_b32 s15, s9, s23
	v_cmp_ne_u32_e64 s10, 0, v2
	v_cndmask_b32_e64 v2, 0, 1, s11
	s_bcnt1_i32_b32 s10, s10
	v_cmp_ne_u32_e64 s11, 0, v2
	v_cndmask_b32_e64 v2, 0, 1, s14
	s_bcnt1_i32_b32 s11, s11
	v_cmp_ne_u32_e64 s14, 0, v2
	v_cndmask_b32_e64 v2, 0, 1, s15
	s_add_i32 s10, s11, s10
	s_bcnt1_i32_b32 s14, s14
	v_cmp_ne_u32_e64 s15, 0, v2
	s_add_i32 s10, s10, s14
	s_bcnt1_i32_b32 s15, s15
	s_add_i32 s10, s10, s15
	s_add_u32 s78, s78, s10
	s_addc_u32 s79, s79, 0
	s_and_b32 s10, vcc_lo, s12
	s_and_b32 s11, s6, s16
	v_cndmask_b32_e64 v2, 0, 1, s10
	s_and_b32 s12, s7, s20
	s_and_b32 s14, s9, s24
	v_mov_b32_e32 v4, s78
	v_mov_b32_e32 v5, s79
	v_cmp_ne_u32_e64 s10, 0, v2
	v_cndmask_b32_e64 v2, 0, 1, s11
	s_bcnt1_i32_b32 s10, s10
	v_cmp_ne_u32_e64 s11, 0, v2
	v_cndmask_b32_e64 v2, 0, 1, s12
	s_bcnt1_i32_b32 s11, s11
	v_cmp_ne_u32_e64 s12, 0, v2
	v_cndmask_b32_e64 v2, 0, 1, s14
	s_add_i32 s10, s11, s10
	v_add_co_u32 v37, s11, v37, s71
	s_bcnt1_i32_b32 s12, s12
	v_cmp_ne_u32_e64 s14, 0, v2
	s_add_i32 s10, s10, s12
	v_add_co_ci_u32_e64 v38, null, s65, v38, s11
	v_add_co_u32 v35, s12, v35, s71
	s_bcnt1_i32_b32 s14, s14
	v_add_co_ci_u32_e64 v36, null, s65, v36, s12
	s_add_i32 s10, s10, s14
	v_add_co_u32 v31, s14, v31, s71
	s_add_u32 s76, s76, s10
	s_addc_u32 s77, s77, 0
	s_and_b32 s10, vcc_lo, s13
	s_and_b32 s6, s6, s17
	v_cndmask_b32_e64 v2, 0, 1, s10
	s_and_b32 s7, s7, s21
	s_and_b32 s9, s9, s25
	v_add_co_u32 v39, s10, v39, s64
	v_cmp_ne_u32_e32 vcc_lo, 0, v2
	v_cndmask_b32_e64 v2, 0, 1, s6
	v_add_co_ci_u32_e64 v40, null, 0, v40, s10
	v_add_co_u32 v33, s13, v33, s71
	v_cmp_ne_u32_e64 s6, 0, v2
	v_cndmask_b32_e64 v2, 0, 1, s7
	s_bcnt1_i32_b32 s11, vcc_lo
	v_cmp_le_u64_e64 s10, s[72:73], v[39:40]
	v_mov_b32_e32 v6, s76
	s_bcnt1_i32_b32 s6, s6
	v_cmp_ne_u32_e64 s7, 0, v2
	v_cndmask_b32_e64 v2, 0, 1, s9
	s_add_i32 s6, s6, s11
	v_add_co_ci_u32_e64 v34, null, s65, v34, s13
	s_bcnt1_i32_b32 s7, s7
	v_cmp_ne_u32_e64 s9, 0, v2
	s_add_i32 s6, s6, s7
	v_mov_b32_e32 v2, s80
	v_add_co_ci_u32_e64 v32, null, s65, v32, s14
	s_bcnt1_i32_b32 s9, s9
	v_mov_b32_e32 v3, s81
	s_add_i32 s6, s6, s9
	v_mov_b32_e32 v7, s77
	s_add_u32 s74, s74, s6
	s_addc_u32 s75, s75, 0
	v_mov_b32_e32 v8, s74
	v_mov_b32_e32 v9, s75
	s_or_b32 s82, s10, s82
	s_andn2_b32 exec_lo, exec_lo, s82
	s_cbranch_execnz .LBB153_73
; %bb.74:                               ;   in Loop: Header=BB153_31 Depth=1
	s_or_b32 exec_lo, exec_lo, s82
.LBB153_75:                             ;   in Loop: Header=BB153_31 Depth=1
	s_or_b32 exec_lo, exec_lo, s58
	v_add_co_u32 v31, s6, s72, v0
	v_add_co_ci_u32_e64 v32, null, s73, 0, s6
	s_mov_b32 s10, exec_lo
	v_cmpx_gt_u64_e64 s[28:29], v[31:32]
	s_cbranch_execz .LBB153_81
; %bb.76:                               ;   in Loop: Header=BB153_31 Depth=1
	v_mul_lo_u32 v12, v32, s26
	v_mul_lo_u32 v27, v31, s27
	v_mad_u64_u32 v[33:34], null, v31, s26, 0
	s_mov_b32 s11, 0
	v_add3_u32 v34, v34, v27, v12
	v_lshlrev_b64 v[33:34], 2, v[33:34]
	v_add_co_u32 v33, vcc_lo, s84, v33
	v_add_co_ci_u32_e64 v34, null, s85, v34, vcc_lo
	global_load_dword v27, v[33:34], off
	s_branch .LBB153_78
.LBB153_77:                             ;   in Loop: Header=BB153_78 Depth=2
	s_or_b32 exec_lo, exec_lo, s7
	s_waitcnt vmcnt(0)
	v_xor_b32_e32 v27, 0x80000000, v27
	s_and_b32 s9, exec_lo, vcc_lo
	s_or_b32 s11, s9, s11
	v_and_b32_e32 v33, v27, v48
	v_bfe_u32 v27, v27, s56, 2
	v_cmp_eq_u32_e64 s6, v33, v46
	v_cmp_eq_u32_e64 s7, 0, v27
	v_cmp_eq_u32_e32 vcc_lo, 1, v27
	v_cmp_eq_u32_e64 s9, 2, v27
	s_and_b32 s7, s6, s7
	v_cndmask_b32_e64 v33, 0, 1, s7
	s_and_b32 s7, s6, vcc_lo
	v_cmp_eq_u32_e32 vcc_lo, 3, v27
	v_cndmask_b32_e64 v34, 0, 1, s7
	s_and_b32 s7, s6, s9
	v_cndmask_b32_e64 v27, 0, 1, s7
	v_cmp_ne_u32_e64 s7, 0, v33
	v_cmp_ne_u32_e64 s9, 0, v34
	s_and_b32 s6, s6, vcc_lo
	v_cndmask_b32_e64 v33, 0, 1, s6
	s_bcnt1_i32_b32 s6, s7
	v_cmp_ne_u32_e32 vcc_lo, 0, v27
	s_bcnt1_i32_b32 s7, s9
	v_add_co_u32 v2, s6, v2, s6
	v_add_co_ci_u32_e64 v3, null, 0, v3, s6
	v_add_co_u32 v4, s6, v4, s7
	v_add_co_ci_u32_e64 v5, null, 0, v5, s6
	s_bcnt1_i32_b32 s6, vcc_lo
	v_cmp_ne_u32_e32 vcc_lo, 0, v33
	v_add_co_u32 v6, s6, v6, s6
	v_add_co_ci_u32_e64 v7, null, 0, v7, s6
	s_bcnt1_i32_b32 s6, vcc_lo
	v_mov_b32_e32 v27, v12
	v_add_co_u32 v8, vcc_lo, v8, s6
	v_add_co_ci_u32_e64 v9, null, 0, v9, vcc_lo
	s_andn2_b32 exec_lo, exec_lo, s11
	s_cbranch_execz .LBB153_80
.LBB153_78:                             ;   Parent Loop BB153_31 Depth=1
                                        ; =>  This Inner Loop Header: Depth=2
	v_add_co_u32 v31, vcc_lo, v31, s60
	v_add_co_ci_u32_e64 v32, null, 0, v32, vcc_lo
	v_mov_b32_e32 v12, 0
	s_mov_b32 s7, exec_lo
	v_cmp_le_u64_e32 vcc_lo, s[28:29], v[31:32]
	v_cmpx_gt_u64_e64 s[28:29], v[31:32]
	s_cbranch_execz .LBB153_77
; %bb.79:                               ;   in Loop: Header=BB153_78 Depth=2
	v_mul_lo_u32 v12, v32, s26
	v_mul_lo_u32 v35, v31, s27
	v_mad_u64_u32 v[33:34], null, v31, s26, 0
	v_add3_u32 v34, v34, v35, v12
	v_lshlrev_b64 v[33:34], 2, v[33:34]
	v_add_co_u32 v33, s6, s84, v33
	v_add_co_ci_u32_e64 v34, null, s85, v34, s6
	global_load_dword v12, v[33:34], off
	s_branch .LBB153_77
.LBB153_80:                             ;   in Loop: Header=BB153_31 Depth=1
	s_or_b32 exec_lo, exec_lo, s11
.LBB153_81:                             ;   in Loop: Header=BB153_31 Depth=1
	s_or_b32 exec_lo, exec_lo, s10
	s_branch .LBB153_60
.LBB153_82:                             ;   in Loop: Header=BB153_31 Depth=1
	global_load_ushort v12, v13, s[62:63]
	v_mov_b32_e32 v4, 0
	v_mov_b32_e32 v6, 0
	;; [unrolled: 1-line block ×6, first 2 shown]
	s_mov_b32 s58, exec_lo
	s_waitcnt vmcnt(0)
	v_readfirstlane_b32 s6, v12
	s_and_b32 s6, 0xffff, s6
	s_lshl_b32 s60, s6, 2
	v_cvt_f32_u32_e32 v2, s60
	s_sub_i32 s9, 0, s60
	v_rcp_iflag_f32_e32 v2, v2
	v_mul_f32_e32 v2, 0x4f7ffffe, v2
	v_cvt_u32_f32_e32 v2, v2
	v_readfirstlane_b32 s7, v2
	v_mov_b32_e32 v2, 0
	v_mov_b32_e32 v3, 0
	s_mul_i32 s9, s9, s7
	s_mul_hi_u32 s9, s7, s9
	s_add_i32 s7, s7, s9
	s_mul_hi_u32 s7, s70, s7
	s_mul_i32 s9, s7, s60
	s_add_i32 s10, s7, 1
	s_sub_i32 s9, s70, s9
	s_sub_i32 s11, s9, s60
	s_cmp_ge_u32 s9, s60
	s_cselect_b32 s7, s10, s7
	s_cselect_b32 s9, s11, s9
	s_add_i32 s10, s7, 1
	s_cmp_ge_u32 s9, s60
	s_cselect_b32 s7, s10, s7
	s_mul_hi_u32 s73, s6, s7
	s_mul_i32 s72, s6, s7
	s_lshl_b64 s[74:75], s[72:73], 2
	v_cmpx_gt_u64_e64 s[74:75], v[14:15]
	s_cbranch_execz .LBB153_86
; %bb.83:                               ;   in Loop: Header=BB153_31 Depth=1
	v_mov_b32_e32 v32, v15
	v_mov_b32_e32 v27, v44
	;; [unrolled: 1-line block ×3, first 2 shown]
	s_lshl_b32 s64, s6, 4
	s_mov_b64 s[76:77], 0
	s_mov_b32 s65, 0
	s_mov_b64 s[78:79], 0
	s_mov_b64 s[80:81], 0
	;; [unrolled: 1-line block ×3, first 2 shown]
.LBB153_84:                             ;   Parent Loop BB153_31 Depth=1
                                        ; =>  This Inner Loop Header: Depth=2
	ds_read_b128 v[2:5], v27
	v_add_nc_u32_e32 v27, s64, v27
	s_waitcnt lgkmcnt(0)
	v_xor_b32_e32 v2, 0x80000000, v2
	v_xor_b32_e32 v3, 0x80000000, v3
	;; [unrolled: 1-line block ×4, first 2 shown]
	v_and_b32_e32 v6, v2, v48
	v_bfe_u32 v2, v2, s56, 2
	v_cmp_eq_u32_e32 vcc_lo, v6, v46
	v_cmp_eq_u32_e64 s10, 0, v2
	v_cmp_eq_u32_e64 s11, 1, v2
	v_cmp_eq_u32_e64 s12, 2, v2
	v_cmp_eq_u32_e64 s13, 3, v2
	v_bfe_u32 v2, v3, s56, 2
	v_and_b32_e32 v6, v3, v48
	s_and_b32 s10, vcc_lo, s10
	v_cmp_eq_u32_e64 s14, 0, v2
	v_cmp_eq_u32_e64 s15, 1, v2
	;; [unrolled: 1-line block ×4, first 2 shown]
	v_bfe_u32 v2, v4, s56, 2
	v_cmp_eq_u32_e64 s6, v6, v46
	v_and_b32_e32 v6, v4, v48
	v_cmp_eq_u32_e64 s18, 0, v2
	v_cmp_eq_u32_e64 s19, 1, v2
	;; [unrolled: 1-line block ×4, first 2 shown]
	v_bfe_u32 v2, v5, s56, 2
	v_cmp_eq_u32_e64 s7, v6, v46
	v_and_b32_e32 v6, v5, v48
	s_and_b32 s14, s6, s14
	v_cmp_eq_u32_e64 s22, 0, v2
	v_cmp_eq_u32_e64 s23, 1, v2
	;; [unrolled: 1-line block ×4, first 2 shown]
	v_cndmask_b32_e64 v2, 0, 1, s10
	v_cmp_eq_u32_e64 s9, v6, v46
	s_and_b32 s18, s7, s18
	v_cmp_ne_u32_e64 s10, 0, v2
	v_cndmask_b32_e64 v2, 0, 1, s14
	s_and_b32 s22, s9, s22
	s_bcnt1_i32_b32 s10, s10
	v_cmp_ne_u32_e64 s14, 0, v2
	v_cndmask_b32_e64 v2, 0, 1, s18
	s_bcnt1_i32_b32 s14, s14
	v_cmp_ne_u32_e64 s18, 0, v2
	v_cndmask_b32_e64 v2, 0, 1, s22
	s_add_i32 s10, s14, s10
	s_bcnt1_i32_b32 s18, s18
	v_cmp_ne_u32_e64 s22, 0, v2
	s_add_i32 s10, s10, s18
	s_bcnt1_i32_b32 s22, s22
	s_add_i32 s10, s10, s22
	s_add_u32 s82, s82, s10
	s_addc_u32 s83, s83, 0
	s_and_b32 s10, vcc_lo, s11
	s_and_b32 s11, s6, s15
	v_cndmask_b32_e64 v2, 0, 1, s10
	s_and_b32 s14, s7, s19
	s_and_b32 s15, s9, s23
	v_cmp_ne_u32_e64 s10, 0, v2
	v_cndmask_b32_e64 v2, 0, 1, s11
	s_bcnt1_i32_b32 s10, s10
	v_cmp_ne_u32_e64 s11, 0, v2
	v_cndmask_b32_e64 v2, 0, 1, s14
	s_bcnt1_i32_b32 s11, s11
	v_cmp_ne_u32_e64 s14, 0, v2
	v_cndmask_b32_e64 v2, 0, 1, s15
	s_add_i32 s10, s11, s10
	s_bcnt1_i32_b32 s14, s14
	v_cmp_ne_u32_e64 s15, 0, v2
	s_add_i32 s10, s10, s14
	s_bcnt1_i32_b32 s15, s15
	s_add_i32 s10, s10, s15
	s_add_u32 s80, s80, s10
	s_addc_u32 s81, s81, 0
	s_and_b32 s10, vcc_lo, s12
	s_and_b32 s11, s6, s16
	v_cndmask_b32_e64 v2, 0, 1, s10
	s_and_b32 s12, s7, s20
	s_and_b32 s14, s9, s24
	v_mov_b32_e32 v4, s80
	v_mov_b32_e32 v5, s81
	v_cmp_ne_u32_e64 s10, 0, v2
	v_cndmask_b32_e64 v2, 0, 1, s11
	s_bcnt1_i32_b32 s10, s10
	v_cmp_ne_u32_e64 s11, 0, v2
	v_cndmask_b32_e64 v2, 0, 1, s12
	s_bcnt1_i32_b32 s11, s11
	v_cmp_ne_u32_e64 s12, 0, v2
	v_cndmask_b32_e64 v2, 0, 1, s14
	s_add_i32 s10, s11, s10
	s_bcnt1_i32_b32 s12, s12
	v_cmp_ne_u32_e64 s14, 0, v2
	s_add_i32 s10, s10, s12
	s_bcnt1_i32_b32 s14, s14
	s_add_i32 s10, s10, s14
	s_add_u32 s78, s78, s10
	s_addc_u32 s79, s79, 0
	s_and_b32 s10, vcc_lo, s13
	s_and_b32 s6, s6, s17
	v_cndmask_b32_e64 v2, 0, 1, s10
	s_and_b32 s7, s7, s21
	s_and_b32 s9, s9, s25
	v_add_co_u32 v31, s10, v31, s60
	v_cmp_ne_u32_e32 vcc_lo, 0, v2
	v_cndmask_b32_e64 v2, 0, 1, s6
	v_add_co_ci_u32_e64 v32, null, 0, v32, s10
	v_mov_b32_e32 v6, s78
	s_bcnt1_i32_b32 s11, vcc_lo
	v_cmp_ne_u32_e64 s6, 0, v2
	v_cndmask_b32_e64 v2, 0, 1, s7
	v_cmp_le_u64_e64 s10, s[74:75], v[31:32]
	v_mov_b32_e32 v7, s79
	s_bcnt1_i32_b32 s6, s6
	v_cmp_ne_u32_e64 s7, 0, v2
	v_cndmask_b32_e64 v2, 0, 1, s9
	s_add_i32 s6, s6, s11
	s_bcnt1_i32_b32 s7, s7
	v_cmp_ne_u32_e64 s9, 0, v2
	s_add_i32 s6, s6, s7
	v_mov_b32_e32 v2, s82
	v_mov_b32_e32 v3, s83
	s_bcnt1_i32_b32 s9, s9
	s_add_i32 s6, s6, s9
	s_add_u32 s76, s76, s6
	s_addc_u32 s77, s77, 0
	v_mov_b32_e32 v8, s76
	v_mov_b32_e32 v9, s77
	s_or_b32 s65, s10, s65
	s_andn2_b32 exec_lo, exec_lo, s65
	s_cbranch_execnz .LBB153_84
; %bb.85:                               ;   in Loop: Header=BB153_31 Depth=1
	s_or_b32 exec_lo, exec_lo, s65
.LBB153_86:                             ;   in Loop: Header=BB153_31 Depth=1
	s_or_b32 exec_lo, exec_lo, s58
	v_add_co_u32 v31, s6, s74, v0
	v_and_b32_e32 v12, 0xffff, v12
	v_add_co_ci_u32_e64 v32, null, s75, 0, s6
	s_and_b32 s58, s70, 0x7fffffff
	s_mov_b32 s12, exec_lo
	v_cmpx_gt_u64_e64 s[58:59], v[31:32]
	s_cbranch_execz .LBB153_90
; %bb.87:                               ;   in Loop: Header=BB153_31 Depth=1
	v_lshl_add_u32 v27, s72, 4, v14
	s_mov_b32 s13, 0
.LBB153_88:                             ;   Parent Loop BB153_31 Depth=1
                                        ; =>  This Inner Loop Header: Depth=2
	ds_read_b32 v33, v27
	v_add_co_u32 v31, vcc_lo, v31, v12
	v_add_co_ci_u32_e64 v32, null, 0, v32, vcc_lo
	v_add_nc_u32_e32 v27, s60, v27
	v_cmp_le_u64_e32 vcc_lo, s[58:59], v[31:32]
	s_waitcnt lgkmcnt(0)
	v_xor_b32_e32 v33, 0x80000000, v33
	v_and_b32_e32 v34, v33, v48
	v_bfe_u32 v33, v33, s56, 2
	v_cmp_eq_u32_e64 s6, v34, v46
	v_cmp_eq_u32_e64 s7, 0, v33
	;; [unrolled: 1-line block ×5, first 2 shown]
	s_and_b32 s7, s6, s7
	v_cndmask_b32_e64 v33, 0, 1, s7
	s_and_b32 s7, s6, s9
	v_cndmask_b32_e64 v34, 0, 1, s7
	s_and_b32 s7, s6, s10
	s_and_b32 s6, s6, s11
	v_cndmask_b32_e64 v35, 0, 1, s7
	v_cndmask_b32_e64 v36, 0, 1, s6
	v_cmp_ne_u32_e64 s6, 0, v33
	v_cmp_ne_u32_e64 s7, 0, v34
	;; [unrolled: 1-line block ×4, first 2 shown]
	s_bcnt1_i32_b32 s6, s6
	s_bcnt1_i32_b32 s7, s7
	v_add_co_u32 v2, s6, v2, s6
	s_bcnt1_i32_b32 s9, s9
	v_add_co_ci_u32_e64 v3, null, 0, v3, s6
	v_add_co_u32 v4, s6, v4, s7
	s_bcnt1_i32_b32 s10, s10
	v_add_co_ci_u32_e64 v5, null, 0, v5, s6
	v_add_co_u32 v6, s6, v6, s9
	v_add_co_ci_u32_e64 v7, null, 0, v7, s6
	v_add_co_u32 v8, s6, v8, s10
	v_add_co_ci_u32_e64 v9, null, 0, v9, s6
	s_or_b32 s13, vcc_lo, s13
	s_andn2_b32 exec_lo, exec_lo, s13
	s_cbranch_execnz .LBB153_88
; %bb.89:                               ;   in Loop: Header=BB153_31 Depth=1
	s_or_b32 exec_lo, exec_lo, s13
.LBB153_90:                             ;   in Loop: Header=BB153_31 Depth=1
	s_or_b32 exec_lo, exec_lo, s12
	s_lshl_b32 s6, s104, 7
	s_and_saveexec_b32 s7, s0
	s_cbranch_execnz .LBB153_61
	s_branch .LBB153_62
.LBB153_91:                             ;   in Loop: Header=BB153_31 Depth=1
                                        ; implicit-def: $sgpr6_sgpr7
	s_branch .LBB153_70
.LBB153_92:                             ;   in Loop: Header=BB153_31 Depth=1
	s_mov_b32 s9, 0
	s_andn2_b32 vcc_lo, exec_lo, s96
	s_cbranch_vccnz .LBB153_95
.LBB153_93:                             ;   in Loop: Header=BB153_31 Depth=1
	s_lshl_b32 s10, s104, 10
	s_lshl_b32 s9, s9, 5
	v_add3_u32 v4, s10, s9, v47
	v_readlane_b32 s9, v49, 6
.LBB153_94:                             ;   Parent Loop BB153_31 Depth=1
                                        ; =>  This Inner Loop Header: Depth=2
	ds_read_b64 v[5:6], v4
	v_add_nc_u32_e32 v4, 32, v4
	s_add_i32 s9, s9, -1
	s_cmp_lg_u32 s9, 0
	s_waitcnt lgkmcnt(0)
	v_add_co_u32 v2, vcc_lo, v5, v2
	v_add_co_ci_u32_e64 v3, null, v6, v3, vcc_lo
	s_cbranch_scc1 .LBB153_94
.LBB153_95:                             ;   in Loop: Header=BB153_31 Depth=1
	v_add_lshl_u32 v4, s6, v42, 3
	ds_write_b64 v4, v[2:3] offset:3072
.LBB153_96:                             ;   in Loop: Header=BB153_31 Depth=1
	s_or_b32 exec_lo, exec_lo, s7
	s_lshl_b32 s6, s6, 3
	s_waitcnt lgkmcnt(0)
	v_mov_b32_e32 v6, s6
	s_barrier
	buffer_gl0_inv
	v_cmp_eq_u64_e64 s7, 1, v[29:30]
	s_lshl_b32 s9, 3, s56
	ds_read_b128 v[2:5], v6 offset:3072
	ds_read_b128 v[6:9], v6 offset:3088
	s_mov_b32 s72, -1
	s_not_b32 s24, s9
	s_mov_b32 s25, 0
	s_andn2_b32 vcc_lo, exec_lo, s86
	s_mov_b32 s23, 0
	s_mov_b32 s22, 0
                                        ; implicit-def: $sgpr70
                                        ; implicit-def: $sgpr71
                                        ; implicit-def: $vgpr12
                                        ; implicit-def: $vgpr31
                                        ; implicit-def: $vgpr32
	s_waitcnt lgkmcnt(1)
	v_readfirstlane_b32 s11, v3
	v_readfirstlane_b32 s10, v2
	;; [unrolled: 1-line block ×4, first 2 shown]
	s_waitcnt lgkmcnt(0)
	v_readfirstlane_b32 s15, v7
	v_readfirstlane_b32 s14, v6
	;; [unrolled: 1-line block ×4, first 2 shown]
                                        ; implicit-def: $vgpr2_vgpr3
                                        ; implicit-def: $vgpr5
	s_cbranch_vccnz .LBB153_291
; %bb.97:                               ;   in Loop: Header=BB153_31 Depth=1
	s_cmp_eq_u64 s[10:11], 1
	v_mov_b32_e32 v31, v46
	v_mov_b32_e32 v32, v48
	;; [unrolled: 1-line block ×3, first 2 shown]
	s_cselect_b32 s6, -1, 0
                                        ; implicit-def: $sgpr71
                                        ; implicit-def: $sgpr70
	s_and_b32 s74, s6, s7
	s_mov_b32 s6, -1
	s_and_saveexec_b32 s64, s74
	s_cbranch_execz .LBB153_132
; %bb.98:                               ;   in Loop: Header=BB153_31 Depth=1
	ds_read_b64 v[2:3], v13 offset:5120
	s_waitcnt lgkmcnt(0)
	s_barrier
	buffer_gl0_inv
	v_readfirstlane_b32 s18, v2
	v_readfirstlane_b32 s19, v3
	s_and_saveexec_b32 s6, s8
; %bb.99:                               ;   in Loop: Header=BB153_31 Depth=1
	ds_write_b32 v43, v13
; %bb.100:                              ;   in Loop: Header=BB153_31 Depth=1
	s_or_b32 exec_lo, exec_lo, s6
	v_and_b32_e32 v31, s24, v46
	v_or_b32_e32 v32, s9, v48
	s_mov_b32 s70, -1
	s_mov_b32 s71, 0
	s_cmp_eq_u64 s[18:19], 0
	s_mov_b32 s6, -1
	s_waitcnt lgkmcnt(0)
	s_barrier
	buffer_gl0_inv
                                        ; implicit-def: $vgpr5
	s_cbranch_scc1 .LBB153_117
; %bb.101:                              ;   in Loop: Header=BB153_31 Depth=1
	s_add_u32 s6, s18, s91
	s_addc_u32 s21, s19, s92
	s_mov_b32 s20, s59
	s_cmp_lg_u64 s[20:21], 0
	s_cbranch_scc0 .LBB153_158
; %bb.102:                              ;   in Loop: Header=BB153_31 Depth=1
	v_cvt_f32_u32_e32 v2, s33
	s_sub_u32 s23, 0, s33
	s_subb_u32 s40, 0, 0
	v_fmac_f32_e64 v2, 0x4f800000, 0
	v_rcp_f32_e32 v2, v2
	v_mul_f32_e32 v2, 0x5f7ffffc, v2
	v_mul_f32_e32 v3, 0x2f800000, v2
	v_trunc_f32_e32 v3, v3
	v_fmac_f32_e32 v2, 0xcf800000, v3
	v_cvt_u32_f32_e32 v3, v3
	v_cvt_u32_f32_e32 v2, v2
	v_readfirstlane_b32 s20, v3
	v_readfirstlane_b32 s22, v2
	s_mul_i32 s41, s23, s20
	s_mul_hi_u32 s47, s23, s22
	s_mul_i32 s46, s40, s22
	s_add_i32 s41, s47, s41
	s_mul_i32 s58, s23, s22
	s_add_i32 s41, s41, s46
	s_mul_hi_u32 s47, s22, s58
	s_mul_i32 s65, s22, s41
	s_mul_hi_u32 s60, s20, s58
	s_mul_i32 s46, s20, s58
	s_mul_hi_u32 s58, s22, s41
	s_add_u32 s47, s47, s65
	s_addc_u32 s58, 0, s58
	s_mul_hi_u32 s72, s20, s41
	s_add_u32 s46, s47, s46
	s_mul_i32 s41, s20, s41
	s_addc_u32 s46, s58, s60
	s_addc_u32 s47, s72, 0
	s_add_u32 s41, s46, s41
	s_addc_u32 s46, 0, s47
	s_add_u32 s22, s22, s41
	s_cselect_b32 s41, -1, 0
	s_mul_hi_u32 s47, s23, s22
	s_cmp_lg_u32 s41, 0
	s_mul_i32 s41, s23, s22
	s_addc_u32 s20, s20, s46
	s_mul_i32 s40, s40, s22
	s_mul_i32 s23, s23, s20
	s_mul_hi_u32 s46, s22, s41
	s_add_i32 s23, s47, s23
	s_mul_hi_u32 s47, s20, s41
	s_add_i32 s23, s23, s40
	s_mul_i32 s40, s20, s41
	s_mul_i32 s60, s22, s23
	s_mul_hi_u32 s58, s22, s23
	s_add_u32 s46, s46, s60
	s_addc_u32 s58, 0, s58
	s_mul_hi_u32 s41, s20, s23
	s_add_u32 s40, s46, s40
	s_mul_i32 s23, s20, s23
	s_addc_u32 s40, s58, s47
	s_addc_u32 s41, s41, 0
	s_add_u32 s23, s40, s23
	s_addc_u32 s40, 0, s41
	s_add_u32 s22, s22, s23
	s_cselect_b32 s23, -1, 0
	s_mul_hi_u32 s41, s6, s22
	s_cmp_lg_u32 s23, 0
	s_mul_hi_u32 s23, s21, s22
	s_addc_u32 s20, s20, s40
	s_mul_i32 s22, s21, s22
	s_mul_i32 s46, s6, s20
	s_mul_hi_u32 s40, s6, s20
	s_add_u32 s41, s41, s46
	s_addc_u32 s40, 0, s40
	s_mul_hi_u32 s47, s21, s20
	s_add_u32 s22, s41, s22
	s_mul_i32 s20, s21, s20
	s_addc_u32 s22, s40, s23
	s_addc_u32 s23, s47, 0
	s_add_u32 s20, s22, s20
	s_addc_u32 s22, 0, s23
	s_mul_hi_u32 s23, s33, s20
	s_mul_i32 s22, s33, s22
	s_mul_i32 s20, s33, s20
	s_add_i32 s23, s23, s22
	s_sub_u32 s20, s6, s20
	s_cselect_b32 s22, -1, 0
	s_cmp_lg_u32 s22, 0
	s_subb_u32 s22, s21, s23
	s_sub_u32 s23, s20, s33
	s_cselect_b32 s40, -1, 0
	s_cmp_lg_u32 s40, 0
	s_subb_u32 s40, s22, 0
	;; [unrolled: 4-line block ×3, first 2 shown]
	s_cmp_ge_u32 s23, s33
	s_cselect_b32 s47, -1, 0
	s_cmp_eq_u32 s40, 0
	s_cselect_b32 s47, s47, -1
	s_cmp_lg_u32 s47, 0
	s_cselect_b32 s40, s46, s40
	s_cselect_b32 s41, s41, s23
	s_cmp_ge_u32 s20, s33
	s_cselect_b32 s23, -1, 0
	s_cmp_eq_u32 s22, 0
	s_cselect_b32 s23, s23, -1
	s_cmp_lg_u32 s23, 0
	s_cselect_b32 s23, s40, s22
	s_cselect_b32 s22, s41, s20
	s_cbranch_execnz .LBB153_104
.LBB153_103:                            ;   in Loop: Header=BB153_31 Depth=1
	v_cvt_f32_u32_e32 v2, s33
	s_sub_i32 s22, 0, s33
	v_rcp_iflag_f32_e32 v2, v2
	v_mul_f32_e32 v2, 0x4f7ffffe, v2
	v_cvt_u32_f32_e32 v2, v2
	v_readfirstlane_b32 s20, v2
	s_mul_i32 s22, s22, s20
	s_mul_hi_u32 s22, s20, s22
	s_add_i32 s20, s20, s22
	s_mul_hi_u32 s20, s6, s20
	s_mul_i32 s20, s20, s33
	s_sub_i32 s20, s6, s20
	s_sub_i32 s22, s20, s33
	s_cmp_ge_u32 s20, s33
	s_cselect_b32 s20, s22, s20
	s_sub_i32 s22, s20, s33
	s_cmp_ge_u32 s20, s33
	s_cselect_b32 s58, s22, s20
	s_mov_b64 s[22:23], s[58:59]
.LBB153_104:                            ;   in Loop: Header=BB153_31 Depth=1
	s_sub_u32 s20, s6, s22
	s_subb_u32 s21, s21, s23
	s_mov_b32 s6, 0
	s_mov_b32 s22, 0
	s_mov_b32 s23, exec_lo
                                        ; implicit-def: $vgpr5
	v_cmpx_gt_u64_e64 s[20:21], v[0:1]
	s_cbranch_execz .LBB153_116
; %bb.105:                              ;   in Loop: Header=BB153_31 Depth=1
	v_mov_b32_e32 v3, v1
	v_mov_b32_e32 v6, v14
	;; [unrolled: 1-line block ×3, first 2 shown]
                                        ; implicit-def: $sgpr58
	s_inst_prefetch 0x1
	s_branch .LBB153_108
	.p2align	6
.LBB153_106:                            ;   in Loop: Header=BB153_108 Depth=2
	s_or_b32 exec_lo, exec_lo, s40
	s_waitcnt lgkmcnt(0)
	s_barrier
	buffer_gl0_inv
	ds_read_b64 v[4:5], v13 offset:3072
	s_mov_b32 s40, -1
	s_mov_b32 s41, -1
	s_waitcnt lgkmcnt(0)
	s_barrier
	buffer_gl0_inv
	v_cmp_ne_u32_e32 vcc_lo, 0, v4
	s_cbranch_vccz .LBB153_111
.LBB153_107:                            ;   in Loop: Header=BB153_108 Depth=2
	s_and_b32 s40, exec_lo, s40
	s_or_b32 s22, s40, s22
	s_andn2_b32 s40, s58, exec_lo
	s_and_b32 s41, s41, exec_lo
	s_or_b32 s58, s40, s41
	s_andn2_b32 exec_lo, exec_lo, s22
	s_cbranch_execz .LBB153_115
.LBB153_108:                            ;   Parent Loop BB153_31 Depth=1
                                        ; =>  This Inner Loop Header: Depth=2
	s_mov_b32 s40, exec_lo
	v_cmpx_gt_u64_e64 s[18:19], v[2:3]
	s_cbranch_execz .LBB153_106
; %bb.109:                              ;   in Loop: Header=BB153_108 Depth=2
	ds_read_b32 v27, v6
	s_waitcnt lgkmcnt(0)
	v_xor_b32_e32 v4, 0x80000000, v27
	v_and_b32_e32 v4, v4, v32
	v_cmp_eq_u32_e32 vcc_lo, v4, v31
	s_and_b32 exec_lo, exec_lo, vcc_lo
	s_cbranch_execz .LBB153_106
; %bb.110:                              ;   in Loop: Header=BB153_108 Depth=2
	ds_write_b64 v13, v[26:27] offset:3072
	s_branch .LBB153_106
.LBB153_111:                            ;   in Loop: Header=BB153_108 Depth=2
	v_add_co_u32 v2, vcc_lo, v2, s33
	v_add_co_ci_u32_e64 v3, null, 0, v3, vcc_lo
	v_add_nc_u32_e32 v6, s97, v6
	s_mov_b32 s41, 0
	v_cmp_le_u64_e32 vcc_lo, s[20:21], v[2:3]
	s_orn2_b32 s40, vcc_lo, exec_lo
	s_branch .LBB153_107
.LBB153_112:                            ;   in Loop: Header=BB153_31 Depth=1
	s_or_b32 exec_lo, exec_lo, s10
	s_waitcnt lgkmcnt(0)
	s_barrier
	buffer_gl0_inv
	s_and_saveexec_b32 s6, s3
	s_cbranch_execz .LBB153_114
; %bb.113:                              ;   in Loop: Header=BB153_31 Depth=1
	ds_read_b32 v2, v13 offset:5144
	s_waitcnt lgkmcnt(0)
	v_ashrrev_i32_e32 v3, 31, v2
	ds_write_b64 v13, v[2:3] offset:5120
.LBB153_114:                            ;   in Loop: Header=BB153_31 Depth=1
	s_or_b32 exec_lo, exec_lo, s6
	s_waitcnt lgkmcnt(0)
	s_mov_b32 s6, -1
	s_barrier
	s_and_b32 vcc_lo, exec_lo, s9
	s_cbranch_vccnz .LBB153_47
	s_branch .LBB153_56
.LBB153_115:                            ;   in Loop: Header=BB153_31 Depth=1
	s_inst_prefetch 0x2
	s_or_b32 exec_lo, exec_lo, s22
	s_and_b32 s22, s58, exec_lo
.LBB153_116:                            ;   in Loop: Header=BB153_31 Depth=1
	s_or_b32 exec_lo, exec_lo, s23
.LBB153_117:                            ;   in Loop: Header=BB153_31 Depth=1
	s_and_b32 vcc_lo, exec_lo, s6
	s_cbranch_vccz .LBB153_131
; %bb.118:                              ;   in Loop: Header=BB153_31 Depth=1
	s_mov_b32 s60, s59
	s_cmp_lg_u64 s[60:61], 0
	s_cbranch_scc0 .LBB153_159
; %bb.119:                              ;   in Loop: Header=BB153_31 Depth=1
	v_cvt_f32_u32_e32 v2, s33
	s_sub_u32 s19, 0, s33
	s_subb_u32 s20, 0, 0
	v_fmac_f32_e64 v2, 0x4f800000, 0
	v_rcp_f32_e32 v2, v2
	v_mul_f32_e32 v2, 0x5f7ffffc, v2
	v_mul_f32_e32 v3, 0x2f800000, v2
	v_trunc_f32_e32 v3, v3
	v_fmac_f32_e32 v2, 0xcf800000, v3
	v_cvt_u32_f32_e32 v3, v3
	v_cvt_u32_f32_e32 v2, v2
	v_readfirstlane_b32 s6, v3
	v_readfirstlane_b32 s18, v2
	s_mul_i32 s21, s19, s6
	s_mul_hi_u32 s40, s19, s18
	s_mul_i32 s23, s20, s18
	s_add_i32 s21, s40, s21
	s_mul_i32 s41, s19, s18
	s_add_i32 s21, s21, s23
	s_mul_hi_u32 s40, s18, s41
	s_mul_i32 s47, s18, s21
	s_mul_hi_u32 s46, s6, s41
	s_mul_i32 s23, s6, s41
	s_mul_hi_u32 s41, s18, s21
	s_add_u32 s40, s40, s47
	s_addc_u32 s41, 0, s41
	s_mul_hi_u32 s58, s6, s21
	s_add_u32 s23, s40, s23
	s_mul_i32 s21, s6, s21
	s_addc_u32 s23, s41, s46
	s_addc_u32 s40, s58, 0
	s_add_u32 s21, s23, s21
	s_addc_u32 s23, 0, s40
	s_add_u32 s18, s18, s21
	s_cselect_b32 s21, -1, 0
	s_mul_hi_u32 s40, s19, s18
	s_cmp_lg_u32 s21, 0
	s_mul_i32 s21, s19, s18
	s_addc_u32 s6, s6, s23
	s_mul_i32 s20, s20, s18
	s_mul_i32 s19, s19, s6
	s_mul_hi_u32 s23, s18, s21
	s_add_i32 s19, s40, s19
	s_mul_hi_u32 s40, s6, s21
	s_add_i32 s19, s19, s20
	s_mul_i32 s20, s6, s21
	s_mul_i32 s46, s18, s19
	s_mul_hi_u32 s41, s18, s19
	s_add_u32 s23, s23, s46
	s_addc_u32 s41, 0, s41
	s_mul_hi_u32 s21, s6, s19
	s_add_u32 s20, s23, s20
	s_mul_i32 s19, s6, s19
	s_addc_u32 s20, s41, s40
	s_addc_u32 s21, s21, 0
	s_add_u32 s19, s20, s19
	s_addc_u32 s20, 0, s21
	s_add_u32 s18, s18, s19
	s_cselect_b32 s19, -1, 0
	s_mul_hi_u32 s21, s93, s18
	s_cmp_lg_u32 s19, 0
	s_mul_hi_u32 s19, s61, s18
	s_addc_u32 s6, s6, s20
	s_mul_i32 s18, s61, s18
	s_mul_i32 s23, s93, s6
	s_mul_hi_u32 s20, s93, s6
	s_add_u32 s21, s21, s23
	s_addc_u32 s20, 0, s20
	s_mul_hi_u32 s40, s61, s6
	s_add_u32 s18, s21, s18
	s_mul_i32 s6, s61, s6
	s_addc_u32 s18, s20, s19
	s_addc_u32 s19, s40, 0
	s_add_u32 s6, s18, s6
	s_addc_u32 s18, 0, s19
	s_mul_hi_u32 s19, s33, s6
	s_mul_i32 s18, s33, s18
	s_mul_i32 s6, s33, s6
	s_add_i32 s19, s19, s18
	s_sub_u32 s6, s93, s6
	s_cselect_b32 s18, -1, 0
	s_cmp_lg_u32 s18, 0
	s_subb_u32 s18, s61, s19
	s_sub_u32 s19, s6, s33
	s_cselect_b32 s20, -1, 0
	s_cmp_lg_u32 s20, 0
	s_subb_u32 s20, s18, 0
	;; [unrolled: 4-line block ×3, first 2 shown]
	s_cmp_ge_u32 s19, s33
	s_cselect_b32 s40, -1, 0
	s_cmp_eq_u32 s20, 0
	s_cselect_b32 s40, s40, -1
	s_cmp_lg_u32 s40, 0
	s_cselect_b32 s20, s23, s20
	s_cselect_b32 s21, s21, s19
	s_cmp_ge_u32 s6, s33
	s_cselect_b32 s19, -1, 0
	s_cmp_eq_u32 s18, 0
	s_cselect_b32 s19, s19, -1
	s_cmp_lg_u32 s19, 0
	s_cselect_b32 s19, s20, s18
	s_cselect_b32 s18, s21, s6
	s_cbranch_execnz .LBB153_121
.LBB153_120:                            ;   in Loop: Header=BB153_31 Depth=1
	v_cvt_f32_u32_e32 v2, s33
	s_sub_i32 s18, 0, s33
	v_rcp_iflag_f32_e32 v2, v2
	v_mul_f32_e32 v2, 0x4f7ffffe, v2
	v_cvt_u32_f32_e32 v2, v2
	v_readfirstlane_b32 s6, v2
	s_mul_i32 s18, s18, s6
	s_mul_hi_u32 s18, s6, s18
	s_add_i32 s6, s6, s18
	s_mul_hi_u32 s6, s93, s6
	s_mul_i32 s6, s6, s33
	s_sub_i32 s6, s93, s6
	s_sub_i32 s18, s6, s33
	s_cmp_ge_u32 s6, s33
	s_cselect_b32 s6, s18, s6
	s_sub_i32 s18, s6, s33
	s_cmp_ge_u32 s6, s33
	s_cselect_b32 s58, s18, s6
	s_mov_b64 s[18:19], s[58:59]
.LBB153_121:                            ;   in Loop: Header=BB153_31 Depth=1
	s_sub_u32 s18, s93, s18
	s_subb_u32 s19, s61, s19
	s_mov_b32 s20, exec_lo
                                        ; implicit-def: $vgpr5
	v_cmpx_gt_u64_e64 s[18:19], v[0:1]
	s_cbranch_execz .LBB153_130
; %bb.122:                              ;   in Loop: Header=BB153_31 Depth=1
	v_mov_b32_e32 v2, v24
	v_mov_b32_e32 v7, v1
	;; [unrolled: 1-line block ×4, first 2 shown]
	s_mov_b32 s21, 0
                                        ; implicit-def: $sgpr23
	s_inst_prefetch 0x1
	s_branch .LBB153_125
	.p2align	6
.LBB153_123:                            ;   in Loop: Header=BB153_125 Depth=2
	s_or_b32 exec_lo, exec_lo, s6
	s_waitcnt lgkmcnt(0)
	s_barrier
	buffer_gl0_inv
	ds_read_b64 v[4:5], v13 offset:3072
	s_mov_b32 s6, -1
	s_mov_b32 s40, -1
	s_waitcnt lgkmcnt(0)
	s_barrier
	buffer_gl0_inv
	v_cmp_ne_u32_e32 vcc_lo, 0, v4
	s_cbranch_vccz .LBB153_128
.LBB153_124:                            ;   in Loop: Header=BB153_125 Depth=2
	s_and_b32 s6, exec_lo, s6
	s_or_b32 s21, s6, s21
	s_andn2_b32 s6, s23, exec_lo
	s_and_b32 s23, s40, exec_lo
	s_or_b32 s23, s6, s23
	s_andn2_b32 exec_lo, exec_lo, s21
	s_cbranch_execz .LBB153_129
.LBB153_125:                            ;   Parent Loop BB153_31 Depth=1
                                        ; =>  This Inner Loop Header: Depth=2
	s_mov_b32 s6, exec_lo
	v_cmpx_gt_u64_e64 s[28:29], v[6:7]
	s_cbranch_execz .LBB153_123
; %bb.126:                              ;   in Loop: Header=BB153_125 Depth=2
	global_load_dword v27, v[2:3], off
	s_waitcnt vmcnt(0)
	v_xor_b32_e32 v4, 0x80000000, v27
	v_and_b32_e32 v4, v4, v32
	v_cmp_eq_u32_e32 vcc_lo, v4, v31
	s_and_b32 exec_lo, exec_lo, vcc_lo
	s_cbranch_execz .LBB153_123
; %bb.127:                              ;   in Loop: Header=BB153_125 Depth=2
	ds_write_b64 v13, v[26:27] offset:3072
	s_branch .LBB153_123
.LBB153_128:                            ;   in Loop: Header=BB153_125 Depth=2
	v_add_co_u32 v6, vcc_lo, v6, s33
	v_add_co_ci_u32_e64 v7, null, 0, v7, vcc_lo
	v_add_co_u32 v2, s6, v2, s38
	v_add_co_ci_u32_e64 v3, null, s39, v3, s6
	v_cmp_le_u64_e32 vcc_lo, s[18:19], v[6:7]
	s_mov_b32 s40, 0
	s_orn2_b32 s6, vcc_lo, exec_lo
	s_branch .LBB153_124
.LBB153_129:                            ;   in Loop: Header=BB153_31 Depth=1
	s_inst_prefetch 0x2
	s_or_b32 exec_lo, exec_lo, s21
	s_andn2_b32 s6, s22, exec_lo
	s_and_b32 s18, s23, exec_lo
	s_or_b32 s22, s6, s18
.LBB153_130:                            ;   in Loop: Header=BB153_31 Depth=1
	s_or_b32 exec_lo, exec_lo, s20
	s_mov_b32 s70, 0
	s_mov_b32 s71, -1
.LBB153_131:                            ;   in Loop: Header=BB153_31 Depth=1
	s_orn2_b32 s6, s22, exec_lo
.LBB153_132:                            ;   in Loop: Header=BB153_31 Depth=1
	s_or_b32 exec_lo, exec_lo, s64
	s_mov_b32 s72, 0
	s_mov_b32 s23, 0
	;; [unrolled: 1-line block ×3, first 2 shown]
                                        ; implicit-def: $vgpr2_vgpr3
                                        ; implicit-def: $vgpr12
	s_and_saveexec_b32 s73, s6
	s_cbranch_execz .LBB153_290
; %bb.133:                              ;   in Loop: Header=BB153_31 Depth=1
	v_mov_b32_e32 v2, 1
	v_mov_b32_e32 v3, 0
	v_mov_b32_e32 v12, 1
	s_xor_b32 s19, s74, -1
	s_mov_b32 s18, 0
	s_and_saveexec_b32 s6, s19
	s_cbranch_execz .LBB153_142
; %bb.134:                              ;   in Loop: Header=BB153_31 Depth=1
	s_mov_b32 s18, exec_lo
	v_cmpx_ge_u64_e64 s[10:11], v[29:30]
	s_xor_b32 s18, exec_lo, s18
	s_cbranch_execz .LBB153_139
; %bb.135:                              ;   in Loop: Header=BB153_31 Depth=1
	ds_read_b64 v[2:3], v13 offset:5120
	v_and_b32_e32 v31, s24, v31
	v_or_b32_e32 v32, s9, v32
	s_waitcnt lgkmcnt(0)
	v_cmp_ne_u64_e32 vcc_lo, 0, v[2:3]
	s_cbranch_vccnz .LBB153_139
; %bb.136:                              ;   in Loop: Header=BB153_31 Depth=1
	s_and_saveexec_b32 s19, s3
; %bb.137:                              ;   in Loop: Header=BB153_31 Depth=1
	v_mov_b32_e32 v2, s10
	v_mov_b32_e32 v3, s11
	ds_write_b64 v13, v[2:3] offset:5128
; %bb.138:                              ;   in Loop: Header=BB153_31 Depth=1
	s_or_b32 exec_lo, exec_lo, s19
	s_waitcnt lgkmcnt(0)
	s_barrier
	buffer_gl0_inv
.LBB153_139:                            ;   in Loop: Header=BB153_31 Depth=1
	s_or_saveexec_b32 s18, s18
	v_mov_b32_e32 v2, v29
	v_mov_b32_e32 v12, 8
	;; [unrolled: 1-line block ×3, first 2 shown]
	s_mov_b32 s19, 0
	s_xor_b32 exec_lo, exec_lo, s18
; %bb.140:                              ;   in Loop: Header=BB153_31 Depth=1
	v_sub_co_u32 v2, vcc_lo, v29, s10
	v_subrev_co_ci_u32_e64 v3, null, s11, v30, vcc_lo
	v_mov_b32_e32 v12, 0
	s_mov_b32 s19, exec_lo
; %bb.141:                              ;   in Loop: Header=BB153_31 Depth=1
	s_or_b32 exec_lo, exec_lo, s18
	s_and_b32 s18, s19, exec_lo
.LBB153_142:                            ;   in Loop: Header=BB153_31 Depth=1
	s_or_b32 exec_lo, exec_lo, s6
	s_mov_b32 s6, -1
                                        ; implicit-def: $sgpr75
                                        ; implicit-def: $sgpr76
	s_and_saveexec_b32 s19, s18
	s_xor_b32 s74, exec_lo, s19
	s_cbranch_execz .LBB153_287
; %bb.143:                              ;   in Loop: Header=BB153_31 Depth=1
	v_cmp_eq_u64_e32 vcc_lo, 1, v[2:3]
	s_cmp_eq_u64 s[12:13], 1
                                        ; implicit-def: $sgpr76
                                        ; implicit-def: $sgpr75
	s_cselect_b32 s6, -1, 0
	s_and_b32 s78, s6, vcc_lo
	s_mov_b32 s6, -1
	s_and_saveexec_b32 s64, s78
	s_cbranch_execz .LBB153_177
; %bb.144:                              ;   in Loop: Header=BB153_31 Depth=1
	ds_read_b64 v[4:5], v13 offset:5120
	s_waitcnt lgkmcnt(0)
	s_barrier
	buffer_gl0_inv
	v_readfirstlane_b32 s18, v4
	v_readfirstlane_b32 s19, v5
	s_and_saveexec_b32 s6, s8
; %bb.145:                              ;   in Loop: Header=BB153_31 Depth=1
	ds_write_b32 v43, v13
; %bb.146:                              ;   in Loop: Header=BB153_31 Depth=1
	s_or_b32 exec_lo, exec_lo, s6
	s_lshl_b32 s6, 1, s56
	v_or_b32_e32 v32, s9, v32
	v_and_or_b32 v31, v31, s24, s6
	s_mov_b32 s75, -1
	s_mov_b32 s76, 0
	s_cmp_eq_u64 s[18:19], 0
	s_mov_b32 s6, -1
	s_waitcnt lgkmcnt(0)
	s_barrier
	buffer_gl0_inv
                                        ; implicit-def: $vgpr5
	s_cbranch_scc1 .LBB153_162
; %bb.147:                              ;   in Loop: Header=BB153_31 Depth=1
	s_add_u32 s6, s18, s91
	s_addc_u32 s21, s19, s92
	s_mov_b32 s20, s59
	s_cmp_lg_u64 s[20:21], 0
	s_cbranch_scc0 .LBB153_203
; %bb.148:                              ;   in Loop: Header=BB153_31 Depth=1
	v_cvt_f32_u32_e32 v4, s33
	s_sub_u32 s23, 0, s33
	s_subb_u32 s40, 0, 0
	v_fmac_f32_e64 v4, 0x4f800000, 0
	v_rcp_f32_e32 v4, v4
	v_mul_f32_e32 v4, 0x5f7ffffc, v4
	v_mul_f32_e32 v5, 0x2f800000, v4
	v_trunc_f32_e32 v5, v5
	v_fmac_f32_e32 v4, 0xcf800000, v5
	v_cvt_u32_f32_e32 v5, v5
	v_cvt_u32_f32_e32 v4, v4
	v_readfirstlane_b32 s20, v5
	v_readfirstlane_b32 s22, v4
	s_mul_i32 s41, s23, s20
	s_mul_hi_u32 s60, s23, s22
	s_mul_i32 s58, s40, s22
	s_add_i32 s41, s60, s41
	s_mul_i32 s65, s23, s22
	s_add_i32 s41, s41, s58
	s_mul_hi_u32 s60, s22, s65
	s_mul_i32 s79, s22, s41
	s_mul_hi_u32 s77, s20, s65
	s_mul_i32 s58, s20, s65
	s_mul_hi_u32 s65, s22, s41
	s_add_u32 s60, s60, s79
	s_addc_u32 s65, 0, s65
	s_mul_hi_u32 s80, s20, s41
	s_add_u32 s58, s60, s58
	s_mul_i32 s41, s20, s41
	s_addc_u32 s58, s65, s77
	s_addc_u32 s60, s80, 0
	s_add_u32 s41, s58, s41
	s_addc_u32 s58, 0, s60
	s_add_u32 s22, s22, s41
	s_cselect_b32 s41, -1, 0
	s_mul_hi_u32 s60, s23, s22
	s_cmp_lg_u32 s41, 0
	s_mul_i32 s41, s23, s22
	s_addc_u32 s20, s20, s58
	s_mul_i32 s40, s40, s22
	s_mul_i32 s23, s23, s20
	s_mul_hi_u32 s58, s22, s41
	s_add_i32 s23, s60, s23
	s_mul_hi_u32 s60, s20, s41
	s_add_i32 s23, s23, s40
	s_mul_i32 s40, s20, s41
	s_mul_i32 s77, s22, s23
	s_mul_hi_u32 s65, s22, s23
	s_add_u32 s58, s58, s77
	s_addc_u32 s65, 0, s65
	s_mul_hi_u32 s41, s20, s23
	s_add_u32 s40, s58, s40
	s_mul_i32 s23, s20, s23
	s_addc_u32 s40, s65, s60
	s_addc_u32 s41, s41, 0
	s_add_u32 s23, s40, s23
	s_addc_u32 s40, 0, s41
	s_add_u32 s22, s22, s23
	s_cselect_b32 s23, -1, 0
	s_mul_hi_u32 s41, s6, s22
	s_cmp_lg_u32 s23, 0
	s_mul_hi_u32 s23, s21, s22
	s_addc_u32 s20, s20, s40
	s_mul_i32 s22, s21, s22
	s_mul_i32 s58, s6, s20
	s_mul_hi_u32 s40, s6, s20
	s_add_u32 s41, s41, s58
	s_addc_u32 s40, 0, s40
	s_mul_hi_u32 s60, s21, s20
	s_add_u32 s22, s41, s22
	s_mul_i32 s20, s21, s20
	s_addc_u32 s22, s40, s23
	s_addc_u32 s23, s60, 0
	s_add_u32 s20, s22, s20
	s_addc_u32 s22, 0, s23
	s_mul_hi_u32 s23, s33, s20
	s_mul_i32 s22, s33, s22
	s_mul_i32 s20, s33, s20
	s_add_i32 s23, s23, s22
	s_sub_u32 s20, s6, s20
	s_cselect_b32 s22, -1, 0
	s_cmp_lg_u32 s22, 0
	s_subb_u32 s22, s21, s23
	s_sub_u32 s23, s20, s33
	s_cselect_b32 s40, -1, 0
	s_cmp_lg_u32 s40, 0
	s_subb_u32 s40, s22, 0
	;; [unrolled: 4-line block ×3, first 2 shown]
	s_cmp_ge_u32 s23, s33
	s_cselect_b32 s60, -1, 0
	s_cmp_eq_u32 s40, 0
	s_cselect_b32 s60, s60, -1
	s_cmp_lg_u32 s60, 0
	s_cselect_b32 s40, s58, s40
	s_cselect_b32 s41, s41, s23
	s_cmp_ge_u32 s20, s33
	s_cselect_b32 s23, -1, 0
	s_cmp_eq_u32 s22, 0
	s_cselect_b32 s23, s23, -1
	s_cmp_lg_u32 s23, 0
	s_cselect_b32 s23, s40, s22
	s_cselect_b32 s22, s41, s20
	s_cbranch_execnz .LBB153_150
.LBB153_149:                            ;   in Loop: Header=BB153_31 Depth=1
	v_cvt_f32_u32_e32 v4, s33
	s_sub_i32 s22, 0, s33
	v_rcp_iflag_f32_e32 v4, v4
	v_mul_f32_e32 v4, 0x4f7ffffe, v4
	v_cvt_u32_f32_e32 v4, v4
	v_readfirstlane_b32 s20, v4
	s_mul_i32 s22, s22, s20
	s_mul_hi_u32 s22, s20, s22
	s_add_i32 s20, s20, s22
	s_mul_hi_u32 s20, s6, s20
	s_mul_i32 s20, s20, s33
	s_sub_i32 s20, s6, s20
	s_sub_i32 s22, s20, s33
	s_cmp_ge_u32 s20, s33
	s_cselect_b32 s20, s22, s20
	s_sub_i32 s22, s20, s33
	s_cmp_ge_u32 s20, s33
	s_cselect_b32 s58, s22, s20
	s_mov_b64 s[22:23], s[58:59]
.LBB153_150:                            ;   in Loop: Header=BB153_31 Depth=1
	s_sub_u32 s20, s6, s22
	s_subb_u32 s21, s21, s23
	s_mov_b32 s6, 0
	s_mov_b32 s22, 0
	s_mov_b32 s23, exec_lo
                                        ; implicit-def: $vgpr5
	v_cmpx_gt_u64_e64 s[20:21], v[0:1]
	s_cbranch_execz .LBB153_161
; %bb.151:                              ;   in Loop: Header=BB153_31 Depth=1
	v_mov_b32_e32 v7, v1
	v_mov_b32_e32 v8, v14
	v_mov_b32_e32 v6, v0
                                        ; implicit-def: $sgpr58
	s_inst_prefetch 0x1
	s_branch .LBB153_154
	.p2align	6
.LBB153_152:                            ;   in Loop: Header=BB153_154 Depth=2
	s_or_b32 exec_lo, exec_lo, s60
	s_waitcnt lgkmcnt(0)
	s_barrier
	buffer_gl0_inv
	ds_read_b64 v[4:5], v13 offset:3072
	s_mov_b32 s40, -1
	s_mov_b32 s41, -1
	s_waitcnt lgkmcnt(0)
	s_barrier
	buffer_gl0_inv
	v_cmp_ne_u32_e32 vcc_lo, 0, v4
	s_cbranch_vccz .LBB153_157
.LBB153_153:                            ;   in Loop: Header=BB153_154 Depth=2
	s_and_b32 s40, exec_lo, s40
	s_or_b32 s22, s40, s22
	s_andn2_b32 s40, s58, exec_lo
	s_and_b32 s41, s41, exec_lo
	s_or_b32 s58, s40, s41
	s_andn2_b32 exec_lo, exec_lo, s22
	s_cbranch_execz .LBB153_160
.LBB153_154:                            ;   Parent Loop BB153_31 Depth=1
                                        ; =>  This Inner Loop Header: Depth=2
	s_mov_b32 s60, exec_lo
	v_cmpx_gt_u64_e64 s[18:19], v[6:7]
	s_cbranch_execz .LBB153_152
; %bb.155:                              ;   in Loop: Header=BB153_154 Depth=2
	ds_read_b32 v27, v8
	s_waitcnt lgkmcnt(0)
	v_xor_b32_e32 v4, 0x80000000, v27
	v_and_b32_e32 v4, v4, v32
	v_cmp_eq_u32_e32 vcc_lo, v4, v31
	s_and_b32 exec_lo, exec_lo, vcc_lo
	s_cbranch_execz .LBB153_152
; %bb.156:                              ;   in Loop: Header=BB153_154 Depth=2
	ds_write_b64 v13, v[26:27] offset:3072
	s_branch .LBB153_152
.LBB153_157:                            ;   in Loop: Header=BB153_154 Depth=2
	v_add_co_u32 v6, vcc_lo, v6, s33
	v_add_co_ci_u32_e64 v7, null, 0, v7, vcc_lo
	v_add_nc_u32_e32 v8, s97, v8
	s_mov_b32 s41, 0
	v_cmp_le_u64_e32 vcc_lo, s[20:21], v[6:7]
	s_orn2_b32 s40, vcc_lo, exec_lo
	s_branch .LBB153_153
.LBB153_158:                            ;   in Loop: Header=BB153_31 Depth=1
                                        ; implicit-def: $sgpr22_sgpr23
	s_branch .LBB153_103
.LBB153_159:                            ;   in Loop: Header=BB153_31 Depth=1
                                        ; implicit-def: $sgpr18_sgpr19
	s_branch .LBB153_120
.LBB153_160:                            ;   in Loop: Header=BB153_31 Depth=1
	s_inst_prefetch 0x2
	s_or_b32 exec_lo, exec_lo, s22
	s_and_b32 s22, s58, exec_lo
.LBB153_161:                            ;   in Loop: Header=BB153_31 Depth=1
	s_or_b32 exec_lo, exec_lo, s23
.LBB153_162:                            ;   in Loop: Header=BB153_31 Depth=1
	s_and_b32 vcc_lo, exec_lo, s6
	s_cbranch_vccz .LBB153_176
; %bb.163:                              ;   in Loop: Header=BB153_31 Depth=1
	s_mov_b32 s60, s59
	s_cmp_lg_u64 s[60:61], 0
	s_cbranch_scc0 .LBB153_204
; %bb.164:                              ;   in Loop: Header=BB153_31 Depth=1
	v_cvt_f32_u32_e32 v4, s33
	s_sub_u32 s19, 0, s33
	s_subb_u32 s20, 0, 0
	v_fmac_f32_e64 v4, 0x4f800000, 0
	v_rcp_f32_e32 v4, v4
	v_mul_f32_e32 v4, 0x5f7ffffc, v4
	v_mul_f32_e32 v5, 0x2f800000, v4
	v_trunc_f32_e32 v5, v5
	v_fmac_f32_e32 v4, 0xcf800000, v5
	v_cvt_u32_f32_e32 v5, v5
	v_cvt_u32_f32_e32 v4, v4
	v_readfirstlane_b32 s6, v5
	v_readfirstlane_b32 s18, v4
	s_mul_i32 s21, s19, s6
	s_mul_hi_u32 s40, s19, s18
	s_mul_i32 s23, s20, s18
	s_add_i32 s21, s40, s21
	s_mul_i32 s41, s19, s18
	s_add_i32 s21, s21, s23
	s_mul_hi_u32 s40, s18, s41
	s_mul_i32 s60, s18, s21
	s_mul_hi_u32 s58, s6, s41
	s_mul_i32 s23, s6, s41
	s_mul_hi_u32 s41, s18, s21
	s_add_u32 s40, s40, s60
	s_addc_u32 s41, 0, s41
	s_mul_hi_u32 s65, s6, s21
	s_add_u32 s23, s40, s23
	s_mul_i32 s21, s6, s21
	s_addc_u32 s23, s41, s58
	s_addc_u32 s40, s65, 0
	s_add_u32 s21, s23, s21
	s_addc_u32 s23, 0, s40
	s_add_u32 s18, s18, s21
	s_cselect_b32 s21, -1, 0
	s_mul_hi_u32 s40, s19, s18
	s_cmp_lg_u32 s21, 0
	s_mul_i32 s21, s19, s18
	s_addc_u32 s6, s6, s23
	s_mul_i32 s20, s20, s18
	s_mul_i32 s19, s19, s6
	s_mul_hi_u32 s23, s18, s21
	s_add_i32 s19, s40, s19
	s_mul_hi_u32 s40, s6, s21
	s_add_i32 s19, s19, s20
	s_mul_i32 s20, s6, s21
	s_mul_i32 s58, s18, s19
	s_mul_hi_u32 s41, s18, s19
	s_add_u32 s23, s23, s58
	s_addc_u32 s41, 0, s41
	s_mul_hi_u32 s21, s6, s19
	s_add_u32 s20, s23, s20
	s_mul_i32 s19, s6, s19
	s_addc_u32 s20, s41, s40
	s_addc_u32 s21, s21, 0
	s_add_u32 s19, s20, s19
	s_addc_u32 s20, 0, s21
	s_add_u32 s18, s18, s19
	s_cselect_b32 s19, -1, 0
	s_mul_hi_u32 s21, s93, s18
	s_cmp_lg_u32 s19, 0
	s_mul_hi_u32 s19, s61, s18
	s_addc_u32 s6, s6, s20
	s_mul_i32 s18, s61, s18
	s_mul_i32 s23, s93, s6
	s_mul_hi_u32 s20, s93, s6
	s_add_u32 s21, s21, s23
	s_addc_u32 s20, 0, s20
	s_mul_hi_u32 s40, s61, s6
	s_add_u32 s18, s21, s18
	s_mul_i32 s6, s61, s6
	s_addc_u32 s18, s20, s19
	s_addc_u32 s19, s40, 0
	s_add_u32 s6, s18, s6
	s_addc_u32 s18, 0, s19
	s_mul_hi_u32 s19, s33, s6
	s_mul_i32 s18, s33, s18
	s_mul_i32 s6, s33, s6
	s_add_i32 s19, s19, s18
	s_sub_u32 s6, s93, s6
	s_cselect_b32 s18, -1, 0
	s_cmp_lg_u32 s18, 0
	s_subb_u32 s18, s61, s19
	s_sub_u32 s19, s6, s33
	s_cselect_b32 s20, -1, 0
	s_cmp_lg_u32 s20, 0
	s_subb_u32 s20, s18, 0
	;; [unrolled: 4-line block ×3, first 2 shown]
	s_cmp_ge_u32 s19, s33
	s_cselect_b32 s40, -1, 0
	s_cmp_eq_u32 s20, 0
	s_cselect_b32 s40, s40, -1
	s_cmp_lg_u32 s40, 0
	s_cselect_b32 s20, s23, s20
	s_cselect_b32 s21, s21, s19
	s_cmp_ge_u32 s6, s33
	s_cselect_b32 s19, -1, 0
	s_cmp_eq_u32 s18, 0
	s_cselect_b32 s19, s19, -1
	s_cmp_lg_u32 s19, 0
	s_cselect_b32 s19, s20, s18
	s_cselect_b32 s18, s21, s6
	s_cbranch_execnz .LBB153_166
.LBB153_165:                            ;   in Loop: Header=BB153_31 Depth=1
	v_cvt_f32_u32_e32 v4, s33
	s_sub_i32 s18, 0, s33
	v_rcp_iflag_f32_e32 v4, v4
	v_mul_f32_e32 v4, 0x4f7ffffe, v4
	v_cvt_u32_f32_e32 v4, v4
	v_readfirstlane_b32 s6, v4
	s_mul_i32 s18, s18, s6
	s_mul_hi_u32 s18, s6, s18
	s_add_i32 s6, s6, s18
	s_mul_hi_u32 s6, s93, s6
	s_mul_i32 s6, s6, s33
	s_sub_i32 s6, s93, s6
	s_sub_i32 s18, s6, s33
	s_cmp_ge_u32 s6, s33
	s_cselect_b32 s6, s18, s6
	s_sub_i32 s18, s6, s33
	s_cmp_ge_u32 s6, s33
	s_cselect_b32 s58, s18, s6
	s_mov_b64 s[18:19], s[58:59]
.LBB153_166:                            ;   in Loop: Header=BB153_31 Depth=1
	s_sub_u32 s18, s93, s18
	s_subb_u32 s19, s61, s19
	s_mov_b32 s20, exec_lo
                                        ; implicit-def: $vgpr5
	v_cmpx_gt_u64_e64 s[18:19], v[0:1]
	s_cbranch_execz .LBB153_175
; %bb.167:                              ;   in Loop: Header=BB153_31 Depth=1
	v_mov_b32_e32 v6, v24
	v_mov_b32_e32 v9, v1
	;; [unrolled: 1-line block ×4, first 2 shown]
	s_mov_b32 s21, 0
                                        ; implicit-def: $sgpr23
	s_inst_prefetch 0x1
	s_branch .LBB153_170
	.p2align	6
.LBB153_168:                            ;   in Loop: Header=BB153_170 Depth=2
	s_or_b32 exec_lo, exec_lo, s6
	s_waitcnt lgkmcnt(0)
	s_barrier
	buffer_gl0_inv
	ds_read_b64 v[4:5], v13 offset:3072
	s_mov_b32 s6, -1
	s_mov_b32 s40, -1
	s_waitcnt lgkmcnt(0)
	s_barrier
	buffer_gl0_inv
	v_cmp_eq_u32_e32 vcc_lo, 0, v4
	s_cbranch_vccnz .LBB153_173
.LBB153_169:                            ;   in Loop: Header=BB153_170 Depth=2
	s_and_b32 s6, exec_lo, s6
	s_or_b32 s21, s6, s21
	s_andn2_b32 s6, s23, exec_lo
	s_and_b32 s23, s40, exec_lo
	s_or_b32 s23, s6, s23
	s_andn2_b32 exec_lo, exec_lo, s21
	s_cbranch_execz .LBB153_174
.LBB153_170:                            ;   Parent Loop BB153_31 Depth=1
                                        ; =>  This Inner Loop Header: Depth=2
	s_mov_b32 s6, exec_lo
	v_cmpx_gt_u64_e64 s[28:29], v[8:9]
	s_cbranch_execz .LBB153_168
; %bb.171:                              ;   in Loop: Header=BB153_170 Depth=2
	global_load_dword v27, v[6:7], off
	s_waitcnt vmcnt(0)
	v_xor_b32_e32 v4, 0x80000000, v27
	v_and_b32_e32 v4, v4, v32
	v_cmp_eq_u32_e32 vcc_lo, v4, v31
	s_and_b32 exec_lo, exec_lo, vcc_lo
	s_cbranch_execz .LBB153_168
; %bb.172:                              ;   in Loop: Header=BB153_170 Depth=2
	ds_write_b64 v13, v[26:27] offset:3072
	s_branch .LBB153_168
.LBB153_173:                            ;   in Loop: Header=BB153_170 Depth=2
	v_add_co_u32 v8, vcc_lo, v8, s33
	v_add_co_ci_u32_e64 v9, null, 0, v9, vcc_lo
	v_add_co_u32 v6, s6, v6, s38
	v_add_co_ci_u32_e64 v7, null, s39, v7, s6
	v_cmp_le_u64_e32 vcc_lo, s[18:19], v[8:9]
	s_mov_b32 s40, 0
	s_orn2_b32 s6, vcc_lo, exec_lo
	s_branch .LBB153_169
.LBB153_174:                            ;   in Loop: Header=BB153_31 Depth=1
	s_inst_prefetch 0x2
	s_or_b32 exec_lo, exec_lo, s21
	s_andn2_b32 s6, s22, exec_lo
	s_and_b32 s18, s23, exec_lo
	s_or_b32 s22, s6, s18
.LBB153_175:                            ;   in Loop: Header=BB153_31 Depth=1
	s_or_b32 exec_lo, exec_lo, s20
	s_mov_b32 s75, 0
	s_mov_b32 s76, -1
.LBB153_176:                            ;   in Loop: Header=BB153_31 Depth=1
	s_orn2_b32 s6, s22, exec_lo
.LBB153_177:                            ;   in Loop: Header=BB153_31 Depth=1
	s_or_b32 exec_lo, exec_lo, s64
	s_mov_b32 s18, 0
	s_and_saveexec_b32 s77, s6
	s_cbranch_execz .LBB153_286
; %bb.178:                              ;   in Loop: Header=BB153_31 Depth=1
	v_mov_b32_e32 v6, 1
	v_mov_b32_e32 v7, 0
	v_mov_b32_e32 v12, 1
	s_xor_b32 s19, s78, -1
	s_and_saveexec_b32 s6, s19
	s_cbranch_execz .LBB153_187
; %bb.179:                              ;   in Loop: Header=BB153_31 Depth=1
	s_mov_b32 s18, exec_lo
	v_cmpx_ge_u64_e64 s[12:13], v[2:3]
	s_xor_b32 s18, exec_lo, s18
	s_cbranch_execz .LBB153_184
; %bb.180:                              ;   in Loop: Header=BB153_31 Depth=1
	ds_read_b64 v[6:7], v13 offset:5120
	s_lshl_b32 s19, 1, s56
	v_or_b32_e32 v32, s9, v32
	v_and_or_b32 v31, v31, s24, s19
	s_waitcnt lgkmcnt(0)
	v_cmp_ne_u64_e32 vcc_lo, 0, v[6:7]
	s_cbranch_vccnz .LBB153_184
; %bb.181:                              ;   in Loop: Header=BB153_31 Depth=1
	s_and_saveexec_b32 s19, s3
; %bb.182:                              ;   in Loop: Header=BB153_31 Depth=1
	v_mov_b32_e32 v6, s12
	v_mov_b32_e32 v7, s13
	ds_write_b64 v13, v[6:7] offset:5128
; %bb.183:                              ;   in Loop: Header=BB153_31 Depth=1
	s_or_b32 exec_lo, exec_lo, s19
	s_waitcnt lgkmcnt(0)
	s_barrier
	buffer_gl0_inv
.LBB153_184:                            ;   in Loop: Header=BB153_31 Depth=1
	s_or_saveexec_b32 s18, s18
	v_mov_b32_e32 v12, 8
	s_mov_b32 s19, 0
	s_xor_b32 exec_lo, exec_lo, s18
; %bb.185:                              ;   in Loop: Header=BB153_31 Depth=1
	v_sub_co_u32 v2, vcc_lo, v2, s12
	v_subrev_co_ci_u32_e64 v3, null, s13, v3, vcc_lo
	v_mov_b32_e32 v12, 0
	s_mov_b32 s19, exec_lo
; %bb.186:                              ;   in Loop: Header=BB153_31 Depth=1
	s_or_b32 exec_lo, exec_lo, s18
	v_mov_b32_e32 v7, v3
	v_mov_b32_e32 v6, v2
	s_and_b32 s18, s19, exec_lo
.LBB153_187:                            ;   in Loop: Header=BB153_31 Depth=1
	s_or_b32 exec_lo, exec_lo, s6
	s_mov_b32 s6, -1
                                        ; implicit-def: $sgpr79
                                        ; implicit-def: $sgpr80
	s_and_saveexec_b32 s78, s18
	s_cbranch_execz .LBB153_285
; %bb.188:                              ;   in Loop: Header=BB153_31 Depth=1
	v_cmp_eq_u64_e32 vcc_lo, 1, v[6:7]
	s_cmp_eq_u64 s[14:15], 1
                                        ; implicit-def: $sgpr80
                                        ; implicit-def: $sgpr79
	s_cselect_b32 s6, -1, 0
	s_and_b32 s82, s6, vcc_lo
	s_mov_b32 s6, -1
	s_and_saveexec_b32 s81, s82
	s_cbranch_execz .LBB153_222
; %bb.189:                              ;   in Loop: Header=BB153_31 Depth=1
	ds_read_b64 v[2:3], v13 offset:5120
	s_waitcnt lgkmcnt(0)
	s_barrier
	buffer_gl0_inv
	v_readfirstlane_b32 s18, v2
	v_readfirstlane_b32 s19, v3
	s_and_saveexec_b32 s6, s8
; %bb.190:                              ;   in Loop: Header=BB153_31 Depth=1
	ds_write_b32 v43, v13
; %bb.191:                              ;   in Loop: Header=BB153_31 Depth=1
	s_or_b32 exec_lo, exec_lo, s6
	s_lshl_b32 s6, 2, s56
	v_or_b32_e32 v32, s9, v32
	v_and_or_b32 v31, v31, s24, s6
	s_mov_b32 s79, -1
	s_mov_b32 s80, 0
	s_cmp_eq_u64 s[18:19], 0
	s_mov_b32 s22, 0
	s_mov_b32 s6, -1
	s_waitcnt lgkmcnt(0)
	s_barrier
	buffer_gl0_inv
                                        ; implicit-def: $vgpr5
	s_cbranch_scc1 .LBB153_207
; %bb.192:                              ;   in Loop: Header=BB153_31 Depth=1
	s_add_u32 s6, s18, s91
	s_addc_u32 s21, s19, s92
	s_mov_b32 s20, s59
	s_cmp_lg_u64 s[20:21], 0
	s_cbranch_scc0 .LBB153_239
; %bb.193:                              ;   in Loop: Header=BB153_31 Depth=1
	v_cvt_f32_u32_e32 v2, s33
	s_sub_u32 s23, 0, s33
	s_subb_u32 s40, 0, 0
	v_fmac_f32_e64 v2, 0x4f800000, 0
	v_rcp_f32_e32 v2, v2
	v_mul_f32_e32 v2, 0x5f7ffffc, v2
	v_mul_f32_e32 v3, 0x2f800000, v2
	v_trunc_f32_e32 v3, v3
	v_fmac_f32_e32 v2, 0xcf800000, v3
	v_cvt_u32_f32_e32 v3, v3
	v_cvt_u32_f32_e32 v2, v2
	v_readfirstlane_b32 s20, v3
	v_readfirstlane_b32 s22, v2
	s_mul_i32 s41, s23, s20
	s_mul_hi_u32 s60, s23, s22
	s_mul_i32 s58, s40, s22
	s_add_i32 s41, s60, s41
	s_mul_i32 s64, s23, s22
	s_add_i32 s41, s41, s58
	s_mul_hi_u32 s60, s22, s64
	s_mul_i32 s83, s22, s41
	s_mul_hi_u32 s65, s20, s64
	s_mul_i32 s58, s20, s64
	s_mul_hi_u32 s64, s22, s41
	s_add_u32 s60, s60, s83
	s_addc_u32 s64, 0, s64
	s_mul_hi_u32 vcc_lo, s20, s41
	s_add_u32 s58, s60, s58
	s_mul_i32 s41, s20, s41
	s_addc_u32 s58, s64, s65
	s_addc_u32 s60, vcc_lo, 0
	s_add_u32 s41, s58, s41
	s_addc_u32 s58, 0, s60
	s_add_u32 s22, s22, s41
	s_cselect_b32 s41, -1, 0
	s_mul_hi_u32 s60, s23, s22
	s_cmp_lg_u32 s41, 0
	s_mul_i32 s41, s23, s22
	s_addc_u32 s20, s20, s58
	s_mul_i32 s40, s40, s22
	s_mul_i32 s23, s23, s20
	s_mul_hi_u32 s58, s22, s41
	s_add_i32 s23, s60, s23
	s_mul_hi_u32 s60, s20, s41
	s_add_i32 s23, s23, s40
	s_mul_i32 s40, s20, s41
	s_mul_i32 s65, s22, s23
	s_mul_hi_u32 s64, s22, s23
	s_add_u32 s58, s58, s65
	s_addc_u32 s64, 0, s64
	s_mul_hi_u32 s41, s20, s23
	s_add_u32 s40, s58, s40
	s_mul_i32 s23, s20, s23
	s_addc_u32 s40, s64, s60
	s_addc_u32 s41, s41, 0
	s_add_u32 s23, s40, s23
	s_addc_u32 s40, 0, s41
	s_add_u32 s22, s22, s23
	s_cselect_b32 s23, -1, 0
	s_mul_hi_u32 s41, s6, s22
	s_cmp_lg_u32 s23, 0
	s_mul_hi_u32 s23, s21, s22
	s_addc_u32 s20, s20, s40
	s_mul_i32 s22, s21, s22
	s_mul_i32 s58, s6, s20
	s_mul_hi_u32 s40, s6, s20
	s_add_u32 s41, s41, s58
	s_addc_u32 s40, 0, s40
	s_mul_hi_u32 s60, s21, s20
	s_add_u32 s22, s41, s22
	s_mul_i32 s20, s21, s20
	s_addc_u32 s22, s40, s23
	s_addc_u32 s23, s60, 0
	s_add_u32 s20, s22, s20
	s_addc_u32 s22, 0, s23
	s_mul_hi_u32 s23, s33, s20
	s_mul_i32 s22, s33, s22
	s_mul_i32 s20, s33, s20
	s_add_i32 s23, s23, s22
	s_sub_u32 s20, s6, s20
	s_cselect_b32 s22, -1, 0
	s_cmp_lg_u32 s22, 0
	s_subb_u32 s22, s21, s23
	s_sub_u32 s23, s20, s33
	s_cselect_b32 s40, -1, 0
	s_cmp_lg_u32 s40, 0
	s_subb_u32 s40, s22, 0
	;; [unrolled: 4-line block ×3, first 2 shown]
	s_cmp_ge_u32 s23, s33
	s_cselect_b32 s60, -1, 0
	s_cmp_eq_u32 s40, 0
	s_cselect_b32 s60, s60, -1
	s_cmp_lg_u32 s60, 0
	s_cselect_b32 s40, s58, s40
	s_cselect_b32 s41, s41, s23
	s_cmp_ge_u32 s20, s33
	s_cselect_b32 s23, -1, 0
	s_cmp_eq_u32 s22, 0
	s_cselect_b32 s23, s23, -1
	s_cmp_lg_u32 s23, 0
	s_cselect_b32 s23, s40, s22
	s_cselect_b32 s22, s41, s20
	s_cbranch_execnz .LBB153_195
.LBB153_194:                            ;   in Loop: Header=BB153_31 Depth=1
	v_cvt_f32_u32_e32 v2, s33
	s_sub_i32 s22, 0, s33
	v_rcp_iflag_f32_e32 v2, v2
	v_mul_f32_e32 v2, 0x4f7ffffe, v2
	v_cvt_u32_f32_e32 v2, v2
	v_readfirstlane_b32 s20, v2
	s_mul_i32 s22, s22, s20
	s_mul_hi_u32 s22, s20, s22
	s_add_i32 s20, s20, s22
	s_mul_hi_u32 s20, s6, s20
	s_mul_i32 s20, s20, s33
	s_sub_i32 s20, s6, s20
	s_sub_i32 s22, s20, s33
	s_cmp_ge_u32 s20, s33
	s_cselect_b32 s20, s22, s20
	s_sub_i32 s22, s20, s33
	s_cmp_ge_u32 s20, s33
	s_cselect_b32 s58, s22, s20
	s_mov_b64 s[22:23], s[58:59]
.LBB153_195:                            ;   in Loop: Header=BB153_31 Depth=1
	s_sub_u32 s20, s6, s22
	s_subb_u32 s21, s21, s23
	s_mov_b32 s6, 0
	s_mov_b32 s22, 0
	s_mov_b32 s23, exec_lo
                                        ; implicit-def: $vgpr5
	v_cmpx_gt_u64_e64 s[20:21], v[0:1]
	s_cbranch_execz .LBB153_206
; %bb.196:                              ;   in Loop: Header=BB153_31 Depth=1
	v_mov_b32_e32 v3, v1
	v_mov_b32_e32 v8, v14
	;; [unrolled: 1-line block ×3, first 2 shown]
                                        ; implicit-def: $sgpr58
	s_inst_prefetch 0x1
	s_branch .LBB153_199
	.p2align	6
.LBB153_197:                            ;   in Loop: Header=BB153_199 Depth=2
	s_or_b32 exec_lo, exec_lo, s60
	s_waitcnt lgkmcnt(0)
	s_barrier
	buffer_gl0_inv
	ds_read_b64 v[4:5], v13 offset:3072
	s_mov_b32 s40, -1
	s_mov_b32 s41, -1
	s_waitcnt lgkmcnt(0)
	s_barrier
	buffer_gl0_inv
	v_cmp_ne_u32_e32 vcc_lo, 0, v4
	s_cbranch_vccz .LBB153_202
.LBB153_198:                            ;   in Loop: Header=BB153_199 Depth=2
	s_and_b32 s40, exec_lo, s40
	s_or_b32 s22, s40, s22
	s_andn2_b32 s40, s58, exec_lo
	s_and_b32 s41, s41, exec_lo
	s_or_b32 s58, s40, s41
	s_andn2_b32 exec_lo, exec_lo, s22
	s_cbranch_execz .LBB153_205
.LBB153_199:                            ;   Parent Loop BB153_31 Depth=1
                                        ; =>  This Inner Loop Header: Depth=2
	s_mov_b32 s60, exec_lo
	v_cmpx_gt_u64_e64 s[18:19], v[2:3]
	s_cbranch_execz .LBB153_197
; %bb.200:                              ;   in Loop: Header=BB153_199 Depth=2
	ds_read_b32 v27, v8
	s_waitcnt lgkmcnt(0)
	v_xor_b32_e32 v4, 0x80000000, v27
	v_and_b32_e32 v4, v4, v32
	v_cmp_eq_u32_e32 vcc_lo, v4, v31
	s_and_b32 exec_lo, exec_lo, vcc_lo
	s_cbranch_execz .LBB153_197
; %bb.201:                              ;   in Loop: Header=BB153_199 Depth=2
	ds_write_b64 v13, v[26:27] offset:3072
	s_branch .LBB153_197
.LBB153_202:                            ;   in Loop: Header=BB153_199 Depth=2
	v_add_co_u32 v2, vcc_lo, v2, s33
	v_add_co_ci_u32_e64 v3, null, 0, v3, vcc_lo
	v_add_nc_u32_e32 v8, s97, v8
	s_mov_b32 s41, 0
	v_cmp_le_u64_e32 vcc_lo, s[20:21], v[2:3]
	s_orn2_b32 s40, vcc_lo, exec_lo
	s_branch .LBB153_198
.LBB153_203:                            ;   in Loop: Header=BB153_31 Depth=1
                                        ; implicit-def: $sgpr22_sgpr23
	s_branch .LBB153_149
.LBB153_204:                            ;   in Loop: Header=BB153_31 Depth=1
                                        ; implicit-def: $sgpr18_sgpr19
	s_branch .LBB153_165
.LBB153_205:                            ;   in Loop: Header=BB153_31 Depth=1
	s_inst_prefetch 0x2
	s_or_b32 exec_lo, exec_lo, s22
	s_and_b32 s22, s58, exec_lo
.LBB153_206:                            ;   in Loop: Header=BB153_31 Depth=1
	s_or_b32 exec_lo, exec_lo, s23
.LBB153_207:                            ;   in Loop: Header=BB153_31 Depth=1
	s_and_b32 vcc_lo, exec_lo, s6
	s_cbranch_vccz .LBB153_221
; %bb.208:                              ;   in Loop: Header=BB153_31 Depth=1
	s_mov_b32 s60, s59
	s_cmp_lg_u64 s[60:61], 0
	s_cbranch_scc0 .LBB153_240
; %bb.209:                              ;   in Loop: Header=BB153_31 Depth=1
	v_cvt_f32_u32_e32 v2, s33
	s_sub_u32 s19, 0, s33
	s_subb_u32 s20, 0, 0
	v_fmac_f32_e64 v2, 0x4f800000, 0
	v_rcp_f32_e32 v2, v2
	v_mul_f32_e32 v2, 0x5f7ffffc, v2
	v_mul_f32_e32 v3, 0x2f800000, v2
	v_trunc_f32_e32 v3, v3
	v_fmac_f32_e32 v2, 0xcf800000, v3
	v_cvt_u32_f32_e32 v3, v3
	v_cvt_u32_f32_e32 v2, v2
	v_readfirstlane_b32 s6, v3
	v_readfirstlane_b32 s18, v2
	s_mul_i32 s21, s19, s6
	s_mul_hi_u32 s40, s19, s18
	s_mul_i32 s23, s20, s18
	s_add_i32 s21, s40, s21
	s_mul_i32 s41, s19, s18
	s_add_i32 s21, s21, s23
	s_mul_hi_u32 s40, s18, s41
	s_mul_i32 s60, s18, s21
	s_mul_hi_u32 s58, s6, s41
	s_mul_i32 s23, s6, s41
	s_mul_hi_u32 s41, s18, s21
	s_add_u32 s40, s40, s60
	s_addc_u32 s41, 0, s41
	s_mul_hi_u32 s64, s6, s21
	s_add_u32 s23, s40, s23
	s_mul_i32 s21, s6, s21
	s_addc_u32 s23, s41, s58
	s_addc_u32 s40, s64, 0
	s_add_u32 s21, s23, s21
	s_addc_u32 s23, 0, s40
	s_add_u32 s18, s18, s21
	s_cselect_b32 s21, -1, 0
	s_mul_hi_u32 s40, s19, s18
	s_cmp_lg_u32 s21, 0
	s_mul_i32 s21, s19, s18
	s_addc_u32 s6, s6, s23
	s_mul_i32 s20, s20, s18
	s_mul_i32 s19, s19, s6
	s_mul_hi_u32 s23, s18, s21
	s_add_i32 s19, s40, s19
	s_mul_hi_u32 s40, s6, s21
	s_add_i32 s19, s19, s20
	s_mul_i32 s20, s6, s21
	s_mul_i32 s58, s18, s19
	s_mul_hi_u32 s41, s18, s19
	s_add_u32 s23, s23, s58
	s_addc_u32 s41, 0, s41
	s_mul_hi_u32 s21, s6, s19
	s_add_u32 s20, s23, s20
	s_mul_i32 s19, s6, s19
	s_addc_u32 s20, s41, s40
	s_addc_u32 s21, s21, 0
	s_add_u32 s19, s20, s19
	s_addc_u32 s20, 0, s21
	s_add_u32 s18, s18, s19
	s_cselect_b32 s19, -1, 0
	s_mul_hi_u32 s21, s93, s18
	s_cmp_lg_u32 s19, 0
	s_mul_hi_u32 s19, s61, s18
	s_addc_u32 s6, s6, s20
	s_mul_i32 s18, s61, s18
	s_mul_i32 s23, s93, s6
	s_mul_hi_u32 s20, s93, s6
	s_add_u32 s21, s21, s23
	s_addc_u32 s20, 0, s20
	s_mul_hi_u32 s40, s61, s6
	s_add_u32 s18, s21, s18
	s_mul_i32 s6, s61, s6
	s_addc_u32 s18, s20, s19
	s_addc_u32 s19, s40, 0
	s_add_u32 s6, s18, s6
	s_addc_u32 s18, 0, s19
	s_mul_hi_u32 s19, s33, s6
	s_mul_i32 s18, s33, s18
	s_mul_i32 s6, s33, s6
	s_add_i32 s19, s19, s18
	s_sub_u32 s6, s93, s6
	s_cselect_b32 s18, -1, 0
	s_cmp_lg_u32 s18, 0
	s_subb_u32 s18, s61, s19
	s_sub_u32 s19, s6, s33
	s_cselect_b32 s20, -1, 0
	s_cmp_lg_u32 s20, 0
	s_subb_u32 s20, s18, 0
	;; [unrolled: 4-line block ×3, first 2 shown]
	s_cmp_ge_u32 s19, s33
	s_cselect_b32 s40, -1, 0
	s_cmp_eq_u32 s20, 0
	s_cselect_b32 s40, s40, -1
	s_cmp_lg_u32 s40, 0
	s_cselect_b32 s20, s23, s20
	s_cselect_b32 s21, s21, s19
	s_cmp_ge_u32 s6, s33
	s_cselect_b32 s19, -1, 0
	s_cmp_eq_u32 s18, 0
	s_cselect_b32 s19, s19, -1
	s_cmp_lg_u32 s19, 0
	s_cselect_b32 s19, s20, s18
	s_cselect_b32 s18, s21, s6
	s_cbranch_execnz .LBB153_211
.LBB153_210:                            ;   in Loop: Header=BB153_31 Depth=1
	v_cvt_f32_u32_e32 v2, s33
	s_sub_i32 s18, 0, s33
	v_rcp_iflag_f32_e32 v2, v2
	v_mul_f32_e32 v2, 0x4f7ffffe, v2
	v_cvt_u32_f32_e32 v2, v2
	v_readfirstlane_b32 s6, v2
	s_mul_i32 s18, s18, s6
	s_mul_hi_u32 s18, s6, s18
	s_add_i32 s6, s6, s18
	s_mul_hi_u32 s6, s93, s6
	s_mul_i32 s6, s6, s33
	s_sub_i32 s6, s93, s6
	s_sub_i32 s18, s6, s33
	s_cmp_ge_u32 s6, s33
	s_cselect_b32 s6, s18, s6
	s_sub_i32 s18, s6, s33
	s_cmp_ge_u32 s6, s33
	s_cselect_b32 s58, s18, s6
	s_mov_b64 s[18:19], s[58:59]
.LBB153_211:                            ;   in Loop: Header=BB153_31 Depth=1
	s_sub_u32 s18, s93, s18
	s_subb_u32 s19, s61, s19
	s_mov_b32 s20, exec_lo
                                        ; implicit-def: $vgpr5
	v_cmpx_gt_u64_e64 s[18:19], v[0:1]
	s_cbranch_execz .LBB153_220
; %bb.212:                              ;   in Loop: Header=BB153_31 Depth=1
	v_mov_b32_e32 v2, v24
	v_mov_b32_e32 v9, v1
	;; [unrolled: 1-line block ×4, first 2 shown]
	s_mov_b32 s21, 0
                                        ; implicit-def: $sgpr23
	s_inst_prefetch 0x1
	s_branch .LBB153_215
	.p2align	6
.LBB153_213:                            ;   in Loop: Header=BB153_215 Depth=2
	s_or_b32 exec_lo, exec_lo, s6
	s_waitcnt lgkmcnt(0)
	s_barrier
	buffer_gl0_inv
	ds_read_b64 v[4:5], v13 offset:3072
	s_mov_b32 s6, -1
	s_mov_b32 s40, -1
	s_waitcnt lgkmcnt(0)
	s_barrier
	buffer_gl0_inv
	v_cmp_eq_u32_e32 vcc_lo, 0, v4
	s_cbranch_vccnz .LBB153_218
.LBB153_214:                            ;   in Loop: Header=BB153_215 Depth=2
	s_and_b32 s6, exec_lo, s6
	s_or_b32 s21, s6, s21
	s_andn2_b32 s6, s23, exec_lo
	s_and_b32 s23, s40, exec_lo
	s_or_b32 s23, s6, s23
	s_andn2_b32 exec_lo, exec_lo, s21
	s_cbranch_execz .LBB153_219
.LBB153_215:                            ;   Parent Loop BB153_31 Depth=1
                                        ; =>  This Inner Loop Header: Depth=2
	s_mov_b32 s6, exec_lo
	v_cmpx_gt_u64_e64 s[28:29], v[8:9]
	s_cbranch_execz .LBB153_213
; %bb.216:                              ;   in Loop: Header=BB153_215 Depth=2
	global_load_dword v27, v[2:3], off
	s_waitcnt vmcnt(0)
	v_xor_b32_e32 v4, 0x80000000, v27
	v_and_b32_e32 v4, v4, v32
	v_cmp_eq_u32_e32 vcc_lo, v4, v31
	s_and_b32 exec_lo, exec_lo, vcc_lo
	s_cbranch_execz .LBB153_213
; %bb.217:                              ;   in Loop: Header=BB153_215 Depth=2
	ds_write_b64 v13, v[26:27] offset:3072
	s_branch .LBB153_213
.LBB153_218:                            ;   in Loop: Header=BB153_215 Depth=2
	v_add_co_u32 v8, vcc_lo, v8, s33
	v_add_co_ci_u32_e64 v9, null, 0, v9, vcc_lo
	v_add_co_u32 v2, s6, v2, s38
	v_add_co_ci_u32_e64 v3, null, s39, v3, s6
	v_cmp_le_u64_e32 vcc_lo, s[18:19], v[8:9]
	s_mov_b32 s40, 0
	s_orn2_b32 s6, vcc_lo, exec_lo
	s_branch .LBB153_214
.LBB153_219:                            ;   in Loop: Header=BB153_31 Depth=1
	s_inst_prefetch 0x2
	s_or_b32 exec_lo, exec_lo, s21
	s_andn2_b32 s6, s22, exec_lo
	s_and_b32 s18, s23, exec_lo
	s_or_b32 s22, s6, s18
.LBB153_220:                            ;   in Loop: Header=BB153_31 Depth=1
	s_or_b32 exec_lo, exec_lo, s20
	s_mov_b32 s79, 0
	s_mov_b32 s80, -1
.LBB153_221:                            ;   in Loop: Header=BB153_31 Depth=1
	s_orn2_b32 s6, s22, exec_lo
.LBB153_222:                            ;   in Loop: Header=BB153_31 Depth=1
	s_or_b32 exec_lo, exec_lo, s81
	s_mov_b32 s18, 0
	s_and_saveexec_b32 s81, s6
	s_cbranch_execz .LBB153_284
; %bb.223:                              ;   in Loop: Header=BB153_31 Depth=1
	v_mov_b32_e32 v2, 1
	v_mov_b32_e32 v3, 0
	;; [unrolled: 1-line block ×3, first 2 shown]
	s_xor_b32 s18, s82, -1
	s_mov_b32 s19, 0
	s_and_saveexec_b32 s6, s18
	s_cbranch_execz .LBB153_232
; %bb.224:                              ;   in Loop: Header=BB153_31 Depth=1
	s_mov_b32 s18, exec_lo
	v_cmpx_ge_u64_e64 s[14:15], v[6:7]
	s_xor_b32 s18, exec_lo, s18
	s_cbranch_execz .LBB153_229
; %bb.225:                              ;   in Loop: Header=BB153_31 Depth=1
	ds_read_b64 v[2:3], v13 offset:5120
	s_lshl_b32 s19, 2, s56
	v_or_b32_e32 v32, s9, v32
	v_and_or_b32 v31, v31, s24, s19
	s_waitcnt lgkmcnt(0)
	v_cmp_ne_u64_e32 vcc_lo, 0, v[2:3]
	s_cbranch_vccnz .LBB153_229
; %bb.226:                              ;   in Loop: Header=BB153_31 Depth=1
	s_and_saveexec_b32 s19, s3
; %bb.227:                              ;   in Loop: Header=BB153_31 Depth=1
	v_mov_b32_e32 v2, s14
	v_mov_b32_e32 v3, s15
	ds_write_b64 v13, v[2:3] offset:5128
; %bb.228:                              ;   in Loop: Header=BB153_31 Depth=1
	s_or_b32 exec_lo, exec_lo, s19
	s_waitcnt lgkmcnt(0)
	s_barrier
	buffer_gl0_inv
.LBB153_229:                            ;   in Loop: Header=BB153_31 Depth=1
	s_or_saveexec_b32 s18, s18
	v_mov_b32_e32 v12, 8
	s_mov_b32 s19, 0
	s_xor_b32 exec_lo, exec_lo, s18
; %bb.230:                              ;   in Loop: Header=BB153_31 Depth=1
	v_sub_co_u32 v6, vcc_lo, v6, s14
	v_subrev_co_ci_u32_e64 v7, null, s15, v7, vcc_lo
	v_mov_b32_e32 v12, 0
	s_mov_b32 s19, exec_lo
; %bb.231:                              ;   in Loop: Header=BB153_31 Depth=1
	s_or_b32 exec_lo, exec_lo, s18
	v_mov_b32_e32 v2, v6
	v_mov_b32_e32 v3, v7
	s_and_b32 s19, s19, exec_lo
.LBB153_232:                            ;   in Loop: Header=BB153_31 Depth=1
	s_or_b32 exec_lo, exec_lo, s6
	s_mov_b32 s18, -1
                                        ; implicit-def: $sgpr60
                                        ; implicit-def: $sgpr6
	s_and_saveexec_b32 s82, s19
	s_cbranch_execz .LBB153_283
; %bb.233:                              ;   in Loop: Header=BB153_31 Depth=1
	v_cmp_eq_u64_e32 vcc_lo, 1, v[2:3]
	s_cmp_eq_u64 s[16:17], 1
	s_mov_b32 s19, -1
	s_cselect_b32 s6, -1, 0
                                        ; implicit-def: $sgpr60
	s_and_b32 s83, s6, vcc_lo
                                        ; implicit-def: $sgpr6
	s_and_saveexec_b32 s64, s83
	s_cbranch_execz .LBB153_271
; %bb.234:                              ;   in Loop: Header=BB153_31 Depth=1
	ds_read_b64 v[4:5], v13 offset:5120
	s_waitcnt lgkmcnt(0)
	s_barrier
	buffer_gl0_inv
	v_readfirstlane_b32 s18, v4
	v_readfirstlane_b32 s19, v5
	s_and_saveexec_b32 s6, s8
; %bb.235:                              ;   in Loop: Header=BB153_31 Depth=1
	ds_write_b32 v43, v13
; %bb.236:                              ;   in Loop: Header=BB153_31 Depth=1
	s_or_b32 exec_lo, exec_lo, s6
	v_or_b32_e32 v31, s9, v31
	v_or_b32_e32 v32, s9, v32
	s_mov_b32 s6, -1
	s_mov_b32 s60, 0
	s_cmp_eq_u64 s[18:19], 0
	s_mov_b32 s22, 0
	s_mov_b32 s23, -1
	s_waitcnt lgkmcnt(0)
	s_barrier
	buffer_gl0_inv
                                        ; implicit-def: $vgpr5
	s_cbranch_scc1 .LBB153_254
; %bb.237:                              ;   in Loop: Header=BB153_31 Depth=1
	v_writelane_b32 v49, s83, 11
	s_add_u32 s65, s18, s91
	s_addc_u32 s21, s19, s92
	s_mov_b32 s20, s59
	s_cmp_lg_u64 s[20:21], 0
	v_writelane_b32 v49, s94, 12
	s_cbranch_scc0 .LBB153_241
; %bb.238:                              ;   in Loop: Header=BB153_31 Depth=1
	v_cvt_f32_u32_e32 v4, s33
	s_sub_u32 s23, 0, s33
	s_subb_u32 s40, 0, 0
	v_fmac_f32_e64 v4, 0x4f800000, 0
	v_rcp_f32_e32 v4, v4
	v_mul_f32_e32 v4, 0x5f7ffffc, v4
	v_mul_f32_e32 v5, 0x2f800000, v4
	v_trunc_f32_e32 v5, v5
	v_fmac_f32_e32 v4, 0xcf800000, v5
	v_cvt_u32_f32_e32 v5, v5
	v_cvt_u32_f32_e32 v4, v4
	v_readfirstlane_b32 s20, v5
	v_readfirstlane_b32 s22, v4
	s_mul_i32 s41, s23, s20
	s_mul_hi_u32 vcc_lo, s23, s22
	s_mul_i32 s58, s40, s22
	s_add_i32 s41, vcc_lo, s41
	s_mul_i32 s46, s23, s22
	s_add_i32 s41, s41, s58
	s_mul_hi_u32 s47, s22, s46
	s_mul_i32 s94, s22, s41
	s_mul_hi_u32 s58, s22, s41
	s_mul_hi_u32 vcc_lo, s20, s46
	s_mul_i32 s46, s20, s46
	s_add_u32 s47, s47, s94
	s_addc_u32 s58, 0, s58
	s_mul_hi_u32 s83, s20, s41
	s_add_u32 s46, s47, s46
	s_mul_i32 s41, s20, s41
	s_addc_u32 s46, s58, vcc_lo
	s_addc_u32 s47, s83, 0
	s_add_u32 s41, s46, s41
	s_addc_u32 s46, 0, s47
	s_add_u32 s22, s22, s41
	s_cselect_b32 s41, -1, 0
	s_mul_hi_u32 s47, s23, s22
	s_cmp_lg_u32 s41, 0
	s_mul_i32 s41, s23, s22
	s_addc_u32 s20, s20, s46
	s_mul_i32 s40, s40, s22
	s_mul_i32 s23, s23, s20
	s_mul_hi_u32 s46, s22, s41
	s_add_i32 s23, s47, s23
	s_mul_hi_u32 s47, s20, s41
	s_add_i32 s23, s23, s40
	s_mul_i32 s40, s20, s41
	s_mul_i32 s83, s22, s23
	s_mul_hi_u32 s58, s22, s23
	s_add_u32 s46, s46, s83
	s_addc_u32 s58, 0, s58
	s_mul_hi_u32 s41, s20, s23
	s_add_u32 s40, s46, s40
	s_mul_i32 s23, s20, s23
	s_addc_u32 s40, s58, s47
	s_addc_u32 s41, s41, 0
	s_add_u32 s23, s40, s23
	s_addc_u32 s40, 0, s41
	s_add_u32 s22, s22, s23
	s_cselect_b32 s23, -1, 0
	s_mul_hi_u32 s41, s65, s22
	s_cmp_lg_u32 s23, 0
	s_mul_hi_u32 s23, s21, s22
	s_addc_u32 s20, s20, s40
	s_mul_i32 s22, s21, s22
	s_mul_i32 s46, s65, s20
	s_mul_hi_u32 s40, s65, s20
	s_add_u32 s41, s41, s46
	s_addc_u32 s40, 0, s40
	s_mul_hi_u32 s47, s21, s20
	s_add_u32 s22, s41, s22
	s_mul_i32 s20, s21, s20
	s_addc_u32 s22, s40, s23
	s_addc_u32 s23, s47, 0
	s_add_u32 s20, s22, s20
	s_addc_u32 s22, 0, s23
	s_mul_hi_u32 s23, s33, s20
	s_mul_i32 s22, s33, s22
	s_mul_i32 s20, s33, s20
	s_add_i32 s23, s23, s22
	s_sub_u32 s20, s65, s20
	s_cselect_b32 s22, -1, 0
	s_cmp_lg_u32 s22, 0
	s_subb_u32 s22, s21, s23
	s_sub_u32 s23, s20, s33
	s_cselect_b32 s40, -1, 0
	s_cmp_lg_u32 s40, 0
	s_subb_u32 s40, s22, 0
	;; [unrolled: 4-line block ×3, first 2 shown]
	s_cmp_ge_u32 s23, s33
	s_cselect_b32 s47, -1, 0
	s_cmp_eq_u32 s40, 0
	s_cselect_b32 s47, s47, -1
	s_cmp_lg_u32 s47, 0
	s_cselect_b32 s40, s46, s40
	s_cselect_b32 s41, s41, s23
	s_cmp_ge_u32 s20, s33
	s_cselect_b32 s23, -1, 0
	s_cmp_eq_u32 s22, 0
	s_cselect_b32 s23, s23, -1
	s_cmp_lg_u32 s23, 0
	s_cselect_b32 s23, s40, s22
	s_cselect_b32 s22, s41, s20
	s_mov_b32 s20, 0
	s_branch .LBB153_242
.LBB153_239:                            ;   in Loop: Header=BB153_31 Depth=1
                                        ; implicit-def: $sgpr22_sgpr23
	s_branch .LBB153_194
.LBB153_240:                            ;   in Loop: Header=BB153_31 Depth=1
                                        ; implicit-def: $sgpr18_sgpr19
	s_branch .LBB153_210
.LBB153_241:                            ;   in Loop: Header=BB153_31 Depth=1
	s_mov_b32 s20, -1
                                        ; implicit-def: $sgpr22_sgpr23
.LBB153_242:                            ;   in Loop: Header=BB153_31 Depth=1
	s_andn2_b32 vcc_lo, exec_lo, s20
	s_cbranch_vccnz .LBB153_244
; %bb.243:                              ;   in Loop: Header=BB153_31 Depth=1
	v_cvt_f32_u32_e32 v4, s33
	s_sub_i32 s22, 0, s33
	v_rcp_iflag_f32_e32 v4, v4
	v_mul_f32_e32 v4, 0x4f7ffffe, v4
	v_cvt_u32_f32_e32 v4, v4
	v_readfirstlane_b32 s20, v4
	s_mul_i32 s22, s22, s20
	s_mul_hi_u32 s22, s20, s22
	s_add_i32 s20, s20, s22
	s_mul_hi_u32 s20, s65, s20
	s_mul_i32 s20, s20, s33
	s_sub_i32 s20, s65, s20
	s_sub_i32 s22, s20, s33
	s_cmp_ge_u32 s20, s33
	s_cselect_b32 s20, s22, s20
	s_sub_i32 s22, s20, s33
	s_cmp_ge_u32 s20, s33
	s_cselect_b32 s58, s22, s20
	s_mov_b64 s[22:23], s[58:59]
.LBB153_244:                            ;   in Loop: Header=BB153_31 Depth=1
	s_sub_u32 s20, s65, s22
	s_subb_u32 s21, s21, s23
	s_mov_b32 s23, 0
	s_mov_b32 s22, 0
	s_mov_b32 s58, exec_lo
                                        ; implicit-def: $vgpr5
	v_cmpx_gt_u64_e64 s[20:21], v[0:1]
	v_readlane_b32 s94, v49, 12
	v_readlane_b32 s83, v49, 11
	s_cbranch_execz .LBB153_253
; %bb.245:                              ;   in Loop: Header=BB153_31 Depth=1
	v_mov_b32_e32 v7, v1
	v_mov_b32_e32 v8, v14
	;; [unrolled: 1-line block ×3, first 2 shown]
                                        ; implicit-def: $sgpr65
	s_inst_prefetch 0x1
	s_branch .LBB153_248
	.p2align	6
.LBB153_246:                            ;   in Loop: Header=BB153_248 Depth=2
	s_or_b32 exec_lo, exec_lo, s40
	s_waitcnt lgkmcnt(0)
	s_barrier
	buffer_gl0_inv
	ds_read_b64 v[4:5], v13 offset:3072
	s_mov_b32 s40, -1
	s_mov_b32 s41, -1
	s_waitcnt lgkmcnt(0)
	s_barrier
	buffer_gl0_inv
	v_cmp_ne_u32_e32 vcc_lo, 0, v4
	s_cbranch_vccz .LBB153_251
.LBB153_247:                            ;   in Loop: Header=BB153_248 Depth=2
	s_and_b32 s40, exec_lo, s40
	s_or_b32 s22, s40, s22
	s_andn2_b32 s40, s65, exec_lo
	s_and_b32 s41, s41, exec_lo
	s_or_b32 s65, s40, s41
	s_andn2_b32 exec_lo, exec_lo, s22
	s_cbranch_execz .LBB153_252
.LBB153_248:                            ;   Parent Loop BB153_31 Depth=1
                                        ; =>  This Inner Loop Header: Depth=2
	s_mov_b32 s40, exec_lo
	v_cmpx_gt_u64_e64 s[18:19], v[6:7]
	s_cbranch_execz .LBB153_246
; %bb.249:                              ;   in Loop: Header=BB153_248 Depth=2
	ds_read_b32 v27, v8
	s_waitcnt lgkmcnt(0)
	v_xor_b32_e32 v4, 0x80000000, v27
	v_and_b32_e32 v4, v4, v32
	v_cmp_eq_u32_e32 vcc_lo, v4, v31
	s_and_b32 exec_lo, exec_lo, vcc_lo
	s_cbranch_execz .LBB153_246
; %bb.250:                              ;   in Loop: Header=BB153_248 Depth=2
	ds_write_b64 v13, v[26:27] offset:3072
	s_branch .LBB153_246
.LBB153_251:                            ;   in Loop: Header=BB153_248 Depth=2
	v_add_co_u32 v6, vcc_lo, v6, s33
	v_add_co_ci_u32_e64 v7, null, 0, v7, vcc_lo
	v_add_nc_u32_e32 v8, s97, v8
	s_mov_b32 s41, 0
	v_cmp_le_u64_e32 vcc_lo, s[20:21], v[6:7]
	s_orn2_b32 s40, vcc_lo, exec_lo
	s_branch .LBB153_247
.LBB153_252:                            ;   in Loop: Header=BB153_31 Depth=1
	s_inst_prefetch 0x2
	s_or_b32 exec_lo, exec_lo, s22
	s_and_b32 s22, s65, exec_lo
.LBB153_253:                            ;   in Loop: Header=BB153_31 Depth=1
	s_or_b32 exec_lo, exec_lo, s58
.LBB153_254:                            ;   in Loop: Header=BB153_31 Depth=1
	s_and_b32 vcc_lo, exec_lo, s23
	s_cbranch_vccz .LBB153_270
; %bb.255:                              ;   in Loop: Header=BB153_31 Depth=1
	s_mov_b32 s60, s59
	s_cmp_lg_u64 s[60:61], 0
	s_cbranch_scc0 .LBB153_257
; %bb.256:                              ;   in Loop: Header=BB153_31 Depth=1
	v_cvt_f32_u32_e32 v4, s33
	s_sub_u32 s19, 0, s33
	s_subb_u32 s20, 0, 0
	v_fmac_f32_e64 v4, 0x4f800000, 0
	v_rcp_f32_e32 v4, v4
	v_mul_f32_e32 v4, 0x5f7ffffc, v4
	v_mul_f32_e32 v5, 0x2f800000, v4
	v_trunc_f32_e32 v5, v5
	v_fmac_f32_e32 v4, 0xcf800000, v5
	v_cvt_u32_f32_e32 v5, v5
	v_cvt_u32_f32_e32 v4, v4
	v_readfirstlane_b32 s6, v5
	v_readfirstlane_b32 s18, v4
	s_mul_i32 s21, s19, s6
	s_mul_hi_u32 s40, s19, s18
	s_mul_i32 s23, s20, s18
	s_add_i32 s21, s40, s21
	s_mul_i32 s41, s19, s18
	s_add_i32 s21, s21, s23
	s_mul_hi_u32 s40, s18, s41
	s_mul_i32 s47, s18, s21
	s_mul_hi_u32 s46, s6, s41
	s_mul_i32 s23, s6, s41
	s_mul_hi_u32 s41, s18, s21
	s_add_u32 s40, s40, s47
	s_addc_u32 s41, 0, s41
	s_mul_hi_u32 s58, s6, s21
	s_add_u32 s23, s40, s23
	s_mul_i32 s21, s6, s21
	s_addc_u32 s23, s41, s46
	s_addc_u32 s40, s58, 0
	s_add_u32 s21, s23, s21
	s_addc_u32 s23, 0, s40
	s_add_u32 s18, s18, s21
	s_cselect_b32 s21, -1, 0
	s_mul_hi_u32 s40, s19, s18
	s_cmp_lg_u32 s21, 0
	s_mul_i32 s21, s19, s18
	s_addc_u32 s6, s6, s23
	s_mul_i32 s20, s20, s18
	s_mul_i32 s19, s19, s6
	s_mul_hi_u32 s23, s18, s21
	s_add_i32 s19, s40, s19
	s_mul_hi_u32 s40, s6, s21
	s_add_i32 s19, s19, s20
	s_mul_i32 s20, s6, s21
	s_mul_i32 s46, s18, s19
	s_mul_hi_u32 s41, s18, s19
	s_add_u32 s23, s23, s46
	s_addc_u32 s41, 0, s41
	s_mul_hi_u32 s21, s6, s19
	s_add_u32 s20, s23, s20
	s_mul_i32 s19, s6, s19
	s_addc_u32 s20, s41, s40
	s_addc_u32 s21, s21, 0
	s_add_u32 s19, s20, s19
	s_addc_u32 s20, 0, s21
	s_add_u32 s18, s18, s19
	s_cselect_b32 s19, -1, 0
	s_mul_hi_u32 s21, s93, s18
	s_cmp_lg_u32 s19, 0
	s_mul_hi_u32 s19, s61, s18
	s_addc_u32 s6, s6, s20
	s_mul_i32 s18, s61, s18
	s_mul_i32 s23, s93, s6
	s_mul_hi_u32 s20, s93, s6
	s_add_u32 s21, s21, s23
	s_addc_u32 s20, 0, s20
	s_mul_hi_u32 s40, s61, s6
	s_add_u32 s18, s21, s18
	s_mul_i32 s6, s61, s6
	s_addc_u32 s18, s20, s19
	s_addc_u32 s19, s40, 0
	s_add_u32 s6, s18, s6
	s_addc_u32 s18, 0, s19
	s_mul_hi_u32 s19, s33, s6
	s_mul_i32 s18, s33, s18
	s_mul_i32 s6, s33, s6
	s_add_i32 s19, s19, s18
	s_sub_u32 s6, s93, s6
	s_cselect_b32 s18, -1, 0
	s_cmp_lg_u32 s18, 0
	s_subb_u32 s18, s61, s19
	s_sub_u32 s19, s6, s33
	s_cselect_b32 s20, -1, 0
	s_cmp_lg_u32 s20, 0
	s_subb_u32 s20, s18, 0
	;; [unrolled: 4-line block ×3, first 2 shown]
	s_cmp_ge_u32 s19, s33
	s_cselect_b32 s40, -1, 0
	s_cmp_eq_u32 s20, 0
	s_cselect_b32 s40, s40, -1
	s_cmp_lg_u32 s40, 0
	s_cselect_b32 s20, s23, s20
	s_cselect_b32 s21, s21, s19
	s_cmp_ge_u32 s6, s33
	s_cselect_b32 s19, -1, 0
	s_cmp_eq_u32 s18, 0
	s_cselect_b32 s19, s19, -1
	s_cmp_lg_u32 s19, 0
	s_cselect_b32 s19, s20, s18
	s_cselect_b32 s18, s21, s6
	s_mov_b32 s6, 0
	s_branch .LBB153_258
.LBB153_257:                            ;   in Loop: Header=BB153_31 Depth=1
	s_mov_b32 s6, -1
                                        ; implicit-def: $sgpr18_sgpr19
.LBB153_258:                            ;   in Loop: Header=BB153_31 Depth=1
	s_andn2_b32 vcc_lo, exec_lo, s6
	s_cbranch_vccnz .LBB153_260
; %bb.259:                              ;   in Loop: Header=BB153_31 Depth=1
	v_cvt_f32_u32_e32 v4, s33
	s_sub_i32 s18, 0, s33
	v_rcp_iflag_f32_e32 v4, v4
	v_mul_f32_e32 v4, 0x4f7ffffe, v4
	v_cvt_u32_f32_e32 v4, v4
	v_readfirstlane_b32 s6, v4
	s_mul_i32 s18, s18, s6
	s_mul_hi_u32 s18, s6, s18
	s_add_i32 s6, s6, s18
	s_mul_hi_u32 s6, s93, s6
	s_mul_i32 s6, s6, s33
	s_sub_i32 s6, s93, s6
	s_sub_i32 s18, s6, s33
	s_cmp_ge_u32 s6, s33
	s_cselect_b32 s6, s18, s6
	s_sub_i32 s18, s6, s33
	s_cmp_ge_u32 s6, s33
	s_cselect_b32 s58, s18, s6
	s_mov_b64 s[18:19], s[58:59]
.LBB153_260:                            ;   in Loop: Header=BB153_31 Depth=1
	s_sub_u32 s18, s93, s18
	s_subb_u32 s19, s61, s19
	s_mov_b32 s20, exec_lo
                                        ; implicit-def: $vgpr5
	v_cmpx_gt_u64_e64 s[18:19], v[0:1]
	s_cbranch_execz .LBB153_269
; %bb.261:                              ;   in Loop: Header=BB153_31 Depth=1
	v_mov_b32_e32 v6, v24
	v_mov_b32_e32 v9, v1
	v_mov_b32_e32 v7, v25
	v_mov_b32_e32 v8, v0
	s_mov_b32 s21, 0
                                        ; implicit-def: $sgpr23
	s_inst_prefetch 0x1
	s_branch .LBB153_264
	.p2align	6
.LBB153_262:                            ;   in Loop: Header=BB153_264 Depth=2
	s_or_b32 exec_lo, exec_lo, s6
	s_waitcnt lgkmcnt(0)
	s_barrier
	buffer_gl0_inv
	ds_read_b64 v[4:5], v13 offset:3072
	s_mov_b32 s6, -1
	s_mov_b32 s40, -1
	s_waitcnt lgkmcnt(0)
	s_barrier
	buffer_gl0_inv
	v_cmp_eq_u32_e32 vcc_lo, 0, v4
	s_cbranch_vccnz .LBB153_267
.LBB153_263:                            ;   in Loop: Header=BB153_264 Depth=2
	s_and_b32 s6, exec_lo, s6
	s_or_b32 s21, s6, s21
	s_andn2_b32 s6, s23, exec_lo
	s_and_b32 s23, s40, exec_lo
	s_or_b32 s23, s6, s23
	s_andn2_b32 exec_lo, exec_lo, s21
	s_cbranch_execz .LBB153_268
.LBB153_264:                            ;   Parent Loop BB153_31 Depth=1
                                        ; =>  This Inner Loop Header: Depth=2
	s_mov_b32 s6, exec_lo
	v_cmpx_gt_u64_e64 s[28:29], v[8:9]
	s_cbranch_execz .LBB153_262
; %bb.265:                              ;   in Loop: Header=BB153_264 Depth=2
	global_load_dword v27, v[6:7], off
	s_waitcnt vmcnt(0)
	v_xor_b32_e32 v4, 0x80000000, v27
	v_and_b32_e32 v4, v4, v32
	v_cmp_eq_u32_e32 vcc_lo, v4, v31
	s_and_b32 exec_lo, exec_lo, vcc_lo
	s_cbranch_execz .LBB153_262
; %bb.266:                              ;   in Loop: Header=BB153_264 Depth=2
	ds_write_b64 v13, v[26:27] offset:3072
	s_branch .LBB153_262
.LBB153_267:                            ;   in Loop: Header=BB153_264 Depth=2
	v_add_co_u32 v8, vcc_lo, v8, s33
	v_add_co_ci_u32_e64 v9, null, 0, v9, vcc_lo
	v_add_co_u32 v6, s6, v6, s38
	v_add_co_ci_u32_e64 v7, null, s39, v7, s6
	v_cmp_le_u64_e32 vcc_lo, s[18:19], v[8:9]
	s_mov_b32 s40, 0
	s_orn2_b32 s6, vcc_lo, exec_lo
	s_branch .LBB153_263
.LBB153_268:                            ;   in Loop: Header=BB153_31 Depth=1
	s_inst_prefetch 0x2
	s_or_b32 exec_lo, exec_lo, s21
	s_andn2_b32 s6, s22, exec_lo
	s_and_b32 s18, s23, exec_lo
	s_or_b32 s22, s6, s18
.LBB153_269:                            ;   in Loop: Header=BB153_31 Depth=1
	s_or_b32 exec_lo, exec_lo, s20
	s_mov_b32 s6, 0
	s_mov_b32 s60, -1
.LBB153_270:                            ;   in Loop: Header=BB153_31 Depth=1
	s_orn2_b32 s19, s22, exec_lo
.LBB153_271:                            ;   in Loop: Header=BB153_31 Depth=1
	s_or_b32 exec_lo, exec_lo, s64
	s_mov_b32 s20, 0
	s_and_saveexec_b32 s18, s19
	s_cbranch_execz .LBB153_282
; %bb.272:                              ;   in Loop: Header=BB153_31 Depth=1
	v_mov_b32_e32 v6, 1
	v_mov_b32_e32 v7, 0
	;; [unrolled: 1-line block ×3, first 2 shown]
	s_xor_b32 s20, s83, -1
	s_and_saveexec_b32 s19, s20
	s_cbranch_execz .LBB153_281
; %bb.273:                              ;   in Loop: Header=BB153_31 Depth=1
	s_mov_b32 s20, exec_lo
	v_cmpx_ge_u64_e64 s[16:17], v[2:3]
	s_xor_b32 s20, exec_lo, s20
	s_cbranch_execz .LBB153_278
; %bb.274:                              ;   in Loop: Header=BB153_31 Depth=1
	ds_read_b64 v[6:7], v13 offset:5120
	v_or_b32_e32 v31, s9, v31
	v_or_b32_e32 v32, s9, v32
	s_waitcnt lgkmcnt(0)
	v_cmp_ne_u64_e32 vcc_lo, 0, v[6:7]
	s_cbranch_vccnz .LBB153_278
; %bb.275:                              ;   in Loop: Header=BB153_31 Depth=1
	s_and_saveexec_b32 s21, s3
; %bb.276:                              ;   in Loop: Header=BB153_31 Depth=1
	v_mov_b32_e32 v6, s16
	v_mov_b32_e32 v7, s17
	ds_write_b64 v13, v[6:7] offset:5128
; %bb.277:                              ;   in Loop: Header=BB153_31 Depth=1
	s_or_b32 exec_lo, exec_lo, s21
	s_waitcnt lgkmcnt(0)
	s_barrier
	buffer_gl0_inv
.LBB153_278:                            ;   in Loop: Header=BB153_31 Depth=1
	s_andn2_saveexec_b32 s20, s20
; %bb.279:                              ;   in Loop: Header=BB153_31 Depth=1
	v_sub_co_u32 v2, vcc_lo, v2, s16
	v_subrev_co_ci_u32_e64 v3, null, s17, v3, vcc_lo
; %bb.280:                              ;   in Loop: Header=BB153_31 Depth=1
	s_or_b32 exec_lo, exec_lo, s20
	v_mov_b32_e32 v7, v3
	v_mov_b32_e32 v12, 8
	;; [unrolled: 1-line block ×3, first 2 shown]
.LBB153_281:                            ;   in Loop: Header=BB153_31 Depth=1
	s_or_b32 exec_lo, exec_lo, s19
	v_mov_b32_e32 v2, v6
	v_mov_b32_e32 v3, v7
	s_mov_b32 s20, exec_lo
.LBB153_282:                            ;   in Loop: Header=BB153_31 Depth=1
	s_or_b32 exec_lo, exec_lo, s18
	s_orn2_b32 s18, s20, exec_lo
.LBB153_283:                            ;   in Loop: Header=BB153_31 Depth=1
	s_or_b32 exec_lo, exec_lo, s82
	v_mov_b32_e32 v7, v3
	v_mov_b32_e32 v6, v2
	s_andn2_b32 s19, s80, exec_lo
	s_and_b32 s20, s60, exec_lo
	s_andn2_b32 s21, s79, exec_lo
	s_and_b32 s6, s6, exec_lo
	s_or_b32 s80, s19, s20
	s_or_b32 s79, s21, s6
	s_and_b32 s18, s18, exec_lo
.LBB153_284:                            ;   in Loop: Header=BB153_31 Depth=1
	s_or_b32 exec_lo, exec_lo, s81
	s_orn2_b32 s6, s18, exec_lo
.LBB153_285:                            ;   in Loop: Header=BB153_31 Depth=1
	s_or_b32 exec_lo, exec_lo, s78
	v_mov_b32_e32 v2, v6
	v_mov_b32_e32 v3, v7
	s_andn2_b32 s18, s76, exec_lo
	s_and_b32 s19, s80, exec_lo
	s_andn2_b32 s20, s75, exec_lo
	s_and_b32 s21, s79, exec_lo
	s_or_b32 s76, s18, s19
	s_or_b32 s75, s20, s21
	s_and_b32 s18, s6, exec_lo
.LBB153_286:                            ;   in Loop: Header=BB153_31 Depth=1
	s_or_b32 exec_lo, exec_lo, s77
	s_orn2_b32 s6, s18, exec_lo
.LBB153_287:                            ;   in Loop: Header=BB153_31 Depth=1
	s_or_b32 exec_lo, exec_lo, s74
	s_mov_b32 s18, 0
	s_mov_b32 s19, 0
	s_and_saveexec_b32 s20, s6
	s_xor_b32 s20, exec_lo, s20
; %bb.288:                              ;   in Loop: Header=BB153_31 Depth=1
	v_cmp_ne_u32_e32 vcc_lo, 8, v12
	v_cmp_eq_u32_e64 s6, 8, v12
	s_and_b32 s19, vcc_lo, exec_lo
	s_and_b32 s18, s6, exec_lo
; %bb.289:                              ;   in Loop: Header=BB153_31 Depth=1
	s_or_b32 exec_lo, exec_lo, s20
	s_andn2_b32 s6, s71, exec_lo
	s_and_b32 s20, s76, exec_lo
	s_andn2_b32 s21, s70, exec_lo
	s_and_b32 s22, s75, exec_lo
	s_or_b32 s71, s6, s20
	s_or_b32 s70, s21, s22
	s_and_b32 s22, s19, exec_lo
	s_and_b32 s23, s18, exec_lo
.LBB153_290:                            ;   in Loop: Header=BB153_31 Depth=1
	s_or_b32 exec_lo, exec_lo, s73
.LBB153_291:                            ;   in Loop: Header=BB153_31 Depth=1
	s_and_b32 vcc_lo, exec_lo, s72
	s_cbranch_vccz .LBB153_307
; %bb.292:                              ;   in Loop: Header=BB153_31 Depth=1
	s_cmp_eq_u64 s[16:17], 1
                                        ; implicit-def: $sgpr72
                                        ; implicit-def: $sgpr25
	s_cselect_b32 s6, -1, 0
	s_and_b32 s70, s6, s7
	s_mov_b32 s6, -1
	s_and_saveexec_b32 s64, s70
	s_cbranch_execz .LBB153_325
; %bb.293:                              ;   in Loop: Header=BB153_31 Depth=1
	ds_read_b64 v[2:3], v13 offset:5120
	s_waitcnt lgkmcnt(0)
	s_barrier
	buffer_gl0_inv
	v_readfirstlane_b32 s6, v2
	v_readfirstlane_b32 s7, v3
	s_and_saveexec_b32 s18, s8
; %bb.294:                              ;   in Loop: Header=BB153_31 Depth=1
	ds_write_b32 v43, v13
; %bb.295:                              ;   in Loop: Header=BB153_31 Depth=1
	s_or_b32 exec_lo, exec_lo, s18
	v_or_b32_e32 v46, s9, v46
	v_or_b32_e32 v48, s9, v48
	s_mov_b32 s25, -1
	s_mov_b32 s72, 0
	s_cmp_eq_u64 s[6:7], 0
	s_mov_b32 s20, 0
	s_mov_b32 s21, -1
	s_waitcnt lgkmcnt(0)
	s_barrier
	buffer_gl0_inv
                                        ; implicit-def: $vgpr28
	s_cbranch_scc1 .LBB153_310
; %bb.296:                              ;   in Loop: Header=BB153_31 Depth=1
	s_add_u32 s60, s6, s91
	s_addc_u32 s19, s7, s92
	s_mov_b32 s18, s59
	s_cmp_lg_u64 s[18:19], 0
	s_cbranch_scc0 .LBB153_351
; %bb.297:                              ;   in Loop: Header=BB153_31 Depth=1
	v_cvt_f32_u32_e32 v2, s33
	s_sub_u32 s21, 0, s33
	s_subb_u32 s40, 0, 0
	v_fmac_f32_e64 v2, 0x4f800000, 0
	v_rcp_f32_e32 v2, v2
	v_mul_f32_e32 v2, 0x5f7ffffc, v2
	v_mul_f32_e32 v3, 0x2f800000, v2
	v_trunc_f32_e32 v3, v3
	v_fmac_f32_e32 v2, 0xcf800000, v3
	v_cvt_u32_f32_e32 v3, v3
	v_cvt_u32_f32_e32 v2, v2
	v_readfirstlane_b32 s18, v3
	v_readfirstlane_b32 s20, v2
	s_mul_i32 s41, s21, s18
	s_mul_hi_u32 s65, s21, s20
	s_mul_i32 s58, s40, s20
	s_add_i32 s41, s65, s41
	s_mul_i32 s71, s21, s20
	s_add_i32 s41, s41, s58
	s_mul_hi_u32 s65, s20, s71
	s_mul_i32 s74, s20, s41
	s_mul_hi_u32 s73, s18, s71
	s_mul_i32 s58, s18, s71
	s_mul_hi_u32 s71, s20, s41
	s_add_u32 s65, s65, s74
	s_addc_u32 s71, 0, s71
	s_mul_hi_u32 s75, s18, s41
	s_add_u32 s58, s65, s58
	s_mul_i32 s41, s18, s41
	s_addc_u32 s58, s71, s73
	s_addc_u32 s65, s75, 0
	s_add_u32 s41, s58, s41
	s_addc_u32 s58, 0, s65
	s_add_u32 s20, s20, s41
	s_cselect_b32 s41, -1, 0
	s_mul_hi_u32 s65, s21, s20
	s_cmp_lg_u32 s41, 0
	s_mul_i32 s41, s21, s20
	s_addc_u32 s18, s18, s58
	s_mul_i32 s40, s40, s20
	s_mul_i32 s21, s21, s18
	s_mul_hi_u32 s58, s20, s41
	s_add_i32 s21, s65, s21
	s_mul_hi_u32 s65, s18, s41
	s_add_i32 s21, s21, s40
	s_mul_i32 s40, s18, s41
	s_mul_i32 s73, s20, s21
	s_mul_hi_u32 s71, s20, s21
	s_add_u32 s58, s58, s73
	s_addc_u32 s71, 0, s71
	s_mul_hi_u32 s41, s18, s21
	s_add_u32 s40, s58, s40
	s_mul_i32 s21, s18, s21
	s_addc_u32 s40, s71, s65
	s_addc_u32 s41, s41, 0
	s_add_u32 s21, s40, s21
	s_addc_u32 s40, 0, s41
	s_add_u32 s20, s20, s21
	s_cselect_b32 s21, -1, 0
	s_mul_hi_u32 s41, s60, s20
	s_cmp_lg_u32 s21, 0
	s_mul_hi_u32 s21, s19, s20
	s_addc_u32 s18, s18, s40
	s_mul_i32 s20, s19, s20
	s_mul_i32 s58, s60, s18
	s_mul_hi_u32 s40, s60, s18
	s_add_u32 s41, s41, s58
	s_addc_u32 s40, 0, s40
	s_mul_hi_u32 s65, s19, s18
	s_add_u32 s20, s41, s20
	s_mul_i32 s18, s19, s18
	s_addc_u32 s20, s40, s21
	s_addc_u32 s21, s65, 0
	s_add_u32 s18, s20, s18
	s_addc_u32 s20, 0, s21
	s_mul_hi_u32 s21, s33, s18
	s_mul_i32 s20, s33, s20
	s_mul_i32 s18, s33, s18
	s_add_i32 s21, s21, s20
	s_sub_u32 s18, s60, s18
	s_cselect_b32 s20, -1, 0
	s_cmp_lg_u32 s20, 0
	s_subb_u32 s20, s19, s21
	s_sub_u32 s21, s18, s33
	s_cselect_b32 s40, -1, 0
	s_cmp_lg_u32 s40, 0
	s_subb_u32 s40, s20, 0
	;; [unrolled: 4-line block ×3, first 2 shown]
	s_cmp_ge_u32 s21, s33
	s_cselect_b32 s65, -1, 0
	s_cmp_eq_u32 s40, 0
	s_cselect_b32 s65, s65, -1
	s_cmp_lg_u32 s65, 0
	s_cselect_b32 s40, s58, s40
	s_cselect_b32 s41, s41, s21
	s_cmp_ge_u32 s18, s33
	s_cselect_b32 s21, -1, 0
	s_cmp_eq_u32 s20, 0
	s_cselect_b32 s21, s21, -1
	s_cmp_lg_u32 s21, 0
	s_cselect_b32 s21, s40, s20
	s_cselect_b32 s20, s41, s18
	s_cbranch_execnz .LBB153_299
.LBB153_298:                            ;   in Loop: Header=BB153_31 Depth=1
	v_cvt_f32_u32_e32 v2, s33
	s_sub_i32 s20, 0, s33
	v_rcp_iflag_f32_e32 v2, v2
	v_mul_f32_e32 v2, 0x4f7ffffe, v2
	v_cvt_u32_f32_e32 v2, v2
	v_readfirstlane_b32 s18, v2
	s_mul_i32 s20, s20, s18
	s_mul_hi_u32 s20, s18, s20
	s_add_i32 s18, s18, s20
	s_mul_hi_u32 s18, s60, s18
	s_mul_i32 s18, s18, s33
	s_sub_i32 s18, s60, s18
	s_sub_i32 s20, s18, s33
	s_cmp_ge_u32 s18, s33
	s_cselect_b32 s18, s20, s18
	s_sub_i32 s20, s18, s33
	s_cmp_ge_u32 s18, s33
	s_cselect_b32 s58, s20, s18
	s_mov_b64 s[20:21], s[58:59]
.LBB153_299:                            ;   in Loop: Header=BB153_31 Depth=1
	s_sub_u32 s18, s60, s20
	s_subb_u32 s19, s19, s21
	s_mov_b32 s21, 0
	s_mov_b32 s20, 0
	s_mov_b32 s58, exec_lo
                                        ; implicit-def: $vgpr28
	v_cmpx_gt_u64_e64 s[18:19], v[0:1]
	s_cbranch_execz .LBB153_309
; %bb.300:                              ;   in Loop: Header=BB153_31 Depth=1
	v_mov_b32_e32 v3, v1
	v_mov_b32_e32 v4, v14
	v_mov_b32_e32 v2, v0
                                        ; implicit-def: $sgpr60
	s_inst_prefetch 0x1
	s_branch .LBB153_303
	.p2align	6
.LBB153_301:                            ;   in Loop: Header=BB153_303 Depth=2
	s_or_b32 exec_lo, exec_lo, s65
	s_waitcnt lgkmcnt(0)
	s_barrier
	buffer_gl0_inv
	ds_read_b64 v[27:28], v13 offset:3072
	s_mov_b32 s40, -1
	s_mov_b32 s41, -1
	s_waitcnt lgkmcnt(0)
	s_barrier
	buffer_gl0_inv
	v_cmp_ne_u32_e32 vcc_lo, 0, v27
	s_cbranch_vccz .LBB153_306
.LBB153_302:                            ;   in Loop: Header=BB153_303 Depth=2
	s_and_b32 s40, exec_lo, s40
	s_or_b32 s20, s40, s20
	s_andn2_b32 s40, s60, exec_lo
	s_and_b32 s41, s41, exec_lo
	s_or_b32 s60, s40, s41
	s_andn2_b32 exec_lo, exec_lo, s20
	s_cbranch_execz .LBB153_308
.LBB153_303:                            ;   Parent Loop BB153_31 Depth=1
                                        ; =>  This Inner Loop Header: Depth=2
	s_mov_b32 s65, exec_lo
	v_cmpx_gt_u64_e64 s[6:7], v[2:3]
	s_cbranch_execz .LBB153_301
; %bb.304:                              ;   in Loop: Header=BB153_303 Depth=2
	ds_read_b32 v27, v4
	s_waitcnt lgkmcnt(0)
	v_xor_b32_e32 v5, 0x80000000, v27
	v_and_b32_e32 v5, v5, v48
	v_cmp_eq_u32_e32 vcc_lo, v5, v46
	s_and_b32 exec_lo, exec_lo, vcc_lo
	s_cbranch_execz .LBB153_301
; %bb.305:                              ;   in Loop: Header=BB153_303 Depth=2
	ds_write_b64 v13, v[26:27] offset:3072
	s_branch .LBB153_301
.LBB153_306:                            ;   in Loop: Header=BB153_303 Depth=2
	v_add_co_u32 v2, vcc_lo, v2, s33
	v_add_co_ci_u32_e64 v3, null, 0, v3, vcc_lo
	v_add_nc_u32_e32 v4, s97, v4
	s_mov_b32 s41, 0
	v_cmp_le_u64_e32 vcc_lo, s[18:19], v[2:3]
	s_orn2_b32 s40, vcc_lo, exec_lo
	s_branch .LBB153_302
.LBB153_307:                            ;   in Loop: Header=BB153_31 Depth=1
	v_mov_b32_e32 v46, v31
	v_mov_b32_e32 v48, v32
	;; [unrolled: 1-line block ×3, first 2 shown]
	s_mov_b32 s72, 0
	s_and_saveexec_b32 s6, s23
	s_cbranch_execnz .LBB153_484
	s_branch .LBB153_485
.LBB153_308:                            ;   in Loop: Header=BB153_31 Depth=1
	s_inst_prefetch 0x2
	s_or_b32 exec_lo, exec_lo, s20
	s_and_b32 s20, s60, exec_lo
.LBB153_309:                            ;   in Loop: Header=BB153_31 Depth=1
	s_or_b32 exec_lo, exec_lo, s58
.LBB153_310:                            ;   in Loop: Header=BB153_31 Depth=1
	s_and_b32 vcc_lo, exec_lo, s21
	s_cbranch_vccz .LBB153_324
; %bb.311:                              ;   in Loop: Header=BB153_31 Depth=1
	s_mov_b32 s60, s59
	s_cmp_lg_u64 s[60:61], 0
	s_cbranch_scc0 .LBB153_352
; %bb.312:                              ;   in Loop: Header=BB153_31 Depth=1
	v_cvt_f32_u32_e32 v2, s33
	s_sub_u32 s18, 0, s33
	s_subb_u32 s19, 0, 0
	v_fmac_f32_e64 v2, 0x4f800000, 0
	v_rcp_f32_e32 v2, v2
	v_mul_f32_e32 v2, 0x5f7ffffc, v2
	v_mul_f32_e32 v3, 0x2f800000, v2
	v_trunc_f32_e32 v3, v3
	v_fmac_f32_e32 v2, 0xcf800000, v3
	v_cvt_u32_f32_e32 v3, v3
	v_cvt_u32_f32_e32 v2, v2
	v_readfirstlane_b32 s6, v3
	v_readfirstlane_b32 s7, v2
	s_mul_i32 s21, s18, s6
	s_mul_hi_u32 s40, s18, s7
	s_mul_i32 s25, s19, s7
	s_add_i32 s21, s40, s21
	s_mul_i32 s41, s18, s7
	s_add_i32 s21, s21, s25
	s_mul_hi_u32 s40, s7, s41
	s_mul_i32 s60, s7, s21
	s_mul_hi_u32 s58, s6, s41
	s_mul_i32 s25, s6, s41
	s_mul_hi_u32 s41, s7, s21
	s_add_u32 s40, s40, s60
	s_addc_u32 s41, 0, s41
	s_mul_hi_u32 s65, s6, s21
	s_add_u32 s25, s40, s25
	s_mul_i32 s21, s6, s21
	s_addc_u32 s25, s41, s58
	s_addc_u32 s40, s65, 0
	s_add_u32 s21, s25, s21
	s_addc_u32 s25, 0, s40
	s_add_u32 s7, s7, s21
	s_cselect_b32 s21, -1, 0
	s_mul_hi_u32 s40, s18, s7
	s_cmp_lg_u32 s21, 0
	s_mul_i32 s21, s18, s7
	s_addc_u32 s6, s6, s25
	s_mul_i32 s19, s19, s7
	s_mul_i32 s18, s18, s6
	s_mul_hi_u32 s25, s7, s21
	s_add_i32 s18, s40, s18
	s_mul_hi_u32 s40, s6, s21
	s_add_i32 s18, s18, s19
	s_mul_i32 s19, s6, s21
	s_mul_i32 s58, s7, s18
	s_mul_hi_u32 s41, s7, s18
	s_add_u32 s25, s25, s58
	s_addc_u32 s41, 0, s41
	s_mul_hi_u32 s21, s6, s18
	s_add_u32 s19, s25, s19
	s_mul_i32 s18, s6, s18
	s_addc_u32 s19, s41, s40
	s_addc_u32 s21, s21, 0
	s_add_u32 s18, s19, s18
	s_addc_u32 s19, 0, s21
	s_add_u32 s7, s7, s18
	s_cselect_b32 s18, -1, 0
	s_mul_hi_u32 s21, s93, s7
	s_cmp_lg_u32 s18, 0
	s_mul_hi_u32 s18, s61, s7
	s_addc_u32 s6, s6, s19
	s_mul_i32 s7, s61, s7
	s_mul_i32 s25, s93, s6
	s_mul_hi_u32 s19, s93, s6
	s_add_u32 s21, s21, s25
	s_addc_u32 s19, 0, s19
	s_mul_hi_u32 s40, s61, s6
	s_add_u32 s7, s21, s7
	s_mul_i32 s6, s61, s6
	s_addc_u32 s7, s19, s18
	s_addc_u32 s18, s40, 0
	s_add_u32 s6, s7, s6
	s_addc_u32 s7, 0, s18
	s_mul_hi_u32 s18, s33, s6
	s_mul_i32 s7, s33, s7
	s_mul_i32 s6, s33, s6
	s_add_i32 s18, s18, s7
	s_sub_u32 s6, s93, s6
	s_cselect_b32 s7, -1, 0
	s_cmp_lg_u32 s7, 0
	s_subb_u32 s7, s61, s18
	s_sub_u32 s18, s6, s33
	s_cselect_b32 s19, -1, 0
	s_cmp_lg_u32 s19, 0
	s_subb_u32 s19, s7, 0
	;; [unrolled: 4-line block ×3, first 2 shown]
	s_cmp_ge_u32 s18, s33
	s_cselect_b32 s40, -1, 0
	s_cmp_eq_u32 s19, 0
	s_cselect_b32 s40, s40, -1
	s_cmp_lg_u32 s40, 0
	s_cselect_b32 s19, s25, s19
	s_cselect_b32 s18, s21, s18
	s_cmp_ge_u32 s6, s33
	s_cselect_b32 s21, -1, 0
	s_cmp_eq_u32 s7, 0
	s_cselect_b32 s21, s21, -1
	s_cmp_lg_u32 s21, 0
	s_cselect_b32 s7, s19, s7
	s_cselect_b32 s6, s18, s6
	s_cbranch_execnz .LBB153_314
.LBB153_313:                            ;   in Loop: Header=BB153_31 Depth=1
	v_cvt_f32_u32_e32 v2, s33
	s_sub_i32 s7, 0, s33
	v_rcp_iflag_f32_e32 v2, v2
	v_mul_f32_e32 v2, 0x4f7ffffe, v2
	v_cvt_u32_f32_e32 v2, v2
	v_readfirstlane_b32 s6, v2
	s_mul_i32 s7, s7, s6
	s_mul_hi_u32 s7, s6, s7
	s_add_i32 s6, s6, s7
	s_mul_hi_u32 s6, s93, s6
	s_mul_i32 s6, s6, s33
	s_sub_i32 s6, s93, s6
	s_sub_i32 s7, s6, s33
	s_cmp_ge_u32 s6, s33
	s_cselect_b32 s6, s7, s6
	s_sub_i32 s7, s6, s33
	s_cmp_ge_u32 s6, s33
	s_cselect_b32 s58, s7, s6
	s_mov_b64 s[6:7], s[58:59]
.LBB153_314:                            ;   in Loop: Header=BB153_31 Depth=1
	s_sub_u32 s18, s93, s6
	s_subb_u32 s19, s61, s7
	s_mov_b32 s7, exec_lo
                                        ; implicit-def: $vgpr28
	v_cmpx_gt_u64_e64 s[18:19], v[0:1]
	s_cbranch_execz .LBB153_323
; %bb.315:                              ;   in Loop: Header=BB153_31 Depth=1
	v_mov_b32_e32 v2, v24
	v_mov_b32_e32 v5, v1
	v_mov_b32_e32 v3, v25
	v_mov_b32_e32 v4, v0
	s_mov_b32 s21, 0
                                        ; implicit-def: $sgpr25
	s_inst_prefetch 0x1
	s_branch .LBB153_318
	.p2align	6
.LBB153_316:                            ;   in Loop: Header=BB153_318 Depth=2
	s_or_b32 exec_lo, exec_lo, s6
	s_waitcnt lgkmcnt(0)
	s_barrier
	buffer_gl0_inv
	ds_read_b64 v[27:28], v13 offset:3072
	s_mov_b32 s6, -1
	s_mov_b32 s40, -1
	s_waitcnt lgkmcnt(0)
	s_barrier
	buffer_gl0_inv
	v_cmp_ne_u32_e32 vcc_lo, 0, v27
	s_cbranch_vccz .LBB153_321
.LBB153_317:                            ;   in Loop: Header=BB153_318 Depth=2
	s_and_b32 s6, exec_lo, s6
	s_or_b32 s21, s6, s21
	s_andn2_b32 s6, s25, exec_lo
	s_and_b32 s25, s40, exec_lo
	s_or_b32 s25, s6, s25
	s_andn2_b32 exec_lo, exec_lo, s21
	s_cbranch_execz .LBB153_322
.LBB153_318:                            ;   Parent Loop BB153_31 Depth=1
                                        ; =>  This Inner Loop Header: Depth=2
	s_mov_b32 s6, exec_lo
	v_cmpx_gt_u64_e64 s[28:29], v[4:5]
	s_cbranch_execz .LBB153_316
; %bb.319:                              ;   in Loop: Header=BB153_318 Depth=2
	global_load_dword v27, v[2:3], off
	s_waitcnt vmcnt(0)
	v_xor_b32_e32 v6, 0x80000000, v27
	v_and_b32_e32 v6, v6, v48
	v_cmp_eq_u32_e32 vcc_lo, v6, v46
	s_and_b32 exec_lo, exec_lo, vcc_lo
	s_cbranch_execz .LBB153_316
; %bb.320:                              ;   in Loop: Header=BB153_318 Depth=2
	ds_write_b64 v13, v[26:27] offset:3072
	s_branch .LBB153_316
.LBB153_321:                            ;   in Loop: Header=BB153_318 Depth=2
	v_add_co_u32 v4, vcc_lo, v4, s33
	v_add_co_ci_u32_e64 v5, null, 0, v5, vcc_lo
	v_add_co_u32 v2, s6, v2, s38
	v_add_co_ci_u32_e64 v3, null, s39, v3, s6
	v_cmp_le_u64_e32 vcc_lo, s[18:19], v[4:5]
	s_mov_b32 s40, 0
	s_orn2_b32 s6, vcc_lo, exec_lo
	s_branch .LBB153_317
.LBB153_322:                            ;   in Loop: Header=BB153_31 Depth=1
	s_inst_prefetch 0x2
	s_or_b32 exec_lo, exec_lo, s21
	s_andn2_b32 s6, s20, exec_lo
	s_and_b32 s18, s25, exec_lo
	s_or_b32 s20, s6, s18
.LBB153_323:                            ;   in Loop: Header=BB153_31 Depth=1
	s_or_b32 exec_lo, exec_lo, s7
	s_mov_b32 s25, 0
	s_mov_b32 s72, -1
.LBB153_324:                            ;   in Loop: Header=BB153_31 Depth=1
	s_orn2_b32 s6, s20, exec_lo
.LBB153_325:                            ;   in Loop: Header=BB153_31 Depth=1
	s_or_b32 exec_lo, exec_lo, s64
                                        ; implicit-def: $vgpr2_vgpr3
                                        ; implicit-def: $vgpr12
	s_and_saveexec_b32 s20, s6
	s_cbranch_execz .LBB153_483
; %bb.326:                              ;   in Loop: Header=BB153_31 Depth=1
	v_mov_b32_e32 v2, 1
	v_mov_b32_e32 v3, 0
	;; [unrolled: 1-line block ×3, first 2 shown]
	s_xor_b32 s18, s70, -1
	s_mov_b32 s7, 0
	s_and_saveexec_b32 s6, s18
	s_cbranch_execz .LBB153_335
; %bb.327:                              ;   in Loop: Header=BB153_31 Depth=1
	s_mov_b32 s7, exec_lo
	v_cmpx_ge_u64_e64 s[16:17], v[29:30]
	s_xor_b32 s7, exec_lo, s7
	s_cbranch_execz .LBB153_332
; %bb.328:                              ;   in Loop: Header=BB153_31 Depth=1
	ds_read_b64 v[2:3], v13 offset:5120
	v_or_b32_e32 v46, s9, v46
	v_or_b32_e32 v48, s9, v48
	s_waitcnt lgkmcnt(0)
	v_cmp_ne_u64_e32 vcc_lo, 0, v[2:3]
	s_cbranch_vccnz .LBB153_332
; %bb.329:                              ;   in Loop: Header=BB153_31 Depth=1
	s_and_saveexec_b32 s18, s3
; %bb.330:                              ;   in Loop: Header=BB153_31 Depth=1
	v_mov_b32_e32 v2, s16
	v_mov_b32_e32 v3, s17
	ds_write_b64 v13, v[2:3] offset:5128
; %bb.331:                              ;   in Loop: Header=BB153_31 Depth=1
	s_or_b32 exec_lo, exec_lo, s18
	s_waitcnt lgkmcnt(0)
	s_barrier
	buffer_gl0_inv
.LBB153_332:                            ;   in Loop: Header=BB153_31 Depth=1
	s_or_saveexec_b32 s7, s7
	v_mov_b32_e32 v12, 5
	s_mov_b32 s18, 0
	s_xor_b32 exec_lo, exec_lo, s7
; %bb.333:                              ;   in Loop: Header=BB153_31 Depth=1
	v_sub_co_u32 v29, vcc_lo, v29, s16
	v_subrev_co_ci_u32_e64 v30, null, s17, v30, vcc_lo
	v_mov_b32_e32 v12, 0
	s_mov_b32 s18, exec_lo
; %bb.334:                              ;   in Loop: Header=BB153_31 Depth=1
	s_or_b32 exec_lo, exec_lo, s7
	v_mov_b32_e32 v2, v29
	v_mov_b32_e32 v3, v30
	s_and_b32 s7, s18, exec_lo
.LBB153_335:                            ;   in Loop: Header=BB153_31 Depth=1
	s_or_b32 exec_lo, exec_lo, s6
	s_mov_b32 s6, -1
                                        ; implicit-def: $sgpr70
                                        ; implicit-def: $sgpr71
	s_and_saveexec_b32 s16, s7
	s_xor_b32 s21, exec_lo, s16
	s_cbranch_execz .LBB153_480
; %bb.336:                              ;   in Loop: Header=BB153_31 Depth=1
	v_cmp_eq_u64_e32 vcc_lo, 1, v[2:3]
	s_cmp_eq_u64 s[14:15], 1
                                        ; implicit-def: $sgpr71
                                        ; implicit-def: $sgpr70
	s_cselect_b32 s6, -1, 0
	s_and_b32 s73, s6, vcc_lo
	s_mov_b32 s6, -1
	s_and_saveexec_b32 s64, s73
	s_cbranch_execz .LBB153_370
; %bb.337:                              ;   in Loop: Header=BB153_31 Depth=1
	ds_read_b64 v[4:5], v13 offset:5120
	s_waitcnt lgkmcnt(0)
	s_barrier
	buffer_gl0_inv
	v_readfirstlane_b32 s6, v4
	v_readfirstlane_b32 s7, v5
	s_and_saveexec_b32 s16, s8
; %bb.338:                              ;   in Loop: Header=BB153_31 Depth=1
	ds_write_b32 v43, v13
; %bb.339:                              ;   in Loop: Header=BB153_31 Depth=1
	s_or_b32 exec_lo, exec_lo, s16
	s_lshl_b32 s16, 2, s56
	v_or_b32_e32 v48, s9, v48
	v_and_or_b32 v46, v46, s24, s16
	s_mov_b32 s70, -1
	s_mov_b32 s71, 0
	s_cmp_eq_u64 s[6:7], 0
	s_mov_b32 s18, 0
	s_mov_b32 s19, -1
	s_waitcnt lgkmcnt(0)
	s_barrier
	buffer_gl0_inv
                                        ; implicit-def: $vgpr28
	s_cbranch_scc1 .LBB153_355
; %bb.340:                              ;   in Loop: Header=BB153_31 Depth=1
	s_add_u32 s60, s6, s91
	s_addc_u32 s17, s7, s92
	s_mov_b32 s16, s59
	s_cmp_lg_u64 s[16:17], 0
	s_cbranch_scc0 .LBB153_396
; %bb.341:                              ;   in Loop: Header=BB153_31 Depth=1
	v_cvt_f32_u32_e32 v4, s33
	s_sub_u32 s19, 0, s33
	s_subb_u32 s40, 0, 0
	v_fmac_f32_e64 v4, 0x4f800000, 0
	v_rcp_f32_e32 v4, v4
	v_mul_f32_e32 v4, 0x5f7ffffc, v4
	v_mul_f32_e32 v5, 0x2f800000, v4
	v_trunc_f32_e32 v5, v5
	v_fmac_f32_e32 v4, 0xcf800000, v5
	v_cvt_u32_f32_e32 v5, v5
	v_cvt_u32_f32_e32 v4, v4
	v_readfirstlane_b32 s16, v5
	v_readfirstlane_b32 s18, v4
	s_mul_i32 s41, s19, s16
	s_mul_hi_u32 s65, s19, s18
	s_mul_i32 s58, s40, s18
	s_add_i32 s41, s65, s41
	s_mul_i32 s74, s19, s18
	s_add_i32 s41, s41, s58
	s_mul_hi_u32 s65, s18, s74
	s_mul_i32 s76, s18, s41
	s_mul_hi_u32 s75, s16, s74
	s_mul_i32 s58, s16, s74
	s_mul_hi_u32 s74, s18, s41
	s_add_u32 s65, s65, s76
	s_addc_u32 s74, 0, s74
	s_mul_hi_u32 s77, s16, s41
	s_add_u32 s58, s65, s58
	s_mul_i32 s41, s16, s41
	s_addc_u32 s58, s74, s75
	s_addc_u32 s65, s77, 0
	s_add_u32 s41, s58, s41
	s_addc_u32 s58, 0, s65
	s_add_u32 s18, s18, s41
	s_cselect_b32 s41, -1, 0
	s_mul_hi_u32 s65, s19, s18
	s_cmp_lg_u32 s41, 0
	s_mul_i32 s41, s19, s18
	s_addc_u32 s16, s16, s58
	s_mul_i32 s40, s40, s18
	s_mul_i32 s19, s19, s16
	s_mul_hi_u32 s58, s18, s41
	s_add_i32 s19, s65, s19
	s_mul_hi_u32 s65, s16, s41
	s_add_i32 s19, s19, s40
	s_mul_i32 s40, s16, s41
	s_mul_i32 s75, s18, s19
	s_mul_hi_u32 s74, s18, s19
	s_add_u32 s58, s58, s75
	s_addc_u32 s74, 0, s74
	s_mul_hi_u32 s41, s16, s19
	s_add_u32 s40, s58, s40
	s_mul_i32 s19, s16, s19
	s_addc_u32 s40, s74, s65
	s_addc_u32 s41, s41, 0
	s_add_u32 s19, s40, s19
	s_addc_u32 s40, 0, s41
	s_add_u32 s18, s18, s19
	s_cselect_b32 s19, -1, 0
	s_mul_hi_u32 s41, s60, s18
	s_cmp_lg_u32 s19, 0
	s_mul_hi_u32 s19, s17, s18
	s_addc_u32 s16, s16, s40
	s_mul_i32 s18, s17, s18
	s_mul_i32 s58, s60, s16
	s_mul_hi_u32 s40, s60, s16
	s_add_u32 s41, s41, s58
	s_addc_u32 s40, 0, s40
	s_mul_hi_u32 s65, s17, s16
	s_add_u32 s18, s41, s18
	s_mul_i32 s16, s17, s16
	s_addc_u32 s18, s40, s19
	s_addc_u32 s19, s65, 0
	s_add_u32 s16, s18, s16
	s_addc_u32 s18, 0, s19
	s_mul_hi_u32 s19, s33, s16
	s_mul_i32 s18, s33, s18
	s_mul_i32 s16, s33, s16
	s_add_i32 s19, s19, s18
	s_sub_u32 s16, s60, s16
	s_cselect_b32 s18, -1, 0
	s_cmp_lg_u32 s18, 0
	s_subb_u32 s18, s17, s19
	s_sub_u32 s19, s16, s33
	s_cselect_b32 s40, -1, 0
	s_cmp_lg_u32 s40, 0
	s_subb_u32 s40, s18, 0
	s_sub_u32 s41, s19, s33
	s_cselect_b32 s58, -1, 0
	s_cmp_lg_u32 s58, 0
	s_subb_u32 s58, s40, 0
	s_cmp_ge_u32 s19, s33
	s_cselect_b32 s65, -1, 0
	s_cmp_eq_u32 s40, 0
	s_cselect_b32 s65, s65, -1
	s_cmp_lg_u32 s65, 0
	s_cselect_b32 s40, s58, s40
	s_cselect_b32 s41, s41, s19
	s_cmp_ge_u32 s16, s33
	s_cselect_b32 s19, -1, 0
	s_cmp_eq_u32 s18, 0
	s_cselect_b32 s19, s19, -1
	s_cmp_lg_u32 s19, 0
	s_cselect_b32 s19, s40, s18
	s_cselect_b32 s18, s41, s16
	s_cbranch_execnz .LBB153_343
.LBB153_342:                            ;   in Loop: Header=BB153_31 Depth=1
	v_cvt_f32_u32_e32 v4, s33
	s_sub_i32 s18, 0, s33
	v_rcp_iflag_f32_e32 v4, v4
	v_mul_f32_e32 v4, 0x4f7ffffe, v4
	v_cvt_u32_f32_e32 v4, v4
	v_readfirstlane_b32 s16, v4
	s_mul_i32 s18, s18, s16
	s_mul_hi_u32 s18, s16, s18
	s_add_i32 s16, s16, s18
	s_mul_hi_u32 s16, s60, s16
	s_mul_i32 s16, s16, s33
	s_sub_i32 s16, s60, s16
	s_sub_i32 s18, s16, s33
	s_cmp_ge_u32 s16, s33
	s_cselect_b32 s16, s18, s16
	s_sub_i32 s18, s16, s33
	s_cmp_ge_u32 s16, s33
	s_cselect_b32 s58, s18, s16
	s_mov_b64 s[18:19], s[58:59]
.LBB153_343:                            ;   in Loop: Header=BB153_31 Depth=1
	s_sub_u32 s16, s60, s18
	s_subb_u32 s17, s17, s19
	s_mov_b32 s19, 0
	s_mov_b32 s18, 0
	s_mov_b32 s58, exec_lo
                                        ; implicit-def: $vgpr28
	v_cmpx_gt_u64_e64 s[16:17], v[0:1]
	s_cbranch_execz .LBB153_354
; %bb.344:                              ;   in Loop: Header=BB153_31 Depth=1
	v_mov_b32_e32 v5, v1
	v_mov_b32_e32 v6, v14
	;; [unrolled: 1-line block ×3, first 2 shown]
                                        ; implicit-def: $sgpr60
	s_inst_prefetch 0x1
	s_branch .LBB153_347
	.p2align	6
.LBB153_345:                            ;   in Loop: Header=BB153_347 Depth=2
	s_or_b32 exec_lo, exec_lo, s65
	s_waitcnt lgkmcnt(0)
	s_barrier
	buffer_gl0_inv
	ds_read_b64 v[27:28], v13 offset:3072
	s_mov_b32 s40, -1
	s_mov_b32 s41, -1
	s_waitcnt lgkmcnt(0)
	s_barrier
	buffer_gl0_inv
	v_cmp_ne_u32_e32 vcc_lo, 0, v27
	s_cbranch_vccz .LBB153_350
.LBB153_346:                            ;   in Loop: Header=BB153_347 Depth=2
	s_and_b32 s40, exec_lo, s40
	s_or_b32 s18, s40, s18
	s_andn2_b32 s40, s60, exec_lo
	s_and_b32 s41, s41, exec_lo
	s_or_b32 s60, s40, s41
	s_andn2_b32 exec_lo, exec_lo, s18
	s_cbranch_execz .LBB153_353
.LBB153_347:                            ;   Parent Loop BB153_31 Depth=1
                                        ; =>  This Inner Loop Header: Depth=2
	s_mov_b32 s65, exec_lo
	v_cmpx_gt_u64_e64 s[6:7], v[4:5]
	s_cbranch_execz .LBB153_345
; %bb.348:                              ;   in Loop: Header=BB153_347 Depth=2
	ds_read_b32 v27, v6
	s_waitcnt lgkmcnt(0)
	v_xor_b32_e32 v7, 0x80000000, v27
	v_and_b32_e32 v7, v7, v48
	v_cmp_eq_u32_e32 vcc_lo, v7, v46
	s_and_b32 exec_lo, exec_lo, vcc_lo
	s_cbranch_execz .LBB153_345
; %bb.349:                              ;   in Loop: Header=BB153_347 Depth=2
	ds_write_b64 v13, v[26:27] offset:3072
	s_branch .LBB153_345
.LBB153_350:                            ;   in Loop: Header=BB153_347 Depth=2
	v_add_co_u32 v4, vcc_lo, v4, s33
	v_add_co_ci_u32_e64 v5, null, 0, v5, vcc_lo
	v_add_nc_u32_e32 v6, s97, v6
	s_mov_b32 s41, 0
	v_cmp_le_u64_e32 vcc_lo, s[16:17], v[4:5]
	s_orn2_b32 s40, vcc_lo, exec_lo
	s_branch .LBB153_346
.LBB153_351:                            ;   in Loop: Header=BB153_31 Depth=1
                                        ; implicit-def: $sgpr20_sgpr21
	s_branch .LBB153_298
.LBB153_352:                            ;   in Loop: Header=BB153_31 Depth=1
                                        ; implicit-def: $sgpr6_sgpr7
	s_branch .LBB153_313
.LBB153_353:                            ;   in Loop: Header=BB153_31 Depth=1
	s_inst_prefetch 0x2
	s_or_b32 exec_lo, exec_lo, s18
	s_and_b32 s18, s60, exec_lo
.LBB153_354:                            ;   in Loop: Header=BB153_31 Depth=1
	s_or_b32 exec_lo, exec_lo, s58
.LBB153_355:                            ;   in Loop: Header=BB153_31 Depth=1
	s_and_b32 vcc_lo, exec_lo, s19
	s_cbranch_vccz .LBB153_369
; %bb.356:                              ;   in Loop: Header=BB153_31 Depth=1
	s_mov_b32 s60, s59
	s_cmp_lg_u64 s[60:61], 0
	s_cbranch_scc0 .LBB153_397
; %bb.357:                              ;   in Loop: Header=BB153_31 Depth=1
	v_cvt_f32_u32_e32 v4, s33
	s_sub_u32 s16, 0, s33
	s_subb_u32 s17, 0, 0
	v_fmac_f32_e64 v4, 0x4f800000, 0
	v_rcp_f32_e32 v4, v4
	v_mul_f32_e32 v4, 0x5f7ffffc, v4
	v_mul_f32_e32 v5, 0x2f800000, v4
	v_trunc_f32_e32 v5, v5
	v_fmac_f32_e32 v4, 0xcf800000, v5
	v_cvt_u32_f32_e32 v5, v5
	v_cvt_u32_f32_e32 v4, v4
	v_readfirstlane_b32 s6, v5
	v_readfirstlane_b32 s7, v4
	s_mul_i32 s19, s16, s6
	s_mul_hi_u32 s41, s16, s7
	s_mul_i32 s40, s17, s7
	s_add_i32 s19, s41, s19
	s_mul_i32 s58, s16, s7
	s_add_i32 s19, s19, s40
	s_mul_hi_u32 s41, s7, s58
	s_mul_i32 s65, s7, s19
	s_mul_hi_u32 s60, s6, s58
	s_mul_i32 s40, s6, s58
	s_mul_hi_u32 s58, s7, s19
	s_add_u32 s41, s41, s65
	s_addc_u32 s58, 0, s58
	s_mul_hi_u32 s70, s6, s19
	s_add_u32 s40, s41, s40
	s_mul_i32 s19, s6, s19
	s_addc_u32 s40, s58, s60
	s_addc_u32 s41, s70, 0
	s_add_u32 s19, s40, s19
	s_addc_u32 s40, 0, s41
	s_add_u32 s7, s7, s19
	s_cselect_b32 s19, -1, 0
	s_mul_hi_u32 s41, s16, s7
	s_cmp_lg_u32 s19, 0
	s_mul_i32 s19, s16, s7
	s_addc_u32 s6, s6, s40
	s_mul_i32 s17, s17, s7
	s_mul_i32 s16, s16, s6
	s_mul_hi_u32 s40, s7, s19
	s_add_i32 s16, s41, s16
	s_mul_hi_u32 s41, s6, s19
	s_add_i32 s16, s16, s17
	s_mul_i32 s17, s6, s19
	s_mul_i32 s60, s7, s16
	s_mul_hi_u32 s58, s7, s16
	s_add_u32 s40, s40, s60
	s_addc_u32 s58, 0, s58
	s_mul_hi_u32 s19, s6, s16
	s_add_u32 s17, s40, s17
	s_mul_i32 s16, s6, s16
	s_addc_u32 s17, s58, s41
	s_addc_u32 s19, s19, 0
	s_add_u32 s16, s17, s16
	s_addc_u32 s17, 0, s19
	s_add_u32 s7, s7, s16
	s_cselect_b32 s16, -1, 0
	s_mul_hi_u32 s19, s93, s7
	s_cmp_lg_u32 s16, 0
	s_mul_hi_u32 s16, s61, s7
	s_addc_u32 s6, s6, s17
	s_mul_i32 s7, s61, s7
	s_mul_i32 s40, s93, s6
	s_mul_hi_u32 s17, s93, s6
	s_add_u32 s19, s19, s40
	s_addc_u32 s17, 0, s17
	s_mul_hi_u32 s41, s61, s6
	s_add_u32 s7, s19, s7
	s_mul_i32 s6, s61, s6
	s_addc_u32 s7, s17, s16
	s_addc_u32 s16, s41, 0
	s_add_u32 s6, s7, s6
	s_addc_u32 s7, 0, s16
	s_mul_hi_u32 s16, s33, s6
	s_mul_i32 s7, s33, s7
	s_mul_i32 s6, s33, s6
	s_add_i32 s16, s16, s7
	s_sub_u32 s6, s93, s6
	s_cselect_b32 s7, -1, 0
	s_cmp_lg_u32 s7, 0
	s_subb_u32 s7, s61, s16
	s_sub_u32 s16, s6, s33
	s_cselect_b32 s17, -1, 0
	s_cmp_lg_u32 s17, 0
	s_subb_u32 s17, s7, 0
	;; [unrolled: 4-line block ×3, first 2 shown]
	s_cmp_ge_u32 s16, s33
	s_cselect_b32 s41, -1, 0
	s_cmp_eq_u32 s17, 0
	s_cselect_b32 s41, s41, -1
	s_cmp_lg_u32 s41, 0
	s_cselect_b32 s17, s40, s17
	s_cselect_b32 s16, s19, s16
	s_cmp_ge_u32 s6, s33
	s_cselect_b32 s19, -1, 0
	s_cmp_eq_u32 s7, 0
	s_cselect_b32 s19, s19, -1
	s_cmp_lg_u32 s19, 0
	s_cselect_b32 s7, s17, s7
	s_cselect_b32 s6, s16, s6
	s_cbranch_execnz .LBB153_359
.LBB153_358:                            ;   in Loop: Header=BB153_31 Depth=1
	v_cvt_f32_u32_e32 v4, s33
	s_sub_i32 s7, 0, s33
	v_rcp_iflag_f32_e32 v4, v4
	v_mul_f32_e32 v4, 0x4f7ffffe, v4
	v_cvt_u32_f32_e32 v4, v4
	v_readfirstlane_b32 s6, v4
	s_mul_i32 s7, s7, s6
	s_mul_hi_u32 s7, s6, s7
	s_add_i32 s6, s6, s7
	s_mul_hi_u32 s6, s93, s6
	s_mul_i32 s6, s6, s33
	s_sub_i32 s6, s93, s6
	s_sub_i32 s7, s6, s33
	s_cmp_ge_u32 s6, s33
	s_cselect_b32 s6, s7, s6
	s_sub_i32 s7, s6, s33
	s_cmp_ge_u32 s6, s33
	s_cselect_b32 s58, s7, s6
	s_mov_b64 s[6:7], s[58:59]
.LBB153_359:                            ;   in Loop: Header=BB153_31 Depth=1
	s_sub_u32 s16, s93, s6
	s_subb_u32 s17, s61, s7
	s_mov_b32 s7, exec_lo
                                        ; implicit-def: $vgpr28
	v_cmpx_gt_u64_e64 s[16:17], v[0:1]
	s_cbranch_execz .LBB153_368
; %bb.360:                              ;   in Loop: Header=BB153_31 Depth=1
	v_mov_b32_e32 v4, v24
	v_mov_b32_e32 v7, v1
	;; [unrolled: 1-line block ×4, first 2 shown]
	s_mov_b32 s19, 0
                                        ; implicit-def: $sgpr58
	s_inst_prefetch 0x1
	s_branch .LBB153_363
	.p2align	6
.LBB153_361:                            ;   in Loop: Header=BB153_363 Depth=2
	s_or_b32 exec_lo, exec_lo, s6
	s_waitcnt lgkmcnt(0)
	s_barrier
	buffer_gl0_inv
	ds_read_b64 v[27:28], v13 offset:3072
	s_mov_b32 s6, -1
	s_mov_b32 s40, -1
	s_waitcnt lgkmcnt(0)
	s_barrier
	buffer_gl0_inv
	v_cmp_eq_u32_e32 vcc_lo, 0, v27
	s_cbranch_vccnz .LBB153_366
.LBB153_362:                            ;   in Loop: Header=BB153_363 Depth=2
	s_and_b32 s6, exec_lo, s6
	s_or_b32 s19, s6, s19
	s_andn2_b32 s6, s58, exec_lo
	s_and_b32 s40, s40, exec_lo
	s_or_b32 s58, s6, s40
	s_andn2_b32 exec_lo, exec_lo, s19
	s_cbranch_execz .LBB153_367
.LBB153_363:                            ;   Parent Loop BB153_31 Depth=1
                                        ; =>  This Inner Loop Header: Depth=2
	s_mov_b32 s6, exec_lo
	v_cmpx_gt_u64_e64 s[28:29], v[6:7]
	s_cbranch_execz .LBB153_361
; %bb.364:                              ;   in Loop: Header=BB153_363 Depth=2
	global_load_dword v27, v[4:5], off
	s_waitcnt vmcnt(0)
	v_xor_b32_e32 v8, 0x80000000, v27
	v_and_b32_e32 v8, v8, v48
	v_cmp_eq_u32_e32 vcc_lo, v8, v46
	s_and_b32 exec_lo, exec_lo, vcc_lo
	s_cbranch_execz .LBB153_361
; %bb.365:                              ;   in Loop: Header=BB153_363 Depth=2
	ds_write_b64 v13, v[26:27] offset:3072
	s_branch .LBB153_361
.LBB153_366:                            ;   in Loop: Header=BB153_363 Depth=2
	v_add_co_u32 v6, vcc_lo, v6, s33
	v_add_co_ci_u32_e64 v7, null, 0, v7, vcc_lo
	v_add_co_u32 v4, s6, v4, s38
	v_add_co_ci_u32_e64 v5, null, s39, v5, s6
	v_cmp_le_u64_e32 vcc_lo, s[16:17], v[6:7]
	s_mov_b32 s40, 0
	s_orn2_b32 s6, vcc_lo, exec_lo
	s_branch .LBB153_362
.LBB153_367:                            ;   in Loop: Header=BB153_31 Depth=1
	s_inst_prefetch 0x2
	s_or_b32 exec_lo, exec_lo, s19
	s_andn2_b32 s6, s18, exec_lo
	s_and_b32 s16, s58, exec_lo
	s_or_b32 s18, s6, s16
.LBB153_368:                            ;   in Loop: Header=BB153_31 Depth=1
	s_or_b32 exec_lo, exec_lo, s7
	s_mov_b32 s70, 0
	s_mov_b32 s71, -1
.LBB153_369:                            ;   in Loop: Header=BB153_31 Depth=1
	s_orn2_b32 s6, s18, exec_lo
.LBB153_370:                            ;   in Loop: Header=BB153_31 Depth=1
	s_or_b32 exec_lo, exec_lo, s64
	s_mov_b32 s7, 0
	s_and_saveexec_b32 s18, s6
	s_cbranch_execz .LBB153_479
; %bb.371:                              ;   in Loop: Header=BB153_31 Depth=1
	v_mov_b32_e32 v4, 1
	v_mov_b32_e32 v5, 0
	;; [unrolled: 1-line block ×3, first 2 shown]
	s_xor_b32 s16, s73, -1
	s_and_saveexec_b32 s6, s16
	s_cbranch_execz .LBB153_380
; %bb.372:                              ;   in Loop: Header=BB153_31 Depth=1
	s_mov_b32 s7, exec_lo
	v_cmpx_ge_u64_e64 s[14:15], v[2:3]
	s_xor_b32 s7, exec_lo, s7
	s_cbranch_execz .LBB153_377
; %bb.373:                              ;   in Loop: Header=BB153_31 Depth=1
	ds_read_b64 v[4:5], v13 offset:5120
	s_lshl_b32 s16, 2, s56
	v_or_b32_e32 v48, s9, v48
	v_and_or_b32 v46, v46, s24, s16
	s_waitcnt lgkmcnt(0)
	v_cmp_ne_u64_e32 vcc_lo, 0, v[4:5]
	s_cbranch_vccnz .LBB153_377
; %bb.374:                              ;   in Loop: Header=BB153_31 Depth=1
	s_and_saveexec_b32 s16, s3
; %bb.375:                              ;   in Loop: Header=BB153_31 Depth=1
	v_mov_b32_e32 v4, s14
	v_mov_b32_e32 v5, s15
	ds_write_b64 v13, v[4:5] offset:5128
; %bb.376:                              ;   in Loop: Header=BB153_31 Depth=1
	s_or_b32 exec_lo, exec_lo, s16
	s_waitcnt lgkmcnt(0)
	s_barrier
	buffer_gl0_inv
.LBB153_377:                            ;   in Loop: Header=BB153_31 Depth=1
	s_or_saveexec_b32 s7, s7
	v_mov_b32_e32 v12, 5
	s_mov_b32 s16, 0
	s_xor_b32 exec_lo, exec_lo, s7
; %bb.378:                              ;   in Loop: Header=BB153_31 Depth=1
	v_sub_co_u32 v2, vcc_lo, v2, s14
	v_subrev_co_ci_u32_e64 v3, null, s15, v3, vcc_lo
	v_mov_b32_e32 v12, 0
	s_mov_b32 s16, exec_lo
; %bb.379:                              ;   in Loop: Header=BB153_31 Depth=1
	s_or_b32 exec_lo, exec_lo, s7
	v_mov_b32_e32 v5, v3
	v_mov_b32_e32 v4, v2
	s_and_b32 s7, s16, exec_lo
.LBB153_380:                            ;   in Loop: Header=BB153_31 Depth=1
	s_or_b32 exec_lo, exec_lo, s6
	s_mov_b32 s6, -1
                                        ; implicit-def: $sgpr73
                                        ; implicit-def: $sgpr74
	s_and_saveexec_b32 s19, s7
	s_cbranch_execz .LBB153_478
; %bb.381:                              ;   in Loop: Header=BB153_31 Depth=1
	v_cmp_eq_u64_e32 vcc_lo, 1, v[4:5]
	s_cmp_eq_u64 s[12:13], 1
                                        ; implicit-def: $sgpr74
                                        ; implicit-def: $sgpr73
	s_cselect_b32 s6, -1, 0
	s_and_b32 s75, s6, vcc_lo
	s_mov_b32 s6, -1
	s_and_saveexec_b32 s64, s75
	s_cbranch_execz .LBB153_415
; %bb.382:                              ;   in Loop: Header=BB153_31 Depth=1
	ds_read_b64 v[2:3], v13 offset:5120
	s_waitcnt lgkmcnt(0)
	s_barrier
	buffer_gl0_inv
	v_readfirstlane_b32 s6, v2
	v_readfirstlane_b32 s7, v3
	s_and_saveexec_b32 s14, s8
; %bb.383:                              ;   in Loop: Header=BB153_31 Depth=1
	ds_write_b32 v43, v13
; %bb.384:                              ;   in Loop: Header=BB153_31 Depth=1
	s_or_b32 exec_lo, exec_lo, s14
	s_lshl_b32 s14, 1, s56
	v_or_b32_e32 v48, s9, v48
	v_and_or_b32 v46, v46, s24, s14
	s_mov_b32 s73, -1
	s_mov_b32 s74, 0
	s_cmp_eq_u64 s[6:7], 0
	s_mov_b32 s16, 0
	s_mov_b32 s17, -1
	s_waitcnt lgkmcnt(0)
	s_barrier
	buffer_gl0_inv
                                        ; implicit-def: $vgpr28
	s_cbranch_scc1 .LBB153_400
; %bb.385:                              ;   in Loop: Header=BB153_31 Depth=1
	s_add_u32 s60, s6, s91
	s_addc_u32 s15, s7, s92
	s_mov_b32 s14, s59
	s_cmp_lg_u64 s[14:15], 0
	s_cbranch_scc0 .LBB153_432
; %bb.386:                              ;   in Loop: Header=BB153_31 Depth=1
	v_cvt_f32_u32_e32 v2, s33
	s_sub_u32 s17, 0, s33
	s_subb_u32 s40, 0, 0
	v_fmac_f32_e64 v2, 0x4f800000, 0
	v_rcp_f32_e32 v2, v2
	v_mul_f32_e32 v2, 0x5f7ffffc, v2
	v_mul_f32_e32 v3, 0x2f800000, v2
	v_trunc_f32_e32 v3, v3
	v_fmac_f32_e32 v2, 0xcf800000, v3
	v_cvt_u32_f32_e32 v3, v3
	v_cvt_u32_f32_e32 v2, v2
	v_readfirstlane_b32 s14, v3
	v_readfirstlane_b32 s16, v2
	s_mul_i32 s41, s17, s14
	s_mul_hi_u32 s65, s17, s16
	s_mul_i32 s58, s40, s16
	s_add_i32 s41, s65, s41
	s_mul_i32 s76, s17, s16
	s_add_i32 s41, s41, s58
	s_mul_hi_u32 s65, s16, s76
	s_mul_i32 s78, s16, s41
	s_mul_hi_u32 s77, s14, s76
	s_mul_i32 s58, s14, s76
	s_mul_hi_u32 s76, s16, s41
	s_add_u32 s65, s65, s78
	s_addc_u32 s76, 0, s76
	s_mul_hi_u32 s79, s14, s41
	s_add_u32 s58, s65, s58
	s_mul_i32 s41, s14, s41
	s_addc_u32 s58, s76, s77
	s_addc_u32 s65, s79, 0
	s_add_u32 s41, s58, s41
	s_addc_u32 s58, 0, s65
	s_add_u32 s16, s16, s41
	s_cselect_b32 s41, -1, 0
	s_mul_hi_u32 s65, s17, s16
	s_cmp_lg_u32 s41, 0
	s_mul_i32 s41, s17, s16
	s_addc_u32 s14, s14, s58
	s_mul_i32 s40, s40, s16
	s_mul_i32 s17, s17, s14
	s_mul_hi_u32 s58, s16, s41
	s_add_i32 s17, s65, s17
	s_mul_hi_u32 s65, s14, s41
	s_add_i32 s17, s17, s40
	s_mul_i32 s40, s14, s41
	s_mul_i32 s77, s16, s17
	s_mul_hi_u32 s76, s16, s17
	s_add_u32 s58, s58, s77
	s_addc_u32 s76, 0, s76
	s_mul_hi_u32 s41, s14, s17
	s_add_u32 s40, s58, s40
	s_mul_i32 s17, s14, s17
	s_addc_u32 s40, s76, s65
	s_addc_u32 s41, s41, 0
	s_add_u32 s17, s40, s17
	s_addc_u32 s40, 0, s41
	s_add_u32 s16, s16, s17
	s_cselect_b32 s17, -1, 0
	s_mul_hi_u32 s41, s60, s16
	s_cmp_lg_u32 s17, 0
	s_mul_hi_u32 s17, s15, s16
	s_addc_u32 s14, s14, s40
	s_mul_i32 s16, s15, s16
	s_mul_i32 s58, s60, s14
	s_mul_hi_u32 s40, s60, s14
	s_add_u32 s41, s41, s58
	s_addc_u32 s40, 0, s40
	s_mul_hi_u32 s65, s15, s14
	s_add_u32 s16, s41, s16
	s_mul_i32 s14, s15, s14
	s_addc_u32 s16, s40, s17
	s_addc_u32 s17, s65, 0
	s_add_u32 s14, s16, s14
	s_addc_u32 s16, 0, s17
	s_mul_hi_u32 s17, s33, s14
	s_mul_i32 s16, s33, s16
	s_mul_i32 s14, s33, s14
	s_add_i32 s17, s17, s16
	s_sub_u32 s14, s60, s14
	s_cselect_b32 s16, -1, 0
	s_cmp_lg_u32 s16, 0
	s_subb_u32 s16, s15, s17
	s_sub_u32 s17, s14, s33
	s_cselect_b32 s40, -1, 0
	s_cmp_lg_u32 s40, 0
	s_subb_u32 s40, s16, 0
	;; [unrolled: 4-line block ×3, first 2 shown]
	s_cmp_ge_u32 s17, s33
	s_cselect_b32 s65, -1, 0
	s_cmp_eq_u32 s40, 0
	s_cselect_b32 s65, s65, -1
	s_cmp_lg_u32 s65, 0
	s_cselect_b32 s40, s58, s40
	s_cselect_b32 s41, s41, s17
	s_cmp_ge_u32 s14, s33
	s_cselect_b32 s17, -1, 0
	s_cmp_eq_u32 s16, 0
	s_cselect_b32 s17, s17, -1
	s_cmp_lg_u32 s17, 0
	s_cselect_b32 s17, s40, s16
	s_cselect_b32 s16, s41, s14
	s_cbranch_execnz .LBB153_388
.LBB153_387:                            ;   in Loop: Header=BB153_31 Depth=1
	v_cvt_f32_u32_e32 v2, s33
	s_sub_i32 s16, 0, s33
	v_rcp_iflag_f32_e32 v2, v2
	v_mul_f32_e32 v2, 0x4f7ffffe, v2
	v_cvt_u32_f32_e32 v2, v2
	v_readfirstlane_b32 s14, v2
	s_mul_i32 s16, s16, s14
	s_mul_hi_u32 s16, s14, s16
	s_add_i32 s14, s14, s16
	s_mul_hi_u32 s14, s60, s14
	s_mul_i32 s14, s14, s33
	s_sub_i32 s14, s60, s14
	s_sub_i32 s16, s14, s33
	s_cmp_ge_u32 s14, s33
	s_cselect_b32 s14, s16, s14
	s_sub_i32 s16, s14, s33
	s_cmp_ge_u32 s14, s33
	s_cselect_b32 s58, s16, s14
	s_mov_b64 s[16:17], s[58:59]
.LBB153_388:                            ;   in Loop: Header=BB153_31 Depth=1
	s_sub_u32 s14, s60, s16
	s_subb_u32 s15, s15, s17
	s_mov_b32 s17, 0
	s_mov_b32 s16, 0
	s_mov_b32 s58, exec_lo
                                        ; implicit-def: $vgpr28
	v_cmpx_gt_u64_e64 s[14:15], v[0:1]
	s_cbranch_execz .LBB153_399
; %bb.389:                              ;   in Loop: Header=BB153_31 Depth=1
	v_mov_b32_e32 v3, v1
	v_mov_b32_e32 v6, v14
	v_mov_b32_e32 v2, v0
                                        ; implicit-def: $sgpr60
	s_inst_prefetch 0x1
	s_branch .LBB153_392
	.p2align	6
.LBB153_390:                            ;   in Loop: Header=BB153_392 Depth=2
	s_or_b32 exec_lo, exec_lo, s65
	s_waitcnt lgkmcnt(0)
	s_barrier
	buffer_gl0_inv
	ds_read_b64 v[27:28], v13 offset:3072
	s_mov_b32 s40, -1
	s_mov_b32 s41, -1
	s_waitcnt lgkmcnt(0)
	s_barrier
	buffer_gl0_inv
	v_cmp_ne_u32_e32 vcc_lo, 0, v27
	s_cbranch_vccz .LBB153_395
.LBB153_391:                            ;   in Loop: Header=BB153_392 Depth=2
	s_and_b32 s40, exec_lo, s40
	s_or_b32 s16, s40, s16
	s_andn2_b32 s40, s60, exec_lo
	s_and_b32 s41, s41, exec_lo
	s_or_b32 s60, s40, s41
	s_andn2_b32 exec_lo, exec_lo, s16
	s_cbranch_execz .LBB153_398
.LBB153_392:                            ;   Parent Loop BB153_31 Depth=1
                                        ; =>  This Inner Loop Header: Depth=2
	s_mov_b32 s65, exec_lo
	v_cmpx_gt_u64_e64 s[6:7], v[2:3]
	s_cbranch_execz .LBB153_390
; %bb.393:                              ;   in Loop: Header=BB153_392 Depth=2
	ds_read_b32 v27, v6
	s_waitcnt lgkmcnt(0)
	v_xor_b32_e32 v7, 0x80000000, v27
	v_and_b32_e32 v7, v7, v48
	v_cmp_eq_u32_e32 vcc_lo, v7, v46
	s_and_b32 exec_lo, exec_lo, vcc_lo
	s_cbranch_execz .LBB153_390
; %bb.394:                              ;   in Loop: Header=BB153_392 Depth=2
	ds_write_b64 v13, v[26:27] offset:3072
	s_branch .LBB153_390
.LBB153_395:                            ;   in Loop: Header=BB153_392 Depth=2
	v_add_co_u32 v2, vcc_lo, v2, s33
	v_add_co_ci_u32_e64 v3, null, 0, v3, vcc_lo
	v_add_nc_u32_e32 v6, s97, v6
	s_mov_b32 s41, 0
	v_cmp_le_u64_e32 vcc_lo, s[14:15], v[2:3]
	s_orn2_b32 s40, vcc_lo, exec_lo
	s_branch .LBB153_391
.LBB153_396:                            ;   in Loop: Header=BB153_31 Depth=1
                                        ; implicit-def: $sgpr18_sgpr19
	s_branch .LBB153_342
.LBB153_397:                            ;   in Loop: Header=BB153_31 Depth=1
                                        ; implicit-def: $sgpr6_sgpr7
	s_branch .LBB153_358
.LBB153_398:                            ;   in Loop: Header=BB153_31 Depth=1
	s_inst_prefetch 0x2
	s_or_b32 exec_lo, exec_lo, s16
	s_and_b32 s16, s60, exec_lo
.LBB153_399:                            ;   in Loop: Header=BB153_31 Depth=1
	s_or_b32 exec_lo, exec_lo, s58
.LBB153_400:                            ;   in Loop: Header=BB153_31 Depth=1
	s_and_b32 vcc_lo, exec_lo, s17
	s_cbranch_vccz .LBB153_414
; %bb.401:                              ;   in Loop: Header=BB153_31 Depth=1
	s_mov_b32 s60, s59
	s_cmp_lg_u64 s[60:61], 0
	s_cbranch_scc0 .LBB153_433
; %bb.402:                              ;   in Loop: Header=BB153_31 Depth=1
	v_cvt_f32_u32_e32 v2, s33
	s_sub_u32 s14, 0, s33
	s_subb_u32 s15, 0, 0
	v_fmac_f32_e64 v2, 0x4f800000, 0
	v_rcp_f32_e32 v2, v2
	v_mul_f32_e32 v2, 0x5f7ffffc, v2
	v_mul_f32_e32 v3, 0x2f800000, v2
	v_trunc_f32_e32 v3, v3
	v_fmac_f32_e32 v2, 0xcf800000, v3
	v_cvt_u32_f32_e32 v3, v3
	v_cvt_u32_f32_e32 v2, v2
	v_readfirstlane_b32 s6, v3
	v_readfirstlane_b32 s7, v2
	s_mul_i32 s17, s14, s6
	s_mul_hi_u32 s41, s14, s7
	s_mul_i32 s40, s15, s7
	s_add_i32 s17, s41, s17
	s_mul_i32 s58, s14, s7
	s_add_i32 s17, s17, s40
	s_mul_hi_u32 s41, s7, s58
	s_mul_i32 s65, s7, s17
	s_mul_hi_u32 s60, s6, s58
	s_mul_i32 s40, s6, s58
	s_mul_hi_u32 s58, s7, s17
	s_add_u32 s41, s41, s65
	s_addc_u32 s58, 0, s58
	s_mul_hi_u32 s73, s6, s17
	s_add_u32 s40, s41, s40
	s_mul_i32 s17, s6, s17
	s_addc_u32 s40, s58, s60
	s_addc_u32 s41, s73, 0
	s_add_u32 s17, s40, s17
	s_addc_u32 s40, 0, s41
	s_add_u32 s7, s7, s17
	s_cselect_b32 s17, -1, 0
	s_mul_hi_u32 s41, s14, s7
	s_cmp_lg_u32 s17, 0
	s_mul_i32 s17, s14, s7
	s_addc_u32 s6, s6, s40
	s_mul_i32 s15, s15, s7
	s_mul_i32 s14, s14, s6
	s_mul_hi_u32 s40, s7, s17
	s_add_i32 s14, s41, s14
	s_mul_hi_u32 s41, s6, s17
	s_add_i32 s14, s14, s15
	s_mul_i32 s15, s6, s17
	s_mul_i32 s60, s7, s14
	s_mul_hi_u32 s58, s7, s14
	s_add_u32 s40, s40, s60
	s_addc_u32 s58, 0, s58
	s_mul_hi_u32 s17, s6, s14
	s_add_u32 s15, s40, s15
	s_mul_i32 s14, s6, s14
	s_addc_u32 s15, s58, s41
	s_addc_u32 s17, s17, 0
	s_add_u32 s14, s15, s14
	s_addc_u32 s15, 0, s17
	s_add_u32 s7, s7, s14
	s_cselect_b32 s14, -1, 0
	s_mul_hi_u32 s17, s93, s7
	s_cmp_lg_u32 s14, 0
	s_mul_hi_u32 s14, s61, s7
	s_addc_u32 s6, s6, s15
	s_mul_i32 s7, s61, s7
	s_mul_i32 s40, s93, s6
	s_mul_hi_u32 s15, s93, s6
	s_add_u32 s17, s17, s40
	s_addc_u32 s15, 0, s15
	s_mul_hi_u32 s41, s61, s6
	s_add_u32 s7, s17, s7
	s_mul_i32 s6, s61, s6
	s_addc_u32 s7, s15, s14
	s_addc_u32 s14, s41, 0
	s_add_u32 s6, s7, s6
	s_addc_u32 s7, 0, s14
	s_mul_hi_u32 s14, s33, s6
	s_mul_i32 s7, s33, s7
	s_mul_i32 s6, s33, s6
	s_add_i32 s14, s14, s7
	s_sub_u32 s6, s93, s6
	s_cselect_b32 s7, -1, 0
	s_cmp_lg_u32 s7, 0
	s_subb_u32 s7, s61, s14
	s_sub_u32 s14, s6, s33
	s_cselect_b32 s15, -1, 0
	s_cmp_lg_u32 s15, 0
	s_subb_u32 s15, s7, 0
	;; [unrolled: 4-line block ×3, first 2 shown]
	s_cmp_ge_u32 s14, s33
	s_cselect_b32 s41, -1, 0
	s_cmp_eq_u32 s15, 0
	s_cselect_b32 s41, s41, -1
	s_cmp_lg_u32 s41, 0
	s_cselect_b32 s15, s40, s15
	s_cselect_b32 s14, s17, s14
	s_cmp_ge_u32 s6, s33
	s_cselect_b32 s17, -1, 0
	s_cmp_eq_u32 s7, 0
	s_cselect_b32 s17, s17, -1
	s_cmp_lg_u32 s17, 0
	s_cselect_b32 s7, s15, s7
	s_cselect_b32 s6, s14, s6
	s_cbranch_execnz .LBB153_404
.LBB153_403:                            ;   in Loop: Header=BB153_31 Depth=1
	v_cvt_f32_u32_e32 v2, s33
	s_sub_i32 s7, 0, s33
	v_rcp_iflag_f32_e32 v2, v2
	v_mul_f32_e32 v2, 0x4f7ffffe, v2
	v_cvt_u32_f32_e32 v2, v2
	v_readfirstlane_b32 s6, v2
	s_mul_i32 s7, s7, s6
	s_mul_hi_u32 s7, s6, s7
	s_add_i32 s6, s6, s7
	s_mul_hi_u32 s6, s93, s6
	s_mul_i32 s6, s6, s33
	s_sub_i32 s6, s93, s6
	s_sub_i32 s7, s6, s33
	s_cmp_ge_u32 s6, s33
	s_cselect_b32 s6, s7, s6
	s_sub_i32 s7, s6, s33
	s_cmp_ge_u32 s6, s33
	s_cselect_b32 s58, s7, s6
	s_mov_b64 s[6:7], s[58:59]
.LBB153_404:                            ;   in Loop: Header=BB153_31 Depth=1
	s_sub_u32 s14, s93, s6
	s_subb_u32 s15, s61, s7
	s_mov_b32 s7, exec_lo
                                        ; implicit-def: $vgpr28
	v_cmpx_gt_u64_e64 s[14:15], v[0:1]
	s_cbranch_execz .LBB153_413
; %bb.405:                              ;   in Loop: Header=BB153_31 Depth=1
	v_mov_b32_e32 v2, v24
	v_mov_b32_e32 v7, v1
	;; [unrolled: 1-line block ×4, first 2 shown]
	s_mov_b32 s17, 0
                                        ; implicit-def: $sgpr58
	s_inst_prefetch 0x1
	s_branch .LBB153_408
	.p2align	6
.LBB153_406:                            ;   in Loop: Header=BB153_408 Depth=2
	s_or_b32 exec_lo, exec_lo, s6
	s_waitcnt lgkmcnt(0)
	s_barrier
	buffer_gl0_inv
	ds_read_b64 v[27:28], v13 offset:3072
	s_mov_b32 s6, -1
	s_mov_b32 s40, -1
	s_waitcnt lgkmcnt(0)
	s_barrier
	buffer_gl0_inv
	v_cmp_eq_u32_e32 vcc_lo, 0, v27
	s_cbranch_vccnz .LBB153_411
.LBB153_407:                            ;   in Loop: Header=BB153_408 Depth=2
	s_and_b32 s6, exec_lo, s6
	s_or_b32 s17, s6, s17
	s_andn2_b32 s6, s58, exec_lo
	s_and_b32 s40, s40, exec_lo
	s_or_b32 s58, s6, s40
	s_andn2_b32 exec_lo, exec_lo, s17
	s_cbranch_execz .LBB153_412
.LBB153_408:                            ;   Parent Loop BB153_31 Depth=1
                                        ; =>  This Inner Loop Header: Depth=2
	s_mov_b32 s6, exec_lo
	v_cmpx_gt_u64_e64 s[28:29], v[6:7]
	s_cbranch_execz .LBB153_406
; %bb.409:                              ;   in Loop: Header=BB153_408 Depth=2
	global_load_dword v27, v[2:3], off
	s_waitcnt vmcnt(0)
	v_xor_b32_e32 v8, 0x80000000, v27
	v_and_b32_e32 v8, v8, v48
	v_cmp_eq_u32_e32 vcc_lo, v8, v46
	s_and_b32 exec_lo, exec_lo, vcc_lo
	s_cbranch_execz .LBB153_406
; %bb.410:                              ;   in Loop: Header=BB153_408 Depth=2
	ds_write_b64 v13, v[26:27] offset:3072
	s_branch .LBB153_406
.LBB153_411:                            ;   in Loop: Header=BB153_408 Depth=2
	v_add_co_u32 v6, vcc_lo, v6, s33
	v_add_co_ci_u32_e64 v7, null, 0, v7, vcc_lo
	v_add_co_u32 v2, s6, v2, s38
	v_add_co_ci_u32_e64 v3, null, s39, v3, s6
	v_cmp_le_u64_e32 vcc_lo, s[14:15], v[6:7]
	s_mov_b32 s40, 0
	s_orn2_b32 s6, vcc_lo, exec_lo
	s_branch .LBB153_407
.LBB153_412:                            ;   in Loop: Header=BB153_31 Depth=1
	s_inst_prefetch 0x2
	s_or_b32 exec_lo, exec_lo, s17
	s_andn2_b32 s6, s16, exec_lo
	s_and_b32 s14, s58, exec_lo
	s_or_b32 s16, s6, s14
.LBB153_413:                            ;   in Loop: Header=BB153_31 Depth=1
	s_or_b32 exec_lo, exec_lo, s7
	s_mov_b32 s73, 0
	s_mov_b32 s74, -1
.LBB153_414:                            ;   in Loop: Header=BB153_31 Depth=1
	s_orn2_b32 s6, s16, exec_lo
.LBB153_415:                            ;   in Loop: Header=BB153_31 Depth=1
	s_or_b32 exec_lo, exec_lo, s64
	s_mov_b32 s7, 0
	s_and_saveexec_b32 s16, s6
	s_cbranch_execz .LBB153_477
; %bb.416:                              ;   in Loop: Header=BB153_31 Depth=1
	v_mov_b32_e32 v2, 1
	v_mov_b32_e32 v3, 0
	;; [unrolled: 1-line block ×3, first 2 shown]
	s_xor_b32 s14, s75, -1
	s_and_saveexec_b32 s6, s14
	s_cbranch_execz .LBB153_425
; %bb.417:                              ;   in Loop: Header=BB153_31 Depth=1
	s_mov_b32 s7, exec_lo
	v_cmpx_ge_u64_e64 s[12:13], v[4:5]
	s_xor_b32 s7, exec_lo, s7
	s_cbranch_execz .LBB153_422
; %bb.418:                              ;   in Loop: Header=BB153_31 Depth=1
	ds_read_b64 v[2:3], v13 offset:5120
	s_lshl_b32 s14, 1, s56
	v_or_b32_e32 v48, s9, v48
	v_and_or_b32 v46, v46, s24, s14
	s_waitcnt lgkmcnt(0)
	v_cmp_ne_u64_e32 vcc_lo, 0, v[2:3]
	s_cbranch_vccnz .LBB153_422
; %bb.419:                              ;   in Loop: Header=BB153_31 Depth=1
	s_and_saveexec_b32 s14, s3
; %bb.420:                              ;   in Loop: Header=BB153_31 Depth=1
	v_mov_b32_e32 v2, s12
	v_mov_b32_e32 v3, s13
	ds_write_b64 v13, v[2:3] offset:5128
; %bb.421:                              ;   in Loop: Header=BB153_31 Depth=1
	s_or_b32 exec_lo, exec_lo, s14
	s_waitcnt lgkmcnt(0)
	s_barrier
	buffer_gl0_inv
.LBB153_422:                            ;   in Loop: Header=BB153_31 Depth=1
	s_or_saveexec_b32 s7, s7
	v_mov_b32_e32 v12, 5
	s_mov_b32 s14, 0
	s_xor_b32 exec_lo, exec_lo, s7
; %bb.423:                              ;   in Loop: Header=BB153_31 Depth=1
	v_sub_co_u32 v4, vcc_lo, v4, s12
	v_subrev_co_ci_u32_e64 v5, null, s13, v5, vcc_lo
	v_mov_b32_e32 v12, 0
	s_mov_b32 s14, exec_lo
; %bb.424:                              ;   in Loop: Header=BB153_31 Depth=1
	s_or_b32 exec_lo, exec_lo, s7
	v_mov_b32_e32 v2, v4
	v_mov_b32_e32 v3, v5
	s_and_b32 s7, s14, exec_lo
.LBB153_425:                            ;   in Loop: Header=BB153_31 Depth=1
	s_or_b32 exec_lo, exec_lo, s6
	s_mov_b32 s6, -1
                                        ; implicit-def: $sgpr65
                                        ; implicit-def: $sgpr60
	s_and_saveexec_b32 s17, s7
	s_cbranch_execz .LBB153_476
; %bb.426:                              ;   in Loop: Header=BB153_31 Depth=1
	v_cmp_eq_u64_e32 vcc_lo, 1, v[2:3]
	s_cmp_eq_u64 s[10:11], 1
	s_mov_b32 s7, -1
	s_cselect_b32 s6, -1, 0
                                        ; implicit-def: $sgpr65
                                        ; implicit-def: $sgpr60
	s_and_b32 s75, s6, vcc_lo
	s_and_saveexec_b32 s64, s75
	s_cbranch_execz .LBB153_464
; %bb.427:                              ;   in Loop: Header=BB153_31 Depth=1
	ds_read_b64 v[4:5], v13 offset:5120
	s_waitcnt lgkmcnt(0)
	s_barrier
	buffer_gl0_inv
	v_readfirstlane_b32 s6, v4
	v_readfirstlane_b32 s7, v5
	s_and_saveexec_b32 s12, s8
; %bb.428:                              ;   in Loop: Header=BB153_31 Depth=1
	ds_write_b32 v43, v13
; %bb.429:                              ;   in Loop: Header=BB153_31 Depth=1
	s_or_b32 exec_lo, exec_lo, s12
	v_and_b32_e32 v46, s24, v46
	v_or_b32_e32 v48, s9, v48
	s_mov_b32 s60, -1
	s_mov_b32 s65, 0
	s_cmp_eq_u64 s[6:7], 0
	s_mov_b32 s14, 0
	s_mov_b32 s15, -1
	s_waitcnt lgkmcnt(0)
	s_barrier
	buffer_gl0_inv
                                        ; implicit-def: $vgpr28
	s_cbranch_scc1 .LBB153_447
; %bb.430:                              ;   in Loop: Header=BB153_31 Depth=1
	s_add_u32 s76, s6, s91
	s_addc_u32 s13, s7, s92
	s_mov_b32 s12, s59
	s_cmp_lg_u64 s[12:13], 0
	s_cbranch_scc0 .LBB153_434
; %bb.431:                              ;   in Loop: Header=BB153_31 Depth=1
	v_cvt_f32_u32_e32 v4, s33
	s_sub_u32 s15, 0, s33
	s_subb_u32 s40, 0, 0
	v_fmac_f32_e64 v4, 0x4f800000, 0
	v_rcp_f32_e32 v4, v4
	v_mul_f32_e32 v4, 0x5f7ffffc, v4
	v_mul_f32_e32 v5, 0x2f800000, v4
	v_trunc_f32_e32 v5, v5
	v_fmac_f32_e32 v4, 0xcf800000, v5
	v_cvt_u32_f32_e32 v5, v5
	v_cvt_u32_f32_e32 v4, v4
	v_readfirstlane_b32 s12, v5
	v_readfirstlane_b32 s14, v4
	s_mul_i32 s41, s15, s12
	s_mul_hi_u32 s77, s15, s14
	s_mul_i32 s58, s40, s14
	s_add_i32 s41, s77, s41
	s_mul_i32 s78, s15, s14
	s_add_i32 s41, s41, s58
	s_mul_hi_u32 s77, s14, s78
	s_mul_i32 s80, s14, s41
	s_mul_hi_u32 s79, s12, s78
	s_mul_i32 s58, s12, s78
	s_mul_hi_u32 s78, s14, s41
	s_add_u32 s77, s77, s80
	s_addc_u32 s78, 0, s78
	s_mul_hi_u32 s81, s12, s41
	s_add_u32 s58, s77, s58
	s_mul_i32 s41, s12, s41
	s_addc_u32 s58, s78, s79
	s_addc_u32 s77, s81, 0
	s_add_u32 s41, s58, s41
	s_addc_u32 s58, 0, s77
	s_add_u32 s14, s14, s41
	s_cselect_b32 s41, -1, 0
	s_mul_hi_u32 s77, s15, s14
	s_cmp_lg_u32 s41, 0
	s_mul_i32 s41, s15, s14
	s_addc_u32 s12, s12, s58
	s_mul_i32 s40, s40, s14
	s_mul_i32 s15, s15, s12
	s_mul_hi_u32 s58, s14, s41
	s_add_i32 s15, s77, s15
	s_mul_hi_u32 s77, s12, s41
	s_add_i32 s15, s15, s40
	s_mul_i32 s40, s12, s41
	s_mul_i32 s79, s14, s15
	s_mul_hi_u32 s78, s14, s15
	s_add_u32 s58, s58, s79
	s_addc_u32 s78, 0, s78
	s_mul_hi_u32 s41, s12, s15
	s_add_u32 s40, s58, s40
	s_mul_i32 s15, s12, s15
	s_addc_u32 s40, s78, s77
	s_addc_u32 s41, s41, 0
	s_add_u32 s15, s40, s15
	s_addc_u32 s40, 0, s41
	s_add_u32 s14, s14, s15
	s_cselect_b32 s15, -1, 0
	s_mul_hi_u32 s41, s76, s14
	s_cmp_lg_u32 s15, 0
	s_mul_hi_u32 s15, s13, s14
	s_addc_u32 s12, s12, s40
	s_mul_i32 s14, s13, s14
	s_mul_i32 s58, s76, s12
	s_mul_hi_u32 s40, s76, s12
	s_add_u32 s41, s41, s58
	s_addc_u32 s40, 0, s40
	s_mul_hi_u32 s77, s13, s12
	s_add_u32 s14, s41, s14
	s_mul_i32 s12, s13, s12
	s_addc_u32 s14, s40, s15
	s_addc_u32 s15, s77, 0
	s_add_u32 s12, s14, s12
	s_addc_u32 s14, 0, s15
	s_mul_hi_u32 s15, s33, s12
	s_mul_i32 s14, s33, s14
	s_mul_i32 s12, s33, s12
	s_add_i32 s15, s15, s14
	s_sub_u32 s12, s76, s12
	s_cselect_b32 s14, -1, 0
	s_cmp_lg_u32 s14, 0
	s_subb_u32 s14, s13, s15
	s_sub_u32 s15, s12, s33
	s_cselect_b32 s40, -1, 0
	s_cmp_lg_u32 s40, 0
	s_subb_u32 s40, s14, 0
	;; [unrolled: 4-line block ×3, first 2 shown]
	s_cmp_ge_u32 s15, s33
	s_cselect_b32 s77, -1, 0
	s_cmp_eq_u32 s40, 0
	s_cselect_b32 s77, s77, -1
	s_cmp_lg_u32 s77, 0
	s_cselect_b32 s40, s58, s40
	s_cselect_b32 s41, s41, s15
	s_cmp_ge_u32 s12, s33
	s_cselect_b32 s15, -1, 0
	s_cmp_eq_u32 s14, 0
	s_cselect_b32 s15, s15, -1
	s_cmp_lg_u32 s15, 0
	s_cselect_b32 s15, s40, s14
	s_cselect_b32 s14, s41, s12
	s_mov_b32 s12, 0
	s_branch .LBB153_435
.LBB153_432:                            ;   in Loop: Header=BB153_31 Depth=1
                                        ; implicit-def: $sgpr16_sgpr17
	s_branch .LBB153_387
.LBB153_433:                            ;   in Loop: Header=BB153_31 Depth=1
                                        ; implicit-def: $sgpr6_sgpr7
	s_branch .LBB153_403
.LBB153_434:                            ;   in Loop: Header=BB153_31 Depth=1
	s_mov_b32 s12, -1
                                        ; implicit-def: $sgpr14_sgpr15
.LBB153_435:                            ;   in Loop: Header=BB153_31 Depth=1
	s_andn2_b32 vcc_lo, exec_lo, s12
	s_cbranch_vccnz .LBB153_437
; %bb.436:                              ;   in Loop: Header=BB153_31 Depth=1
	v_cvt_f32_u32_e32 v4, s33
	s_sub_i32 s14, 0, s33
	v_rcp_iflag_f32_e32 v4, v4
	v_mul_f32_e32 v4, 0x4f7ffffe, v4
	v_cvt_u32_f32_e32 v4, v4
	v_readfirstlane_b32 s12, v4
	s_mul_i32 s14, s14, s12
	s_mul_hi_u32 s14, s12, s14
	s_add_i32 s12, s12, s14
	s_mul_hi_u32 s12, s76, s12
	s_mul_i32 s12, s12, s33
	s_sub_i32 s12, s76, s12
	s_sub_i32 s14, s12, s33
	s_cmp_ge_u32 s12, s33
	s_cselect_b32 s12, s14, s12
	s_sub_i32 s14, s12, s33
	s_cmp_ge_u32 s12, s33
	s_cselect_b32 s58, s14, s12
	s_mov_b64 s[14:15], s[58:59]
.LBB153_437:                            ;   in Loop: Header=BB153_31 Depth=1
	s_sub_u32 s12, s76, s14
	s_subb_u32 s13, s13, s15
	s_mov_b32 s15, 0
	s_mov_b32 s14, 0
	s_mov_b32 s58, exec_lo
                                        ; implicit-def: $vgpr28
	v_cmpx_gt_u64_e64 s[12:13], v[0:1]
	s_cbranch_execz .LBB153_446
; %bb.438:                              ;   in Loop: Header=BB153_31 Depth=1
	v_mov_b32_e32 v5, v1
	v_mov_b32_e32 v6, v14
	;; [unrolled: 1-line block ×3, first 2 shown]
                                        ; implicit-def: $sgpr76
	s_inst_prefetch 0x1
	s_branch .LBB153_441
	.p2align	6
.LBB153_439:                            ;   in Loop: Header=BB153_441 Depth=2
	s_or_b32 exec_lo, exec_lo, s77
	s_waitcnt lgkmcnt(0)
	s_barrier
	buffer_gl0_inv
	ds_read_b64 v[27:28], v13 offset:3072
	s_mov_b32 s40, -1
	s_mov_b32 s41, -1
	s_waitcnt lgkmcnt(0)
	s_barrier
	buffer_gl0_inv
	v_cmp_ne_u32_e32 vcc_lo, 0, v27
	s_cbranch_vccz .LBB153_444
.LBB153_440:                            ;   in Loop: Header=BB153_441 Depth=2
	s_and_b32 s40, exec_lo, s40
	s_or_b32 s14, s40, s14
	s_andn2_b32 s40, s76, exec_lo
	s_and_b32 s41, s41, exec_lo
	s_or_b32 s76, s40, s41
	s_andn2_b32 exec_lo, exec_lo, s14
	s_cbranch_execz .LBB153_445
.LBB153_441:                            ;   Parent Loop BB153_31 Depth=1
                                        ; =>  This Inner Loop Header: Depth=2
	s_mov_b32 s77, exec_lo
	v_cmpx_gt_u64_e64 s[6:7], v[4:5]
	s_cbranch_execz .LBB153_439
; %bb.442:                              ;   in Loop: Header=BB153_441 Depth=2
	ds_read_b32 v27, v6
	s_waitcnt lgkmcnt(0)
	v_xor_b32_e32 v7, 0x80000000, v27
	v_and_b32_e32 v7, v7, v48
	v_cmp_eq_u32_e32 vcc_lo, v7, v46
	s_and_b32 exec_lo, exec_lo, vcc_lo
	s_cbranch_execz .LBB153_439
; %bb.443:                              ;   in Loop: Header=BB153_441 Depth=2
	ds_write_b64 v13, v[26:27] offset:3072
	s_branch .LBB153_439
.LBB153_444:                            ;   in Loop: Header=BB153_441 Depth=2
	v_add_co_u32 v4, vcc_lo, v4, s33
	v_add_co_ci_u32_e64 v5, null, 0, v5, vcc_lo
	v_add_nc_u32_e32 v6, s97, v6
	s_mov_b32 s41, 0
	v_cmp_le_u64_e32 vcc_lo, s[12:13], v[4:5]
	s_orn2_b32 s40, vcc_lo, exec_lo
	s_branch .LBB153_440
.LBB153_445:                            ;   in Loop: Header=BB153_31 Depth=1
	s_inst_prefetch 0x2
	s_or_b32 exec_lo, exec_lo, s14
	s_and_b32 s14, s76, exec_lo
.LBB153_446:                            ;   in Loop: Header=BB153_31 Depth=1
	s_or_b32 exec_lo, exec_lo, s58
.LBB153_447:                            ;   in Loop: Header=BB153_31 Depth=1
	s_and_b32 vcc_lo, exec_lo, s15
	s_cbranch_vccz .LBB153_463
; %bb.448:                              ;   in Loop: Header=BB153_31 Depth=1
	s_mov_b32 s60, s59
	s_cmp_lg_u64 s[60:61], 0
	s_cbranch_scc0 .LBB153_450
; %bb.449:                              ;   in Loop: Header=BB153_31 Depth=1
	v_cvt_f32_u32_e32 v4, s33
	s_sub_u32 s12, 0, s33
	s_subb_u32 s13, 0, 0
	v_fmac_f32_e64 v4, 0x4f800000, 0
	v_rcp_f32_e32 v4, v4
	v_mul_f32_e32 v4, 0x5f7ffffc, v4
	v_mul_f32_e32 v5, 0x2f800000, v4
	v_trunc_f32_e32 v5, v5
	v_fmac_f32_e32 v4, 0xcf800000, v5
	v_cvt_u32_f32_e32 v5, v5
	v_cvt_u32_f32_e32 v4, v4
	v_readfirstlane_b32 s6, v5
	v_readfirstlane_b32 s7, v4
	s_mul_i32 s15, s12, s6
	s_mul_hi_u32 s41, s12, s7
	s_mul_i32 s40, s13, s7
	s_add_i32 s15, s41, s15
	s_mul_i32 s58, s12, s7
	s_add_i32 s15, s15, s40
	s_mul_hi_u32 s41, s7, s58
	s_mul_i32 s65, s7, s15
	s_mul_hi_u32 s60, s6, s58
	s_mul_i32 s40, s6, s58
	s_mul_hi_u32 s58, s7, s15
	s_add_u32 s41, s41, s65
	s_addc_u32 s58, 0, s58
	s_mul_hi_u32 s76, s6, s15
	s_add_u32 s40, s41, s40
	s_mul_i32 s15, s6, s15
	s_addc_u32 s40, s58, s60
	s_addc_u32 s41, s76, 0
	s_add_u32 s15, s40, s15
	s_addc_u32 s40, 0, s41
	s_add_u32 s7, s7, s15
	s_cselect_b32 s15, -1, 0
	s_mul_hi_u32 s41, s12, s7
	s_cmp_lg_u32 s15, 0
	s_mul_i32 s15, s12, s7
	s_addc_u32 s6, s6, s40
	s_mul_i32 s13, s13, s7
	s_mul_i32 s12, s12, s6
	s_mul_hi_u32 s40, s7, s15
	s_add_i32 s12, s41, s12
	s_mul_hi_u32 s41, s6, s15
	s_add_i32 s12, s12, s13
	s_mul_i32 s13, s6, s15
	s_mul_i32 s60, s7, s12
	s_mul_hi_u32 s58, s7, s12
	s_add_u32 s40, s40, s60
	s_addc_u32 s58, 0, s58
	s_mul_hi_u32 s15, s6, s12
	s_add_u32 s13, s40, s13
	s_mul_i32 s12, s6, s12
	s_addc_u32 s13, s58, s41
	s_addc_u32 s15, s15, 0
	s_add_u32 s12, s13, s12
	s_addc_u32 s13, 0, s15
	s_add_u32 s7, s7, s12
	s_cselect_b32 s12, -1, 0
	s_mul_hi_u32 s15, s93, s7
	s_cmp_lg_u32 s12, 0
	s_mul_hi_u32 s12, s61, s7
	s_addc_u32 s6, s6, s13
	s_mul_i32 s7, s61, s7
	s_mul_i32 s40, s93, s6
	s_mul_hi_u32 s13, s93, s6
	s_add_u32 s15, s15, s40
	s_addc_u32 s13, 0, s13
	s_mul_hi_u32 s41, s61, s6
	s_add_u32 s7, s15, s7
	s_mul_i32 s6, s61, s6
	s_addc_u32 s7, s13, s12
	s_addc_u32 s12, s41, 0
	s_add_u32 s6, s7, s6
	s_addc_u32 s7, 0, s12
	s_mul_hi_u32 s12, s33, s6
	s_mul_i32 s7, s33, s7
	s_mul_i32 s6, s33, s6
	s_add_i32 s12, s12, s7
	s_sub_u32 s6, s93, s6
	s_cselect_b32 s7, -1, 0
	s_cmp_lg_u32 s7, 0
	s_subb_u32 s7, s61, s12
	s_sub_u32 s12, s6, s33
	s_cselect_b32 s13, -1, 0
	s_cmp_lg_u32 s13, 0
	s_subb_u32 s13, s7, 0
	;; [unrolled: 4-line block ×3, first 2 shown]
	s_cmp_ge_u32 s12, s33
	s_cselect_b32 s41, -1, 0
	s_cmp_eq_u32 s13, 0
	s_cselect_b32 s41, s41, -1
	s_cmp_lg_u32 s41, 0
	s_cselect_b32 s13, s40, s13
	s_cselect_b32 s12, s15, s12
	s_cmp_ge_u32 s6, s33
	s_cselect_b32 s15, -1, 0
	s_cmp_eq_u32 s7, 0
	s_cselect_b32 s15, s15, -1
	s_cmp_lg_u32 s15, 0
	s_cselect_b32 s7, s13, s7
	s_cselect_b32 s6, s12, s6
	s_mov_b32 s12, 0
	s_branch .LBB153_451
.LBB153_450:                            ;   in Loop: Header=BB153_31 Depth=1
	s_mov_b32 s12, -1
                                        ; implicit-def: $sgpr6_sgpr7
.LBB153_451:                            ;   in Loop: Header=BB153_31 Depth=1
	s_andn2_b32 vcc_lo, exec_lo, s12
	s_cbranch_vccnz .LBB153_453
; %bb.452:                              ;   in Loop: Header=BB153_31 Depth=1
	v_cvt_f32_u32_e32 v4, s33
	s_sub_i32 s7, 0, s33
	v_rcp_iflag_f32_e32 v4, v4
	v_mul_f32_e32 v4, 0x4f7ffffe, v4
	v_cvt_u32_f32_e32 v4, v4
	v_readfirstlane_b32 s6, v4
	s_mul_i32 s7, s7, s6
	s_mul_hi_u32 s7, s6, s7
	s_add_i32 s6, s6, s7
	s_mul_hi_u32 s6, s93, s6
	s_mul_i32 s6, s6, s33
	s_sub_i32 s6, s93, s6
	s_sub_i32 s7, s6, s33
	s_cmp_ge_u32 s6, s33
	s_cselect_b32 s6, s7, s6
	s_sub_i32 s7, s6, s33
	s_cmp_ge_u32 s6, s33
	s_cselect_b32 s58, s7, s6
	s_mov_b64 s[6:7], s[58:59]
.LBB153_453:                            ;   in Loop: Header=BB153_31 Depth=1
	s_sub_u32 s12, s93, s6
	s_subb_u32 s13, s61, s7
	s_mov_b32 s7, exec_lo
                                        ; implicit-def: $vgpr28
	v_cmpx_gt_u64_e64 s[12:13], v[0:1]
	s_cbranch_execz .LBB153_462
; %bb.454:                              ;   in Loop: Header=BB153_31 Depth=1
	v_mov_b32_e32 v4, v24
	v_mov_b32_e32 v7, v1
	;; [unrolled: 1-line block ×4, first 2 shown]
	s_mov_b32 s15, 0
                                        ; implicit-def: $sgpr58
	s_inst_prefetch 0x1
	s_branch .LBB153_457
	.p2align	6
.LBB153_455:                            ;   in Loop: Header=BB153_457 Depth=2
	s_or_b32 exec_lo, exec_lo, s6
	s_waitcnt lgkmcnt(0)
	s_barrier
	buffer_gl0_inv
	ds_read_b64 v[27:28], v13 offset:3072
	s_mov_b32 s6, -1
	s_mov_b32 s40, -1
	s_waitcnt lgkmcnt(0)
	s_barrier
	buffer_gl0_inv
	v_cmp_eq_u32_e32 vcc_lo, 0, v27
	s_cbranch_vccnz .LBB153_460
.LBB153_456:                            ;   in Loop: Header=BB153_457 Depth=2
	s_and_b32 s6, exec_lo, s6
	s_or_b32 s15, s6, s15
	s_andn2_b32 s6, s58, exec_lo
	s_and_b32 s40, s40, exec_lo
	s_or_b32 s58, s6, s40
	s_andn2_b32 exec_lo, exec_lo, s15
	s_cbranch_execz .LBB153_461
.LBB153_457:                            ;   Parent Loop BB153_31 Depth=1
                                        ; =>  This Inner Loop Header: Depth=2
	s_mov_b32 s6, exec_lo
	v_cmpx_gt_u64_e64 s[28:29], v[6:7]
	s_cbranch_execz .LBB153_455
; %bb.458:                              ;   in Loop: Header=BB153_457 Depth=2
	global_load_dword v27, v[4:5], off
	s_waitcnt vmcnt(0)
	v_xor_b32_e32 v8, 0x80000000, v27
	v_and_b32_e32 v8, v8, v48
	v_cmp_eq_u32_e32 vcc_lo, v8, v46
	s_and_b32 exec_lo, exec_lo, vcc_lo
	s_cbranch_execz .LBB153_455
; %bb.459:                              ;   in Loop: Header=BB153_457 Depth=2
	ds_write_b64 v13, v[26:27] offset:3072
	s_branch .LBB153_455
.LBB153_460:                            ;   in Loop: Header=BB153_457 Depth=2
	v_add_co_u32 v6, vcc_lo, v6, s33
	v_add_co_ci_u32_e64 v7, null, 0, v7, vcc_lo
	v_add_co_u32 v4, s6, v4, s38
	v_add_co_ci_u32_e64 v5, null, s39, v5, s6
	v_cmp_le_u64_e32 vcc_lo, s[12:13], v[6:7]
	s_mov_b32 s40, 0
	s_orn2_b32 s6, vcc_lo, exec_lo
	s_branch .LBB153_456
.LBB153_461:                            ;   in Loop: Header=BB153_31 Depth=1
	s_inst_prefetch 0x2
	s_or_b32 exec_lo, exec_lo, s15
	s_andn2_b32 s6, s14, exec_lo
	s_and_b32 s12, s58, exec_lo
	s_or_b32 s14, s6, s12
.LBB153_462:                            ;   in Loop: Header=BB153_31 Depth=1
	s_or_b32 exec_lo, exec_lo, s7
	s_mov_b32 s60, 0
	s_mov_b32 s65, -1
.LBB153_463:                            ;   in Loop: Header=BB153_31 Depth=1
	s_orn2_b32 s7, s14, exec_lo
.LBB153_464:                            ;   in Loop: Header=BB153_31 Depth=1
	s_or_b32 exec_lo, exec_lo, s64
	s_mov_b32 s12, 0
	s_and_saveexec_b32 s6, s7
	s_cbranch_execz .LBB153_475
; %bb.465:                              ;   in Loop: Header=BB153_31 Depth=1
	v_mov_b32_e32 v4, 1
	v_mov_b32_e32 v5, 0
	;; [unrolled: 1-line block ×3, first 2 shown]
	s_xor_b32 s12, s75, -1
	s_and_saveexec_b32 s7, s12
	s_cbranch_execz .LBB153_474
; %bb.466:                              ;   in Loop: Header=BB153_31 Depth=1
	s_mov_b32 s12, exec_lo
	v_cmpx_ge_u64_e64 s[10:11], v[2:3]
	s_xor_b32 s12, exec_lo, s12
	s_cbranch_execz .LBB153_471
; %bb.467:                              ;   in Loop: Header=BB153_31 Depth=1
	ds_read_b64 v[4:5], v13 offset:5120
	v_and_b32_e32 v46, s24, v46
	v_or_b32_e32 v48, s9, v48
	s_waitcnt lgkmcnt(0)
	v_cmp_ne_u64_e32 vcc_lo, 0, v[4:5]
	s_cbranch_vccnz .LBB153_471
; %bb.468:                              ;   in Loop: Header=BB153_31 Depth=1
	s_and_saveexec_b32 s9, s3
; %bb.469:                              ;   in Loop: Header=BB153_31 Depth=1
	v_mov_b32_e32 v4, s10
	v_mov_b32_e32 v5, s11
	ds_write_b64 v13, v[4:5] offset:5128
; %bb.470:                              ;   in Loop: Header=BB153_31 Depth=1
	s_or_b32 exec_lo, exec_lo, s9
	s_waitcnt lgkmcnt(0)
	s_barrier
	buffer_gl0_inv
.LBB153_471:                            ;   in Loop: Header=BB153_31 Depth=1
	s_andn2_saveexec_b32 s9, s12
; %bb.472:                              ;   in Loop: Header=BB153_31 Depth=1
	v_sub_co_u32 v2, vcc_lo, v2, s10
	v_subrev_co_ci_u32_e64 v3, null, s11, v3, vcc_lo
; %bb.473:                              ;   in Loop: Header=BB153_31 Depth=1
	s_or_b32 exec_lo, exec_lo, s9
	v_mov_b32_e32 v5, v3
	v_mov_b32_e32 v12, 5
	;; [unrolled: 1-line block ×3, first 2 shown]
.LBB153_474:                            ;   in Loop: Header=BB153_31 Depth=1
	s_or_b32 exec_lo, exec_lo, s7
	v_mov_b32_e32 v2, v4
	v_mov_b32_e32 v3, v5
	s_mov_b32 s12, exec_lo
.LBB153_475:                            ;   in Loop: Header=BB153_31 Depth=1
	s_or_b32 exec_lo, exec_lo, s6
	s_orn2_b32 s6, s12, exec_lo
.LBB153_476:                            ;   in Loop: Header=BB153_31 Depth=1
	s_or_b32 exec_lo, exec_lo, s17
	v_mov_b32_e32 v5, v3
	v_mov_b32_e32 v4, v2
	s_andn2_b32 s7, s74, exec_lo
	s_and_b32 s9, s65, exec_lo
	s_andn2_b32 s10, s73, exec_lo
	s_and_b32 s11, s60, exec_lo
	s_or_b32 s74, s7, s9
	s_or_b32 s73, s10, s11
	s_and_b32 s7, s6, exec_lo
.LBB153_477:                            ;   in Loop: Header=BB153_31 Depth=1
	s_or_b32 exec_lo, exec_lo, s16
	s_orn2_b32 s6, s7, exec_lo
.LBB153_478:                            ;   in Loop: Header=BB153_31 Depth=1
	s_or_b32 exec_lo, exec_lo, s19
	v_mov_b32_e32 v2, v4
	v_mov_b32_e32 v3, v5
	s_andn2_b32 s7, s71, exec_lo
	s_and_b32 s9, s74, exec_lo
	s_andn2_b32 s10, s70, exec_lo
	s_and_b32 s11, s73, exec_lo
	s_or_b32 s71, s7, s9
	s_or_b32 s70, s10, s11
	s_and_b32 s7, s6, exec_lo
.LBB153_479:                            ;   in Loop: Header=BB153_31 Depth=1
	s_or_b32 exec_lo, exec_lo, s18
	s_orn2_b32 s6, s7, exec_lo
.LBB153_480:                            ;   in Loop: Header=BB153_31 Depth=1
	s_or_b32 exec_lo, exec_lo, s21
	s_mov_b32 s7, s23
	s_mov_b32 s9, s22
	s_and_saveexec_b32 s10, s6
; %bb.481:                              ;   in Loop: Header=BB153_31 Depth=1
	v_cmp_ne_u32_e32 vcc_lo, 5, v12
	v_cmp_eq_u32_e64 s6, 5, v12
	s_andn2_b32 s7, s22, exec_lo
	s_andn2_b32 s11, s23, exec_lo
	s_and_b32 s9, vcc_lo, exec_lo
	s_and_b32 s6, s6, exec_lo
	s_or_b32 s9, s7, s9
	s_or_b32 s7, s11, s6
; %bb.482:                              ;   in Loop: Header=BB153_31 Depth=1
	s_or_b32 exec_lo, exec_lo, s10
	s_andn2_b32 s6, s72, exec_lo
	s_and_b32 s10, s71, exec_lo
	s_andn2_b32 s11, s25, exec_lo
	s_and_b32 s12, s70, exec_lo
	s_or_b32 s72, s6, s10
	s_andn2_b32 s6, s22, exec_lo
	s_and_b32 s9, s9, exec_lo
	s_andn2_b32 s10, s23, exec_lo
	s_and_b32 s7, s7, exec_lo
	s_or_b32 s25, s11, s12
	s_or_b32 s22, s6, s9
	;; [unrolled: 1-line block ×3, first 2 shown]
.LBB153_483:                            ;   in Loop: Header=BB153_31 Depth=1
	s_or_b32 exec_lo, exec_lo, s20
	s_mov_b32 s70, 0
	s_mov_b32 s71, 0
	s_and_saveexec_b32 s6, s23
.LBB153_484:                            ;   in Loop: Header=BB153_31 Depth=1
	v_mov_b32_e32 v12, 0
	s_or_b32 s22, s22, exec_lo
.LBB153_485:                            ;   in Loop: Header=BB153_31 Depth=1
	s_or_b32 exec_lo, exec_lo, s6
	s_andn2_b32 s6, s54, exec_lo
	s_and_b32 s9, s72, exec_lo
	s_andn2_b32 s10, s44, exec_lo
	s_and_b32 s11, s25, exec_lo
	v_mov_b32_e32 v30, v3
	v_mov_b32_e32 v29, v2
	s_or_b32 s54, s6, s9
	s_or_b32 s44, s10, s11
	s_andn2_b32 s2, s2, exec_lo
	s_and_b32 s6, s71, exec_lo
	s_andn2_b32 s9, s55, exec_lo
	s_and_b32 s10, s70, exec_lo
	s_mov_b32 s7, -1
	s_andn2_b32 s45, s45, exec_lo
	s_or_b32 s2, s2, s6
	s_or_b32 s55, s9, s10
	s_and_saveexec_b32 s6, s22
	s_xor_b32 s6, exec_lo, s6
	s_cbranch_execz .LBB153_30
; %bb.486:                              ;   in Loop: Header=BB153_31 Depth=1
	s_mov_b32 s9, -1
	s_mov_b32 s10, exec_lo
	v_cmpx_eq_u32_e32 0, v12
	s_cbranch_execz .LBB153_29
; %bb.487:                              ;   in Loop: Header=BB153_31 Depth=1
	s_xor_b32 s104, s104, 1
	s_add_i32 s11, s56, -2
	s_cmp_eq_u32 s56, 0
	s_mov_b32 s56, s11
	s_cselect_b32 s7, -1, 0
	s_xor_b32 s9, exec_lo, -1
	s_orn2_b32 s7, s7, exec_lo
	s_branch .LBB153_29
.LBB153_488:
	s_or_b32 exec_lo, exec_lo, s98
	s_xor_b32 s7, s57, -1
	s_xor_b32 s9, s52, -1
	;; [unrolled: 1-line block ×4, first 2 shown]
	s_xor_b32 s6, vcc_hi, -1
	s_mov_b32 s8, 0
	s_and_saveexec_b32 s11, s2
	s_xor_b32 s2, exec_lo, s11
	s_cbranch_execnz .LBB153_493
; %bb.489:
	s_andn2_saveexec_b32 s0, s2
	s_cbranch_execnz .LBB153_512
.LBB153_490:
	s_or_b32 exec_lo, exec_lo, s0
	s_and_saveexec_b32 s0, s8
.LBB153_491:
	; divergent unreachable
.LBB153_492:
	s_endpgm
.LBB153_493:
	s_and_saveexec_b32 s11, s10
	s_xor_b32 s12, exec_lo, s11
	s_cbranch_execz .LBB153_510
; %bb.494:
	s_and_saveexec_b32 s10, s9
	s_xor_b32 s13, exec_lo, s10
	s_cbranch_execz .LBB153_508
; %bb.495:
	;; [unrolled: 4-line block ×3, first 2 shown]
	s_and_saveexec_b32 s7, s6
	s_xor_b32 s6, exec_lo, s7
; %bb.497:
	v_xor_b32_e32 v28, 0x80000000, v46
; %bb.498:
	s_or_b32 exec_lo, exec_lo, s6
	s_and_saveexec_b32 s6, s3
	s_load_dwordx2 s[40:41], s[4:5], 0x0
; %bb.499:
	v_mov_b32_e32 v2, 0
	v_mov_b32_e32 v3, v2
	ds_write_b64 v2, v[2:3] offset:5136
; %bb.500:
	s_or_b32 exec_lo, exec_lo, s6
	v_mov_b32_e32 v16, 0
	s_waitcnt lgkmcnt(0)
	s_barrier
	buffer_gl0_inv
	s_and_saveexec_b32 s3, s1
	s_cbranch_execz .LBB153_502
; %bb.501:
	global_load_dword v16, v[10:11], off
.LBB153_502:
	s_or_b32 exec_lo, exec_lo, s3
	s_load_dwordx2 s[20:21], s[4:5], 0x440
	v_readlane_b32 s16, v49, 0
	v_readlane_b32 s17, v49, 1
	s_add_u32 s3, s28, 31
	s_addc_u32 s7, s29, 0
	s_and_b32 s6, s3, 0xffffffe0
	s_mul_i32 s8, s16, s37
	s_mul_hi_u32 s9, s16, s36
	v_cmp_gt_u64_e32 vcc_lo, s[6:7], v[0:1]
	s_add_i32 s3, s9, s8
	s_mul_i32 s8, s17, s36
	s_add_i32 s9, s3, s8
	s_mul_i32 s8, s16, s36
	s_lshl_b64 s[18:19], s[8:9], 2
	s_waitcnt lgkmcnt(0)
	s_mul_i32 s10, s20, s51
	s_mul_hi_u32 s11, s20, s50
	s_mul_i32 s16, s20, s50
	s_add_i32 s3, s11, s10
	s_mul_i32 s10, s21, s50
	s_mov_b32 s20, -1
	s_add_i32 s17, s3, s10
	s_clause 0x1
	s_load_dwordx2 s[8:9], s[4:5], 0x368
	s_load_dwordx2 s[10:11], s[4:5], 0x510
	v_readlane_b32 s4, v49, 2
	v_readlane_b32 s5, v49, 3
	s_add_u32 s3, s4, s18
	s_addc_u32 s4, s5, s19
	s_lshl_b64 s[18:19], s[34:35], 2
	s_add_u32 s5, s3, s18
	s_addc_u32 s15, s4, s19
	v_readlane_b32 s18, v49, 4
	v_readlane_b32 s19, v49, 5
	s_lshl_b64 s[16:17], s[16:17], 3
	s_add_u32 s3, s18, s16
	s_addc_u32 s4, s19, s17
	s_lshl_b64 s[16:17], s[42:43], 3
	s_mov_b32 s18, 0
	s_add_u32 s16, s3, s16
	s_addc_u32 s17, s4, s17
	s_mov_b32 s3, 0
	s_and_saveexec_b32 s19, vcc_lo
	s_cbranch_execnz .LBB153_513
; %bb.503:
	s_or_b32 exec_lo, exec_lo, s19
	s_and_saveexec_b32 s4, s20
	s_cbranch_execnz .LBB153_528
.LBB153_504:
	s_or_b32 exec_lo, exec_lo, s4
	s_and_saveexec_b32 s0, s3
	s_xor_b32 s0, exec_lo, s0
	s_cbranch_execnz .LBB153_551
.LBB153_505:
	s_or_b32 exec_lo, exec_lo, s0
	s_waitcnt lgkmcnt(0)
	s_and_b32 s8, s18, exec_lo
.LBB153_506:
	s_andn2_saveexec_b32 s0, s14
	s_cbranch_execnz .LBB153_553
.LBB153_507:
	s_or_b32 exec_lo, exec_lo, s0
	s_and_b32 s8, s8, exec_lo
.LBB153_508:
	s_andn2_saveexec_b32 s0, s13
	s_cbranch_execnz .LBB153_552
.LBB153_509:
	s_or_b32 exec_lo, exec_lo, s0
	s_and_b32 s8, s8, exec_lo
.LBB153_510:
	s_andn2_saveexec_b32 s0, s12
	s_cbranch_execnz .LBB153_547
.LBB153_511:
	s_or_b32 exec_lo, exec_lo, s0
	s_and_b32 s8, s8, exec_lo
	s_andn2_saveexec_b32 s0, s2
	s_cbranch_execz .LBB153_490
.LBB153_512:
	s_or_b32 s8, s8, exec_lo
	s_trap 2
	s_or_b32 exec_lo, exec_lo, s0
	s_and_saveexec_b32 s0, s8
	s_cbranch_execnz .LBB153_491
	s_branch .LBB153_492
.LBB153_513:
	v_add_nc_u32_e32 v4, s33, v0
	v_readlane_b32 s20, v49, 9
	v_readlane_b32 s21, v49, 10
	s_add_u32 s3, s40, s48
	s_addc_u32 s4, s41, s49
	v_mad_u64_u32 v[2:3], null, s26, v4, 0
	s_add_u32 s3, s3, s20
	s_addc_u32 s4, s4, s21
	v_mov_b32_e32 v13, v1
	v_xor_b32_e32 v17, 0x80000000, v28
	v_mov_b32_e32 v12, v0
	s_mov_b32 s20, 0
	v_mad_u64_u32 v[3:4], null, s27, v4, v[3:4]
                                        ; implicit-def: $sgpr21
                                        ; implicit-def: $vgpr8_vgpr9
	v_lshlrev_b64 v[4:5], 2, v[2:3]
	v_mov_b32_e32 v3, 0
	v_add_co_u32 v4, s3, s3, v4
	v_add_co_ci_u32_e64 v5, null, s4, v5, s3
	s_branch .LBB153_515
.LBB153_514:                            ;   in Loop: Header=BB153_515 Depth=1
	s_or_b32 exec_lo, exec_lo, s22
	s_xor_b32 s3, s23, -1
	s_and_b32 s4, exec_lo, s4
	v_mov_b32_e32 v13, v7
	v_mov_b32_e32 v16, v18
	s_or_b32 s20, s4, s20
	v_mov_b32_e32 v12, v6
	s_andn2_b32 s4, s21, exec_lo
	s_and_b32 s3, s3, exec_lo
	s_or_b32 s21, s4, s3
	s_andn2_b32 exec_lo, exec_lo, s20
	s_cbranch_execz .LBB153_527
.LBB153_515:                            ; =>This Inner Loop Header: Depth=1
	v_add_co_u32 v6, s3, v12, s33
	v_add_co_ci_u32_e64 v7, null, 0, v13, s3
	v_mov_b32_e32 v18, 0
	s_mov_b32 s4, exec_lo
	v_cmpx_gt_u64_e64 s[28:29], v[6:7]
	s_cbranch_execz .LBB153_517
; %bb.516:                              ;   in Loop: Header=BB153_515 Depth=1
	global_load_dword v18, v[4:5], off
.LBB153_517:                            ;   in Loop: Header=BB153_515 Depth=1
	s_or_b32 exec_lo, exec_lo, s4
	s_waitcnt vmcnt(0)
	v_xor_b32_e32 v2, 0x80000000, v16
	v_cmp_gt_u32_e64 s3, v2, v17
	v_cndmask_b32_e64 v14, 0, 1, s3
	v_cmp_lt_u32_e64 s3, v2, v17
	v_cndmask_b32_e64 v2, 0, 1, s3
	v_cmp_gt_u64_e64 s3, s[28:29], v[12:13]
	v_cndmask_b32_e64 v2, v2, v14, s94
	v_and_b32_e32 v2, 1, v2
	v_cmp_eq_u32_e64 s4, 1, v2
	s_and_b32 s23, s3, s4
	v_cndmask_b32_e64 v2, 0, 1, s23
	v_cmp_ne_u32_e64 s3, 0, v2
	s_cmp_lg_u32 s3, 0
	s_cselect_b32 s4, -1, 0
	s_and_b32 s4, s0, s4
	s_and_saveexec_b32 s22, s4
	s_cbranch_execz .LBB153_521
; %bb.518:                              ;   in Loop: Header=BB153_515 Depth=1
	s_mov_b32 s34, exec_lo
	s_bcnt1_i32_b32 s24, s3
	v_mbcnt_lo_u32_b32 v14, s34, 0
	s_mov_b32 s25, exec_lo
                                        ; implicit-def: $vgpr8_vgpr9
	v_cmpx_eq_u32_e32 0, v14
	s_cbranch_execz .LBB153_520
; %bb.519:                              ;   in Loop: Header=BB153_515 Depth=1
	s_bcnt1_i32_b32 s4, s34
	s_mul_i32 s4, s24, s4
	v_mov_b32_e32 v2, s4
	s_waitcnt lgkmcnt(0)
	ds_add_rtn_u64 v[8:9], v3, v[2:3] offset:5136
.LBB153_520:                            ;   in Loop: Header=BB153_515 Depth=1
	s_or_b32 exec_lo, exec_lo, s25
	s_waitcnt lgkmcnt(0)
	v_readfirstlane_b32 s35, v9
	v_readfirstlane_b32 s34, v8
	v_mad_u64_u32 v[8:9], null, s24, v14, s[34:35]
.LBB153_521:                            ;   in Loop: Header=BB153_515 Depth=1
	s_or_b32 exec_lo, exec_lo, s22
	s_waitcnt lgkmcnt(0)
	ds_bpermute_b32 v8, v3, v8
	ds_bpermute_b32 v9, v3, v9
	s_mov_b32 s4, -1
	s_mov_b32 s24, -1
	s_and_saveexec_b32 s22, s23
	s_cbranch_execz .LBB153_525
; %bb.522:                              ;   in Loop: Header=BB153_515 Depth=1
	v_and_b32_e32 v2, s3, v41
	s_mov_b32 s23, 0
	s_mov_b32 s24, exec_lo
	v_bcnt_u32_b32 v2, v2, 0
	s_waitcnt lgkmcnt(0)
	v_add_co_u32 v14, s3, v8, v2
	v_add_co_ci_u32_e64 v15, null, 0, v9, s3
	v_cmpx_gt_u64_e64 s[30:31], v[14:15]
; %bb.523:                              ;   in Loop: Header=BB153_515 Depth=1
	v_mul_lo_u32 v2, v15, s8
	v_mul_lo_u32 v21, v14, s9
	v_mad_u64_u32 v[19:20], null, v14, s8, 0
	v_mul_lo_u32 v22, v15, s10
	v_mul_lo_u32 v23, v14, s11
	v_mad_u64_u32 v[14:15], null, v14, s10, 0
	s_mov_b32 s23, exec_lo
	v_add3_u32 v20, v20, v21, v2
	v_add3_u32 v15, v15, v23, v22
	v_lshlrev_b64 v[19:20], 2, v[19:20]
	v_lshlrev_b64 v[14:15], 3, v[14:15]
	v_add_co_u32 v19, s3, s5, v19
	v_add_co_ci_u32_e64 v20, null, s15, v20, s3
	v_add_co_u32 v14, s3, s16, v14
	v_add_co_ci_u32_e64 v15, null, s17, v15, s3
	global_store_dword v[19:20], v16, off
	global_store_dwordx2 v[14:15], v[12:13], off
; %bb.524:                              ;   in Loop: Header=BB153_515 Depth=1
	s_or_b32 exec_lo, exec_lo, s24
	s_orn2_b32 s24, s23, exec_lo
.LBB153_525:                            ;   in Loop: Header=BB153_515 Depth=1
	s_or_b32 exec_lo, exec_lo, s22
	s_mov_b32 s23, -1
	s_and_saveexec_b32 s22, s24
	s_cbranch_execz .LBB153_514
; %bb.526:                              ;   in Loop: Header=BB153_515 Depth=1
	v_cmp_le_u64_e64 s3, s[6:7], v[6:7]
	v_add_co_u32 v4, s4, v4, s38
	v_add_co_ci_u32_e64 v5, null, s39, v5, s4
	s_xor_b32 s23, exec_lo, -1
	s_orn2_b32 s4, s3, exec_lo
	s_branch .LBB153_514
.LBB153_527:
	s_or_b32 exec_lo, exec_lo, s20
	s_mov_b32 s3, exec_lo
	s_orn2_b32 s20, s21, exec_lo
	s_or_b32 exec_lo, exec_lo, s19
	s_and_saveexec_b32 s4, s20
	s_cbranch_execz .LBB153_504
.LBB153_528:
	v_mov_b32_e32 v4, 0
	s_waitcnt vmcnt(0) lgkmcnt(0)
	s_waitcnt_vscnt null, 0x0
	s_barrier
	buffer_gl0_inv
	s_and_saveexec_b32 s18, s1
	s_cbranch_execz .LBB153_530
; %bb.529:
	global_load_dword v4, v[10:11], off
.LBB153_530:
	s_or_b32 exec_lo, exec_lo, s18
	s_mov_b32 s1, 0
	s_and_saveexec_b32 s18, vcc_lo
	s_cbranch_execz .LBB153_550
; %bb.531:
	v_add_nc_u32_e32 v5, s33, v0
	v_readlane_b32 s20, v49, 9
	v_readlane_b32 s21, v49, 10
	s_add_u32 s1, s40, s48
	s_addc_u32 s19, s41, s49
	v_mad_u64_u32 v[2:3], null, s26, v5, 0
	s_add_u32 s1, s1, s20
	s_addc_u32 s19, s19, s21
                                        ; implicit-def: $sgpr20
                                        ; implicit-def: $vgpr8_vgpr9
	s_waitcnt vmcnt(0)
	v_mad_u64_u32 v[5:6], null, s27, v5, v[3:4]
	v_mov_b32_e32 v3, v5
	v_mov_b32_e32 v5, 0
	v_lshlrev_b64 v[2:3], 2, v[2:3]
	v_add_co_u32 v2, vcc_lo, s1, v2
	v_add_co_ci_u32_e64 v3, null, s19, v3, vcc_lo
	s_mov_b32 s19, 0
	s_branch .LBB153_534
.LBB153_532:                            ;   in Loop: Header=BB153_534 Depth=1
	s_or_b32 exec_lo, exec_lo, s22
	s_orn2_b32 s24, s23, exec_lo
	s_orn2_b32 s23, s1, exec_lo
.LBB153_533:                            ;   in Loop: Header=BB153_534 Depth=1
	s_or_b32 exec_lo, exec_lo, s21
	s_xor_b32 s1, s24, -1
	s_and_b32 s21, exec_lo, s23
	v_mov_b32_e32 v0, v6
	v_mov_b32_e32 v1, v7
	s_or_b32 s19, s21, s19
	s_waitcnt vmcnt(0)
	v_mov_b32_e32 v4, v12
	s_andn2_b32 s20, s20, exec_lo
	s_and_b32 s1, s1, exec_lo
	s_or_b32 s20, s20, s1
	s_andn2_b32 exec_lo, exec_lo, s19
	s_cbranch_execz .LBB153_548
.LBB153_534:                            ; =>This Inner Loop Header: Depth=1
	v_add_co_u32 v6, vcc_lo, v0, s33
	v_add_co_ci_u32_e64 v7, null, 0, v1, vcc_lo
	v_mov_b32_e32 v12, 0
	s_mov_b32 s1, exec_lo
	v_cmpx_gt_u64_e64 s[28:29], v[6:7]
	s_cbranch_execz .LBB153_536
; %bb.535:                              ;   in Loop: Header=BB153_534 Depth=1
	global_load_dword v12, v[2:3], off
.LBB153_536:                            ;   in Loop: Header=BB153_534 Depth=1
	s_or_b32 exec_lo, exec_lo, s1
	v_cmp_gt_u64_e32 vcc_lo, s[28:29], v[0:1]
	v_cmp_eq_u32_e64 s1, v4, v28
	s_and_b32 s22, vcc_lo, s1
	v_cndmask_b32_e64 v4, 0, 1, s22
	v_cmp_ne_u32_e32 vcc_lo, 0, v4
	s_cmp_lg_u32 vcc_lo, 0
	s_cselect_b32 s1, -1, 0
	s_and_b32 s1, s0, s1
	s_and_saveexec_b32 s21, s1
	s_cbranch_execz .LBB153_540
; %bb.537:                              ;   in Loop: Header=BB153_534 Depth=1
	s_mov_b32 s25, exec_lo
	s_bcnt1_i32_b32 s23, vcc_lo
	v_mbcnt_lo_u32_b32 v10, s25, 0
	s_mov_b32 s24, exec_lo
                                        ; implicit-def: $vgpr8_vgpr9
	v_cmpx_eq_u32_e32 0, v10
; %bb.538:                              ;   in Loop: Header=BB153_534 Depth=1
	s_bcnt1_i32_b32 s1, s25
	s_mul_i32 s1, s23, s1
	v_mov_b32_e32 v4, s1
	ds_add_rtn_u64 v[8:9], v5, v[4:5] offset:5136
; %bb.539:                              ;   in Loop: Header=BB153_534 Depth=1
	s_or_b32 exec_lo, exec_lo, s24
	s_waitcnt lgkmcnt(0)
	v_readfirstlane_b32 s25, v9
	v_readfirstlane_b32 s24, v8
	v_mad_u64_u32 v[8:9], null, s23, v10, s[24:25]
.LBB153_540:                            ;   in Loop: Header=BB153_534 Depth=1
	s_or_b32 exec_lo, exec_lo, s21
	ds_bpermute_b32 v8, v5, v8
	ds_bpermute_b32 v9, v5, v9
	s_cmp_eq_u32 vcc_lo, 0
	s_mov_b32 s23, -1
	s_cselect_b32 s21, -1, 0
	s_mov_b32 s24, -1
	s_waitcnt lgkmcnt(0)
	v_cmp_gt_u64_e64 s1, s[30:31], v[8:9]
	s_or_b32 s1, s21, s1
	s_and_saveexec_b32 s21, s1
	s_cbranch_execz .LBB153_533
; %bb.541:                              ;   in Loop: Header=BB153_534 Depth=1
	v_and_b32_e32 v4, vcc_lo, v41
	v_sub_co_u32 v10, vcc_lo, s30, v8
	v_sub_co_ci_u32_e64 v11, null, s31, v9, vcc_lo
	v_bcnt_u32_b32 v4, v4, 0
	s_mov_b32 s1, -1
	v_bcnt_u32_b32 v4, 0, v4
	v_cmp_gt_u64_e32 vcc_lo, v[10:11], v[4:5]
	s_and_b32 s25, s22, vcc_lo
	s_and_saveexec_b32 s22, s25
	s_cbranch_execz .LBB153_545
; %bb.542:                              ;   in Loop: Header=BB153_534 Depth=1
	v_add_co_u32 v10, vcc_lo, v8, v4
	v_add_co_ci_u32_e64 v11, null, 0, v9, vcc_lo
	s_mov_b32 s24, 0
	s_mov_b32 s23, exec_lo
	v_cmpx_gt_u64_e64 s[30:31], v[10:11]
; %bb.543:                              ;   in Loop: Header=BB153_534 Depth=1
	v_mul_lo_u32 v4, v11, s8
	v_mul_lo_u32 v15, v10, s9
	v_mad_u64_u32 v[13:14], null, v10, s8, 0
	v_mul_lo_u32 v16, v11, s10
	v_mul_lo_u32 v17, v10, s11
	v_mad_u64_u32 v[10:11], null, v10, s10, 0
	s_mov_b32 s24, exec_lo
	v_add3_u32 v14, v14, v15, v4
	v_add3_u32 v11, v11, v17, v16
	v_lshlrev_b64 v[13:14], 2, v[13:14]
	v_lshlrev_b64 v[10:11], 3, v[10:11]
	v_add_co_u32 v13, vcc_lo, s5, v13
	v_add_co_ci_u32_e64 v14, null, s15, v14, vcc_lo
	v_add_co_u32 v10, vcc_lo, s16, v10
	v_add_co_ci_u32_e64 v11, null, s17, v11, vcc_lo
	global_store_dword v[13:14], v28, off
	global_store_dwordx2 v[10:11], v[0:1], off
; %bb.544:                              ;   in Loop: Header=BB153_534 Depth=1
	s_or_b32 exec_lo, exec_lo, s23
	s_xor_b32 s23, exec_lo, -1
	s_orn2_b32 s24, s24, exec_lo
.LBB153_545:                            ;   in Loop: Header=BB153_534 Depth=1
	s_or_b32 exec_lo, exec_lo, s22
	s_and_saveexec_b32 s22, s24
	s_cbranch_execz .LBB153_532
; %bb.546:                              ;   in Loop: Header=BB153_534 Depth=1
	v_cmp_le_u64_e32 vcc_lo, s[6:7], v[6:7]
	v_add_co_u32 v2, s1, v2, s38
	v_add_co_ci_u32_e64 v3, null, s39, v3, s1
	s_or_b32 s23, s23, exec_lo
	s_orn2_b32 s1, vcc_lo, exec_lo
	s_branch .LBB153_532
.LBB153_547:
	s_or_b32 s8, s8, exec_lo
	s_trap 2
	s_branch .LBB153_511
.LBB153_548:
	s_or_b32 exec_lo, exec_lo, s19
	s_mov_b32 s0, 0
	s_and_saveexec_b32 s1, s20
	s_xor_b32 s1, exec_lo, s1
	s_cbranch_execnz .LBB153_554
.LBB153_549:
	s_or_b32 exec_lo, exec_lo, s1
	s_and_b32 s1, s0, exec_lo
.LBB153_550:
	s_or_b32 exec_lo, exec_lo, s18
	s_and_b32 s18, s1, exec_lo
	s_andn2_b32 s3, s3, exec_lo
	s_or_b32 exec_lo, exec_lo, s4
	s_and_saveexec_b32 s0, s3
	s_xor_b32 s0, exec_lo, s0
	s_cbranch_execz .LBB153_505
.LBB153_551:
	s_or_b32 s18, s18, exec_lo
	s_trap 2
	s_branch .LBB153_505
.LBB153_552:
	s_or_b32 s8, s8, exec_lo
	s_trap 2
	s_branch .LBB153_509
.LBB153_553:
	s_or_b32 s8, s8, exec_lo
	s_trap 2
	s_branch .LBB153_507
.LBB153_554:
	s_mov_b32 s0, exec_lo
	s_trap 2
	s_branch .LBB153_549
	.section	.rodata,"a",@progbits
	.p2align	6, 0x0
	.amdhsa_kernel _ZN2at6native6sbtopk10gatherTopKIimLin1ELb0EEEvNS_4cuda6detail10TensorInfoIKT_T0_EES8_S8_bS8_S8_NS5_IS6_S8_EES8_NS5_IlS8_EES8_PS6_
		.amdhsa_group_segment_fixed_size 5152
		.amdhsa_private_segment_fixed_size 0
		.amdhsa_kernarg_size 1568
		.amdhsa_user_sgpr_count 6
		.amdhsa_user_sgpr_private_segment_buffer 1
		.amdhsa_user_sgpr_dispatch_ptr 0
		.amdhsa_user_sgpr_queue_ptr 0
		.amdhsa_user_sgpr_kernarg_segment_ptr 1
		.amdhsa_user_sgpr_dispatch_id 0
		.amdhsa_user_sgpr_flat_scratch_init 0
		.amdhsa_user_sgpr_private_segment_size 0
		.amdhsa_wavefront_size32 1
		.amdhsa_uses_dynamic_stack 0
		.amdhsa_system_sgpr_private_segment_wavefront_offset 0
		.amdhsa_system_sgpr_workgroup_id_x 1
		.amdhsa_system_sgpr_workgroup_id_y 1
		.amdhsa_system_sgpr_workgroup_id_z 1
		.amdhsa_system_sgpr_workgroup_info 0
		.amdhsa_system_vgpr_workitem_id 0
		.amdhsa_next_free_vgpr 50
		.amdhsa_next_free_sgpr 105
		.amdhsa_reserve_vcc 1
		.amdhsa_reserve_flat_scratch 0
		.amdhsa_float_round_mode_32 0
		.amdhsa_float_round_mode_16_64 0
		.amdhsa_float_denorm_mode_32 3
		.amdhsa_float_denorm_mode_16_64 3
		.amdhsa_dx10_clamp 1
		.amdhsa_ieee_mode 1
		.amdhsa_fp16_overflow 0
		.amdhsa_workgroup_processor_mode 1
		.amdhsa_memory_ordered 1
		.amdhsa_forward_progress 1
		.amdhsa_shared_vgpr_count 0
		.amdhsa_exception_fp_ieee_invalid_op 0
		.amdhsa_exception_fp_denorm_src 0
		.amdhsa_exception_fp_ieee_div_zero 0
		.amdhsa_exception_fp_ieee_overflow 0
		.amdhsa_exception_fp_ieee_underflow 0
		.amdhsa_exception_fp_ieee_inexact 0
		.amdhsa_exception_int_div_zero 0
	.end_amdhsa_kernel
	.section	.text._ZN2at6native6sbtopk10gatherTopKIimLin1ELb0EEEvNS_4cuda6detail10TensorInfoIKT_T0_EES8_S8_bS8_S8_NS5_IS6_S8_EES8_NS5_IlS8_EES8_PS6_,"axG",@progbits,_ZN2at6native6sbtopk10gatherTopKIimLin1ELb0EEEvNS_4cuda6detail10TensorInfoIKT_T0_EES8_S8_bS8_S8_NS5_IS6_S8_EES8_NS5_IlS8_EES8_PS6_,comdat
.Lfunc_end153:
	.size	_ZN2at6native6sbtopk10gatherTopKIimLin1ELb0EEEvNS_4cuda6detail10TensorInfoIKT_T0_EES8_S8_bS8_S8_NS5_IS6_S8_EES8_NS5_IlS8_EES8_PS6_, .Lfunc_end153-_ZN2at6native6sbtopk10gatherTopKIimLin1ELb0EEEvNS_4cuda6detail10TensorInfoIKT_T0_EES8_S8_bS8_S8_NS5_IS6_S8_EES8_NS5_IlS8_EES8_PS6_
                                        ; -- End function
	.set _ZN2at6native6sbtopk10gatherTopKIimLin1ELb0EEEvNS_4cuda6detail10TensorInfoIKT_T0_EES8_S8_bS8_S8_NS5_IS6_S8_EES8_NS5_IlS8_EES8_PS6_.num_vgpr, 50
	.set _ZN2at6native6sbtopk10gatherTopKIimLin1ELb0EEEvNS_4cuda6detail10TensorInfoIKT_T0_EES8_S8_bS8_S8_NS5_IS6_S8_EES8_NS5_IlS8_EES8_PS6_.num_agpr, 0
	.set _ZN2at6native6sbtopk10gatherTopKIimLin1ELb0EEEvNS_4cuda6detail10TensorInfoIKT_T0_EES8_S8_bS8_S8_NS5_IS6_S8_EES8_NS5_IlS8_EES8_PS6_.numbered_sgpr, 105
	.set _ZN2at6native6sbtopk10gatherTopKIimLin1ELb0EEEvNS_4cuda6detail10TensorInfoIKT_T0_EES8_S8_bS8_S8_NS5_IS6_S8_EES8_NS5_IlS8_EES8_PS6_.num_named_barrier, 0
	.set _ZN2at6native6sbtopk10gatherTopKIimLin1ELb0EEEvNS_4cuda6detail10TensorInfoIKT_T0_EES8_S8_bS8_S8_NS5_IS6_S8_EES8_NS5_IlS8_EES8_PS6_.private_seg_size, 0
	.set _ZN2at6native6sbtopk10gatherTopKIimLin1ELb0EEEvNS_4cuda6detail10TensorInfoIKT_T0_EES8_S8_bS8_S8_NS5_IS6_S8_EES8_NS5_IlS8_EES8_PS6_.uses_vcc, 1
	.set _ZN2at6native6sbtopk10gatherTopKIimLin1ELb0EEEvNS_4cuda6detail10TensorInfoIKT_T0_EES8_S8_bS8_S8_NS5_IS6_S8_EES8_NS5_IlS8_EES8_PS6_.uses_flat_scratch, 0
	.set _ZN2at6native6sbtopk10gatherTopKIimLin1ELb0EEEvNS_4cuda6detail10TensorInfoIKT_T0_EES8_S8_bS8_S8_NS5_IS6_S8_EES8_NS5_IlS8_EES8_PS6_.has_dyn_sized_stack, 0
	.set _ZN2at6native6sbtopk10gatherTopKIimLin1ELb0EEEvNS_4cuda6detail10TensorInfoIKT_T0_EES8_S8_bS8_S8_NS5_IS6_S8_EES8_NS5_IlS8_EES8_PS6_.has_recursion, 0
	.set _ZN2at6native6sbtopk10gatherTopKIimLin1ELb0EEEvNS_4cuda6detail10TensorInfoIKT_T0_EES8_S8_bS8_S8_NS5_IS6_S8_EES8_NS5_IlS8_EES8_PS6_.has_indirect_call, 0
	.section	.AMDGPU.csdata,"",@progbits
; Kernel info:
; codeLenInByte = 27272
; TotalNumSgprs: 107
; NumVgprs: 50
; ScratchSize: 0
; MemoryBound: 0
; FloatMode: 240
; IeeeMode: 1
; LDSByteSize: 5152 bytes/workgroup (compile time only)
; SGPRBlocks: 0
; VGPRBlocks: 6
; NumSGPRsForWavesPerEU: 107
; NumVGPRsForWavesPerEU: 50
; Occupancy: 16
; WaveLimiterHint : 1
; COMPUTE_PGM_RSRC2:SCRATCH_EN: 0
; COMPUTE_PGM_RSRC2:USER_SGPR: 6
; COMPUTE_PGM_RSRC2:TRAP_HANDLER: 0
; COMPUTE_PGM_RSRC2:TGID_X_EN: 1
; COMPUTE_PGM_RSRC2:TGID_Y_EN: 1
; COMPUTE_PGM_RSRC2:TGID_Z_EN: 1
; COMPUTE_PGM_RSRC2:TIDIG_COMP_CNT: 0
	.section	.text._ZN2at6native6mbtopk23computeBlockDigitCountsIlmmLi1EEEvNS_4cuda6detail10TensorInfoIKT_T0_EEjPjjS8_iijT1_PSB_Ps,"axG",@progbits,_ZN2at6native6mbtopk23computeBlockDigitCountsIlmmLi1EEEvNS_4cuda6detail10TensorInfoIKT_T0_EEjPjjS8_iijT1_PSB_Ps,comdat
	.protected	_ZN2at6native6mbtopk23computeBlockDigitCountsIlmmLi1EEEvNS_4cuda6detail10TensorInfoIKT_T0_EEjPjjS8_iijT1_PSB_Ps ; -- Begin function _ZN2at6native6mbtopk23computeBlockDigitCountsIlmmLi1EEEvNS_4cuda6detail10TensorInfoIKT_T0_EEjPjjS8_iijT1_PSB_Ps
	.globl	_ZN2at6native6mbtopk23computeBlockDigitCountsIlmmLi1EEEvNS_4cuda6detail10TensorInfoIKT_T0_EEjPjjS8_iijT1_PSB_Ps
	.p2align	8
	.type	_ZN2at6native6mbtopk23computeBlockDigitCountsIlmmLi1EEEvNS_4cuda6detail10TensorInfoIKT_T0_EEjPjjS8_iijT1_PSB_Ps,@function
_ZN2at6native6mbtopk23computeBlockDigitCountsIlmmLi1EEEvNS_4cuda6detail10TensorInfoIKT_T0_EEjPjjS8_iijT1_PSB_Ps: ; @_ZN2at6native6mbtopk23computeBlockDigitCountsIlmmLi1EEEvNS_4cuda6detail10TensorInfoIKT_T0_EEjPjjS8_iijT1_PSB_Ps
; %bb.0:
	s_clause 0x2
	s_load_dwordx4 s[0:3], s[4:5], 0x1c0
	s_load_dword s9, s[4:5], 0x1b0
	s_load_dwordx2 s[10:11], s[4:5], 0x1e8
	s_mov_b32 s13, 0
	s_waitcnt lgkmcnt(0)
	v_cvt_f32_u32_e32 v1, s2
	s_mul_i32 s8, s11, s8
	s_sub_i32 s11, 0, s2
	s_add_i32 s7, s8, s7
	v_rcp_iflag_f32_e32 v1, v1
	s_mul_i32 s16, s7, s10
	s_add_i32 s16, s16, s6
	v_mul_f32_e32 v1, 0x4f7ffffe, v1
	v_cvt_u32_f32_e32 v1, v1
	v_readfirstlane_b32 s3, v1
	s_mul_i32 s11, s11, s3
	s_mul_hi_u32 s7, s3, s11
	s_add_i32 s3, s3, s7
	s_mul_hi_u32 s3, s16, s3
	s_mul_i32 s6, s3, s2
	s_add_i32 s7, s3, 1
	s_sub_i32 s6, s16, s6
	s_sub_i32 s8, s6, s2
	s_cmp_ge_u32 s6, s2
	s_cselect_b32 s3, s7, s3
	s_cselect_b32 s6, s8, s6
	s_add_i32 s7, s3, 1
	s_cmp_ge_u32 s6, s2
	s_cselect_b32 s12, s7, s3
	s_cmp_ge_u32 s12, s9
	s_cbranch_scc1 .LBB154_21
; %bb.1:
	s_clause 0x1
	s_load_dwordx4 s[8:11], s[4:5], 0x1d0
	s_load_dwordx2 s[6:7], s[4:5], 0x1e0
	s_lshl_b64 s[14:15], s[12:13], 3
	v_cmp_gt_u32_e32 vcc_lo, 0x100, v0
	v_lshlrev_b32_e32 v3, 2, v0
	s_waitcnt lgkmcnt(0)
	s_add_u32 s14, s10, s14
	s_addc_u32 s15, s11, s15
	s_and_saveexec_b32 s3, vcc_lo
; %bb.2:
	v_mov_b32_e32 v1, 0
	ds_write_b32 v3, v1
; %bb.3:
	s_or_b32 exec_lo, exec_lo, s3
	s_load_dword s13, s[4:5], 0x1a0
	s_mul_i32 s3, s12, s2
	s_mov_b32 s18, 0
	s_sub_i32 s3, s16, s3
	s_waitcnt lgkmcnt(0)
	s_mul_i32 s10, s1, s3
	s_add_i32 s3, s3, 1
	s_lshl_b32 s19, s10, 8
	s_barrier
	buffer_gl0_inv
	s_sub_i32 s10, s13, s19
	s_add_u32 s10, s10, 0xff
	s_addc_u32 s11, 0, 0
	s_lshr_b64 s[10:11], s[10:11], 8
	s_cmp_lt_u32 s3, s2
	s_cselect_b32 s17, s1, s10
	s_cmp_lt_i32 s17, 1
	s_cbranch_scc1 .LBB154_19
; %bb.4:
	s_clause 0x2
	s_load_dwordx2 s[20:21], s[4:5], 0xd0
	s_load_dwordx2 s[10:11], s[4:5], 0x1b8
	;; [unrolled: 1-line block ×4, first 2 shown]
	v_add_nc_u32_e32 v4, s19, v0
	s_waitcnt lgkmcnt(0)
	s_mul_i32 s1, s21, s12
	s_mul_hi_u32 s15, s20, s12
	s_mul_i32 s14, s20, s12
	s_add_i32 s15, s15, s1
	s_lshl_b64 s[14:15], s[14:15], 3
	s_add_u32 s4, s4, s14
	s_addc_u32 s5, s5, s15
	s_and_b32 s1, s0, 0xff
	s_cmp_eq_u32 s17, 1
	s_cbranch_scc1 .LBB154_14
; %bb.5:
	v_mov_b32_e32 v5, 1
	v_mov_b32_e32 v6, 2
	;; [unrolled: 1-line block ×3, first 2 shown]
	s_and_b32 s12, s17, 0x7ffffffe
	s_mov_b32 s14, 0
	s_branch .LBB154_7
.LBB154_6:                              ;   in Loop: Header=BB154_7 Depth=1
	s_or_b32 exec_lo, exec_lo, s15
	v_add_nc_u32_e32 v7, 0x200, v7
	s_add_i32 s14, s14, 2
	s_cmp_eq_u32 s12, s14
	s_cbranch_scc1 .LBB154_13
.LBB154_7:                              ; =>This Inner Loop Header: Depth=1
	s_mov_b32 s15, exec_lo
	v_cmpx_gt_u32_e64 s13, v7
	s_cbranch_execz .LBB154_10
; %bb.8:                                ;   in Loop: Header=BB154_7 Depth=1
	v_mad_u64_u32 v[1:2], null, s10, v7, 0
	v_mad_u64_u32 v[8:9], null, s11, v7, v[2:3]
	v_mov_b32_e32 v2, v8
	v_lshlrev_b64 v[1:2], 3, v[1:2]
	v_add_co_u32 v1, s0, s4, v1
	v_add_co_ci_u32_e64 v2, null, s5, v2, s0
	global_load_dwordx2 v[1:2], v[1:2], off
	s_waitcnt vmcnt(0)
	v_xor_b32_e32 v2, 0x80000000, v2
	v_xor_b32_e32 v10, s2, v1
	;; [unrolled: 1-line block ×3, first 2 shown]
	v_and_b32_e32 v9, s9, v8
	v_and_b32_e32 v8, s8, v10
	v_cmp_eq_u64_e64 s0, 0, v[8:9]
	s_and_b32 exec_lo, exec_lo, s0
; %bb.9:                                ;   in Loop: Header=BB154_7 Depth=1
	v_lshrrev_b64 v[1:2], s1, v[1:2]
	v_lshlrev_b32_sdwa v1, v6, v1 dst_sel:DWORD dst_unused:UNUSED_PAD src0_sel:DWORD src1_sel:BYTE_0
	ds_add_u32 v1, v5
.LBB154_10:                             ;   in Loop: Header=BB154_7 Depth=1
	s_or_b32 exec_lo, exec_lo, s15
	v_add_nc_u32_e32 v1, 0x100, v7
	s_mov_b32 s15, exec_lo
	v_cmpx_gt_u32_e64 s13, v1
	s_cbranch_execz .LBB154_6
; %bb.11:                               ;   in Loop: Header=BB154_7 Depth=1
	v_mad_u64_u32 v[8:9], null, s10, v1, 0
	v_mov_b32_e32 v2, v9
	v_mad_u64_u32 v[1:2], null, s11, v1, v[2:3]
	v_mov_b32_e32 v9, v1
	v_lshlrev_b64 v[1:2], 3, v[8:9]
	v_add_co_u32 v1, s0, s4, v1
	v_add_co_ci_u32_e64 v2, null, s5, v2, s0
	global_load_dwordx2 v[1:2], v[1:2], off
	s_waitcnt vmcnt(0)
	v_xor_b32_e32 v2, 0x80000000, v2
	v_xor_b32_e32 v10, s2, v1
	;; [unrolled: 1-line block ×3, first 2 shown]
	v_and_b32_e32 v9, s9, v8
	v_and_b32_e32 v8, s8, v10
	v_cmp_eq_u64_e64 s0, 0, v[8:9]
	s_and_b32 exec_lo, exec_lo, s0
	s_cbranch_execz .LBB154_6
; %bb.12:                               ;   in Loop: Header=BB154_7 Depth=1
	v_lshrrev_b64 v[1:2], s1, v[1:2]
	v_lshlrev_b32_sdwa v1, v6, v1 dst_sel:DWORD dst_unused:UNUSED_PAD src0_sel:DWORD src1_sel:BYTE_0
	ds_add_u32 v1, v5
	s_branch .LBB154_6
.LBB154_13:
	s_lshl_b32 s18, s12, 8
.LBB154_14:
	s_bitcmp0_b32 s17, 0
	s_cbranch_scc1 .LBB154_19
; %bb.15:
	v_add_nc_u32_e32 v1, s18, v4
	s_mov_b32 s12, exec_lo
	v_cmpx_gt_u32_e64 s13, v1
	s_cbranch_execz .LBB154_18
; %bb.16:
	v_mad_u64_u32 v[4:5], null, s10, v1, 0
	v_mov_b32_e32 v2, v5
	v_mad_u64_u32 v[1:2], null, s11, v1, v[2:3]
	v_mov_b32_e32 v5, v1
	v_lshlrev_b64 v[1:2], 3, v[4:5]
	v_add_co_u32 v1, s0, s4, v1
	v_add_co_ci_u32_e64 v2, null, s5, v2, s0
	global_load_dwordx2 v[1:2], v[1:2], off
	s_waitcnt vmcnt(0)
	v_xor_b32_e32 v2, 0x80000000, v2
	v_xor_b32_e32 v6, s2, v1
	;; [unrolled: 1-line block ×3, first 2 shown]
	v_and_b32_e32 v5, s9, v4
	v_and_b32_e32 v4, s8, v6
	v_cmp_eq_u64_e64 s0, 0, v[4:5]
	s_and_b32 exec_lo, exec_lo, s0
	s_cbranch_execz .LBB154_18
; %bb.17:
	v_lshrrev_b64 v[1:2], s1, v[1:2]
	v_mov_b32_e32 v2, 2
	v_lshlrev_b32_sdwa v1, v2, v1 dst_sel:DWORD dst_unused:UNUSED_PAD src0_sel:DWORD src1_sel:BYTE_0
	v_mov_b32_e32 v2, 1
	ds_add_u32 v1, v2
.LBB154_18:
	s_or_b32 exec_lo, exec_lo, s12
.LBB154_19:
	s_waitcnt lgkmcnt(0)
	s_barrier
	buffer_gl0_inv
	s_and_saveexec_b32 s0, vcc_lo
	s_cbranch_execz .LBB154_21
; %bb.20:
	ds_read_b32 v2, v3
	v_lshl_or_b32 v0, s16, 8, v0
	v_mov_b32_e32 v1, 0
	v_lshlrev_b64 v[0:1], 1, v[0:1]
	v_add_co_u32 v0, vcc_lo, s6, v0
	v_add_co_ci_u32_e64 v1, null, s7, v1, vcc_lo
	s_waitcnt lgkmcnt(0)
	global_store_short v[0:1], v2, off
.LBB154_21:
	s_endpgm
	.section	.rodata,"a",@progbits
	.p2align	6, 0x0
	.amdhsa_kernel _ZN2at6native6mbtopk23computeBlockDigitCountsIlmmLi1EEEvNS_4cuda6detail10TensorInfoIKT_T0_EEjPjjS8_iijT1_PSB_Ps
		.amdhsa_group_segment_fixed_size 1024
		.amdhsa_private_segment_fixed_size 0
		.amdhsa_kernarg_size 744
		.amdhsa_user_sgpr_count 6
		.amdhsa_user_sgpr_private_segment_buffer 1
		.amdhsa_user_sgpr_dispatch_ptr 0
		.amdhsa_user_sgpr_queue_ptr 0
		.amdhsa_user_sgpr_kernarg_segment_ptr 1
		.amdhsa_user_sgpr_dispatch_id 0
		.amdhsa_user_sgpr_flat_scratch_init 0
		.amdhsa_user_sgpr_private_segment_size 0
		.amdhsa_wavefront_size32 1
		.amdhsa_uses_dynamic_stack 0
		.amdhsa_system_sgpr_private_segment_wavefront_offset 0
		.amdhsa_system_sgpr_workgroup_id_x 1
		.amdhsa_system_sgpr_workgroup_id_y 1
		.amdhsa_system_sgpr_workgroup_id_z 1
		.amdhsa_system_sgpr_workgroup_info 0
		.amdhsa_system_vgpr_workitem_id 0
		.amdhsa_next_free_vgpr 11
		.amdhsa_next_free_sgpr 22
		.amdhsa_reserve_vcc 1
		.amdhsa_reserve_flat_scratch 0
		.amdhsa_float_round_mode_32 0
		.amdhsa_float_round_mode_16_64 0
		.amdhsa_float_denorm_mode_32 3
		.amdhsa_float_denorm_mode_16_64 3
		.amdhsa_dx10_clamp 1
		.amdhsa_ieee_mode 1
		.amdhsa_fp16_overflow 0
		.amdhsa_workgroup_processor_mode 1
		.amdhsa_memory_ordered 1
		.amdhsa_forward_progress 1
		.amdhsa_shared_vgpr_count 0
		.amdhsa_exception_fp_ieee_invalid_op 0
		.amdhsa_exception_fp_denorm_src 0
		.amdhsa_exception_fp_ieee_div_zero 0
		.amdhsa_exception_fp_ieee_overflow 0
		.amdhsa_exception_fp_ieee_underflow 0
		.amdhsa_exception_fp_ieee_inexact 0
		.amdhsa_exception_int_div_zero 0
	.end_amdhsa_kernel
	.section	.text._ZN2at6native6mbtopk23computeBlockDigitCountsIlmmLi1EEEvNS_4cuda6detail10TensorInfoIKT_T0_EEjPjjS8_iijT1_PSB_Ps,"axG",@progbits,_ZN2at6native6mbtopk23computeBlockDigitCountsIlmmLi1EEEvNS_4cuda6detail10TensorInfoIKT_T0_EEjPjjS8_iijT1_PSB_Ps,comdat
.Lfunc_end154:
	.size	_ZN2at6native6mbtopk23computeBlockDigitCountsIlmmLi1EEEvNS_4cuda6detail10TensorInfoIKT_T0_EEjPjjS8_iijT1_PSB_Ps, .Lfunc_end154-_ZN2at6native6mbtopk23computeBlockDigitCountsIlmmLi1EEEvNS_4cuda6detail10TensorInfoIKT_T0_EEjPjjS8_iijT1_PSB_Ps
                                        ; -- End function
	.set _ZN2at6native6mbtopk23computeBlockDigitCountsIlmmLi1EEEvNS_4cuda6detail10TensorInfoIKT_T0_EEjPjjS8_iijT1_PSB_Ps.num_vgpr, 11
	.set _ZN2at6native6mbtopk23computeBlockDigitCountsIlmmLi1EEEvNS_4cuda6detail10TensorInfoIKT_T0_EEjPjjS8_iijT1_PSB_Ps.num_agpr, 0
	.set _ZN2at6native6mbtopk23computeBlockDigitCountsIlmmLi1EEEvNS_4cuda6detail10TensorInfoIKT_T0_EEjPjjS8_iijT1_PSB_Ps.numbered_sgpr, 22
	.set _ZN2at6native6mbtopk23computeBlockDigitCountsIlmmLi1EEEvNS_4cuda6detail10TensorInfoIKT_T0_EEjPjjS8_iijT1_PSB_Ps.num_named_barrier, 0
	.set _ZN2at6native6mbtopk23computeBlockDigitCountsIlmmLi1EEEvNS_4cuda6detail10TensorInfoIKT_T0_EEjPjjS8_iijT1_PSB_Ps.private_seg_size, 0
	.set _ZN2at6native6mbtopk23computeBlockDigitCountsIlmmLi1EEEvNS_4cuda6detail10TensorInfoIKT_T0_EEjPjjS8_iijT1_PSB_Ps.uses_vcc, 1
	.set _ZN2at6native6mbtopk23computeBlockDigitCountsIlmmLi1EEEvNS_4cuda6detail10TensorInfoIKT_T0_EEjPjjS8_iijT1_PSB_Ps.uses_flat_scratch, 0
	.set _ZN2at6native6mbtopk23computeBlockDigitCountsIlmmLi1EEEvNS_4cuda6detail10TensorInfoIKT_T0_EEjPjjS8_iijT1_PSB_Ps.has_dyn_sized_stack, 0
	.set _ZN2at6native6mbtopk23computeBlockDigitCountsIlmmLi1EEEvNS_4cuda6detail10TensorInfoIKT_T0_EEjPjjS8_iijT1_PSB_Ps.has_recursion, 0
	.set _ZN2at6native6mbtopk23computeBlockDigitCountsIlmmLi1EEEvNS_4cuda6detail10TensorInfoIKT_T0_EEjPjjS8_iijT1_PSB_Ps.has_indirect_call, 0
	.section	.AMDGPU.csdata,"",@progbits
; Kernel info:
; codeLenInByte = 976
; TotalNumSgprs: 24
; NumVgprs: 11
; ScratchSize: 0
; MemoryBound: 0
; FloatMode: 240
; IeeeMode: 1
; LDSByteSize: 1024 bytes/workgroup (compile time only)
; SGPRBlocks: 0
; VGPRBlocks: 1
; NumSGPRsForWavesPerEU: 24
; NumVGPRsForWavesPerEU: 11
; Occupancy: 16
; WaveLimiterHint : 1
; COMPUTE_PGM_RSRC2:SCRATCH_EN: 0
; COMPUTE_PGM_RSRC2:USER_SGPR: 6
; COMPUTE_PGM_RSRC2:TRAP_HANDLER: 0
; COMPUTE_PGM_RSRC2:TGID_X_EN: 1
; COMPUTE_PGM_RSRC2:TGID_Y_EN: 1
; COMPUTE_PGM_RSRC2:TGID_Z_EN: 1
; COMPUTE_PGM_RSRC2:TIDIG_COMP_CNT: 0
	.section	.text._ZN2at6native6mbtopk10gatherTopKIlmLi1EEEvNS_4cuda6detail10TensorInfoIKT_T0_EES8_S8_bjS8_NS5_IS6_S8_EES8_NS5_IlS8_EES8_jjPS6_PjSD_j,"axG",@progbits,_ZN2at6native6mbtopk10gatherTopKIlmLi1EEEvNS_4cuda6detail10TensorInfoIKT_T0_EES8_S8_bjS8_NS5_IS6_S8_EES8_NS5_IlS8_EES8_jjPS6_PjSD_j,comdat
	.protected	_ZN2at6native6mbtopk10gatherTopKIlmLi1EEEvNS_4cuda6detail10TensorInfoIKT_T0_EES8_S8_bjS8_NS5_IS6_S8_EES8_NS5_IlS8_EES8_jjPS6_PjSD_j ; -- Begin function _ZN2at6native6mbtopk10gatherTopKIlmLi1EEEvNS_4cuda6detail10TensorInfoIKT_T0_EES8_S8_bjS8_NS5_IS6_S8_EES8_NS5_IlS8_EES8_jjPS6_PjSD_j
	.globl	_ZN2at6native6mbtopk10gatherTopKIlmLi1EEEvNS_4cuda6detail10TensorInfoIKT_T0_EES8_S8_bjS8_NS5_IS6_S8_EES8_NS5_IlS8_EES8_jjPS6_PjSD_j
	.p2align	8
	.type	_ZN2at6native6mbtopk10gatherTopKIlmLi1EEEvNS_4cuda6detail10TensorInfoIKT_T0_EES8_S8_bjS8_NS5_IS6_S8_EES8_NS5_IlS8_EES8_jjPS6_PjSD_j,@function
_ZN2at6native6mbtopk10gatherTopKIlmLi1EEEvNS_4cuda6detail10TensorInfoIKT_T0_EES8_S8_bjS8_NS5_IS6_S8_EES8_NS5_IlS8_EES8_jjPS6_PjSD_j: ; @_ZN2at6native6mbtopk10gatherTopKIlmLi1EEEvNS_4cuda6detail10TensorInfoIKT_T0_EES8_S8_bjS8_NS5_IS6_S8_EES8_NS5_IlS8_EES8_jjPS6_PjSD_j
; %bb.0:
	s_clause 0x1
	s_load_dwordx2 s[0:1], s[4:5], 0x538
	s_load_dword s2, s[4:5], 0x530
	s_waitcnt lgkmcnt(0)
	s_mul_i32 s1, s1, s8
	s_add_i32 s1, s1, s7
	s_mul_i32 s0, s1, s0
	s_add_i32 s0, s0, s6
	s_cmp_ge_u32 s0, s2
	s_cbranch_scc1 .LBB155_42
; %bb.1:
	s_clause 0x1
	s_load_dwordx2 s[6:7], s[4:5], 0x510
	s_load_dwordx4 s[8:11], s[4:5], 0x1a0
	s_mov_b32 s23, 0
	s_waitcnt lgkmcnt(0)
	v_cvt_f32_u32_e32 v1, s7
	s_sub_i32 s2, 0, s7
	s_lshl_b32 s33, s6, 8
	v_rcp_iflag_f32_e32 v1, v1
	v_mul_f32_e32 v1, 0x4f7ffffe, v1
	v_cvt_u32_f32_e32 v1, v1
	v_readfirstlane_b32 s1, v1
	s_mul_i32 s2, s2, s1
	s_mul_hi_u32 s2, s1, s2
	s_add_i32 s1, s1, s2
	s_mul_hi_u32 s1, s0, s1
	s_mul_i32 s2, s1, s7
	s_add_i32 s3, s1, 1
	s_sub_i32 s2, s0, s2
	s_sub_i32 s12, s2, s7
	s_cmp_ge_u32 s2, s7
	s_cselect_b32 s1, s3, s1
	s_cselect_b32 s2, s12, s2
	s_add_i32 s3, s1, 1
	s_cmp_ge_u32 s2, s7
	s_cselect_b32 s22, s3, s1
	s_mul_i32 s16, s22, s7
	s_sub_i32 s38, s0, s16
	s_add_i32 s0, s38, 1
	s_cmp_lt_u32 s0, s7
	s_cbranch_scc1 .LBB155_3
; %bb.2:
	s_mul_i32 s0, s38, s33
	s_sub_u32 s0, s8, s0
	s_subb_u32 s1, s9, 0
	s_add_u32 s0, s0, 0xff
	s_addc_u32 s1, s1, 0
	s_ashr_i32 s2, s1, 31
	s_lshr_b32 s2, s2, 24
	s_add_u32 s0, s0, s2
	s_addc_u32 s1, s1, 0
	s_lshr_b64 s[0:1], s[0:1], 8
	s_mov_b32 s6, s0
.LBB155_3:
	s_load_dwordx4 s[0:3], s[4:5], 0x518
	s_lshl_b64 s[12:13], s[22:23], 3
	s_waitcnt lgkmcnt(0)
	s_add_u32 s0, s0, s12
	s_addc_u32 s1, s1, s13
	s_clause 0x3
	s_load_dwordx2 s[24:25], s[4:5], 0x0
	s_load_dwordx2 s[30:31], s[4:5], 0xd0
	;; [unrolled: 1-line block ×5, first 2 shown]
	v_cmp_ne_u32_e64 s0, 0, v0
	v_cmp_eq_u32_e64 s1, 0, v0
	s_and_saveexec_b32 s23, s1
	s_cbranch_execz .LBB155_19
; %bb.4:
	s_load_dwordx2 s[18:19], s[4:5], 0x528
	s_mov_b32 s17, 0
	s_mov_b32 s39, 0
	s_lshl_b64 s[34:35], s[16:17], 2
	s_mov_b32 s16, 0
	s_add_u32 s12, s2, s34
	s_addc_u32 s13, s3, s35
	s_waitcnt lgkmcnt(0)
	s_add_u32 s14, s18, s34
	s_addc_u32 s15, s19, s35
	s_cmp_lt_u32 s7, 4
	s_cbranch_scc1 .LBB155_16
; %bb.5:
	s_mov_b32 s40, 0
.LBB155_6:                              ; =>This Inner Loop Header: Depth=1
	s_add_u32 s12, s2, s34
	s_addc_u32 s13, s3, s35
	s_add_u32 s36, s18, s34
	s_load_dwordx4 s[12:15], s[12:13], 0x0
	s_addc_u32 s37, s19, s35
	s_cmp_ge_u32 s40, s38
	s_cbranch_scc0 .LBB155_13
; %bb.7:                                ;   in Loop: Header=BB155_6 Depth=1
	s_add_i32 s41, s40, 1
	s_cmp_ge_u32 s41, s38
	s_cbranch_scc0 .LBB155_14
.LBB155_8:                              ;   in Loop: Header=BB155_6 Depth=1
	s_add_i32 s41, s41, 1
	s_cmp_ge_u32 s41, s38
	s_cbranch_scc0 .LBB155_15
.LBB155_9:                              ;   in Loop: Header=BB155_6 Depth=1
	s_add_i32 s41, s41, 1
	s_cmp_ge_u32 s41, s38
	s_cbranch_scc1 .LBB155_11
.LBB155_10:                             ;   in Loop: Header=BB155_6 Depth=1
	s_load_dword s36, s[36:37], 0xc
	s_waitcnt lgkmcnt(0)
	s_add_i32 s17, s17, s15
	s_add_i32 s16, s36, s16
.LBB155_11:                             ;   in Loop: Header=BB155_6 Depth=1
	s_waitcnt lgkmcnt(0)
	s_add_i32 s12, s12, s39
	s_add_i32 s12, s12, s13
	;; [unrolled: 1-line block ×4, first 2 shown]
	s_add_u32 s2, s2, 16
	s_addc_u32 s3, s3, 0
	s_add_u32 s18, s18, 16
	s_addc_u32 s19, s19, 0
	s_add_i32 s37, s41, 4
	s_add_u32 s14, s18, s34
	s_addc_u32 s15, s19, s35
	s_add_u32 s12, s2, s34
	s_addc_u32 s13, s3, s35
	s_add_i32 s36, s41, 1
	s_cmp_ge_u32 s37, s7
	s_cbranch_scc1 .LBB155_17
; %bb.12:                               ;   in Loop: Header=BB155_6 Depth=1
	s_mov_b32 s40, s36
	s_branch .LBB155_6
.LBB155_13:                             ;   in Loop: Header=BB155_6 Depth=1
	s_load_dword s41, s[36:37], 0x0
	s_waitcnt lgkmcnt(0)
	s_add_i32 s17, s12, s17
	s_add_i32 s16, s41, s16
	;; [unrolled: 1-line block ×3, first 2 shown]
	s_cmp_ge_u32 s41, s38
	s_cbranch_scc1 .LBB155_8
.LBB155_14:                             ;   in Loop: Header=BB155_6 Depth=1
	s_load_dword s42, s[36:37], 0x4
	s_waitcnt lgkmcnt(0)
	s_add_i32 s17, s17, s13
	s_add_i32 s16, s42, s16
	;; [unrolled: 1-line block ×3, first 2 shown]
	s_cmp_ge_u32 s41, s38
	s_cbranch_scc1 .LBB155_9
.LBB155_15:                             ;   in Loop: Header=BB155_6 Depth=1
	s_load_dword s42, s[36:37], 0x8
	s_waitcnt lgkmcnt(0)
	s_add_i32 s17, s17, s14
	s_add_i32 s16, s42, s16
	;; [unrolled: 1-line block ×3, first 2 shown]
	s_cmp_ge_u32 s41, s38
	s_cbranch_scc0 .LBB155_10
	s_branch .LBB155_11
.LBB155_16:
	s_mov_b32 s2, 0
	s_cmp_ge_u32 s2, s7
	s_cbranch_scc0 .LBB155_40
	s_branch .LBB155_18
.LBB155_17:
	s_add_i32 s2, s40, 4
	s_cmp_ge_u32 s2, s7
	s_cbranch_scc0 .LBB155_40
.LBB155_18:
	v_mov_b32_e32 v1, s16
	v_mov_b32_e32 v2, s39
	;; [unrolled: 1-line block ×4, first 2 shown]
	ds_write_b96 v4, v[1:3] offset:1056
.LBB155_19:
	s_or_b32 exec_lo, exec_lo, s23
	s_clause 0x1
	s_load_dwordx4 s[12:15], s[4:5], 0x1b8
	s_load_dwordx4 s[16:19], s[4:5], 0x360
	s_cmp_eq_u32 s6, 0
	s_waitcnt lgkmcnt(0)
	s_barrier
	buffer_gl0_inv
	s_cbranch_scc1 .LBB155_42
; %bb.20:
	v_mov_b32_e32 v5, 0
	s_mul_i32 s2, s31, s22
	s_mul_hi_u32 s3, s30, s22
	s_mul_i32 s7, s29, s22
	s_mul_hi_u32 s23, s28, s22
	ds_read_b96 v[1:3], v5 offset:1056
	s_add_i32 s3, s3, s2
	s_mul_i32 s2, s30, s22
	s_add_i32 s29, s23, s7
	s_mul_i32 s7, s27, s22
	s_mul_hi_u32 s23, s26, s22
	s_lshl_b64 s[2:3], s[2:3], 3
	s_mul_i32 s28, s28, s22
	s_add_i32 s27, s23, s7
	s_add_u32 s7, s24, s2
	s_addc_u32 s23, s25, s3
	s_lshl_b64 s[2:3], s[28:29], 3
	s_mul_i32 s26, s26, s22
	s_add_u32 s22, s14, s2
	s_addc_u32 s24, s15, s3
	s_lshl_b64 s[2:3], s[26:27], 3
	v_add_nc_u32_e32 v4, -1, v0
	s_add_u32 s18, s18, s2
	s_addc_u32 s19, s19, s3
	s_clause 0x1
	s_load_dword s3, s[4:5], 0x1b0
	s_load_dwordx2 s[4:5], s[4:5], 0x508
	v_lshrrev_b32_e32 v6, 3, v0
	v_lshrrev_b32_e32 v7, 3, v4
	s_waitcnt lgkmcnt(0)
	v_add_nc_u32_e32 v1, v1, v2
	v_and_b32_e32 v8, 0xfc, v0
	v_lshlrev_b32_e32 v9, 5, v0
	v_and_b32_e32 v2, 28, v6
	v_and_b32_e32 v12, 0x1ffffffc, v7
	v_mad_u64_u32 v[6:7], null, s38, s33, v[0:1]
	v_mbcnt_lo_u32_b32 v10, -1, 0
	s_xor_b32 s15, s21, 0x80000000
	v_lshl_add_u32 v11, v0, 2, v2
	v_cmp_gt_u32_e64 s2, 32, v0
	v_lshl_add_u32 v0, v4, 2, v12
	v_add_nc_u32_e32 v12, v8, v9
	v_and_b32_e32 v13, 15, v10
	v_bfe_i32 v14, v10, 4, 1
	v_add_nc_u32_e32 v15, -1, v10
	v_mov_b32_e32 v4, v6
	s_bitcmp1_b32 s3, 0
	s_mov_b32 s14, s20
	s_cselect_b32 s3, -1, 0
                                        ; implicit-def: $vgpr6_vgpr7
	s_branch .LBB155_23
.LBB155_21:                             ;   in Loop: Header=BB155_23 Depth=1
	s_or_b32 exec_lo, exec_lo, s25
	v_add_nc_u32_e32 v1, v2, v1
.LBB155_22:                             ;   in Loop: Header=BB155_23 Depth=1
	v_add_nc_u32_e32 v3, v16, v3
	v_add_nc_u32_e32 v4, 0x100, v4
	s_add_i32 s6, s6, -1
	s_cmp_lg_u32 s6, 0
	s_cbranch_scc0 .LBB155_42
.LBB155_23:                             ; =>This Inner Loop Header: Depth=1
	v_mov_b32_e32 v2, v5
	v_mov_b32_e32 v8, v5
	s_mov_b32 s25, exec_lo
	v_cmpx_gt_u64_e64 s[8:9], v[4:5]
	s_cbranch_execz .LBB155_25
; %bb.24:                               ;   in Loop: Header=BB155_23 Depth=1
	v_mad_u64_u32 v[6:7], null, s12, v4, 0
	v_mov_b32_e32 v2, v7
	v_mad_u64_u32 v[7:8], null, s13, v4, v[2:3]
	v_lshlrev_b64 v[6:7], 3, v[6:7]
	v_add_co_u32 v6, vcc_lo, s7, v6
	v_add_co_ci_u32_e64 v7, null, s23, v7, vcc_lo
	global_load_dwordx2 v[6:7], v[6:7], off
	s_waitcnt vmcnt(0)
	v_xor_b32_e32 v9, 0x80000000, v7
	v_mov_b32_e32 v8, v6
	v_cmp_lt_u64_e32 vcc_lo, s[14:15], v[8:9]
	v_cndmask_b32_e64 v2, 0, 1, vcc_lo
	v_cmp_gt_u64_e32 vcc_lo, s[14:15], v[8:9]
	v_cndmask_b32_e64 v8, 0, 1, vcc_lo
	v_cmp_eq_u64_e32 vcc_lo, s[20:21], v[6:7]
	v_cndmask_b32_e64 v2, v8, v2, s3
	v_cndmask_b32_e64 v8, 0, 1, vcc_lo
	v_and_b32_e32 v2, 1, v2
.LBB155_25:                             ;   in Loop: Header=BB155_23 Depth=1
	s_or_b32 exec_lo, exec_lo, s25
	ds_write_b32 v11, v2
	s_waitcnt lgkmcnt(0)
	s_barrier
	buffer_gl0_inv
	s_and_saveexec_b32 s25, s2
	s_cbranch_execz .LBB155_27
; %bb.26:                               ;   in Loop: Header=BB155_23 Depth=1
	ds_read2_b32 v[16:17], v12 offset1:1
	ds_read2_b32 v[18:19], v12 offset0:2 offset1:3
	ds_read2_b32 v[20:21], v12 offset0:4 offset1:5
	;; [unrolled: 1-line block ×3, first 2 shown]
	v_cmp_ne_u32_e32 vcc_lo, 0, v13
	; wave barrier
	s_waitcnt lgkmcnt(3)
	v_add_nc_u32_e32 v9, v17, v16
	s_waitcnt lgkmcnt(2)
	v_add3_u32 v9, v9, v18, v19
	s_waitcnt lgkmcnt(1)
	v_add3_u32 v9, v9, v20, v21
	;; [unrolled: 2-line block ×3, first 2 shown]
	v_mov_b32_dpp v17, v9 row_shr:1 row_mask:0xf bank_mask:0xf
	v_cndmask_b32_e32 v17, 0, v17, vcc_lo
	v_cmp_lt_u32_e32 vcc_lo, 1, v13
	v_add_nc_u32_e32 v9, v17, v9
	v_mov_b32_dpp v17, v9 row_shr:2 row_mask:0xf bank_mask:0xf
	v_cndmask_b32_e32 v17, 0, v17, vcc_lo
	v_cmp_lt_u32_e32 vcc_lo, 3, v13
	v_add_nc_u32_e32 v9, v9, v17
	;; [unrolled: 4-line block ×3, first 2 shown]
	v_mov_b32_dpp v17, v9 row_shr:8 row_mask:0xf bank_mask:0xf
	v_cndmask_b32_e32 v17, 0, v17, vcc_lo
	v_cmp_gt_i32_e32 vcc_lo, 0, v15
	v_add_nc_u32_e32 v9, v9, v17
	v_cndmask_b32_e32 v18, v15, v10, vcc_lo
	ds_swizzle_b32 v17, v9 offset:swizzle(BROADCAST,32,15)
	v_lshlrev_b32_e32 v18, 2, v18
	s_waitcnt lgkmcnt(0)
	v_and_b32_e32 v17, v14, v17
	v_add_nc_u32_e32 v9, v9, v17
	ds_bpermute_b32 v9, v18, v9
	s_waitcnt lgkmcnt(0)
	v_add_nc_u32_e32 v9, v9, v16
	v_cndmask_b32_e64 v9, v9, v2, s1
	ds_write_b32 v12, v9
	; wave barrier
	ds_read2_b32 v[16:17], v12 offset0:1 offset1:2
	ds_read2_b32 v[18:19], v12 offset0:3 offset1:4
	;; [unrolled: 1-line block ×3, first 2 shown]
	ds_read_b32 v22, v12 offset:28
	s_waitcnt lgkmcnt(3)
	v_add_nc_u32_e32 v9, v16, v9
	v_add_nc_u32_e32 v16, v17, v9
	s_waitcnt lgkmcnt(2)
	v_add_nc_u32_e32 v17, v18, v16
	v_add_nc_u32_e32 v18, v19, v17
	;; [unrolled: 3-line block ×3, first 2 shown]
	s_waitcnt lgkmcnt(0)
	v_add_nc_u32_e32 v21, v22, v20
	ds_write2_b32 v12, v9, v16 offset0:1 offset1:2
	ds_write2_b32 v12, v17, v18 offset0:3 offset1:4
	;; [unrolled: 1-line block ×3, first 2 shown]
	ds_write_b32 v12, v21 offset:28
.LBB155_27:                             ;   in Loop: Header=BB155_23 Depth=1
	s_or_b32 exec_lo, exec_lo, s25
	v_mov_b32_e32 v9, 0
	s_waitcnt lgkmcnt(0)
	s_barrier
	buffer_gl0_inv
	s_and_saveexec_b32 s25, s0
; %bb.28:                               ;   in Loop: Header=BB155_23 Depth=1
	ds_read_b32 v9, v0
; %bb.29:                               ;   in Loop: Header=BB155_23 Depth=1
	s_or_b32 exec_lo, exec_lo, s25
	ds_read_b32 v16, v5 offset:1048
	s_mov_b32 s25, exec_lo
	s_waitcnt lgkmcnt(0)
	s_barrier
	buffer_gl0_inv
	v_cmpx_ne_u32_e32 0, v2
	s_cbranch_execz .LBB155_31
; %bb.30:                               ;   in Loop: Header=BB155_23 Depth=1
	v_add_nc_u32_e32 v22, v9, v3
	v_mad_u64_u32 v[17:18], null, s16, v22, 0
	v_mad_u64_u32 v[19:20], null, s4, v22, 0
	v_mov_b32_e32 v2, v18
	v_mov_b32_e32 v9, v20
	v_mad_u64_u32 v[20:21], null, s17, v22, v[2:3]
	v_mad_u64_u32 v[21:22], null, s5, v22, v[9:10]
	v_mov_b32_e32 v18, v20
	v_mov_b32_e32 v20, v21
	v_lshlrev_b64 v[17:18], 3, v[17:18]
	v_lshlrev_b64 v[19:20], 3, v[19:20]
	v_add_co_u32 v17, vcc_lo, s22, v17
	v_add_co_ci_u32_e64 v18, null, s24, v18, vcc_lo
	v_add_co_u32 v19, vcc_lo, s18, v19
	v_add_co_ci_u32_e64 v20, null, s19, v20, vcc_lo
	global_store_dwordx2 v[17:18], v[6:7], off
	global_store_dwordx2 v[19:20], v[4:5], off
.LBB155_31:                             ;   in Loop: Header=BB155_23 Depth=1
	s_or_b32 exec_lo, exec_lo, s25
	v_mov_b32_e32 v2, v5
	v_cmp_le_u64_e32 vcc_lo, s[10:11], v[1:2]
	s_cbranch_vccnz .LBB155_22
; %bb.32:                               ;   in Loop: Header=BB155_23 Depth=1
	ds_write_b32 v11, v8
	s_waitcnt lgkmcnt(0)
	s_waitcnt_vscnt null, 0x0
	s_barrier
	buffer_gl0_inv
	s_and_saveexec_b32 s25, s2
	s_cbranch_execz .LBB155_34
; %bb.33:                               ;   in Loop: Header=BB155_23 Depth=1
	ds_read2_b32 v[17:18], v12 offset1:1
	ds_read2_b32 v[19:20], v12 offset0:2 offset1:3
	ds_read2_b32 v[21:22], v12 offset0:4 offset1:5
	;; [unrolled: 1-line block ×3, first 2 shown]
	v_cmp_ne_u32_e32 vcc_lo, 0, v13
	; wave barrier
	s_waitcnt lgkmcnt(3)
	v_add_nc_u32_e32 v2, v18, v17
	s_waitcnt lgkmcnt(2)
	v_add3_u32 v2, v2, v19, v20
	s_waitcnt lgkmcnt(1)
	v_add3_u32 v2, v2, v21, v22
	;; [unrolled: 2-line block ×3, first 2 shown]
	v_mov_b32_dpp v9, v2 row_shr:1 row_mask:0xf bank_mask:0xf
	v_cndmask_b32_e32 v9, 0, v9, vcc_lo
	v_cmp_lt_u32_e32 vcc_lo, 1, v13
	v_add_nc_u32_e32 v2, v9, v2
	v_mov_b32_dpp v9, v2 row_shr:2 row_mask:0xf bank_mask:0xf
	v_cndmask_b32_e32 v9, 0, v9, vcc_lo
	v_cmp_lt_u32_e32 vcc_lo, 3, v13
	v_add_nc_u32_e32 v2, v2, v9
	;; [unrolled: 4-line block ×3, first 2 shown]
	v_mov_b32_dpp v9, v2 row_shr:8 row_mask:0xf bank_mask:0xf
	v_cndmask_b32_e32 v9, 0, v9, vcc_lo
	v_cmp_gt_i32_e32 vcc_lo, 0, v15
	v_add_nc_u32_e32 v2, v2, v9
	v_cndmask_b32_e32 v18, v15, v10, vcc_lo
	ds_swizzle_b32 v9, v2 offset:swizzle(BROADCAST,32,15)
	v_lshlrev_b32_e32 v18, 2, v18
	s_waitcnt lgkmcnt(0)
	v_and_b32_e32 v9, v14, v9
	v_add_nc_u32_e32 v2, v2, v9
	ds_bpermute_b32 v2, v18, v2
	s_waitcnt lgkmcnt(0)
	v_add_nc_u32_e32 v2, v2, v17
	v_cndmask_b32_e64 v2, v2, v8, s1
	ds_write_b32 v12, v2
	; wave barrier
	ds_read2_b32 v[17:18], v12 offset0:1 offset1:2
	ds_read2_b32 v[19:20], v12 offset0:3 offset1:4
	;; [unrolled: 1-line block ×3, first 2 shown]
	ds_read_b32 v9, v12 offset:28
	s_waitcnt lgkmcnt(3)
	v_add_nc_u32_e32 v2, v17, v2
	v_add_nc_u32_e32 v17, v18, v2
	s_waitcnt lgkmcnt(2)
	v_add_nc_u32_e32 v18, v19, v17
	v_add_nc_u32_e32 v19, v20, v18
	;; [unrolled: 3-line block ×3, first 2 shown]
	s_waitcnt lgkmcnt(0)
	v_add_nc_u32_e32 v9, v9, v21
	ds_write2_b32 v12, v2, v17 offset0:1 offset1:2
	ds_write2_b32 v12, v18, v19 offset0:3 offset1:4
	;; [unrolled: 1-line block ×3, first 2 shown]
	ds_write_b32 v12, v9 offset:28
.LBB155_34:                             ;   in Loop: Header=BB155_23 Depth=1
	s_or_b32 exec_lo, exec_lo, s25
	v_mov_b32_e32 v9, 0
	s_waitcnt lgkmcnt(0)
	s_barrier
	buffer_gl0_inv
	s_and_saveexec_b32 s25, s0
; %bb.35:                               ;   in Loop: Header=BB155_23 Depth=1
	ds_read_b32 v9, v0
; %bb.36:                               ;   in Loop: Header=BB155_23 Depth=1
	s_or_b32 exec_lo, exec_lo, s25
	ds_read_b32 v2, v5 offset:1048
	s_mov_b32 s25, exec_lo
	s_waitcnt lgkmcnt(0)
	s_barrier
	buffer_gl0_inv
	v_cmpx_ne_u32_e32 0, v8
	s_cbranch_execz .LBB155_21
; %bb.37:                               ;   in Loop: Header=BB155_23 Depth=1
	v_add_nc_u32_e32 v8, v9, v1
	v_mov_b32_e32 v9, v5
	v_cmp_gt_u64_e32 vcc_lo, s[10:11], v[8:9]
	s_and_b32 exec_lo, exec_lo, vcc_lo
	s_cbranch_execz .LBB155_21
; %bb.38:                               ;   in Loop: Header=BB155_23 Depth=1
	v_mad_u64_u32 v[17:18], null, s16, v8, 0
	v_mad_u64_u32 v[19:20], null, s4, v8, 0
	v_mov_b32_e32 v9, v18
	v_mov_b32_e32 v18, v20
	v_mad_u64_u32 v[20:21], null, s17, v8, v[9:10]
	v_mad_u64_u32 v[8:9], null, s5, v8, v[18:19]
	v_mov_b32_e32 v18, v20
	v_mov_b32_e32 v20, v8
	v_lshlrev_b64 v[8:9], 3, v[17:18]
	v_lshlrev_b64 v[17:18], 3, v[19:20]
	v_add_co_u32 v8, vcc_lo, s22, v8
	v_add_co_ci_u32_e64 v9, null, s24, v9, vcc_lo
	v_add_co_u32 v17, vcc_lo, s18, v17
	v_add_co_ci_u32_e64 v18, null, s19, v18, vcc_lo
	global_store_dwordx2 v[8:9], v[6:7], off
	global_store_dwordx2 v[17:18], v[4:5], off
	s_branch .LBB155_21
	.p2align	6
.LBB155_39:                             ;   in Loop: Header=BB155_40 Depth=1
	s_add_u32 s12, s12, 4
	s_addc_u32 s13, s13, 0
	s_waitcnt lgkmcnt(0)
	s_add_i32 s39, s3, s39
	s_add_u32 s14, s14, 4
	s_addc_u32 s15, s15, 0
	s_add_i32 s2, s2, 1
	s_cmp_lt_u32 s2, s7
	s_cbranch_scc0 .LBB155_18
.LBB155_40:                             ; =>This Inner Loop Header: Depth=1
	s_load_dword s3, s[12:13], 0x0
	s_cmp_ge_u32 s2, s38
	s_cbranch_scc1 .LBB155_39
; %bb.41:                               ;   in Loop: Header=BB155_40 Depth=1
	s_load_dword s18, s[14:15], 0x0
	s_waitcnt lgkmcnt(0)
	s_add_i32 s17, s3, s17
	s_add_i32 s16, s18, s16
	s_branch .LBB155_39
.LBB155_42:
	s_endpgm
	.section	.rodata,"a",@progbits
	.p2align	6, 0x0
	.amdhsa_kernel _ZN2at6native6mbtopk10gatherTopKIlmLi1EEEvNS_4cuda6detail10TensorInfoIKT_T0_EES8_S8_bjS8_NS5_IS6_S8_EES8_NS5_IlS8_EES8_jjPS6_PjSD_j
		.amdhsa_group_segment_fixed_size 1068
		.amdhsa_private_segment_fixed_size 0
		.amdhsa_kernarg_size 1592
		.amdhsa_user_sgpr_count 6
		.amdhsa_user_sgpr_private_segment_buffer 1
		.amdhsa_user_sgpr_dispatch_ptr 0
		.amdhsa_user_sgpr_queue_ptr 0
		.amdhsa_user_sgpr_kernarg_segment_ptr 1
		.amdhsa_user_sgpr_dispatch_id 0
		.amdhsa_user_sgpr_flat_scratch_init 0
		.amdhsa_user_sgpr_private_segment_size 0
		.amdhsa_wavefront_size32 1
		.amdhsa_uses_dynamic_stack 0
		.amdhsa_system_sgpr_private_segment_wavefront_offset 0
		.amdhsa_system_sgpr_workgroup_id_x 1
		.amdhsa_system_sgpr_workgroup_id_y 1
		.amdhsa_system_sgpr_workgroup_id_z 1
		.amdhsa_system_sgpr_workgroup_info 0
		.amdhsa_system_vgpr_workitem_id 0
		.amdhsa_next_free_vgpr 25
		.amdhsa_next_free_sgpr 43
		.amdhsa_reserve_vcc 1
		.amdhsa_reserve_flat_scratch 0
		.amdhsa_float_round_mode_32 0
		.amdhsa_float_round_mode_16_64 0
		.amdhsa_float_denorm_mode_32 3
		.amdhsa_float_denorm_mode_16_64 3
		.amdhsa_dx10_clamp 1
		.amdhsa_ieee_mode 1
		.amdhsa_fp16_overflow 0
		.amdhsa_workgroup_processor_mode 1
		.amdhsa_memory_ordered 1
		.amdhsa_forward_progress 1
		.amdhsa_shared_vgpr_count 0
		.amdhsa_exception_fp_ieee_invalid_op 0
		.amdhsa_exception_fp_denorm_src 0
		.amdhsa_exception_fp_ieee_div_zero 0
		.amdhsa_exception_fp_ieee_overflow 0
		.amdhsa_exception_fp_ieee_underflow 0
		.amdhsa_exception_fp_ieee_inexact 0
		.amdhsa_exception_int_div_zero 0
	.end_amdhsa_kernel
	.section	.text._ZN2at6native6mbtopk10gatherTopKIlmLi1EEEvNS_4cuda6detail10TensorInfoIKT_T0_EES8_S8_bjS8_NS5_IS6_S8_EES8_NS5_IlS8_EES8_jjPS6_PjSD_j,"axG",@progbits,_ZN2at6native6mbtopk10gatherTopKIlmLi1EEEvNS_4cuda6detail10TensorInfoIKT_T0_EES8_S8_bjS8_NS5_IS6_S8_EES8_NS5_IlS8_EES8_jjPS6_PjSD_j,comdat
.Lfunc_end155:
	.size	_ZN2at6native6mbtopk10gatherTopKIlmLi1EEEvNS_4cuda6detail10TensorInfoIKT_T0_EES8_S8_bjS8_NS5_IS6_S8_EES8_NS5_IlS8_EES8_jjPS6_PjSD_j, .Lfunc_end155-_ZN2at6native6mbtopk10gatherTopKIlmLi1EEEvNS_4cuda6detail10TensorInfoIKT_T0_EES8_S8_bjS8_NS5_IS6_S8_EES8_NS5_IlS8_EES8_jjPS6_PjSD_j
                                        ; -- End function
	.set _ZN2at6native6mbtopk10gatherTopKIlmLi1EEEvNS_4cuda6detail10TensorInfoIKT_T0_EES8_S8_bjS8_NS5_IS6_S8_EES8_NS5_IlS8_EES8_jjPS6_PjSD_j.num_vgpr, 25
	.set _ZN2at6native6mbtopk10gatherTopKIlmLi1EEEvNS_4cuda6detail10TensorInfoIKT_T0_EES8_S8_bjS8_NS5_IS6_S8_EES8_NS5_IlS8_EES8_jjPS6_PjSD_j.num_agpr, 0
	.set _ZN2at6native6mbtopk10gatherTopKIlmLi1EEEvNS_4cuda6detail10TensorInfoIKT_T0_EES8_S8_bjS8_NS5_IS6_S8_EES8_NS5_IlS8_EES8_jjPS6_PjSD_j.numbered_sgpr, 43
	.set _ZN2at6native6mbtopk10gatherTopKIlmLi1EEEvNS_4cuda6detail10TensorInfoIKT_T0_EES8_S8_bjS8_NS5_IS6_S8_EES8_NS5_IlS8_EES8_jjPS6_PjSD_j.num_named_barrier, 0
	.set _ZN2at6native6mbtopk10gatherTopKIlmLi1EEEvNS_4cuda6detail10TensorInfoIKT_T0_EES8_S8_bjS8_NS5_IS6_S8_EES8_NS5_IlS8_EES8_jjPS6_PjSD_j.private_seg_size, 0
	.set _ZN2at6native6mbtopk10gatherTopKIlmLi1EEEvNS_4cuda6detail10TensorInfoIKT_T0_EES8_S8_bjS8_NS5_IS6_S8_EES8_NS5_IlS8_EES8_jjPS6_PjSD_j.uses_vcc, 1
	.set _ZN2at6native6mbtopk10gatherTopKIlmLi1EEEvNS_4cuda6detail10TensorInfoIKT_T0_EES8_S8_bjS8_NS5_IS6_S8_EES8_NS5_IlS8_EES8_jjPS6_PjSD_j.uses_flat_scratch, 0
	.set _ZN2at6native6mbtopk10gatherTopKIlmLi1EEEvNS_4cuda6detail10TensorInfoIKT_T0_EES8_S8_bjS8_NS5_IS6_S8_EES8_NS5_IlS8_EES8_jjPS6_PjSD_j.has_dyn_sized_stack, 0
	.set _ZN2at6native6mbtopk10gatherTopKIlmLi1EEEvNS_4cuda6detail10TensorInfoIKT_T0_EES8_S8_bjS8_NS5_IS6_S8_EES8_NS5_IlS8_EES8_jjPS6_PjSD_j.has_recursion, 0
	.set _ZN2at6native6mbtopk10gatherTopKIlmLi1EEEvNS_4cuda6detail10TensorInfoIKT_T0_EES8_S8_bjS8_NS5_IS6_S8_EES8_NS5_IlS8_EES8_jjPS6_PjSD_j.has_indirect_call, 0
	.section	.AMDGPU.csdata,"",@progbits
; Kernel info:
; codeLenInByte = 2448
; TotalNumSgprs: 45
; NumVgprs: 25
; ScratchSize: 0
; MemoryBound: 0
; FloatMode: 240
; IeeeMode: 1
; LDSByteSize: 1068 bytes/workgroup (compile time only)
; SGPRBlocks: 0
; VGPRBlocks: 3
; NumSGPRsForWavesPerEU: 45
; NumVGPRsForWavesPerEU: 25
; Occupancy: 16
; WaveLimiterHint : 1
; COMPUTE_PGM_RSRC2:SCRATCH_EN: 0
; COMPUTE_PGM_RSRC2:USER_SGPR: 6
; COMPUTE_PGM_RSRC2:TRAP_HANDLER: 0
; COMPUTE_PGM_RSRC2:TGID_X_EN: 1
; COMPUTE_PGM_RSRC2:TGID_Y_EN: 1
; COMPUTE_PGM_RSRC2:TGID_Z_EN: 1
; COMPUTE_PGM_RSRC2:TIDIG_COMP_CNT: 0
	.section	.text._ZN2at6native6sbtopk10gatherTopKIlmLi1ELb0EEEvNS_4cuda6detail10TensorInfoIKT_T0_EES8_S8_bS8_S8_NS5_IS6_S8_EES8_NS5_IlS8_EES8_PS6_,"axG",@progbits,_ZN2at6native6sbtopk10gatherTopKIlmLi1ELb0EEEvNS_4cuda6detail10TensorInfoIKT_T0_EES8_S8_bS8_S8_NS5_IS6_S8_EES8_NS5_IlS8_EES8_PS6_,comdat
	.protected	_ZN2at6native6sbtopk10gatherTopKIlmLi1ELb0EEEvNS_4cuda6detail10TensorInfoIKT_T0_EES8_S8_bS8_S8_NS5_IS6_S8_EES8_NS5_IlS8_EES8_PS6_ ; -- Begin function _ZN2at6native6sbtopk10gatherTopKIlmLi1ELb0EEEvNS_4cuda6detail10TensorInfoIKT_T0_EES8_S8_bS8_S8_NS5_IS6_S8_EES8_NS5_IlS8_EES8_PS6_
	.globl	_ZN2at6native6sbtopk10gatherTopKIlmLi1ELb0EEEvNS_4cuda6detail10TensorInfoIKT_T0_EES8_S8_bS8_S8_NS5_IS6_S8_EES8_NS5_IlS8_EES8_PS6_
	.p2align	8
	.type	_ZN2at6native6sbtopk10gatherTopKIlmLi1ELb0EEEvNS_4cuda6detail10TensorInfoIKT_T0_EES8_S8_bS8_S8_NS5_IS6_S8_EES8_NS5_IlS8_EES8_PS6_,@function
_ZN2at6native6sbtopk10gatherTopKIlmLi1ELb0EEEvNS_4cuda6detail10TensorInfoIKT_T0_EES8_S8_bS8_S8_NS5_IS6_S8_EES8_NS5_IlS8_EES8_PS6_: ; @_ZN2at6native6sbtopk10gatherTopKIlmLi1ELb0EEEvNS_4cuda6detail10TensorInfoIKT_T0_EES8_S8_bS8_S8_NS5_IS6_S8_EES8_NS5_IlS8_EES8_PS6_
; %bb.0:
	s_clause 0x1
	s_load_dwordx2 s[12:13], s[4:5], 0x520
	s_load_dwordx4 s[36:39], s[4:5], 0x1b8
	s_add_u32 s10, s4, 0x520
	s_addc_u32 s11, s5, 0
	s_mov_b32 s43, 0
	s_waitcnt lgkmcnt(0)
	s_mul_i32 s0, s13, s8
	s_add_i32 s0, s0, s7
	s_mul_i32 s0, s0, s12
	s_add_i32 s42, s0, s6
	v_cmp_le_u64_e64 s0, s[36:37], s[42:43]
	s_and_b32 vcc_lo, exec_lo, s0
	s_cbranch_vccnz .LBB156_467
; %bb.1:
	s_load_dwordx2 s[0:1], s[4:5], 0x440
                                        ; implicit-def: $vgpr59 : SGPR spill to VGPR lane
	v_cmp_eq_u32_e64 s3, 0, v0
	s_waitcnt lgkmcnt(0)
	v_writelane_b32 v59, s0, 0
	v_writelane_b32 v59, s1, 1
	s_load_dwordx2 s[0:1], s[4:5], 0x370
	s_waitcnt lgkmcnt(0)
	v_writelane_b32 v59, s0, 2
	v_writelane_b32 v59, s1, 3
	s_clause 0x1
	s_load_dwordx4 s[28:31], s[4:5], 0x1a0
	s_load_dwordx2 s[0:1], s[4:5], 0x1c8
	s_waitcnt lgkmcnt(0)
	v_writelane_b32 v59, s0, 4
	v_writelane_b32 v59, s1, 5
	s_clause 0x1
	s_load_dwordx2 s[0:1], s[4:5], 0xd0
	s_load_dwordx2 s[36:37], s[4:5], 0x0
	s_and_saveexec_b32 s2, s3
	s_cbranch_execz .LBB156_3
; %bb.2:
	v_mov_b32_e32 v1, 0
	v_mov_b32_e32 v3, s28
	;; [unrolled: 1-line block ×4, first 2 shown]
	ds_write_b32 v1, v1 offset:5144
	ds_write_b128 v1, v[1:4] offset:5120
.LBB156_3:
	s_or_b32 exec_lo, exec_lo, s2
	v_mad_u64_u32 v[2:3], null, s38, v0, 0
	s_load_dword s2, s[4:5], 0x1b0
	s_waitcnt lgkmcnt(0)
	s_mul_i32 s1, s1, s42
	s_mul_hi_u32 s7, s0, s42
	s_barrier
	buffer_gl0_inv
	v_mov_b32_e32 v1, v3
	s_add_i32 s1, s7, s1
	s_load_dword s7, s[10:11], 0xc
	v_mbcnt_lo_u32_b32 v42, -1, 0
	v_lshlrev_b32_e32 v45, 5, v0
	v_mad_u64_u32 v[3:4], null, s39, v0, v[1:2]
	s_mul_i32 s0, s0, s42
	v_cmp_gt_u32_e32 vcc_lo, 32, v0
	s_lshl_b64 s[40:41], s[0:1], 3
	v_cmp_gt_i32_e64 s1, 4, v42
	v_or_b32_e32 v7, 24, v45
	v_or_b32_e32 v9, 16, v45
	v_lshlrev_b64 v[4:5], 3, v[2:3]
	s_add_u32 s52, s36, s40
	s_addc_u32 s53, s37, s41
	s_bitcmp1_b32 s2, 0
	v_mad_u64_u32 v[22:23], null, s38, v7, 0
	s_cselect_b32 s2, -1, 0
	s_and_b32 s76, vcc_lo, s1
	v_add_co_u32 v16, vcc_lo, s52, v4
	v_mad_u64_u32 v[24:25], null, s38, v9, 0
	v_add_co_ci_u32_e64 v17, null, s53, v5, vcc_lo
	v_lshlrev_b64 v[4:5], v42, -1
	v_or_b32_e32 v10, 8, v45
	s_waitcnt lgkmcnt(0)
	s_and_b32 s33, s7, 0xffff
	s_xor_b32 s43, s2, -1
	s_bfe_u32 s9, s33, 0x80008
	v_mov_b32_e32 v5, v25
	v_mad_u64_u32 v[26:27], null, s38, v10, 0
	v_not_b32_e32 v41, v4
	v_mov_b32_e32 v4, v23
	s_lshl_b32 s78, s9, 3
	s_bfe_u32 s7, s7, 0xb0005
	s_cmp_gt_u32 s33, 31
	v_mov_b32_e32 v19, 0
	s_cselect_b32 s79, -1, 0
	s_add_u32 s80, s33, -1
	v_mad_u64_u32 v[7:8], null, s39, v7, v[4:5]
	s_addc_u32 s81, 0, -1
	s_add_u32 s82, s80, s28
	v_mov_b32_e32 v6, v27
	s_addc_u32 s55, s81, s29
	s_cmp_lt_u32 s6, s12
	v_mov_b32_e32 v1, v19
	s_cselect_b32 s6, 12, 18
	v_mad_u64_u32 v[4:5], null, s39, v9, v[5:6]
	s_add_u32 s56, s10, s6
	v_mad_u64_u32 v[5:6], null, s39, v10, v[6:7]
	s_addc_u32 s57, s11, 0
	s_add_i32 s7, s7, -1
	v_lshlrev_b32_e32 v43, 3, v0
	s_and_b32 s7, s7, 0xffff
	s_bfe_u32 s83, s33, 0x30005
	s_movk_i32 s6, 0x3e0
	s_cmp_gt_u32 s7, 6
	v_cmp_lt_u64_e64 s77, 0x180, s[28:29]
	v_cmp_gt_u64_e64 s1, s[28:29], v[0:1]
	s_cselect_b32 s84, -1, 0
	s_cmp_lg_u32 s83, 0
	v_and_or_b32 v23, v0, s6, 0xc00
	v_mov_b32_e32 v25, v7
	v_lshlrev_b64 v[27:28], 5, v[2:3]
	s_mul_i32 s6, s39, s33
	s_mul_hi_u32 s7, s38, s33
	v_mov_b32_e32 v6, 0
	v_mov_b32_e32 v34, s31
	;; [unrolled: 1-line block ×4, first 2 shown]
	v_cmp_eq_u32_e64 s0, 0, v42
	v_lshlrev_b32_e32 v20, 2, v0
	v_mov_b32_e32 v21, v19
	v_cmp_gt_u32_e64 s8, 2, v0
	v_add_nc_u32_e32 v44, 0xc00, v43
	v_mov_b32_e32 v46, v4
	v_mov_b32_e32 v47, v5
	v_lshl_or_b32 v48, v42, 3, 0xc00
	v_mov_b32_e32 v7, 0
	v_mov_b32_e32 v33, s30
	;; [unrolled: 1-line block ×5, first 2 shown]
	s_cselect_b32 s85, -1, 0
	s_add_i32 s7, s7, s6
	s_mul_i32 s6, s38, s33
	s_mov_b32 s27, 0
	s_lshl_b64 s[58:59], s[38:39], 3
	s_lshl_b64 s[60:61], s[38:39], 5
	s_lshl_b32 s86, s33, 3
	s_lshl_b64 s[34:35], s[6:7], 3
	s_mov_b32 s93, 62
	s_mov_b32 s87, 0
	;; [unrolled: 1-line block ×3, first 2 shown]
                                        ; implicit-def: $sgpr88
                                        ; implicit-def: $sgpr92
                                        ; implicit-def: $sgpr91
                                        ; implicit-def: $sgpr94
                                        ; implicit-def: $sgpr90
                                        ; implicit-def: $sgpr98
                                        ; implicit-def: $sgpr99
                                        ; implicit-def: $sgpr95
                                        ; implicit-def: $sgpr97
                                        ; implicit-def: $sgpr96
	s_branch .LBB156_6
.LBB156_4:                              ;   in Loop: Header=BB156_6 Depth=1
	s_or_b32 exec_lo, exec_lo, s10
	v_mov_b32_e32 v33, v35
	v_mov_b32_e32 v34, v36
	s_andn2_b32 s10, s96, exec_lo
	s_and_b32 s9, s9, exec_lo
	s_andn2_b32 s97, s97, exec_lo
	s_or_b32 s96, s10, s9
	s_andn2_b32 s95, s95, exec_lo
	s_andn2_b32 s99, s99, exec_lo
	;; [unrolled: 1-line block ×3, first 2 shown]
	s_orn2_b32 s7, s7, exec_lo
.LBB156_5:                              ;   in Loop: Header=BB156_6 Depth=1
	s_or_b32 exec_lo, exec_lo, s6
	s_and_b32 s6, exec_lo, s7
	s_or_b32 s87, s6, s87
	s_andn2_b32 s6, s90, exec_lo
	s_and_b32 s7, s96, exec_lo
	s_andn2_b32 s9, s94, exec_lo
	s_or_b32 s90, s6, s7
	s_and_b32 s6, s97, exec_lo
	s_andn2_b32 s7, s91, exec_lo
	s_and_b32 s10, s95, exec_lo
	s_or_b32 s94, s9, s6
	s_or_b32 s91, s7, s10
	s_andn2_b32 s6, s92, exec_lo
	s_and_b32 s7, s99, exec_lo
	s_andn2_b32 s9, s88, exec_lo
	s_and_b32 s10, s98, exec_lo
	s_or_b32 s92, s6, s7
	s_or_b32 s88, s9, s10
	s_andn2_b32 exec_lo, exec_lo, s87
	s_cbranch_execz .LBB156_463
.LBB156_6:                              ; =>This Loop Header: Depth=1
                                        ;     Child Loop BB156_12 Depth 2
                                        ;     Child Loop BB156_25 Depth 2
	;; [unrolled: 1-line block ×24, first 2 shown]
	ds_read_b128 v[8:11], v19 offset:5120
	s_waitcnt lgkmcnt(0)
	v_readfirstlane_b32 s63, v9
	v_readfirstlane_b32 s62, v8
	s_cmp_lg_u64 s[62:63], 0
	s_cbranch_scc1 .LBB156_33
; %bb.7:                                ;   in Loop: Header=BB156_6 Depth=1
	s_and_b32 vcc_lo, exec_lo, s77
	s_cbranch_vccz .LBB156_20
; %bb.8:                                ;   in Loop: Header=BB156_6 Depth=1
	v_cmp_gt_u64_e32 vcc_lo, 0x181, v[10:11]
	s_mov_b32 s9, 0
	s_mov_b32 s6, 0
	s_cbranch_vccz .LBB156_21
; %bb.9:                                ;   in Loop: Header=BB156_6 Depth=1
	s_and_saveexec_b32 s10, s1
	s_cbranch_execz .LBB156_87
; %bb.10:                               ;   in Loop: Header=BB156_6 Depth=1
	global_load_ushort v10, v19, s[56:57]
	global_load_dwordx2 v[8:9], v[16:17], off
	s_mov_b32 s13, 0
	s_waitcnt vmcnt(1)
	v_readfirstlane_b32 s6, v10
	s_and_b32 s6, 0xffff, s6
	v_add_nc_u32_e32 v5, s6, v0
	s_mul_i32 s7, s59, s6
	s_mul_hi_u32 s11, s58, s6
	s_mul_i32 s12, s58, s6
	s_add_i32 s11, s11, s7
	v_mad_u64_u32 v[3:4], null, s58, v5, s[52:53]
	v_mad_u64_u32 v[4:5], null, s59, v5, v[4:5]
	v_and_b32_e32 v5, 0xffff, v10
	v_mov_b32_e32 v11, v1
	v_mov_b32_e32 v10, v0
	s_branch .LBB156_12
.LBB156_11:                             ;   in Loop: Header=BB156_12 Depth=2
	s_or_b32 exec_lo, exec_lo, s7
	v_add_co_u32 v3, vcc_lo, v3, s12
	v_mov_b32_e32 v8, v12
	v_add_co_ci_u32_e64 v4, null, s11, v4, vcc_lo
	v_mov_b32_e32 v9, v13
	s_andn2_b32 exec_lo, exec_lo, s13
	s_cbranch_execz .LBB156_87
.LBB156_12:                             ;   Parent Loop BB156_6 Depth=1
                                        ; =>  This Inner Loop Header: Depth=2
	v_add_co_u32 v10, vcc_lo, v10, v5
	v_mov_b32_e32 v12, 0
	v_add_co_ci_u32_e64 v11, null, 0, v11, vcc_lo
	v_mov_b32_e32 v13, 0
	s_mov_b32 s7, exec_lo
	v_cmp_le_u64_e32 vcc_lo, s[28:29], v[10:11]
	v_cmpx_gt_u64_e64 s[28:29], v[10:11]
	s_cbranch_execz .LBB156_14
; %bb.13:                               ;   in Loop: Header=BB156_12 Depth=2
	global_load_dwordx2 v[12:13], v[3:4], off
.LBB156_14:                             ;   in Loop: Header=BB156_12 Depth=2
	s_or_b32 exec_lo, exec_lo, s7
	s_waitcnt vmcnt(0) lgkmcnt(0)
	v_xor_b32_e32 v14, 0x80000000, v9
	v_and_b32_e32 v15, v14, v32
	v_and_b32_e32 v14, v8, v31
	v_cmp_eq_u64_e64 s6, v[14:15], v[29:30]
	v_mov_b32_e32 v14, 0
	s_cmp_lg_u32 s6, 0
	s_cselect_b32 s7, -1, 0
	s_and_b32 s7, s0, s7
	s_and_saveexec_b32 s14, s7
	s_cbranch_execz .LBB156_18
; %bb.15:                               ;   in Loop: Header=BB156_12 Depth=2
	s_mov_b32 s17, exec_lo
	s_bcnt1_i32_b32 s15, s6
	v_mbcnt_lo_u32_b32 v14, s17, 0
	s_mov_b32 s16, exec_lo
                                        ; implicit-def: $vgpr15
	v_cmpx_eq_u32_e32 0, v14
; %bb.16:                               ;   in Loop: Header=BB156_12 Depth=2
	s_bcnt1_i32_b32 s7, s17
	s_mul_i32 s7, s15, s7
	v_mov_b32_e32 v15, s7
	ds_add_rtn_u32 v15, v19, v15 offset:5144
; %bb.17:                               ;   in Loop: Header=BB156_12 Depth=2
	s_or_b32 exec_lo, exec_lo, s16
	s_waitcnt lgkmcnt(0)
	v_readfirstlane_b32 s7, v15
	v_mad_u32_u24 v14, s15, v14, s7
.LBB156_18:                             ;   in Loop: Header=BB156_12 Depth=2
	s_or_b32 exec_lo, exec_lo, s14
	ds_bpermute_b32 v14, v19, v14
	s_and_b32 s7, exec_lo, vcc_lo
	s_or_b32 s13, s7, s13
	s_and_saveexec_b32 s7, s6
	s_cbranch_execz .LBB156_11
; %bb.19:                               ;   in Loop: Header=BB156_12 Depth=2
	v_and_b32_e32 v15, s6, v41
	v_bcnt_u32_b32 v15, v15, 0
	v_lshlrev_b32_e32 v15, 3, v15
	s_waitcnt lgkmcnt(0)
	v_lshl_add_u32 v14, v14, 3, v15
	ds_write_b64 v14, v[8:9]
	s_branch .LBB156_11
.LBB156_20:                             ;   in Loop: Header=BB156_6 Depth=1
	s_mov_b32 s9, -1
	s_mov_b32 s6, 0
.LBB156_21:                             ;   in Loop: Header=BB156_6 Depth=1
	s_and_b32 vcc_lo, exec_lo, s9
	s_cbranch_vccz .LBB156_31
.LBB156_22:                             ;   in Loop: Header=BB156_6 Depth=1
	s_and_saveexec_b32 s7, s1
	s_cbranch_execz .LBB156_28
; %bb.23:                               ;   in Loop: Header=BB156_6 Depth=1
	global_load_ushort v5, v19, s[56:57]
	global_load_dwordx2 v[3:4], v[16:17], off
	s_mov_b32 s9, exec_lo
	s_waitcnt vmcnt(1)
	v_add_nc_u32_sdwa v18, v5, v0 dst_sel:DWORD dst_unused:UNUSED_PAD src0_sel:WORD_0 src1_sel:DWORD
	v_readfirstlane_b32 s6, v5
	v_mov_b32_e32 v5, v0
	v_cmpx_gt_u64_e64 s[28:29], v[18:19]
	s_cbranch_execz .LBB156_27
; %bb.24:                               ;   in Loop: Header=BB156_6 Depth=1
	v_mad_u64_u32 v[8:9], null, s58, v18, s[52:53]
	s_and_b32 s10, s6, 0xffff
	v_mov_b32_e32 v15, v1
	v_mov_b32_e32 v14, v0
	s_mul_i32 s6, s59, s10
	s_mul_hi_u32 s11, s58, s10
	s_mul_i32 s13, s58, s10
	v_mov_b32_e32 v5, v9
	s_add_i32 s11, s11, s6
	s_mov_b32 s12, 0
	v_mad_u64_u32 v[9:10], null, s59, v18, v[5:6]
	v_mov_b32_e32 v10, v18
	v_mov_b32_e32 v11, v19
	.p2align	6
.LBB156_25:                             ;   Parent Loop BB156_6 Depth=1
                                        ; =>  This Inner Loop Header: Depth=2
	global_load_dwordx2 v[12:13], v[8:9], off
	v_mov_b32_e32 v36, v11
	v_mov_b32_e32 v35, v10
	v_lshlrev_b32_e32 v5, 3, v14
	v_add_co_u32 v10, vcc_lo, v35, s10
	v_add_co_ci_u32_e64 v11, null, 0, v36, vcc_lo
	v_add_co_u32 v8, vcc_lo, v8, s13
	s_waitcnt vmcnt(1)
	ds_write_b64 v5, v[3:4]
	v_cmp_le_u64_e64 s6, s[28:29], v[10:11]
	v_add_co_ci_u32_e64 v9, null, s11, v9, vcc_lo
	v_mov_b32_e32 v14, v35
	v_mov_b32_e32 v15, v36
	s_or_b32 s12, s6, s12
	s_waitcnt vmcnt(0)
	v_mov_b32_e32 v3, v12
	v_mov_b32_e32 v4, v13
	s_andn2_b32 exec_lo, exec_lo, s12
	s_cbranch_execnz .LBB156_25
; %bb.26:                               ;   in Loop: Header=BB156_6 Depth=1
	s_or_b32 exec_lo, exec_lo, s12
	v_mov_b32_e32 v3, v12
	v_subrev_nc_u32_e32 v5, s10, v10
	v_mov_b32_e32 v4, v13
.LBB156_27:                             ;   in Loop: Header=BB156_6 Depth=1
	s_or_b32 exec_lo, exec_lo, s9
	v_lshlrev_b32_e32 v5, 3, v5
	s_waitcnt vmcnt(0)
	ds_write_b64 v5, v[3:4]
.LBB156_28:                             ;   in Loop: Header=BB156_6 Depth=1
	s_or_b32 exec_lo, exec_lo, s7
	s_waitcnt lgkmcnt(0)
	s_barrier
	buffer_gl0_inv
	s_and_saveexec_b32 s6, s3
; %bb.29:                               ;   in Loop: Header=BB156_6 Depth=1
	v_mov_b32_e32 v3, s28
	v_mov_b32_e32 v4, s29
	ds_write_b64 v19, v[3:4] offset:5120
; %bb.30:                               ;   in Loop: Header=BB156_6 Depth=1
	s_or_b32 exec_lo, exec_lo, s6
	s_mov_b32 s6, -1
	s_waitcnt lgkmcnt(0)
	s_barrier
.LBB156_31:                             ;   in Loop: Header=BB156_6 Depth=1
	s_and_b32 vcc_lo, exec_lo, s6
	s_mov_b64 s[62:63], 0
	s_cbranch_vccz .LBB156_33
; %bb.32:                               ;   in Loop: Header=BB156_6 Depth=1
	buffer_gl0_inv
	ds_read_b64 v[3:4], v19 offset:5120
	s_waitcnt lgkmcnt(0)
	v_readfirstlane_b32 s62, v3
.LBB156_33:                             ;   in Loop: Header=BB156_6 Depth=1
	s_cmp_lt_i32 s62, 1
	s_mov_b32 s6, -1
                                        ; implicit-def: $vgpr14_vgpr15
                                        ; implicit-def: $vgpr10_vgpr11
	s_cbranch_scc1 .LBB156_43
; %bb.34:                               ;   in Loop: Header=BB156_6 Depth=1
	s_and_b32 vcc_lo, exec_lo, s6
	s_cbranch_vccnz .LBB156_57
.LBB156_35:                             ;   in Loop: Header=BB156_6 Depth=1
	s_lshl_b32 s6, s89, 7
	s_and_saveexec_b32 s7, s0
	s_cbranch_execz .LBB156_37
.LBB156_36:                             ;   in Loop: Header=BB156_6 Depth=1
	v_lshl_add_u32 v3, s6, 3, v23
	ds_write_b128 v3, v[8:11]
	ds_write_b128 v3, v[12:15] offset:16
.LBB156_37:                             ;   in Loop: Header=BB156_6 Depth=1
	s_or_b32 exec_lo, exec_lo, s7
	s_waitcnt lgkmcnt(0)
	s_barrier
	buffer_gl0_inv
	s_and_saveexec_b32 s7, s76
	s_cbranch_execz .LBB156_71
; %bb.38:                               ;   in Loop: Header=BB156_6 Depth=1
	v_mov_b32_e32 v3, 0
	v_mov_b32_e32 v4, 0
	s_andn2_b32 vcc_lo, exec_lo, s79
	s_cbranch_vccnz .LBB156_70
; %bb.39:                               ;   in Loop: Header=BB156_6 Depth=1
	v_mov_b32_e32 v3, 0
	v_mov_b32_e32 v4, 0
	s_andn2_b32 vcc_lo, exec_lo, s84
	s_cbranch_vccnz .LBB156_67
; %bb.40:                               ;   in Loop: Header=BB156_6 Depth=1
	v_lshl_add_u32 v5, s89, 10, v48
	s_mov_b32 s9, 0
	s_inst_prefetch 0x1
	.p2align	6
.LBB156_41:                             ;   Parent Loop BB156_6 Depth=1
                                        ; =>  This Inner Loop Header: Depth=2
	ds_read2_b64 v[8:11], v5 offset1:4
	ds_read2_b64 v[12:15], v5 offset0:8 offset1:12
	ds_read2_b64 v[35:38], v5 offset0:16 offset1:20
	s_add_i32 s9, s9, 8
	s_cmp_eq_u32 s78, s9
	s_waitcnt lgkmcnt(2)
	v_add_co_u32 v3, vcc_lo, v8, v3
	v_add_co_ci_u32_e64 v4, null, v9, v4, vcc_lo
	v_add_co_u32 v3, vcc_lo, v10, v3
	v_add_co_ci_u32_e64 v4, null, v11, v4, vcc_lo
	ds_read2_b64 v[8:11], v5 offset0:24 offset1:28
	s_waitcnt lgkmcnt(2)
	v_add_co_u32 v3, vcc_lo, v12, v3
	v_add_co_ci_u32_e64 v4, null, v13, v4, vcc_lo
	v_add_nc_u32_e32 v5, 0x100, v5
	v_add_co_u32 v3, vcc_lo, v14, v3
	v_add_co_ci_u32_e64 v4, null, v15, v4, vcc_lo
	s_waitcnt lgkmcnt(1)
	v_add_co_u32 v3, vcc_lo, v35, v3
	v_add_co_ci_u32_e64 v4, null, v36, v4, vcc_lo
	v_add_co_u32 v3, vcc_lo, v37, v3
	v_add_co_ci_u32_e64 v4, null, v38, v4, vcc_lo
	s_waitcnt lgkmcnt(0)
	v_add_co_u32 v3, vcc_lo, v8, v3
	v_add_co_ci_u32_e64 v4, null, v9, v4, vcc_lo
	v_add_co_u32 v3, vcc_lo, v10, v3
	v_add_co_ci_u32_e64 v4, null, v11, v4, vcc_lo
	s_cbranch_scc0 .LBB156_41
; %bb.42:                               ;   in Loop: Header=BB156_6 Depth=1
	s_inst_prefetch 0x2
	s_mov_b32 s9, s78
	s_andn2_b32 vcc_lo, exec_lo, s85
	s_cbranch_vccz .LBB156_68
	s_branch .LBB156_70
.LBB156_43:                             ;   in Loop: Header=BB156_6 Depth=1
	global_load_ushort v3, v19, s[56:57]
	s_mov_b32 s7, s29
	s_waitcnt vmcnt(0)
	v_readfirstlane_b32 s6, v3
	s_and_b32 s54, s6, 0xffff
	s_mov_b32 s6, s27
	s_lshl_b32 s44, s54, 2
	s_cmp_lg_u64 s[6:7], 0
	s_cbranch_scc0 .LBB156_66
; %bb.44:                               ;   in Loop: Header=BB156_6 Depth=1
	v_cvt_f32_u32_e32 v3, s44
	s_sub_u32 s9, 0, s44
	s_subb_u32 s10, 0, 0
	v_fmac_f32_e64 v3, 0x4f800000, 0
	v_rcp_f32_e32 v3, v3
	v_mul_f32_e32 v3, 0x5f7ffffc, v3
	v_mul_f32_e32 v4, 0x2f800000, v3
	v_trunc_f32_e32 v4, v4
	v_fmac_f32_e32 v3, 0xcf800000, v4
	v_cvt_u32_f32_e32 v4, v4
	v_cvt_u32_f32_e32 v3, v3
	v_readfirstlane_b32 s6, v4
	v_readfirstlane_b32 s7, v3
	s_mul_i32 s11, s9, s6
	s_mul_hi_u32 s13, s9, s7
	s_mul_i32 s12, s10, s7
	s_add_i32 s11, s13, s11
	s_mul_i32 s14, s9, s7
	s_add_i32 s11, s11, s12
	s_mul_hi_u32 s13, s7, s14
	s_mul_i32 s16, s7, s11
	s_mul_hi_u32 s15, s6, s14
	s_mul_i32 s12, s6, s14
	s_mul_hi_u32 s14, s7, s11
	s_add_u32 s13, s13, s16
	s_addc_u32 s14, 0, s14
	s_mul_hi_u32 s17, s6, s11
	s_add_u32 s12, s13, s12
	s_mul_i32 s11, s6, s11
	s_addc_u32 s12, s14, s15
	s_addc_u32 s13, s17, 0
	s_add_u32 s11, s12, s11
	s_addc_u32 s12, 0, s13
	s_add_u32 s7, s7, s11
	s_cselect_b32 s11, -1, 0
	s_mul_hi_u32 s13, s9, s7
	s_cmp_lg_u32 s11, 0
	s_mul_i32 s11, s9, s7
	s_addc_u32 s6, s6, s12
	s_mul_i32 s10, s10, s7
	s_mul_i32 s9, s9, s6
	s_mul_hi_u32 s12, s7, s11
	s_add_i32 s9, s13, s9
	s_mul_hi_u32 s13, s6, s11
	s_add_i32 s9, s9, s10
	s_mul_i32 s10, s6, s11
	s_mul_i32 s15, s7, s9
	s_mul_hi_u32 s14, s7, s9
	s_add_u32 s12, s12, s15
	s_addc_u32 s14, 0, s14
	s_mul_hi_u32 s11, s6, s9
	s_add_u32 s10, s12, s10
	s_mul_i32 s9, s6, s9
	s_addc_u32 s10, s14, s13
	s_addc_u32 s11, s11, 0
	s_add_u32 s9, s10, s9
	s_addc_u32 s10, 0, s11
	s_add_u32 s7, s7, s9
	s_cselect_b32 s9, -1, 0
	s_mul_hi_u32 s11, s28, s7
	s_cmp_lg_u32 s9, 0
	s_mul_hi_u32 s9, s29, s7
	s_addc_u32 s6, s6, s10
	s_mul_i32 s7, s29, s7
	s_mul_i32 s12, s28, s6
	s_mul_hi_u32 s10, s28, s6
	s_add_u32 s11, s11, s12
	s_addc_u32 s10, 0, s10
	s_mul_hi_u32 s13, s29, s6
	s_add_u32 s7, s11, s7
	s_mul_i32 s6, s29, s6
	s_addc_u32 s7, s10, s9
	s_addc_u32 s9, s13, 0
	s_add_u32 s6, s7, s6
	s_addc_u32 s7, 0, s9
	s_mul_hi_u32 s9, s44, s6
	s_mul_i32 s7, s44, s7
	s_mul_i32 s6, s44, s6
	s_add_i32 s9, s9, s7
	s_sub_u32 s6, s28, s6
	s_cselect_b32 s7, -1, 0
	s_cmp_lg_u32 s7, 0
	s_subb_u32 s7, s29, s9
	s_sub_u32 s9, s6, s44
	s_cselect_b32 s10, -1, 0
	s_cmp_lg_u32 s10, 0
	s_subb_u32 s10, s7, 0
	s_sub_u32 s11, s9, s44
	s_cselect_b32 s12, -1, 0
	s_cmp_lg_u32 s12, 0
	s_subb_u32 s12, s10, 0
	s_cmp_ge_u32 s9, s44
	s_cselect_b32 s13, -1, 0
	s_cmp_eq_u32 s10, 0
	s_cselect_b32 s13, s13, -1
	s_cmp_lg_u32 s13, 0
	s_cselect_b32 s10, s12, s10
	s_cselect_b32 s9, s11, s9
	s_cmp_ge_u32 s6, s44
	s_cselect_b32 s11, -1, 0
	s_cmp_eq_u32 s7, 0
	s_cselect_b32 s11, s11, -1
	s_cmp_lg_u32 s11, 0
	s_cselect_b32 s7, s10, s7
	s_cselect_b32 s6, s9, s6
	s_cbranch_execnz .LBB156_46
.LBB156_45:                             ;   in Loop: Header=BB156_6 Depth=1
	v_cvt_f32_u32_e32 v3, s44
	s_sub_i32 s7, 0, s44
	v_rcp_iflag_f32_e32 v3, v3
	v_mul_f32_e32 v3, 0x4f7ffffe, v3
	v_cvt_u32_f32_e32 v3, v3
	v_readfirstlane_b32 s6, v3
	s_mul_i32 s7, s7, s6
	s_mul_hi_u32 s7, s6, s7
	s_add_i32 s6, s6, s7
	s_mul_hi_u32 s6, s28, s6
	s_mul_i32 s6, s6, s44
	s_sub_i32 s6, s28, s6
	s_sub_i32 s7, s6, s44
	s_cmp_ge_u32 s6, s44
	s_cselect_b32 s6, s7, s6
	s_sub_i32 s7, s6, s44
	s_cmp_ge_u32 s6, s44
	s_cselect_b32 s26, s7, s6
	s_mov_b64 s[6:7], s[26:27]
.LBB156_46:                             ;   in Loop: Header=BB156_6 Depth=1
	v_mov_b32_e32 v8, 0
	v_mov_b32_e32 v10, 0
	;; [unrolled: 1-line block ×8, first 2 shown]
	s_sub_u32 s64, s28, s6
	s_subb_u32 s65, s29, s7
	s_mov_b32 s45, exec_lo
	v_cmpx_gt_u64_e64 s[64:65], v[20:21]
	s_cbranch_execz .LBB156_50
; %bb.47:                               ;   in Loop: Header=BB156_6 Depth=1
	v_mov_b32_e32 v3, v20
	v_mov_b32_e32 v4, v21
	s_mul_i32 s6, s61, s54
	s_mul_hi_u32 s7, s60, s54
	s_mul_i32 s104, s60, s54
	s_add_i32 s63, s7, s6
	s_mov_b64 s[66:67], 0
	s_mov_b32 vcc_hi, 0
	s_mov_b64 s[68:69], s[52:53]
	s_mov_b64 s[70:71], 0
	;; [unrolled: 1-line block ×4, first 2 shown]
.LBB156_48:                             ;   Parent Loop BB156_6 Depth=1
                                        ; =>  This Inner Loop Header: Depth=2
	v_add_co_u32 v8, vcc_lo, s68, v27
	v_add_co_ci_u32_e64 v9, null, s69, v28, vcc_lo
	v_add_co_u32 v10, vcc_lo, s68, v26
	v_add_co_ci_u32_e64 v11, null, s69, v47, vcc_lo
	;; [unrolled: 2-line block ×4, first 2 shown]
	s_clause 0x3
	global_load_dwordx2 v[8:9], v[8:9], off
	global_load_dwordx2 v[10:11], v[10:11], off
	;; [unrolled: 1-line block ×4, first 2 shown]
	v_mov_b32_e32 v36, v19
	v_mov_b32_e32 v38, v19
	;; [unrolled: 1-line block ×3, first 2 shown]
	v_add_co_u32 v3, vcc_lo, v3, s44
	v_add_co_ci_u32_e64 v4, null, 0, v4, vcc_lo
	v_cmp_le_u64_e32 vcc_lo, s[64:65], v[3:4]
	s_waitcnt vmcnt(3)
	v_xor_b32_e32 v9, 0x80000000, v9
	s_waitcnt vmcnt(2)
	v_xor_b32_e32 v11, 0x80000000, v11
	;; [unrolled: 2-line block ×3, first 2 shown]
	v_and_b32_e32 v49, v8, v31
	s_waitcnt vmcnt(0)
	v_xor_b32_e32 v15, 0x80000000, v15
	v_and_b32_e32 v50, v9, v32
	v_lshrrev_b64 v[8:9], s93, v[8:9]
	v_and_b32_e32 v51, v10, v31
	v_lshrrev_b64 v[9:10], s93, v[10:11]
	;; [unrolled: 2-line block ×4, first 2 shown]
	v_and_b32_e32 v18, 3, v8
	v_and_b32_e32 v35, 3, v9
	;; [unrolled: 1-line block ×4, first 2 shown]
	v_cmp_eq_u64_e64 s6, v[49:50], v[29:30]
	v_cmp_eq_u64_e64 s11, 0, v[18:19]
	v_and_b32_e32 v55, v14, v31
	v_and_b32_e32 v56, v15, v32
	;; [unrolled: 1-line block ×3, first 2 shown]
	v_cmp_eq_u64_e64 s7, v[51:52], v[29:30]
	v_cmp_eq_u64_e64 s12, 0, v[35:36]
	;; [unrolled: 1-line block ×6, first 2 shown]
	s_and_b32 s11, s6, s11
	v_cmp_eq_u64_e64 s15, 1, v[18:19]
	v_cndmask_b32_e64 v5, 0, 1, s11
	s_and_b32 s11, s7, s12
	v_cmp_eq_u64_e64 s16, 1, v[35:36]
	v_cndmask_b32_e64 v8, 0, 1, s11
	s_and_b32 s11, s9, s13
	v_cmp_eq_u64_e64 s17, 1, v[37:38]
	v_cndmask_b32_e64 v9, 0, 1, s11
	s_and_b32 s11, s10, s14
	v_cmp_ne_u32_e64 s12, 0, v8
	v_cndmask_b32_e64 v10, 0, 1, s11
	v_cmp_ne_u32_e64 s11, 0, v5
	v_cmp_ne_u32_e64 s13, 0, v9
	v_cmp_eq_u64_e64 s18, 1, v[39:40]
	s_bcnt1_i32_b32 s12, s12
	v_cmp_ne_u32_e64 s14, 0, v10
	s_bcnt1_i32_b32 s11, s11
	s_bcnt1_i32_b32 s13, s13
	s_add_i32 s11, s12, s11
	v_cmp_eq_u64_e64 s19, 2, v[18:19]
	s_bcnt1_i32_b32 s14, s14
	s_add_i32 s11, s11, s13
	v_cmp_eq_u64_e64 s20, 2, v[35:36]
	s_add_i32 s11, s11, s14
	v_cmp_eq_u64_e64 s21, 2, v[37:38]
	s_add_u32 s74, s74, s11
	s_addc_u32 s75, s75, 0
	s_and_b32 s11, s6, s15
	v_cmp_eq_u64_e64 s22, 2, v[39:40]
	v_cndmask_b32_e64 v5, 0, 1, s11
	s_and_b32 s11, s7, s16
	v_cmp_eq_u64_e64 s23, 3, v[18:19]
	v_cndmask_b32_e64 v10, 0, 1, s11
	;; [unrolled: 3-line block ×3, first 2 shown]
	s_and_b32 s11, s10, s18
	v_cmp_ne_u32_e64 s12, 0, v10
	v_cndmask_b32_e64 v12, 0, 1, s11
	v_cmp_ne_u32_e64 s11, 0, v5
	v_cmp_ne_u32_e64 s13, 0, v11
	v_cmp_eq_u64_e64 s25, 3, v[37:38]
	s_bcnt1_i32_b32 s12, s12
	v_cmp_ne_u32_e64 s14, 0, v12
	s_bcnt1_i32_b32 s11, s11
	s_bcnt1_i32_b32 s13, s13
	s_add_i32 s11, s12, s11
	v_cmp_eq_u64_e64 s26, 3, v[39:40]
	s_bcnt1_i32_b32 s14, s14
	s_add_i32 s11, s11, s13
	v_mov_b32_e32 v8, s74
	s_add_i32 s11, s11, s14
	v_mov_b32_e32 v9, s75
	s_add_u32 s72, s72, s11
	s_addc_u32 s73, s73, 0
	s_and_b32 s11, s6, s19
	v_cndmask_b32_e64 v5, 0, 1, s11
	s_and_b32 s11, s7, s20
	v_cndmask_b32_e64 v10, 0, 1, s11
	;; [unrolled: 2-line block ×3, first 2 shown]
	s_and_b32 s11, s10, s22
	v_cmp_ne_u32_e64 s12, 0, v10
	v_cndmask_b32_e64 v12, 0, 1, s11
	v_cmp_ne_u32_e64 s11, 0, v5
	v_cmp_ne_u32_e64 s13, 0, v11
	s_bcnt1_i32_b32 s12, s12
	v_cmp_ne_u32_e64 s14, 0, v12
	s_bcnt1_i32_b32 s11, s11
	s_bcnt1_i32_b32 s13, s13
	s_add_i32 s11, s12, s11
	s_bcnt1_i32_b32 s14, s14
	s_add_i32 s11, s11, s13
	s_add_i32 s11, s11, s14
	s_add_u32 s70, s70, s11
	s_addc_u32 s71, s71, 0
	s_and_b32 s6, s6, s23
	v_cndmask_b32_e64 v5, 0, 1, s6
	s_and_b32 s6, s7, s24
	v_cndmask_b32_e64 v10, 0, 1, s6
	;; [unrolled: 2-line block ×3, first 2 shown]
	s_and_b32 s6, s10, s26
	v_cmp_ne_u32_e64 s7, 0, v10
	v_cndmask_b32_e64 v12, 0, 1, s6
	v_cmp_ne_u32_e64 s6, 0, v5
	v_cmp_ne_u32_e64 s9, 0, v11
	v_mov_b32_e32 v10, s72
	s_bcnt1_i32_b32 s7, s7
	v_cmp_ne_u32_e64 s10, 0, v12
	s_bcnt1_i32_b32 s6, s6
	s_bcnt1_i32_b32 s9, s9
	s_add_i32 s6, s7, s6
	v_mov_b32_e32 v12, s70
	s_bcnt1_i32_b32 s7, s10
	s_add_i32 s6, s6, s9
	v_mov_b32_e32 v11, s73
	s_add_i32 s6, s6, s7
	v_mov_b32_e32 v13, s71
	s_add_u32 s66, s66, s6
	s_addc_u32 s67, s67, 0
	v_mov_b32_e32 v14, s66
	v_mov_b32_e32 v15, s67
	s_add_u32 s68, s68, s104
	s_addc_u32 s69, s69, s63
	s_or_b32 vcc_hi, vcc_lo, vcc_hi
	s_andn2_b32 exec_lo, exec_lo, vcc_hi
	s_cbranch_execnz .LBB156_48
; %bb.49:                               ;   in Loop: Header=BB156_6 Depth=1
	s_or_b32 exec_lo, exec_lo, vcc_hi
.LBB156_50:                             ;   in Loop: Header=BB156_6 Depth=1
	s_or_b32 exec_lo, exec_lo, s45
	v_add_co_u32 v3, s6, s64, v0
	v_add_co_ci_u32_e64 v4, null, s65, 0, s6
	s_mov_b32 s11, exec_lo
	v_cmpx_gt_u64_e64 s[28:29], v[3:4]
	s_cbranch_execz .LBB156_56
; %bb.51:                               ;   in Loop: Header=BB156_6 Depth=1
	v_mul_lo_u32 v5, v4, s38
	v_mul_lo_u32 v18, v3, s39
	v_mad_u64_u32 v[35:36], null, v3, s38, 0
	s_mov_b32 s12, 0
	v_add3_u32 v36, v36, v18, v5
	v_lshlrev_b64 v[35:36], 3, v[35:36]
	v_add_co_u32 v35, vcc_lo, s52, v35
	v_add_co_ci_u32_e64 v36, null, s53, v36, vcc_lo
	global_load_dwordx2 v[37:38], v[35:36], off
	s_branch .LBB156_53
.LBB156_52:                             ;   in Loop: Header=BB156_53 Depth=2
	s_or_b32 exec_lo, exec_lo, s7
	s_waitcnt vmcnt(0)
	v_xor_b32_e32 v38, 0x80000000, v38
	s_and_b32 s9, exec_lo, vcc_lo
	s_or_b32 s12, s9, s12
	v_lshrrev_b64 v[39:40], s93, v[37:38]
	v_and_b32_e32 v37, v37, v31
	v_and_b32_e32 v38, v38, v32
	;; [unrolled: 1-line block ×3, first 2 shown]
	v_cmp_eq_u64_e64 s6, v[37:38], v[29:30]
	v_cmp_eq_u64_e64 s7, 0, v[18:19]
	v_cmp_eq_u64_e32 vcc_lo, 1, v[18:19]
	v_cmp_eq_u64_e64 s9, 2, v[18:19]
	v_cmp_eq_u64_e64 s10, 3, v[18:19]
	s_and_b32 s7, s6, s7
	v_cndmask_b32_e64 v5, 0, 1, s7
	s_and_b32 s7, s6, vcc_lo
	v_cndmask_b32_e64 v18, 0, 1, s7
	s_and_b32 s7, s6, s9
	s_and_b32 s6, s6, s10
	v_cndmask_b32_e64 v37, 0, 1, s7
	v_cmp_ne_u32_e32 vcc_lo, 0, v5
	v_cndmask_b32_e64 v38, 0, 1, s6
	v_cmp_ne_u32_e64 s6, 0, v18
	v_cmp_ne_u32_e64 s7, 0, v37
	s_bcnt1_i32_b32 s10, vcc_lo
	v_cmp_ne_u32_e64 s9, 0, v38
	s_bcnt1_i32_b32 s6, s6
	v_add_co_u32 v8, vcc_lo, v8, s10
	s_bcnt1_i32_b32 s7, s7
	v_add_co_ci_u32_e64 v9, null, 0, v9, vcc_lo
	v_add_co_u32 v10, vcc_lo, v10, s6
	v_add_co_ci_u32_e64 v11, null, 0, v11, vcc_lo
	v_add_co_u32 v12, vcc_lo, v12, s7
	s_bcnt1_i32_b32 s6, s9
	v_add_co_ci_u32_e64 v13, null, 0, v13, vcc_lo
	v_add_co_u32 v14, vcc_lo, v14, s6
	v_mov_b32_e32 v38, v36
	v_add_co_ci_u32_e64 v15, null, 0, v15, vcc_lo
	v_mov_b32_e32 v37, v35
	s_andn2_b32 exec_lo, exec_lo, s12
	s_cbranch_execz .LBB156_55
.LBB156_53:                             ;   Parent Loop BB156_6 Depth=1
                                        ; =>  This Inner Loop Header: Depth=2
	v_add_co_u32 v3, vcc_lo, v3, s54
	v_mov_b32_e32 v35, 0
	v_add_co_ci_u32_e64 v4, null, 0, v4, vcc_lo
	v_mov_b32_e32 v36, 0
	s_mov_b32 s7, exec_lo
	v_cmp_le_u64_e32 vcc_lo, s[28:29], v[3:4]
	v_cmpx_gt_u64_e64 s[28:29], v[3:4]
	s_cbranch_execz .LBB156_52
; %bb.54:                               ;   in Loop: Header=BB156_53 Depth=2
	v_mul_lo_u32 v5, v4, s38
	v_mul_lo_u32 v18, v3, s39
	v_mad_u64_u32 v[35:36], null, v3, s38, 0
	v_add3_u32 v36, v36, v18, v5
	v_lshlrev_b64 v[35:36], 3, v[35:36]
	v_add_co_u32 v35, s6, s52, v35
	v_add_co_ci_u32_e64 v36, null, s53, v36, s6
	global_load_dwordx2 v[35:36], v[35:36], off
	s_branch .LBB156_52
.LBB156_55:                             ;   in Loop: Header=BB156_6 Depth=1
	s_or_b32 exec_lo, exec_lo, s12
.LBB156_56:                             ;   in Loop: Header=BB156_6 Depth=1
	s_or_b32 exec_lo, exec_lo, s11
	s_branch .LBB156_35
.LBB156_57:                             ;   in Loop: Header=BB156_6 Depth=1
	global_load_ushort v5, v19, s[56:57]
	v_mov_b32_e32 v8, 0
	v_mov_b32_e32 v10, 0
	;; [unrolled: 1-line block ×8, first 2 shown]
	s_mov_b32 s54, exec_lo
	s_waitcnt vmcnt(0)
	v_readfirstlane_b32 s6, v5
	s_and_b32 s44, 0xffff, s6
	s_lshl_b32 s45, s44, 2
	v_cvt_f32_u32_e32 v3, s45
	s_sub_i32 s7, 0, s45
	v_rcp_iflag_f32_e32 v3, v3
	v_mul_f32_e32 v3, 0x4f7ffffe, v3
	v_cvt_u32_f32_e32 v3, v3
	v_readfirstlane_b32 s6, v3
	s_mul_i32 s7, s7, s6
	s_mul_hi_u32 s7, s6, s7
	s_add_i32 s6, s6, s7
	s_mul_hi_u32 s6, s62, s6
	s_mul_i32 s7, s6, s45
	s_add_i32 s9, s6, 1
	s_sub_i32 s7, s62, s7
	s_sub_i32 s10, s7, s45
	s_cmp_ge_u32 s7, s45
	s_cselect_b32 s6, s9, s6
	s_cselect_b32 s7, s10, s7
	s_add_i32 s9, s6, 1
	s_cmp_ge_u32 s7, s45
	s_cselect_b32 s6, s9, s6
	s_mul_hi_u32 s65, s44, s6
	s_mul_i32 s64, s44, s6
	s_lshl_b64 s[66:67], s[64:65], 2
	v_cmpx_gt_u64_e64 s[66:67], v[20:21]
	s_cbranch_execz .LBB156_61
; %bb.58:                               ;   in Loop: Header=BB156_6 Depth=1
	v_mov_b32_e32 v3, v20
	v_mov_b32_e32 v35, v45
	;; [unrolled: 1-line block ×3, first 2 shown]
	s_lshl_b32 s63, s44, 5
	s_mov_b64 s[68:69], 0
	s_mov_b32 s65, 0
	s_mov_b64 s[70:71], 0
	s_mov_b64 s[72:73], 0
	;; [unrolled: 1-line block ×3, first 2 shown]
.LBB156_59:                             ;   Parent Loop BB156_6 Depth=1
                                        ; =>  This Inner Loop Header: Depth=2
	ds_read_b128 v[8:11], v35
	ds_read_b128 v[12:15], v35 offset:16
	v_mov_b32_e32 v37, v19
	v_mov_b32_e32 v39, v19
	;; [unrolled: 1-line block ×3, first 2 shown]
	v_add_co_u32 v3, vcc_lo, v3, s45
	v_add_co_ci_u32_e64 v4, null, 0, v4, vcc_lo
	v_add_nc_u32_e32 v35, s63, v35
	v_cmp_le_u64_e32 vcc_lo, s[66:67], v[3:4]
	s_waitcnt lgkmcnt(1)
	v_xor_b32_e32 v9, 0x80000000, v9
	v_xor_b32_e32 v11, 0x80000000, v11
	s_waitcnt lgkmcnt(0)
	v_xor_b32_e32 v13, 0x80000000, v13
	v_and_b32_e32 v51, v8, v31
	v_xor_b32_e32 v15, 0x80000000, v15
	v_and_b32_e32 v52, v9, v32
	v_lshrrev_b64 v[8:9], s93, v[8:9]
	v_and_b32_e32 v53, v10, v31
	v_lshrrev_b64 v[9:10], s93, v[10:11]
	;; [unrolled: 2-line block ×4, first 2 shown]
	v_and_b32_e32 v18, 3, v8
	v_and_b32_e32 v36, 3, v9
	;; [unrolled: 1-line block ×4, first 2 shown]
	v_cmp_eq_u64_e64 s6, v[51:52], v[29:30]
	v_cmp_eq_u64_e64 s11, 0, v[18:19]
	v_and_b32_e32 v57, v14, v31
	v_and_b32_e32 v58, v15, v32
	;; [unrolled: 1-line block ×3, first 2 shown]
	v_cmp_eq_u64_e64 s7, v[53:54], v[29:30]
	v_cmp_eq_u64_e64 s12, 0, v[36:37]
	;; [unrolled: 1-line block ×6, first 2 shown]
	s_and_b32 s11, s6, s11
	v_cmp_eq_u64_e64 s15, 1, v[18:19]
	v_cndmask_b32_e64 v8, 0, 1, s11
	s_and_b32 s11, s7, s12
	v_cmp_eq_u64_e64 s16, 1, v[36:37]
	v_cndmask_b32_e64 v9, 0, 1, s11
	;; [unrolled: 3-line block ×3, first 2 shown]
	s_and_b32 s11, s10, s14
	v_cmp_ne_u32_e64 s12, 0, v9
	v_cndmask_b32_e64 v11, 0, 1, s11
	v_cmp_ne_u32_e64 s11, 0, v8
	v_cmp_ne_u32_e64 s13, 0, v10
	v_cmp_eq_u64_e64 s18, 1, v[49:50]
	s_bcnt1_i32_b32 s12, s12
	v_cmp_ne_u32_e64 s14, 0, v11
	s_bcnt1_i32_b32 s11, s11
	s_bcnt1_i32_b32 s13, s13
	s_add_i32 s11, s12, s11
	v_cmp_eq_u64_e64 s19, 2, v[18:19]
	s_bcnt1_i32_b32 s14, s14
	s_add_i32 s11, s11, s13
	v_cmp_eq_u64_e64 s20, 2, v[36:37]
	s_add_i32 s11, s11, s14
	v_cmp_eq_u64_e64 s21, 2, v[38:39]
	s_add_u32 s74, s74, s11
	s_addc_u32 s75, s75, 0
	s_and_b32 s11, s6, s15
	v_cmp_eq_u64_e64 s22, 2, v[49:50]
	v_cndmask_b32_e64 v8, 0, 1, s11
	s_and_b32 s11, s7, s16
	v_cmp_eq_u64_e64 s23, 3, v[18:19]
	v_cndmask_b32_e64 v9, 0, 1, s11
	s_and_b32 s11, s9, s17
	v_cmp_eq_u64_e64 s24, 3, v[36:37]
	v_cndmask_b32_e64 v10, 0, 1, s11
	s_and_b32 s11, s10, s18
	v_cmp_ne_u32_e64 s12, 0, v9
	v_cndmask_b32_e64 v11, 0, 1, s11
	v_cmp_ne_u32_e64 s11, 0, v8
	v_cmp_ne_u32_e64 s13, 0, v10
	v_cmp_eq_u64_e64 s25, 3, v[38:39]
	s_bcnt1_i32_b32 s12, s12
	v_cmp_ne_u32_e64 s14, 0, v11
	s_bcnt1_i32_b32 s11, s11
	s_bcnt1_i32_b32 s13, s13
	s_add_i32 s11, s12, s11
	v_cmp_eq_u64_e64 s26, 3, v[49:50]
	s_bcnt1_i32_b32 s14, s14
	s_add_i32 s11, s11, s13
	s_add_i32 s11, s11, s14
	s_add_u32 s72, s72, s11
	s_addc_u32 s73, s73, 0
	s_and_b32 s11, s6, s19
	v_cndmask_b32_e64 v8, 0, 1, s11
	s_and_b32 s11, s7, s20
	v_cndmask_b32_e64 v9, 0, 1, s11
	;; [unrolled: 2-line block ×3, first 2 shown]
	s_and_b32 s11, s10, s22
	v_cmp_ne_u32_e64 s12, 0, v9
	v_cndmask_b32_e64 v11, 0, 1, s11
	v_cmp_ne_u32_e64 s11, 0, v8
	v_cmp_ne_u32_e64 s13, 0, v10
	s_bcnt1_i32_b32 s12, s12
	v_cmp_ne_u32_e64 s14, 0, v11
	s_bcnt1_i32_b32 s11, s11
	s_bcnt1_i32_b32 s13, s13
	s_add_i32 s11, s12, s11
	s_bcnt1_i32_b32 s14, s14
	s_add_i32 s11, s11, s13
	s_add_i32 s11, s11, s14
	s_add_u32 s70, s70, s11
	s_addc_u32 s71, s71, 0
	s_and_b32 s6, s6, s23
	v_mov_b32_e32 v12, s70
	v_cndmask_b32_e64 v8, 0, 1, s6
	s_and_b32 s6, s7, s24
	v_mov_b32_e32 v13, s71
	v_cndmask_b32_e64 v9, 0, 1, s6
	s_and_b32 s6, s9, s25
	v_cndmask_b32_e64 v10, 0, 1, s6
	s_and_b32 s6, s10, s26
	v_cmp_ne_u32_e64 s7, 0, v9
	v_cndmask_b32_e64 v11, 0, 1, s6
	v_cmp_ne_u32_e64 s6, 0, v8
	v_cmp_ne_u32_e64 s9, 0, v10
	v_mov_b32_e32 v8, s74
	s_bcnt1_i32_b32 s7, s7
	v_cmp_ne_u32_e64 s10, 0, v11
	s_bcnt1_i32_b32 s6, s6
	s_bcnt1_i32_b32 s9, s9
	s_add_i32 s6, s7, s6
	v_mov_b32_e32 v10, s72
	s_bcnt1_i32_b32 s7, s10
	s_add_i32 s6, s6, s9
	v_mov_b32_e32 v9, s75
	s_add_i32 s6, s6, s7
	v_mov_b32_e32 v11, s73
	s_add_u32 s68, s68, s6
	s_addc_u32 s69, s69, 0
	v_mov_b32_e32 v14, s68
	v_mov_b32_e32 v15, s69
	s_or_b32 s65, vcc_lo, s65
	s_andn2_b32 exec_lo, exec_lo, s65
	s_cbranch_execnz .LBB156_59
; %bb.60:                               ;   in Loop: Header=BB156_6 Depth=1
	s_or_b32 exec_lo, exec_lo, s65
.LBB156_61:                             ;   in Loop: Header=BB156_6 Depth=1
	s_or_b32 exec_lo, exec_lo, s54
	v_add_co_u32 v3, s6, s66, v0
	v_and_b32_e32 v5, 0xffff, v5
	v_add_co_ci_u32_e64 v4, null, s67, 0, s6
	s_and_b32 s26, s62, 0x7fffffff
	s_mov_b32 s12, exec_lo
	v_cmpx_gt_u64_e64 s[26:27], v[3:4]
	s_cbranch_execz .LBB156_65
; %bb.62:                               ;   in Loop: Header=BB156_6 Depth=1
	v_lshl_add_u32 v35, s64, 5, v43
	s_lshl_b32 s14, s44, 3
	s_mov_b32 s13, 0
.LBB156_63:                             ;   Parent Loop BB156_6 Depth=1
                                        ; =>  This Inner Loop Header: Depth=2
	ds_read_b64 v[36:37], v35
	v_add_co_u32 v3, vcc_lo, v3, v5
	v_add_co_ci_u32_e64 v4, null, 0, v4, vcc_lo
	v_add_nc_u32_e32 v35, s14, v35
	v_cmp_le_u64_e32 vcc_lo, s[26:27], v[3:4]
	s_waitcnt lgkmcnt(0)
	v_xor_b32_e32 v37, 0x80000000, v37
	v_and_b32_e32 v38, v36, v31
	v_and_b32_e32 v39, v37, v32
	v_lshrrev_b64 v[36:37], s93, v[36:37]
	v_cmp_eq_u64_e64 s6, v[38:39], v[29:30]
	v_and_b32_e32 v18, 3, v36
	v_cmp_eq_u64_e64 s7, 0, v[18:19]
	v_cmp_eq_u64_e64 s9, 1, v[18:19]
	;; [unrolled: 1-line block ×4, first 2 shown]
	s_and_b32 s7, s6, s7
	v_cndmask_b32_e64 v18, 0, 1, s7
	s_and_b32 s7, s6, s9
	v_cndmask_b32_e64 v36, 0, 1, s7
	s_and_b32 s7, s6, s10
	s_and_b32 s6, s6, s11
	v_cndmask_b32_e64 v37, 0, 1, s7
	v_cndmask_b32_e64 v38, 0, 1, s6
	v_cmp_ne_u32_e64 s6, 0, v18
	v_cmp_ne_u32_e64 s7, 0, v36
	;; [unrolled: 1-line block ×4, first 2 shown]
	s_bcnt1_i32_b32 s6, s6
	s_bcnt1_i32_b32 s7, s7
	v_add_co_u32 v8, s6, v8, s6
	s_bcnt1_i32_b32 s9, s9
	v_add_co_ci_u32_e64 v9, null, 0, v9, s6
	v_add_co_u32 v10, s6, v10, s7
	s_bcnt1_i32_b32 s10, s10
	v_add_co_ci_u32_e64 v11, null, 0, v11, s6
	v_add_co_u32 v12, s6, v12, s9
	v_add_co_ci_u32_e64 v13, null, 0, v13, s6
	v_add_co_u32 v14, s6, v14, s10
	v_add_co_ci_u32_e64 v15, null, 0, v15, s6
	s_or_b32 s13, vcc_lo, s13
	s_andn2_b32 exec_lo, exec_lo, s13
	s_cbranch_execnz .LBB156_63
; %bb.64:                               ;   in Loop: Header=BB156_6 Depth=1
	s_or_b32 exec_lo, exec_lo, s13
.LBB156_65:                             ;   in Loop: Header=BB156_6 Depth=1
	s_or_b32 exec_lo, exec_lo, s12
	s_lshl_b32 s6, s89, 7
	s_and_saveexec_b32 s7, s0
	s_cbranch_execnz .LBB156_36
	s_branch .LBB156_37
.LBB156_66:                             ;   in Loop: Header=BB156_6 Depth=1
                                        ; implicit-def: $sgpr6_sgpr7
	s_branch .LBB156_45
.LBB156_67:                             ;   in Loop: Header=BB156_6 Depth=1
	s_mov_b32 s9, 0
	s_andn2_b32 vcc_lo, exec_lo, s85
	s_cbranch_vccnz .LBB156_70
.LBB156_68:                             ;   in Loop: Header=BB156_6 Depth=1
	s_lshl_b32 s10, s89, 10
	s_lshl_b32 s9, s9, 5
	v_add3_u32 v5, s10, s9, v48
	s_mov_b32 s9, s83
.LBB156_69:                             ;   Parent Loop BB156_6 Depth=1
                                        ; =>  This Inner Loop Header: Depth=2
	ds_read_b64 v[8:9], v5
	v_add_nc_u32_e32 v5, 32, v5
	s_add_i32 s9, s9, -1
	s_cmp_lg_u32 s9, 0
	s_waitcnt lgkmcnt(0)
	v_add_co_u32 v3, vcc_lo, v8, v3
	v_add_co_ci_u32_e64 v4, null, v9, v4, vcc_lo
	s_cbranch_scc1 .LBB156_69
.LBB156_70:                             ;   in Loop: Header=BB156_6 Depth=1
	v_add_lshl_u32 v5, s6, v42, 3
	ds_write_b64 v5, v[3:4] offset:3072
.LBB156_71:                             ;   in Loop: Header=BB156_6 Depth=1
	s_or_b32 exec_lo, exec_lo, s7
	s_lshl_b32 s6, s6, 3
	s_waitcnt lgkmcnt(0)
	v_mov_b32_e32 v3, s6
	s_barrier
	buffer_gl0_inv
	v_cmp_eq_u64_e64 s7, 1, v[33:34]
	s_lshl_b64 s[12:13], 3, s93
	ds_read_b128 v[8:11], v3 offset:3072
	ds_read_b128 v[12:15], v3 offset:3088
	s_mov_b32 s66, -1
	s_not_b64 s[14:15], s[12:13]
	s_mov_b32 s9, 0
	s_andn2_b32 vcc_lo, exec_lo, s43
	s_mov_b32 s63, 0
	s_mov_b32 s62, 0
                                        ; implicit-def: $sgpr64
                                        ; implicit-def: $sgpr65
                                        ; implicit-def: $vgpr35_vgpr36
                                        ; implicit-def: $vgpr49
	s_waitcnt lgkmcnt(1)
	v_readfirstlane_b32 s11, v9
	v_readfirstlane_b32 s10, v8
	;; [unrolled: 1-line block ×4, first 2 shown]
	s_waitcnt lgkmcnt(0)
	v_readfirstlane_b32 s19, v13
	v_readfirstlane_b32 s18, v12
	;; [unrolled: 1-line block ×4, first 2 shown]
                                        ; implicit-def: $vgpr14_vgpr15
                                        ; implicit-def: $vgpr12_vgpr13
                                        ; implicit-def: $vgpr10_vgpr11
	s_cbranch_vccnz .LBB156_266
; %bb.72:                               ;   in Loop: Header=BB156_6 Depth=1
	s_cmp_eq_u64 s[10:11], 1
	v_mov_b32_e32 v14, v29
	v_mov_b32_e32 v12, v31
	;; [unrolled: 1-line block ×6, first 2 shown]
	s_cselect_b32 s6, -1, 0
                                        ; implicit-def: $sgpr65
                                        ; implicit-def: $sgpr64
	s_and_b32 s68, s6, s7
	s_mov_b32 s6, -1
	s_and_saveexec_b32 s66, s68
	s_cbranch_execz .LBB156_107
; %bb.73:                               ;   in Loop: Header=BB156_6 Depth=1
	ds_read_b64 v[3:4], v19 offset:5120
	s_waitcnt lgkmcnt(0)
	s_barrier
	buffer_gl0_inv
	v_readfirstlane_b32 s22, v3
	v_readfirstlane_b32 s23, v4
	s_and_saveexec_b32 s6, s8
; %bb.74:                               ;   in Loop: Header=BB156_6 Depth=1
	v_mov_b32_e32 v18, v19
	ds_write_b64 v44, v[18:19]
; %bb.75:                               ;   in Loop: Header=BB156_6 Depth=1
	s_or_b32 exec_lo, exec_lo, s6
	v_and_b32_e32 v15, s15, v30
	v_and_b32_e32 v14, s14, v29
	v_or_b32_e32 v13, s13, v32
	v_or_b32_e32 v12, s12, v31
	s_mov_b32 s64, -1
	s_mov_b32 s65, 0
	s_cmp_eq_u64 s[22:23], 0
	s_mov_b32 s44, 0
	s_mov_b32 s6, -1
	s_waitcnt lgkmcnt(0)
	s_barrier
	buffer_gl0_inv
                                        ; implicit-def: $vgpr10_vgpr11
	s_cbranch_scc1 .LBB156_92
; %bb.76:                               ;   in Loop: Header=BB156_6 Depth=1
	s_add_u32 s6, s22, s80
	s_addc_u32 s25, s23, s81
	s_mov_b32 s24, s27
	s_cmp_lg_u64 s[24:25], 0
	s_cbranch_scc0 .LBB156_133
; %bb.77:                               ;   in Loop: Header=BB156_6 Depth=1
	v_cvt_f32_u32_e32 v3, s33
	s_sub_u32 s44, 0, s33
	s_subb_u32 s45, 0, 0
	v_fmac_f32_e64 v3, 0x4f800000, 0
	v_rcp_f32_e32 v3, v3
	v_mul_f32_e32 v3, 0x5f7ffffc, v3
	v_mul_f32_e32 v4, 0x2f800000, v3
	v_trunc_f32_e32 v4, v4
	v_fmac_f32_e32 v3, 0xcf800000, v4
	v_cvt_u32_f32_e32 v4, v4
	v_cvt_u32_f32_e32 v3, v3
	v_readfirstlane_b32 s24, v4
	v_readfirstlane_b32 s26, v3
	s_mul_i32 s46, s44, s24
	s_mul_hi_u32 s48, s44, s26
	s_mul_i32 s47, s45, s26
	s_add_i32 s46, s48, s46
	s_mul_i32 s49, s44, s26
	s_add_i32 s46, s46, s47
	s_mul_hi_u32 s48, s26, s49
	s_mul_i32 s51, s26, s46
	s_mul_hi_u32 s50, s24, s49
	s_mul_i32 s47, s24, s49
	s_mul_hi_u32 s49, s26, s46
	s_add_u32 s48, s48, s51
	s_addc_u32 s49, 0, s49
	s_mul_hi_u32 s54, s24, s46
	s_add_u32 s47, s48, s47
	s_mul_i32 s46, s24, s46
	s_addc_u32 s47, s49, s50
	s_addc_u32 s48, s54, 0
	s_add_u32 s46, s47, s46
	s_addc_u32 s47, 0, s48
	s_add_u32 s26, s26, s46
	s_cselect_b32 s46, -1, 0
	s_mul_hi_u32 s48, s44, s26
	s_cmp_lg_u32 s46, 0
	s_mul_i32 s46, s44, s26
	s_addc_u32 s24, s24, s47
	s_mul_i32 s45, s45, s26
	s_mul_i32 s44, s44, s24
	s_mul_hi_u32 s47, s26, s46
	s_add_i32 s44, s48, s44
	s_mul_hi_u32 s48, s24, s46
	s_add_i32 s44, s44, s45
	s_mul_i32 s45, s24, s46
	s_mul_i32 s50, s26, s44
	s_mul_hi_u32 s49, s26, s44
	s_add_u32 s47, s47, s50
	s_addc_u32 s49, 0, s49
	s_mul_hi_u32 s46, s24, s44
	s_add_u32 s45, s47, s45
	s_mul_i32 s44, s24, s44
	s_addc_u32 s45, s49, s48
	s_addc_u32 s46, s46, 0
	s_add_u32 s44, s45, s44
	s_addc_u32 s45, 0, s46
	s_add_u32 s26, s26, s44
	s_cselect_b32 s44, -1, 0
	s_mul_hi_u32 s46, s6, s26
	s_cmp_lg_u32 s44, 0
	s_mul_hi_u32 s44, s25, s26
	s_addc_u32 s24, s24, s45
	s_mul_i32 s26, s25, s26
	s_mul_i32 s47, s6, s24
	s_mul_hi_u32 s45, s6, s24
	s_add_u32 s46, s46, s47
	s_addc_u32 s45, 0, s45
	s_mul_hi_u32 s48, s25, s24
	s_add_u32 s26, s46, s26
	s_mul_i32 s24, s25, s24
	s_addc_u32 s26, s45, s44
	s_addc_u32 s44, s48, 0
	s_add_u32 s24, s26, s24
	s_addc_u32 s26, 0, s44
	s_mul_hi_u32 s44, s33, s24
	s_mul_i32 s26, s33, s26
	s_mul_i32 s24, s33, s24
	s_add_i32 s44, s44, s26
	s_sub_u32 s24, s6, s24
	s_cselect_b32 s26, -1, 0
	s_cmp_lg_u32 s26, 0
	s_subb_u32 s26, s25, s44
	s_sub_u32 s44, s24, s33
	s_cselect_b32 s45, -1, 0
	s_cmp_lg_u32 s45, 0
	s_subb_u32 s45, s26, 0
	;; [unrolled: 4-line block ×3, first 2 shown]
	s_cmp_ge_u32 s44, s33
	s_cselect_b32 s48, -1, 0
	s_cmp_eq_u32 s45, 0
	s_cselect_b32 s48, s48, -1
	s_cmp_lg_u32 s48, 0
	s_cselect_b32 s45, s47, s45
	s_cselect_b32 s44, s46, s44
	s_cmp_ge_u32 s24, s33
	s_cselect_b32 s46, -1, 0
	s_cmp_eq_u32 s26, 0
	s_cselect_b32 s46, s46, -1
	s_cmp_lg_u32 s46, 0
	s_cselect_b32 s63, s45, s26
	s_cselect_b32 s62, s44, s24
	s_cbranch_execnz .LBB156_79
.LBB156_78:                             ;   in Loop: Header=BB156_6 Depth=1
	v_cvt_f32_u32_e32 v3, s33
	s_sub_i32 s26, 0, s33
	v_rcp_iflag_f32_e32 v3, v3
	v_mul_f32_e32 v3, 0x4f7ffffe, v3
	v_cvt_u32_f32_e32 v3, v3
	v_readfirstlane_b32 s24, v3
	s_mul_i32 s26, s26, s24
	s_mul_hi_u32 s26, s24, s26
	s_add_i32 s24, s24, s26
	s_mul_hi_u32 s24, s6, s24
	s_mul_i32 s24, s24, s33
	s_sub_i32 s24, s6, s24
	s_sub_i32 s26, s24, s33
	s_cmp_ge_u32 s24, s33
	s_cselect_b32 s24, s26, s24
	s_sub_i32 s26, s24, s33
	s_cmp_ge_u32 s24, s33
	s_cselect_b32 s26, s26, s24
	s_mov_b64 s[62:63], s[26:27]
.LBB156_79:                             ;   in Loop: Header=BB156_6 Depth=1
	s_sub_u32 s24, s6, s62
	s_subb_u32 s25, s25, s63
	s_mov_b32 s6, 0
	s_mov_b32 s44, 0
	s_mov_b32 s26, exec_lo
                                        ; implicit-def: $vgpr10_vgpr11
	v_cmpx_gt_u64_e64 s[24:25], v[0:1]
	s_cbranch_execz .LBB156_91
; %bb.80:                               ;   in Loop: Header=BB156_6 Depth=1
	v_mov_b32_e32 v36, v1
	v_mov_b32_e32 v18, v43
	;; [unrolled: 1-line block ×3, first 2 shown]
                                        ; implicit-def: $sgpr45
	s_inst_prefetch 0x1
	s_branch .LBB156_83
	.p2align	6
.LBB156_81:                             ;   in Loop: Header=BB156_83 Depth=2
	s_or_b32 exec_lo, exec_lo, s48
	s_waitcnt lgkmcnt(0)
	s_barrier
	buffer_gl0_inv
	ds_read_b128 v[8:11], v19 offset:3072
	s_mov_b32 s48, -1
	s_mov_b32 s49, -1
	s_waitcnt lgkmcnt(0)
	s_barrier
	buffer_gl0_inv
	v_cmp_ne_u64_e32 vcc_lo, 0, v[8:9]
	s_cbranch_vccz .LBB156_86
.LBB156_82:                             ;   in Loop: Header=BB156_83 Depth=2
	s_and_b32 s46, exec_lo, s48
	s_or_b32 s44, s46, s44
	s_andn2_b32 s45, s45, exec_lo
	s_and_b32 s46, s49, exec_lo
	s_or_b32 s45, s45, s46
	s_andn2_b32 exec_lo, exec_lo, s44
	s_cbranch_execz .LBB156_90
.LBB156_83:                             ;   Parent Loop BB156_6 Depth=1
                                        ; =>  This Inner Loop Header: Depth=2
	s_mov_b32 s48, exec_lo
	v_cmpx_gt_u64_e64 s[22:23], v[35:36]
	s_cbranch_execz .LBB156_81
; %bb.84:                               ;   in Loop: Header=BB156_83 Depth=2
	ds_read_b64 v[4:5], v18
	s_waitcnt lgkmcnt(0)
	v_xor_b32_e32 v3, 0x80000000, v5
	v_and_b32_e32 v8, v4, v12
	v_and_b32_e32 v9, v3, v13
	v_cmp_eq_u64_e32 vcc_lo, v[8:9], v[14:15]
	s_and_b32 exec_lo, exec_lo, vcc_lo
	s_cbranch_execz .LBB156_81
; %bb.85:                               ;   in Loop: Header=BB156_83 Depth=2
	v_mov_b32_e32 v3, v19
	ds_write_b128 v19, v[2:5] offset:3072
	s_branch .LBB156_81
.LBB156_86:                             ;   in Loop: Header=BB156_83 Depth=2
	v_add_co_u32 v35, vcc_lo, v35, s33
	v_add_co_ci_u32_e64 v36, null, 0, v36, vcc_lo
	v_add_nc_u32_e32 v18, s86, v18
	s_mov_b32 s49, 0
	v_cmp_le_u64_e32 vcc_lo, s[24:25], v[35:36]
	s_orn2_b32 s48, vcc_lo, exec_lo
	s_branch .LBB156_82
.LBB156_87:                             ;   in Loop: Header=BB156_6 Depth=1
	s_or_b32 exec_lo, exec_lo, s10
	s_waitcnt lgkmcnt(0)
	s_barrier
	buffer_gl0_inv
	s_and_saveexec_b32 s6, s3
	s_cbranch_execz .LBB156_89
; %bb.88:                               ;   in Loop: Header=BB156_6 Depth=1
	ds_read_b32 v3, v19 offset:5144
	s_waitcnt lgkmcnt(0)
	v_ashrrev_i32_e32 v4, 31, v3
	ds_write_b64 v19, v[3:4] offset:5120
.LBB156_89:                             ;   in Loop: Header=BB156_6 Depth=1
	s_or_b32 exec_lo, exec_lo, s6
	s_waitcnt lgkmcnt(0)
	s_mov_b32 s6, -1
	s_barrier
	s_and_b32 vcc_lo, exec_lo, s9
	s_cbranch_vccnz .LBB156_22
	s_branch .LBB156_31
.LBB156_90:                             ;   in Loop: Header=BB156_6 Depth=1
	s_inst_prefetch 0x2
	s_or_b32 exec_lo, exec_lo, s44
	s_and_b32 s44, s45, exec_lo
.LBB156_91:                             ;   in Loop: Header=BB156_6 Depth=1
	s_or_b32 exec_lo, exec_lo, s26
.LBB156_92:                             ;   in Loop: Header=BB156_6 Depth=1
	s_and_b32 vcc_lo, exec_lo, s6
	s_cbranch_vccz .LBB156_106
; %bb.93:                               ;   in Loop: Header=BB156_6 Depth=1
	s_mov_b32 s54, s27
	s_cmp_lg_u64 s[54:55], 0
	s_cbranch_scc0 .LBB156_134
; %bb.94:                               ;   in Loop: Header=BB156_6 Depth=1
	v_cvt_f32_u32_e32 v3, s33
	s_sub_u32 s23, 0, s33
	s_subb_u32 s24, 0, 0
	v_fmac_f32_e64 v3, 0x4f800000, 0
	v_rcp_f32_e32 v3, v3
	v_mul_f32_e32 v3, 0x5f7ffffc, v3
	v_mul_f32_e32 v4, 0x2f800000, v3
	v_trunc_f32_e32 v4, v4
	v_fmac_f32_e32 v3, 0xcf800000, v4
	v_cvt_u32_f32_e32 v4, v4
	v_cvt_u32_f32_e32 v3, v3
	v_readfirstlane_b32 s6, v4
	v_readfirstlane_b32 s22, v3
	s_mul_i32 s25, s23, s6
	s_mul_hi_u32 s45, s23, s22
	s_mul_i32 s26, s24, s22
	s_add_i32 s25, s45, s25
	s_mul_i32 s46, s23, s22
	s_add_i32 s25, s25, s26
	s_mul_hi_u32 s45, s22, s46
	s_mul_i32 s48, s22, s25
	s_mul_hi_u32 s47, s6, s46
	s_mul_i32 s26, s6, s46
	s_mul_hi_u32 s46, s22, s25
	s_add_u32 s45, s45, s48
	s_addc_u32 s46, 0, s46
	s_mul_hi_u32 s49, s6, s25
	s_add_u32 s26, s45, s26
	s_mul_i32 s25, s6, s25
	s_addc_u32 s26, s46, s47
	s_addc_u32 s45, s49, 0
	s_add_u32 s25, s26, s25
	s_addc_u32 s26, 0, s45
	s_add_u32 s22, s22, s25
	s_cselect_b32 s25, -1, 0
	s_mul_hi_u32 s45, s23, s22
	s_cmp_lg_u32 s25, 0
	s_mul_i32 s25, s23, s22
	s_addc_u32 s6, s6, s26
	s_mul_i32 s24, s24, s22
	s_mul_i32 s23, s23, s6
	s_mul_hi_u32 s26, s22, s25
	s_add_i32 s23, s45, s23
	s_mul_hi_u32 s45, s6, s25
	s_add_i32 s23, s23, s24
	s_mul_i32 s24, s6, s25
	s_mul_i32 s47, s22, s23
	s_mul_hi_u32 s46, s22, s23
	s_add_u32 s26, s26, s47
	s_addc_u32 s46, 0, s46
	s_mul_hi_u32 s25, s6, s23
	s_add_u32 s24, s26, s24
	s_mul_i32 s23, s6, s23
	s_addc_u32 s24, s46, s45
	s_addc_u32 s25, s25, 0
	s_add_u32 s23, s24, s23
	s_addc_u32 s24, 0, s25
	s_add_u32 s22, s22, s23
	s_cselect_b32 s23, -1, 0
	s_mul_hi_u32 s25, s82, s22
	s_cmp_lg_u32 s23, 0
	s_mul_hi_u32 s23, s55, s22
	s_addc_u32 s6, s6, s24
	s_mul_i32 s22, s55, s22
	s_mul_i32 s26, s82, s6
	s_mul_hi_u32 s24, s82, s6
	s_add_u32 s25, s25, s26
	s_addc_u32 s24, 0, s24
	s_mul_hi_u32 s45, s55, s6
	s_add_u32 s22, s25, s22
	s_mul_i32 s6, s55, s6
	s_addc_u32 s22, s24, s23
	s_addc_u32 s23, s45, 0
	s_add_u32 s6, s22, s6
	s_addc_u32 s22, 0, s23
	s_mul_hi_u32 s23, s33, s6
	s_mul_i32 s22, s33, s22
	s_mul_i32 s6, s33, s6
	s_add_i32 s23, s23, s22
	s_sub_u32 s6, s82, s6
	s_cselect_b32 s22, -1, 0
	s_cmp_lg_u32 s22, 0
	s_subb_u32 s22, s55, s23
	s_sub_u32 s23, s6, s33
	s_cselect_b32 s24, -1, 0
	s_cmp_lg_u32 s24, 0
	s_subb_u32 s24, s22, 0
	s_sub_u32 s25, s23, s33
	s_cselect_b32 s26, -1, 0
	s_cmp_lg_u32 s26, 0
	s_subb_u32 s26, s24, 0
	s_cmp_ge_u32 s23, s33
	s_cselect_b32 s45, -1, 0
	s_cmp_eq_u32 s24, 0
	s_cselect_b32 s45, s45, -1
	s_cmp_lg_u32 s45, 0
	s_cselect_b32 s24, s26, s24
	s_cselect_b32 s25, s25, s23
	s_cmp_ge_u32 s6, s33
	s_cselect_b32 s23, -1, 0
	s_cmp_eq_u32 s22, 0
	s_cselect_b32 s23, s23, -1
	s_cmp_lg_u32 s23, 0
	s_cselect_b32 s23, s24, s22
	s_cselect_b32 s22, s25, s6
	s_cbranch_execnz .LBB156_96
.LBB156_95:                             ;   in Loop: Header=BB156_6 Depth=1
	v_cvt_f32_u32_e32 v3, s33
	s_sub_i32 s22, 0, s33
	v_rcp_iflag_f32_e32 v3, v3
	v_mul_f32_e32 v3, 0x4f7ffffe, v3
	v_cvt_u32_f32_e32 v3, v3
	v_readfirstlane_b32 s6, v3
	s_mul_i32 s22, s22, s6
	s_mul_hi_u32 s22, s6, s22
	s_add_i32 s6, s6, s22
	s_mul_hi_u32 s6, s82, s6
	s_mul_i32 s6, s6, s33
	s_sub_i32 s6, s82, s6
	s_sub_i32 s22, s6, s33
	s_cmp_ge_u32 s6, s33
	s_cselect_b32 s6, s22, s6
	s_sub_i32 s22, s6, s33
	s_cmp_ge_u32 s6, s33
	s_cselect_b32 s26, s22, s6
	s_mov_b64 s[22:23], s[26:27]
.LBB156_96:                             ;   in Loop: Header=BB156_6 Depth=1
	s_sub_u32 s22, s82, s22
	s_subb_u32 s23, s55, s23
	s_mov_b32 s24, exec_lo
                                        ; implicit-def: $vgpr10_vgpr11
	v_cmpx_gt_u64_e64 s[22:23], v[0:1]
	s_cbranch_execz .LBB156_105
; %bb.97:                               ;   in Loop: Header=BB156_6 Depth=1
	v_mov_b32_e32 v36, v17
	v_mov_b32_e32 v38, v1
	;; [unrolled: 1-line block ×4, first 2 shown]
	s_mov_b32 s26, 0
                                        ; implicit-def: $sgpr25
	s_inst_prefetch 0x1
	s_branch .LBB156_100
	.p2align	6
.LBB156_98:                             ;   in Loop: Header=BB156_100 Depth=2
	s_or_b32 exec_lo, exec_lo, s6
	s_waitcnt lgkmcnt(0)
	s_barrier
	buffer_gl0_inv
	ds_read_b128 v[8:11], v19 offset:3072
	s_mov_b32 s6, -1
	s_mov_b32 s45, -1
	s_waitcnt lgkmcnt(0)
	s_barrier
	buffer_gl0_inv
	v_cmp_ne_u64_e32 vcc_lo, 0, v[8:9]
	s_cbranch_vccz .LBB156_103
.LBB156_99:                             ;   in Loop: Header=BB156_100 Depth=2
	s_and_b32 s6, exec_lo, s6
	s_or_b32 s26, s6, s26
	s_andn2_b32 s6, s25, exec_lo
	s_and_b32 s25, s45, exec_lo
	s_or_b32 s25, s6, s25
	s_andn2_b32 exec_lo, exec_lo, s26
	s_cbranch_execz .LBB156_104
.LBB156_100:                            ;   Parent Loop BB156_6 Depth=1
                                        ; =>  This Inner Loop Header: Depth=2
	s_mov_b32 s6, exec_lo
	v_cmpx_gt_u64_e64 s[28:29], v[37:38]
	s_cbranch_execz .LBB156_98
; %bb.101:                              ;   in Loop: Header=BB156_100 Depth=2
	global_load_dwordx2 v[4:5], v[35:36], off
	s_waitcnt vmcnt(0)
	v_xor_b32_e32 v3, 0x80000000, v5
	v_and_b32_e32 v8, v4, v12
	v_and_b32_e32 v9, v3, v13
	v_cmp_eq_u64_e32 vcc_lo, v[8:9], v[14:15]
	s_and_b32 exec_lo, exec_lo, vcc_lo
	s_cbranch_execz .LBB156_98
; %bb.102:                              ;   in Loop: Header=BB156_100 Depth=2
	v_mov_b32_e32 v3, v19
	ds_write_b128 v19, v[2:5] offset:3072
	s_branch .LBB156_98
.LBB156_103:                            ;   in Loop: Header=BB156_100 Depth=2
	v_add_co_u32 v37, vcc_lo, v37, s33
	v_add_co_ci_u32_e64 v38, null, 0, v38, vcc_lo
	v_add_co_u32 v35, s6, v35, s34
	v_add_co_ci_u32_e64 v36, null, s35, v36, s6
	v_cmp_le_u64_e32 vcc_lo, s[22:23], v[37:38]
	s_mov_b32 s45, 0
	s_orn2_b32 s6, vcc_lo, exec_lo
	s_branch .LBB156_99
.LBB156_104:                            ;   in Loop: Header=BB156_6 Depth=1
	s_inst_prefetch 0x2
	s_or_b32 exec_lo, exec_lo, s26
	s_andn2_b32 s6, s44, exec_lo
	s_and_b32 s22, s25, exec_lo
	s_or_b32 s44, s6, s22
.LBB156_105:                            ;   in Loop: Header=BB156_6 Depth=1
	s_or_b32 exec_lo, exec_lo, s24
	s_mov_b32 s64, 0
	s_mov_b32 s65, -1
.LBB156_106:                            ;   in Loop: Header=BB156_6 Depth=1
	s_orn2_b32 s6, s44, exec_lo
.LBB156_107:                            ;   in Loop: Header=BB156_6 Depth=1
	s_or_b32 exec_lo, exec_lo, s66
	s_mov_b32 s66, 0
	s_mov_b32 s63, 0
	;; [unrolled: 1-line block ×3, first 2 shown]
                                        ; implicit-def: $vgpr35_vgpr36
                                        ; implicit-def: $vgpr49
	s_and_saveexec_b32 s67, s6
	s_cbranch_execz .LBB156_265
; %bb.108:                              ;   in Loop: Header=BB156_6 Depth=1
	v_mov_b32_e32 v35, 1
	v_mov_b32_e32 v36, 0
	;; [unrolled: 1-line block ×3, first 2 shown]
	s_xor_b32 s23, s68, -1
	s_mov_b32 s22, 0
	s_and_saveexec_b32 s6, s23
	s_cbranch_execz .LBB156_117
; %bb.109:                              ;   in Loop: Header=BB156_6 Depth=1
	s_mov_b32 s22, exec_lo
	v_cmpx_ge_u64_e64 s[10:11], v[33:34]
	s_xor_b32 s22, exec_lo, s22
	s_cbranch_execz .LBB156_114
; %bb.110:                              ;   in Loop: Header=BB156_6 Depth=1
	ds_read_b64 v[3:4], v19 offset:5120
	v_and_b32_e32 v15, s15, v15
	v_and_b32_e32 v14, s14, v14
	v_or_b32_e32 v13, s13, v13
	v_or_b32_e32 v12, s12, v12
	s_waitcnt lgkmcnt(0)
	v_cmp_ne_u64_e32 vcc_lo, 0, v[3:4]
	s_cbranch_vccnz .LBB156_114
; %bb.111:                              ;   in Loop: Header=BB156_6 Depth=1
	s_and_saveexec_b32 s23, s3
; %bb.112:                              ;   in Loop: Header=BB156_6 Depth=1
	v_mov_b32_e32 v3, s10
	v_mov_b32_e32 v4, s11
	ds_write_b64 v19, v[3:4] offset:5128
; %bb.113:                              ;   in Loop: Header=BB156_6 Depth=1
	s_or_b32 exec_lo, exec_lo, s23
	s_waitcnt lgkmcnt(0)
	s_barrier
	buffer_gl0_inv
.LBB156_114:                            ;   in Loop: Header=BB156_6 Depth=1
	s_or_saveexec_b32 s22, s22
	v_mov_b32_e32 v36, v34
	v_mov_b32_e32 v49, 8
	;; [unrolled: 1-line block ×3, first 2 shown]
	s_mov_b32 s23, 0
	s_xor_b32 exec_lo, exec_lo, s22
; %bb.115:                              ;   in Loop: Header=BB156_6 Depth=1
	v_sub_co_u32 v35, vcc_lo, v33, s10
	v_subrev_co_ci_u32_e64 v36, null, s11, v34, vcc_lo
	v_mov_b32_e32 v49, 0
	s_mov_b32 s23, exec_lo
; %bb.116:                              ;   in Loop: Header=BB156_6 Depth=1
	s_or_b32 exec_lo, exec_lo, s22
	s_and_b32 s22, s23, exec_lo
.LBB156_117:                            ;   in Loop: Header=BB156_6 Depth=1
	s_or_b32 exec_lo, exec_lo, s6
	s_mov_b32 s6, -1
                                        ; implicit-def: $sgpr69
                                        ; implicit-def: $sgpr70
	s_and_saveexec_b32 s23, s22
	s_xor_b32 s68, exec_lo, s23
	s_cbranch_execz .LBB156_262
; %bb.118:                              ;   in Loop: Header=BB156_6 Depth=1
	v_cmp_eq_u64_e32 vcc_lo, 1, v[35:36]
	s_cmp_eq_u64 s[16:17], 1
                                        ; implicit-def: $sgpr70
                                        ; implicit-def: $sgpr69
	s_cselect_b32 s6, -1, 0
	s_and_b32 s72, s6, vcc_lo
	s_mov_b32 s6, -1
	s_and_saveexec_b32 s71, s72
	s_cbranch_execz .LBB156_152
; %bb.119:                              ;   in Loop: Header=BB156_6 Depth=1
	ds_read_b64 v[3:4], v19 offset:5120
	s_waitcnt lgkmcnt(0)
	s_barrier
	buffer_gl0_inv
	v_readfirstlane_b32 s22, v3
	v_readfirstlane_b32 s23, v4
	s_and_saveexec_b32 s6, s8
; %bb.120:                              ;   in Loop: Header=BB156_6 Depth=1
	v_mov_b32_e32 v18, v19
	ds_write_b64 v44, v[18:19]
; %bb.121:                              ;   in Loop: Header=BB156_6 Depth=1
	s_or_b32 exec_lo, exec_lo, s6
	v_and_b32_e32 v3, s15, v15
	v_and_b32_e32 v4, s14, v14
	s_lshl_b64 s[24:25], 1, s93
	v_or_b32_e32 v13, s13, v13
	v_or_b32_e32 v12, s12, v12
	;; [unrolled: 1-line block ×4, first 2 shown]
	s_mov_b32 s69, -1
	s_mov_b32 s70, 0
	s_cmp_eq_u64 s[22:23], 0
	s_mov_b32 s44, 0
	s_mov_b32 s6, -1
	s_waitcnt lgkmcnt(0)
	s_barrier
	buffer_gl0_inv
                                        ; implicit-def: $vgpr10_vgpr11
	s_cbranch_scc1 .LBB156_137
; %bb.122:                              ;   in Loop: Header=BB156_6 Depth=1
	s_add_u32 s6, s22, s80
	s_addc_u32 s25, s23, s81
	s_mov_b32 s24, s27
	s_cmp_lg_u64 s[24:25], 0
	s_cbranch_scc0 .LBB156_178
; %bb.123:                              ;   in Loop: Header=BB156_6 Depth=1
	v_cvt_f32_u32_e32 v3, s33
	s_sub_u32 s44, 0, s33
	s_subb_u32 s45, 0, 0
	v_fmac_f32_e64 v3, 0x4f800000, 0
	v_rcp_f32_e32 v3, v3
	v_mul_f32_e32 v3, 0x5f7ffffc, v3
	v_mul_f32_e32 v4, 0x2f800000, v3
	v_trunc_f32_e32 v4, v4
	v_fmac_f32_e32 v3, 0xcf800000, v4
	v_cvt_u32_f32_e32 v4, v4
	v_cvt_u32_f32_e32 v3, v3
	v_readfirstlane_b32 s24, v4
	v_readfirstlane_b32 s26, v3
	s_mul_i32 s48, s44, s24
	s_mul_hi_u32 s54, s44, s26
	s_mul_i32 s49, s45, s26
	s_add_i32 s48, s54, s48
	s_mul_i32 s62, s44, s26
	s_add_i32 s48, s48, s49
	s_mul_hi_u32 s54, s26, s62
	s_mul_i32 s73, s26, s48
	s_mul_hi_u32 s63, s24, s62
	s_mul_i32 s49, s24, s62
	s_mul_hi_u32 s62, s26, s48
	s_add_u32 s54, s54, s73
	s_addc_u32 s62, 0, s62
	s_mul_hi_u32 s74, s24, s48
	s_add_u32 s49, s54, s49
	s_mul_i32 s48, s24, s48
	s_addc_u32 s49, s62, s63
	s_addc_u32 s54, s74, 0
	s_add_u32 s48, s49, s48
	s_addc_u32 s49, 0, s54
	s_add_u32 s26, s26, s48
	s_cselect_b32 s48, -1, 0
	s_mul_hi_u32 s54, s44, s26
	s_cmp_lg_u32 s48, 0
	s_mul_i32 s48, s44, s26
	s_addc_u32 s24, s24, s49
	s_mul_i32 s45, s45, s26
	s_mul_i32 s44, s44, s24
	s_mul_hi_u32 s49, s26, s48
	s_add_i32 s44, s54, s44
	s_mul_hi_u32 s54, s24, s48
	s_add_i32 s44, s44, s45
	s_mul_i32 s45, s24, s48
	s_mul_i32 s63, s26, s44
	s_mul_hi_u32 s62, s26, s44
	s_add_u32 s49, s49, s63
	s_addc_u32 s62, 0, s62
	s_mul_hi_u32 s48, s24, s44
	s_add_u32 s45, s49, s45
	s_mul_i32 s44, s24, s44
	s_addc_u32 s45, s62, s54
	s_addc_u32 s48, s48, 0
	s_add_u32 s44, s45, s44
	s_addc_u32 s45, 0, s48
	s_add_u32 s26, s26, s44
	s_cselect_b32 s44, -1, 0
	s_mul_hi_u32 s48, s6, s26
	s_cmp_lg_u32 s44, 0
	s_mul_hi_u32 s44, s25, s26
	s_addc_u32 s24, s24, s45
	s_mul_i32 s26, s25, s26
	s_mul_i32 s49, s6, s24
	s_mul_hi_u32 s45, s6, s24
	s_add_u32 s48, s48, s49
	s_addc_u32 s45, 0, s45
	s_mul_hi_u32 s54, s25, s24
	s_add_u32 s26, s48, s26
	s_mul_i32 s24, s25, s24
	s_addc_u32 s26, s45, s44
	s_addc_u32 s44, s54, 0
	s_add_u32 s24, s26, s24
	s_addc_u32 s26, 0, s44
	s_mul_hi_u32 s44, s33, s24
	s_mul_i32 s26, s33, s26
	s_mul_i32 s24, s33, s24
	s_add_i32 s44, s44, s26
	s_sub_u32 s24, s6, s24
	s_cselect_b32 s26, -1, 0
	s_cmp_lg_u32 s26, 0
	s_subb_u32 s26, s25, s44
	s_sub_u32 s44, s24, s33
	s_cselect_b32 s45, -1, 0
	s_cmp_lg_u32 s45, 0
	s_subb_u32 s45, s26, 0
	;; [unrolled: 4-line block ×3, first 2 shown]
	s_cmp_ge_u32 s44, s33
	s_cselect_b32 s54, -1, 0
	s_cmp_eq_u32 s45, 0
	s_cselect_b32 s54, s54, -1
	s_cmp_lg_u32 s54, 0
	s_cselect_b32 s45, s49, s45
	s_cselect_b32 s44, s48, s44
	s_cmp_ge_u32 s24, s33
	s_cselect_b32 s48, -1, 0
	s_cmp_eq_u32 s26, 0
	s_cselect_b32 s48, s48, -1
	s_cmp_lg_u32 s48, 0
	s_cselect_b32 s63, s45, s26
	s_cselect_b32 s62, s44, s24
	s_cbranch_execnz .LBB156_125
.LBB156_124:                            ;   in Loop: Header=BB156_6 Depth=1
	v_cvt_f32_u32_e32 v3, s33
	s_sub_i32 s26, 0, s33
	v_rcp_iflag_f32_e32 v3, v3
	v_mul_f32_e32 v3, 0x4f7ffffe, v3
	v_cvt_u32_f32_e32 v3, v3
	v_readfirstlane_b32 s24, v3
	s_mul_i32 s26, s26, s24
	s_mul_hi_u32 s26, s24, s26
	s_add_i32 s24, s24, s26
	s_mul_hi_u32 s24, s6, s24
	s_mul_i32 s24, s24, s33
	s_sub_i32 s24, s6, s24
	s_sub_i32 s26, s24, s33
	s_cmp_ge_u32 s24, s33
	s_cselect_b32 s24, s26, s24
	s_sub_i32 s26, s24, s33
	s_cmp_ge_u32 s24, s33
	s_cselect_b32 s26, s26, s24
	s_mov_b64 s[62:63], s[26:27]
.LBB156_125:                            ;   in Loop: Header=BB156_6 Depth=1
	s_sub_u32 s24, s6, s62
	s_subb_u32 s25, s25, s63
	s_mov_b32 s6, 0
	s_mov_b32 s44, 0
	s_mov_b32 s26, exec_lo
                                        ; implicit-def: $vgpr10_vgpr11
	v_cmpx_gt_u64_e64 s[24:25], v[0:1]
	s_cbranch_execz .LBB156_136
; %bb.126:                              ;   in Loop: Header=BB156_6 Depth=1
	v_mov_b32_e32 v38, v1
	v_mov_b32_e32 v18, v43
	;; [unrolled: 1-line block ×3, first 2 shown]
                                        ; implicit-def: $sgpr45
	s_inst_prefetch 0x1
	s_branch .LBB156_129
	.p2align	6
.LBB156_127:                            ;   in Loop: Header=BB156_129 Depth=2
	s_or_b32 exec_lo, exec_lo, s54
	s_waitcnt lgkmcnt(0)
	s_barrier
	buffer_gl0_inv
	ds_read_b128 v[8:11], v19 offset:3072
	s_mov_b32 s48, -1
	s_mov_b32 s49, -1
	s_waitcnt lgkmcnt(0)
	s_barrier
	buffer_gl0_inv
	v_cmp_ne_u64_e32 vcc_lo, 0, v[8:9]
	s_cbranch_vccz .LBB156_132
.LBB156_128:                            ;   in Loop: Header=BB156_129 Depth=2
	s_and_b32 s46, exec_lo, s48
	s_or_b32 s44, s46, s44
	s_andn2_b32 s45, s45, exec_lo
	s_and_b32 s46, s49, exec_lo
	s_or_b32 s45, s45, s46
	s_andn2_b32 exec_lo, exec_lo, s44
	s_cbranch_execz .LBB156_135
.LBB156_129:                            ;   Parent Loop BB156_6 Depth=1
                                        ; =>  This Inner Loop Header: Depth=2
	s_mov_b32 s54, exec_lo
	v_cmpx_gt_u64_e64 s[22:23], v[37:38]
	s_cbranch_execz .LBB156_127
; %bb.130:                              ;   in Loop: Header=BB156_129 Depth=2
	ds_read_b64 v[4:5], v18
	s_waitcnt lgkmcnt(0)
	v_xor_b32_e32 v3, 0x80000000, v5
	v_and_b32_e32 v8, v4, v12
	v_and_b32_e32 v9, v3, v13
	v_cmp_eq_u64_e32 vcc_lo, v[8:9], v[14:15]
	s_and_b32 exec_lo, exec_lo, vcc_lo
	s_cbranch_execz .LBB156_127
; %bb.131:                              ;   in Loop: Header=BB156_129 Depth=2
	v_mov_b32_e32 v3, v19
	ds_write_b128 v19, v[2:5] offset:3072
	s_branch .LBB156_127
.LBB156_132:                            ;   in Loop: Header=BB156_129 Depth=2
	v_add_co_u32 v37, vcc_lo, v37, s33
	v_add_co_ci_u32_e64 v38, null, 0, v38, vcc_lo
	v_add_nc_u32_e32 v18, s86, v18
	s_mov_b32 s49, 0
	v_cmp_le_u64_e32 vcc_lo, s[24:25], v[37:38]
	s_orn2_b32 s48, vcc_lo, exec_lo
	s_branch .LBB156_128
.LBB156_133:                            ;   in Loop: Header=BB156_6 Depth=1
                                        ; implicit-def: $sgpr62_sgpr63
	s_branch .LBB156_78
.LBB156_134:                            ;   in Loop: Header=BB156_6 Depth=1
                                        ; implicit-def: $sgpr22_sgpr23
	s_branch .LBB156_95
.LBB156_135:                            ;   in Loop: Header=BB156_6 Depth=1
	s_inst_prefetch 0x2
	s_or_b32 exec_lo, exec_lo, s44
	s_and_b32 s44, s45, exec_lo
.LBB156_136:                            ;   in Loop: Header=BB156_6 Depth=1
	s_or_b32 exec_lo, exec_lo, s26
.LBB156_137:                            ;   in Loop: Header=BB156_6 Depth=1
	s_and_b32 vcc_lo, exec_lo, s6
	s_cbranch_vccz .LBB156_151
; %bb.138:                              ;   in Loop: Header=BB156_6 Depth=1
	s_mov_b32 s54, s27
	s_cmp_lg_u64 s[54:55], 0
	s_cbranch_scc0 .LBB156_179
; %bb.139:                              ;   in Loop: Header=BB156_6 Depth=1
	v_cvt_f32_u32_e32 v3, s33
	s_sub_u32 s23, 0, s33
	s_subb_u32 s24, 0, 0
	v_fmac_f32_e64 v3, 0x4f800000, 0
	v_rcp_f32_e32 v3, v3
	v_mul_f32_e32 v3, 0x5f7ffffc, v3
	v_mul_f32_e32 v4, 0x2f800000, v3
	v_trunc_f32_e32 v4, v4
	v_fmac_f32_e32 v3, 0xcf800000, v4
	v_cvt_u32_f32_e32 v4, v4
	v_cvt_u32_f32_e32 v3, v3
	v_readfirstlane_b32 s6, v4
	v_readfirstlane_b32 s22, v3
	s_mul_i32 s25, s23, s6
	s_mul_hi_u32 s45, s23, s22
	s_mul_i32 s26, s24, s22
	s_add_i32 s25, s45, s25
	s_mul_i32 s48, s23, s22
	s_add_i32 s25, s25, s26
	s_mul_hi_u32 s45, s22, s48
	s_mul_i32 s54, s22, s25
	s_mul_hi_u32 s49, s6, s48
	s_mul_i32 s26, s6, s48
	s_mul_hi_u32 s48, s22, s25
	s_add_u32 s45, s45, s54
	s_addc_u32 s48, 0, s48
	s_mul_hi_u32 s62, s6, s25
	s_add_u32 s26, s45, s26
	s_mul_i32 s25, s6, s25
	s_addc_u32 s26, s48, s49
	s_addc_u32 s45, s62, 0
	s_add_u32 s25, s26, s25
	s_addc_u32 s26, 0, s45
	s_add_u32 s22, s22, s25
	s_cselect_b32 s25, -1, 0
	s_mul_hi_u32 s45, s23, s22
	s_cmp_lg_u32 s25, 0
	s_mul_i32 s25, s23, s22
	s_addc_u32 s6, s6, s26
	s_mul_i32 s24, s24, s22
	s_mul_i32 s23, s23, s6
	s_mul_hi_u32 s26, s22, s25
	s_add_i32 s23, s45, s23
	s_mul_hi_u32 s45, s6, s25
	s_add_i32 s23, s23, s24
	s_mul_i32 s24, s6, s25
	s_mul_i32 s49, s22, s23
	s_mul_hi_u32 s48, s22, s23
	s_add_u32 s26, s26, s49
	s_addc_u32 s48, 0, s48
	s_mul_hi_u32 s25, s6, s23
	s_add_u32 s24, s26, s24
	s_mul_i32 s23, s6, s23
	s_addc_u32 s24, s48, s45
	s_addc_u32 s25, s25, 0
	s_add_u32 s23, s24, s23
	s_addc_u32 s24, 0, s25
	s_add_u32 s22, s22, s23
	s_cselect_b32 s23, -1, 0
	s_mul_hi_u32 s25, s82, s22
	s_cmp_lg_u32 s23, 0
	s_mul_hi_u32 s23, s55, s22
	s_addc_u32 s6, s6, s24
	s_mul_i32 s22, s55, s22
	s_mul_i32 s26, s82, s6
	s_mul_hi_u32 s24, s82, s6
	s_add_u32 s25, s25, s26
	s_addc_u32 s24, 0, s24
	s_mul_hi_u32 s45, s55, s6
	s_add_u32 s22, s25, s22
	s_mul_i32 s6, s55, s6
	s_addc_u32 s22, s24, s23
	s_addc_u32 s23, s45, 0
	s_add_u32 s6, s22, s6
	s_addc_u32 s22, 0, s23
	s_mul_hi_u32 s23, s33, s6
	s_mul_i32 s22, s33, s22
	s_mul_i32 s6, s33, s6
	s_add_i32 s23, s23, s22
	s_sub_u32 s6, s82, s6
	s_cselect_b32 s22, -1, 0
	s_cmp_lg_u32 s22, 0
	s_subb_u32 s22, s55, s23
	s_sub_u32 s23, s6, s33
	s_cselect_b32 s24, -1, 0
	s_cmp_lg_u32 s24, 0
	s_subb_u32 s24, s22, 0
	;; [unrolled: 4-line block ×3, first 2 shown]
	s_cmp_ge_u32 s23, s33
	s_cselect_b32 s45, -1, 0
	s_cmp_eq_u32 s24, 0
	s_cselect_b32 s45, s45, -1
	s_cmp_lg_u32 s45, 0
	s_cselect_b32 s24, s26, s24
	s_cselect_b32 s25, s25, s23
	s_cmp_ge_u32 s6, s33
	s_cselect_b32 s23, -1, 0
	s_cmp_eq_u32 s22, 0
	s_cselect_b32 s23, s23, -1
	s_cmp_lg_u32 s23, 0
	s_cselect_b32 s23, s24, s22
	s_cselect_b32 s22, s25, s6
	s_cbranch_execnz .LBB156_141
.LBB156_140:                            ;   in Loop: Header=BB156_6 Depth=1
	v_cvt_f32_u32_e32 v3, s33
	s_sub_i32 s22, 0, s33
	v_rcp_iflag_f32_e32 v3, v3
	v_mul_f32_e32 v3, 0x4f7ffffe, v3
	v_cvt_u32_f32_e32 v3, v3
	v_readfirstlane_b32 s6, v3
	s_mul_i32 s22, s22, s6
	s_mul_hi_u32 s22, s6, s22
	s_add_i32 s6, s6, s22
	s_mul_hi_u32 s6, s82, s6
	s_mul_i32 s6, s6, s33
	s_sub_i32 s6, s82, s6
	s_sub_i32 s22, s6, s33
	s_cmp_ge_u32 s6, s33
	s_cselect_b32 s6, s22, s6
	s_sub_i32 s22, s6, s33
	s_cmp_ge_u32 s6, s33
	s_cselect_b32 s26, s22, s6
	s_mov_b64 s[22:23], s[26:27]
.LBB156_141:                            ;   in Loop: Header=BB156_6 Depth=1
	s_sub_u32 s22, s82, s22
	s_subb_u32 s23, s55, s23
	s_mov_b32 s24, exec_lo
                                        ; implicit-def: $vgpr10_vgpr11
	v_cmpx_gt_u64_e64 s[22:23], v[0:1]
	s_cbranch_execz .LBB156_150
; %bb.142:                              ;   in Loop: Header=BB156_6 Depth=1
	v_mov_b32_e32 v38, v17
	v_mov_b32_e32 v40, v1
	;; [unrolled: 1-line block ×4, first 2 shown]
	s_mov_b32 s25, 0
                                        ; implicit-def: $sgpr26
	s_inst_prefetch 0x1
	s_branch .LBB156_145
	.p2align	6
.LBB156_143:                            ;   in Loop: Header=BB156_145 Depth=2
	s_or_b32 exec_lo, exec_lo, s6
	s_waitcnt lgkmcnt(0)
	s_barrier
	buffer_gl0_inv
	ds_read_b128 v[8:11], v19 offset:3072
	s_mov_b32 s6, -1
	s_mov_b32 s45, -1
	s_waitcnt lgkmcnt(0)
	s_barrier
	buffer_gl0_inv
	v_cmp_eq_u64_e32 vcc_lo, 0, v[8:9]
	s_cbranch_vccnz .LBB156_148
.LBB156_144:                            ;   in Loop: Header=BB156_145 Depth=2
	s_and_b32 s6, exec_lo, s6
	s_or_b32 s25, s6, s25
	s_andn2_b32 s6, s26, exec_lo
	s_and_b32 s26, s45, exec_lo
	s_or_b32 s26, s6, s26
	s_andn2_b32 exec_lo, exec_lo, s25
	s_cbranch_execz .LBB156_149
.LBB156_145:                            ;   Parent Loop BB156_6 Depth=1
                                        ; =>  This Inner Loop Header: Depth=2
	s_mov_b32 s6, exec_lo
	v_cmpx_gt_u64_e64 s[28:29], v[39:40]
	s_cbranch_execz .LBB156_143
; %bb.146:                              ;   in Loop: Header=BB156_145 Depth=2
	global_load_dwordx2 v[4:5], v[37:38], off
	s_waitcnt vmcnt(0)
	v_xor_b32_e32 v3, 0x80000000, v5
	v_and_b32_e32 v8, v4, v12
	v_and_b32_e32 v9, v3, v13
	v_cmp_eq_u64_e32 vcc_lo, v[8:9], v[14:15]
	s_and_b32 exec_lo, exec_lo, vcc_lo
	s_cbranch_execz .LBB156_143
; %bb.147:                              ;   in Loop: Header=BB156_145 Depth=2
	v_mov_b32_e32 v3, v19
	ds_write_b128 v19, v[2:5] offset:3072
	s_branch .LBB156_143
.LBB156_148:                            ;   in Loop: Header=BB156_145 Depth=2
	v_add_co_u32 v39, vcc_lo, v39, s33
	v_add_co_ci_u32_e64 v40, null, 0, v40, vcc_lo
	v_add_co_u32 v37, s6, v37, s34
	v_add_co_ci_u32_e64 v38, null, s35, v38, s6
	v_cmp_le_u64_e32 vcc_lo, s[22:23], v[39:40]
	s_mov_b32 s45, 0
	s_orn2_b32 s6, vcc_lo, exec_lo
	s_branch .LBB156_144
.LBB156_149:                            ;   in Loop: Header=BB156_6 Depth=1
	s_inst_prefetch 0x2
	s_or_b32 exec_lo, exec_lo, s25
	s_andn2_b32 s6, s44, exec_lo
	s_and_b32 s22, s26, exec_lo
	s_or_b32 s44, s6, s22
.LBB156_150:                            ;   in Loop: Header=BB156_6 Depth=1
	s_or_b32 exec_lo, exec_lo, s24
	s_mov_b32 s69, 0
	s_mov_b32 s70, -1
.LBB156_151:                            ;   in Loop: Header=BB156_6 Depth=1
	s_orn2_b32 s6, s44, exec_lo
.LBB156_152:                            ;   in Loop: Header=BB156_6 Depth=1
	s_or_b32 exec_lo, exec_lo, s71
	s_mov_b32 s22, 0
	s_and_saveexec_b32 s71, s6
	s_cbranch_execz .LBB156_261
; %bb.153:                              ;   in Loop: Header=BB156_6 Depth=1
	v_mov_b32_e32 v37, 1
	v_mov_b32_e32 v38, 0
	;; [unrolled: 1-line block ×3, first 2 shown]
	s_xor_b32 s23, s72, -1
	s_and_saveexec_b32 s6, s23
	s_cbranch_execz .LBB156_162
; %bb.154:                              ;   in Loop: Header=BB156_6 Depth=1
	s_mov_b32 s22, exec_lo
	v_cmpx_ge_u64_e64 s[16:17], v[35:36]
	s_xor_b32 s22, exec_lo, s22
	s_cbranch_execz .LBB156_159
; %bb.155:                              ;   in Loop: Header=BB156_6 Depth=1
	ds_read_b64 v[3:4], v19 offset:5120
	v_and_b32_e32 v5, s15, v15
	v_and_b32_e32 v8, s14, v14
	s_lshl_b64 s[24:25], 1, s93
	v_or_b32_e32 v13, s13, v13
	v_or_b32_e32 v12, s12, v12
	v_or_b32_e32 v15, s25, v5
	v_or_b32_e32 v14, s24, v8
	s_waitcnt lgkmcnt(0)
	v_cmp_ne_u64_e32 vcc_lo, 0, v[3:4]
	s_cbranch_vccnz .LBB156_159
; %bb.156:                              ;   in Loop: Header=BB156_6 Depth=1
	s_and_saveexec_b32 s23, s3
; %bb.157:                              ;   in Loop: Header=BB156_6 Depth=1
	v_mov_b32_e32 v3, s16
	v_mov_b32_e32 v4, s17
	ds_write_b64 v19, v[3:4] offset:5128
; %bb.158:                              ;   in Loop: Header=BB156_6 Depth=1
	s_or_b32 exec_lo, exec_lo, s23
	s_waitcnt lgkmcnt(0)
	s_barrier
	buffer_gl0_inv
.LBB156_159:                            ;   in Loop: Header=BB156_6 Depth=1
	s_or_saveexec_b32 s22, s22
	v_mov_b32_e32 v49, 8
	s_mov_b32 s23, 0
	s_xor_b32 exec_lo, exec_lo, s22
; %bb.160:                              ;   in Loop: Header=BB156_6 Depth=1
	v_sub_co_u32 v35, vcc_lo, v35, s16
	v_subrev_co_ci_u32_e64 v36, null, s17, v36, vcc_lo
	v_mov_b32_e32 v49, 0
	s_mov_b32 s23, exec_lo
; %bb.161:                              ;   in Loop: Header=BB156_6 Depth=1
	s_or_b32 exec_lo, exec_lo, s22
	v_mov_b32_e32 v38, v36
	v_mov_b32_e32 v37, v35
	s_and_b32 s22, s23, exec_lo
.LBB156_162:                            ;   in Loop: Header=BB156_6 Depth=1
	s_or_b32 exec_lo, exec_lo, s6
	s_mov_b32 s6, -1
                                        ; implicit-def: $sgpr73
                                        ; implicit-def: $sgpr74
	s_and_saveexec_b32 s72, s22
	s_cbranch_execz .LBB156_260
; %bb.163:                              ;   in Loop: Header=BB156_6 Depth=1
	v_cmp_eq_u64_e32 vcc_lo, 1, v[37:38]
	s_cmp_eq_u64 s[18:19], 1
                                        ; implicit-def: $sgpr74
                                        ; implicit-def: $sgpr73
	s_cselect_b32 s6, -1, 0
	s_and_b32 s104, s6, vcc_lo
	s_mov_b32 s6, -1
	s_and_saveexec_b32 s75, s104
	s_cbranch_execz .LBB156_197
; %bb.164:                              ;   in Loop: Header=BB156_6 Depth=1
	ds_read_b64 v[3:4], v19 offset:5120
	s_waitcnt lgkmcnt(0)
	s_barrier
	buffer_gl0_inv
	v_readfirstlane_b32 s22, v3
	v_readfirstlane_b32 s23, v4
	s_and_saveexec_b32 s6, s8
; %bb.165:                              ;   in Loop: Header=BB156_6 Depth=1
	v_mov_b32_e32 v18, v19
	ds_write_b64 v44, v[18:19]
; %bb.166:                              ;   in Loop: Header=BB156_6 Depth=1
	s_or_b32 exec_lo, exec_lo, s6
	v_and_b32_e32 v3, s15, v15
	v_and_b32_e32 v4, s14, v14
	s_lshl_b64 s[24:25], 2, s93
	v_or_b32_e32 v13, s13, v13
	v_or_b32_e32 v12, s12, v12
	;; [unrolled: 1-line block ×4, first 2 shown]
	s_mov_b32 s73, -1
	s_mov_b32 s74, 0
	s_cmp_eq_u64 s[22:23], 0
	s_mov_b32 s44, 0
	s_mov_b32 s6, -1
	s_waitcnt lgkmcnt(0)
	s_barrier
	buffer_gl0_inv
                                        ; implicit-def: $vgpr10_vgpr11
	s_cbranch_scc1 .LBB156_182
; %bb.167:                              ;   in Loop: Header=BB156_6 Depth=1
	s_add_u32 s6, s22, s80
	s_addc_u32 s25, s23, s81
	s_mov_b32 s24, s27
	s_cmp_lg_u64 s[24:25], 0
	s_cbranch_scc0 .LBB156_214
; %bb.168:                              ;   in Loop: Header=BB156_6 Depth=1
	v_cvt_f32_u32_e32 v3, s33
	s_sub_u32 s44, 0, s33
	s_subb_u32 s45, 0, 0
	v_fmac_f32_e64 v3, 0x4f800000, 0
	v_rcp_f32_e32 v3, v3
	v_mul_f32_e32 v3, 0x5f7ffffc, v3
	v_mul_f32_e32 v4, 0x2f800000, v3
	v_trunc_f32_e32 v4, v4
	v_fmac_f32_e32 v3, 0xcf800000, v4
	v_cvt_u32_f32_e32 v4, v4
	v_cvt_u32_f32_e32 v3, v3
	v_readfirstlane_b32 s24, v4
	v_readfirstlane_b32 s26, v3
	s_mul_i32 s48, s44, s24
	s_mul_hi_u32 s54, s44, s26
	s_mul_i32 s49, s45, s26
	s_add_i32 s48, s54, s48
	s_mul_i32 s62, s44, s26
	s_add_i32 s48, s48, s49
	s_mul_hi_u32 s54, s26, s62
	s_mul_i32 vcc_lo, s26, s48
	s_mul_hi_u32 s63, s24, s62
	s_mul_i32 s49, s24, s62
	s_mul_hi_u32 s62, s26, s48
	s_add_u32 s54, s54, vcc_lo
	s_addc_u32 s62, 0, s62
	s_mul_hi_u32 vcc_hi, s24, s48
	s_add_u32 s49, s54, s49
	s_mul_i32 s48, s24, s48
	s_addc_u32 s49, s62, s63
	s_addc_u32 s54, vcc_hi, 0
	s_add_u32 s48, s49, s48
	s_addc_u32 s49, 0, s54
	s_add_u32 s26, s26, s48
	s_cselect_b32 s48, -1, 0
	s_mul_hi_u32 s54, s44, s26
	s_cmp_lg_u32 s48, 0
	s_mul_i32 s48, s44, s26
	s_addc_u32 s24, s24, s49
	s_mul_i32 s45, s45, s26
	s_mul_i32 s44, s44, s24
	s_mul_hi_u32 s49, s26, s48
	s_add_i32 s44, s54, s44
	s_mul_hi_u32 s54, s24, s48
	s_add_i32 s44, s44, s45
	s_mul_i32 s45, s24, s48
	s_mul_i32 s63, s26, s44
	s_mul_hi_u32 s62, s26, s44
	s_add_u32 s49, s49, s63
	s_addc_u32 s62, 0, s62
	s_mul_hi_u32 s48, s24, s44
	s_add_u32 s45, s49, s45
	s_mul_i32 s44, s24, s44
	s_addc_u32 s45, s62, s54
	s_addc_u32 s48, s48, 0
	s_add_u32 s44, s45, s44
	s_addc_u32 s45, 0, s48
	s_add_u32 s26, s26, s44
	s_cselect_b32 s44, -1, 0
	s_mul_hi_u32 s48, s6, s26
	s_cmp_lg_u32 s44, 0
	s_mul_hi_u32 s44, s25, s26
	s_addc_u32 s24, s24, s45
	s_mul_i32 s26, s25, s26
	s_mul_i32 s49, s6, s24
	s_mul_hi_u32 s45, s6, s24
	s_add_u32 s48, s48, s49
	s_addc_u32 s45, 0, s45
	s_mul_hi_u32 s54, s25, s24
	s_add_u32 s26, s48, s26
	s_mul_i32 s24, s25, s24
	s_addc_u32 s26, s45, s44
	s_addc_u32 s44, s54, 0
	s_add_u32 s24, s26, s24
	s_addc_u32 s26, 0, s44
	s_mul_hi_u32 s44, s33, s24
	s_mul_i32 s26, s33, s26
	s_mul_i32 s24, s33, s24
	s_add_i32 s44, s44, s26
	s_sub_u32 s24, s6, s24
	s_cselect_b32 s26, -1, 0
	s_cmp_lg_u32 s26, 0
	s_subb_u32 s26, s25, s44
	s_sub_u32 s44, s24, s33
	s_cselect_b32 s45, -1, 0
	s_cmp_lg_u32 s45, 0
	s_subb_u32 s45, s26, 0
	;; [unrolled: 4-line block ×3, first 2 shown]
	s_cmp_ge_u32 s44, s33
	s_cselect_b32 s54, -1, 0
	s_cmp_eq_u32 s45, 0
	s_cselect_b32 s54, s54, -1
	s_cmp_lg_u32 s54, 0
	s_cselect_b32 s45, s49, s45
	s_cselect_b32 s44, s48, s44
	s_cmp_ge_u32 s24, s33
	s_cselect_b32 s48, -1, 0
	s_cmp_eq_u32 s26, 0
	s_cselect_b32 s48, s48, -1
	s_cmp_lg_u32 s48, 0
	s_cselect_b32 s63, s45, s26
	s_cselect_b32 s62, s44, s24
	s_cbranch_execnz .LBB156_170
.LBB156_169:                            ;   in Loop: Header=BB156_6 Depth=1
	v_cvt_f32_u32_e32 v3, s33
	s_sub_i32 s26, 0, s33
	v_rcp_iflag_f32_e32 v3, v3
	v_mul_f32_e32 v3, 0x4f7ffffe, v3
	v_cvt_u32_f32_e32 v3, v3
	v_readfirstlane_b32 s24, v3
	s_mul_i32 s26, s26, s24
	s_mul_hi_u32 s26, s24, s26
	s_add_i32 s24, s24, s26
	s_mul_hi_u32 s24, s6, s24
	s_mul_i32 s24, s24, s33
	s_sub_i32 s24, s6, s24
	s_sub_i32 s26, s24, s33
	s_cmp_ge_u32 s24, s33
	s_cselect_b32 s24, s26, s24
	s_sub_i32 s26, s24, s33
	s_cmp_ge_u32 s24, s33
	s_cselect_b32 s26, s26, s24
	s_mov_b64 s[62:63], s[26:27]
.LBB156_170:                            ;   in Loop: Header=BB156_6 Depth=1
	s_sub_u32 s24, s6, s62
	s_subb_u32 s25, s25, s63
	s_mov_b32 s6, 0
	s_mov_b32 s44, 0
	s_mov_b32 s26, exec_lo
                                        ; implicit-def: $vgpr10_vgpr11
	v_cmpx_gt_u64_e64 s[24:25], v[0:1]
	s_cbranch_execz .LBB156_181
; %bb.171:                              ;   in Loop: Header=BB156_6 Depth=1
	v_mov_b32_e32 v36, v1
	v_mov_b32_e32 v18, v43
	;; [unrolled: 1-line block ×3, first 2 shown]
                                        ; implicit-def: $sgpr45
	s_inst_prefetch 0x1
	s_branch .LBB156_174
	.p2align	6
.LBB156_172:                            ;   in Loop: Header=BB156_174 Depth=2
	s_or_b32 exec_lo, exec_lo, s54
	s_waitcnt lgkmcnt(0)
	s_barrier
	buffer_gl0_inv
	ds_read_b128 v[8:11], v19 offset:3072
	s_mov_b32 s48, -1
	s_mov_b32 s49, -1
	s_waitcnt lgkmcnt(0)
	s_barrier
	buffer_gl0_inv
	v_cmp_ne_u64_e32 vcc_lo, 0, v[8:9]
	s_cbranch_vccz .LBB156_177
.LBB156_173:                            ;   in Loop: Header=BB156_174 Depth=2
	s_and_b32 s46, exec_lo, s48
	s_or_b32 s44, s46, s44
	s_andn2_b32 s45, s45, exec_lo
	s_and_b32 s46, s49, exec_lo
	s_or_b32 s45, s45, s46
	s_andn2_b32 exec_lo, exec_lo, s44
	s_cbranch_execz .LBB156_180
.LBB156_174:                            ;   Parent Loop BB156_6 Depth=1
                                        ; =>  This Inner Loop Header: Depth=2
	s_mov_b32 s54, exec_lo
	v_cmpx_gt_u64_e64 s[22:23], v[35:36]
	s_cbranch_execz .LBB156_172
; %bb.175:                              ;   in Loop: Header=BB156_174 Depth=2
	ds_read_b64 v[4:5], v18
	s_waitcnt lgkmcnt(0)
	v_xor_b32_e32 v3, 0x80000000, v5
	v_and_b32_e32 v8, v4, v12
	v_and_b32_e32 v9, v3, v13
	v_cmp_eq_u64_e32 vcc_lo, v[8:9], v[14:15]
	s_and_b32 exec_lo, exec_lo, vcc_lo
	s_cbranch_execz .LBB156_172
; %bb.176:                              ;   in Loop: Header=BB156_174 Depth=2
	v_mov_b32_e32 v3, v19
	ds_write_b128 v19, v[2:5] offset:3072
	s_branch .LBB156_172
.LBB156_177:                            ;   in Loop: Header=BB156_174 Depth=2
	v_add_co_u32 v35, vcc_lo, v35, s33
	v_add_co_ci_u32_e64 v36, null, 0, v36, vcc_lo
	v_add_nc_u32_e32 v18, s86, v18
	s_mov_b32 s49, 0
	v_cmp_le_u64_e32 vcc_lo, s[24:25], v[35:36]
	s_orn2_b32 s48, vcc_lo, exec_lo
	s_branch .LBB156_173
.LBB156_178:                            ;   in Loop: Header=BB156_6 Depth=1
                                        ; implicit-def: $sgpr62_sgpr63
	s_branch .LBB156_124
.LBB156_179:                            ;   in Loop: Header=BB156_6 Depth=1
                                        ; implicit-def: $sgpr22_sgpr23
	s_branch .LBB156_140
.LBB156_180:                            ;   in Loop: Header=BB156_6 Depth=1
	s_inst_prefetch 0x2
	s_or_b32 exec_lo, exec_lo, s44
	s_and_b32 s44, s45, exec_lo
.LBB156_181:                            ;   in Loop: Header=BB156_6 Depth=1
	s_or_b32 exec_lo, exec_lo, s26
.LBB156_182:                            ;   in Loop: Header=BB156_6 Depth=1
	s_and_b32 vcc_lo, exec_lo, s6
	s_cbranch_vccz .LBB156_196
; %bb.183:                              ;   in Loop: Header=BB156_6 Depth=1
	s_mov_b32 s54, s27
	s_cmp_lg_u64 s[54:55], 0
	s_cbranch_scc0 .LBB156_215
; %bb.184:                              ;   in Loop: Header=BB156_6 Depth=1
	v_cvt_f32_u32_e32 v3, s33
	s_sub_u32 s23, 0, s33
	s_subb_u32 s24, 0, 0
	v_fmac_f32_e64 v3, 0x4f800000, 0
	v_rcp_f32_e32 v3, v3
	v_mul_f32_e32 v3, 0x5f7ffffc, v3
	v_mul_f32_e32 v4, 0x2f800000, v3
	v_trunc_f32_e32 v4, v4
	v_fmac_f32_e32 v3, 0xcf800000, v4
	v_cvt_u32_f32_e32 v4, v4
	v_cvt_u32_f32_e32 v3, v3
	v_readfirstlane_b32 s6, v4
	v_readfirstlane_b32 s22, v3
	s_mul_i32 s25, s23, s6
	s_mul_hi_u32 s45, s23, s22
	s_mul_i32 s26, s24, s22
	s_add_i32 s25, s45, s25
	s_mul_i32 s48, s23, s22
	s_add_i32 s25, s25, s26
	s_mul_hi_u32 s45, s22, s48
	s_mul_i32 s54, s22, s25
	s_mul_hi_u32 s49, s6, s48
	s_mul_i32 s26, s6, s48
	s_mul_hi_u32 s48, s22, s25
	s_add_u32 s45, s45, s54
	s_addc_u32 s48, 0, s48
	s_mul_hi_u32 s62, s6, s25
	s_add_u32 s26, s45, s26
	s_mul_i32 s25, s6, s25
	s_addc_u32 s26, s48, s49
	s_addc_u32 s45, s62, 0
	s_add_u32 s25, s26, s25
	s_addc_u32 s26, 0, s45
	s_add_u32 s22, s22, s25
	s_cselect_b32 s25, -1, 0
	s_mul_hi_u32 s45, s23, s22
	s_cmp_lg_u32 s25, 0
	s_mul_i32 s25, s23, s22
	s_addc_u32 s6, s6, s26
	s_mul_i32 s24, s24, s22
	s_mul_i32 s23, s23, s6
	s_mul_hi_u32 s26, s22, s25
	s_add_i32 s23, s45, s23
	s_mul_hi_u32 s45, s6, s25
	s_add_i32 s23, s23, s24
	s_mul_i32 s24, s6, s25
	s_mul_i32 s49, s22, s23
	s_mul_hi_u32 s48, s22, s23
	s_add_u32 s26, s26, s49
	s_addc_u32 s48, 0, s48
	s_mul_hi_u32 s25, s6, s23
	s_add_u32 s24, s26, s24
	s_mul_i32 s23, s6, s23
	s_addc_u32 s24, s48, s45
	s_addc_u32 s25, s25, 0
	s_add_u32 s23, s24, s23
	s_addc_u32 s24, 0, s25
	s_add_u32 s22, s22, s23
	s_cselect_b32 s23, -1, 0
	s_mul_hi_u32 s25, s82, s22
	s_cmp_lg_u32 s23, 0
	s_mul_hi_u32 s23, s55, s22
	s_addc_u32 s6, s6, s24
	s_mul_i32 s22, s55, s22
	s_mul_i32 s26, s82, s6
	s_mul_hi_u32 s24, s82, s6
	s_add_u32 s25, s25, s26
	s_addc_u32 s24, 0, s24
	s_mul_hi_u32 s45, s55, s6
	s_add_u32 s22, s25, s22
	s_mul_i32 s6, s55, s6
	s_addc_u32 s22, s24, s23
	s_addc_u32 s23, s45, 0
	s_add_u32 s6, s22, s6
	s_addc_u32 s22, 0, s23
	s_mul_hi_u32 s23, s33, s6
	s_mul_i32 s22, s33, s22
	s_mul_i32 s6, s33, s6
	s_add_i32 s23, s23, s22
	s_sub_u32 s6, s82, s6
	s_cselect_b32 s22, -1, 0
	s_cmp_lg_u32 s22, 0
	s_subb_u32 s22, s55, s23
	s_sub_u32 s23, s6, s33
	s_cselect_b32 s24, -1, 0
	s_cmp_lg_u32 s24, 0
	s_subb_u32 s24, s22, 0
	;; [unrolled: 4-line block ×3, first 2 shown]
	s_cmp_ge_u32 s23, s33
	s_cselect_b32 s45, -1, 0
	s_cmp_eq_u32 s24, 0
	s_cselect_b32 s45, s45, -1
	s_cmp_lg_u32 s45, 0
	s_cselect_b32 s24, s26, s24
	s_cselect_b32 s25, s25, s23
	s_cmp_ge_u32 s6, s33
	s_cselect_b32 s23, -1, 0
	s_cmp_eq_u32 s22, 0
	s_cselect_b32 s23, s23, -1
	s_cmp_lg_u32 s23, 0
	s_cselect_b32 s23, s24, s22
	s_cselect_b32 s22, s25, s6
	s_cbranch_execnz .LBB156_186
.LBB156_185:                            ;   in Loop: Header=BB156_6 Depth=1
	v_cvt_f32_u32_e32 v3, s33
	s_sub_i32 s22, 0, s33
	v_rcp_iflag_f32_e32 v3, v3
	v_mul_f32_e32 v3, 0x4f7ffffe, v3
	v_cvt_u32_f32_e32 v3, v3
	v_readfirstlane_b32 s6, v3
	s_mul_i32 s22, s22, s6
	s_mul_hi_u32 s22, s6, s22
	s_add_i32 s6, s6, s22
	s_mul_hi_u32 s6, s82, s6
	s_mul_i32 s6, s6, s33
	s_sub_i32 s6, s82, s6
	s_sub_i32 s22, s6, s33
	s_cmp_ge_u32 s6, s33
	s_cselect_b32 s6, s22, s6
	s_sub_i32 s22, s6, s33
	s_cmp_ge_u32 s6, s33
	s_cselect_b32 s26, s22, s6
	s_mov_b64 s[22:23], s[26:27]
.LBB156_186:                            ;   in Loop: Header=BB156_6 Depth=1
	s_sub_u32 s22, s82, s22
	s_subb_u32 s23, s55, s23
	s_mov_b32 s24, exec_lo
                                        ; implicit-def: $vgpr10_vgpr11
	v_cmpx_gt_u64_e64 s[22:23], v[0:1]
	s_cbranch_execz .LBB156_195
; %bb.187:                              ;   in Loop: Header=BB156_6 Depth=1
	v_mov_b32_e32 v36, v17
	v_mov_b32_e32 v40, v1
	;; [unrolled: 1-line block ×4, first 2 shown]
	s_mov_b32 s25, 0
                                        ; implicit-def: $sgpr26
	s_inst_prefetch 0x1
	s_branch .LBB156_190
	.p2align	6
.LBB156_188:                            ;   in Loop: Header=BB156_190 Depth=2
	s_or_b32 exec_lo, exec_lo, s6
	s_waitcnt lgkmcnt(0)
	s_barrier
	buffer_gl0_inv
	ds_read_b128 v[8:11], v19 offset:3072
	s_mov_b32 s6, -1
	s_mov_b32 s45, -1
	s_waitcnt lgkmcnt(0)
	s_barrier
	buffer_gl0_inv
	v_cmp_eq_u64_e32 vcc_lo, 0, v[8:9]
	s_cbranch_vccnz .LBB156_193
.LBB156_189:                            ;   in Loop: Header=BB156_190 Depth=2
	s_and_b32 s6, exec_lo, s6
	s_or_b32 s25, s6, s25
	s_andn2_b32 s6, s26, exec_lo
	s_and_b32 s26, s45, exec_lo
	s_or_b32 s26, s6, s26
	s_andn2_b32 exec_lo, exec_lo, s25
	s_cbranch_execz .LBB156_194
.LBB156_190:                            ;   Parent Loop BB156_6 Depth=1
                                        ; =>  This Inner Loop Header: Depth=2
	s_mov_b32 s6, exec_lo
	v_cmpx_gt_u64_e64 s[28:29], v[39:40]
	s_cbranch_execz .LBB156_188
; %bb.191:                              ;   in Loop: Header=BB156_190 Depth=2
	global_load_dwordx2 v[4:5], v[35:36], off
	s_waitcnt vmcnt(0)
	v_xor_b32_e32 v3, 0x80000000, v5
	v_and_b32_e32 v8, v4, v12
	v_and_b32_e32 v9, v3, v13
	v_cmp_eq_u64_e32 vcc_lo, v[8:9], v[14:15]
	s_and_b32 exec_lo, exec_lo, vcc_lo
	s_cbranch_execz .LBB156_188
; %bb.192:                              ;   in Loop: Header=BB156_190 Depth=2
	v_mov_b32_e32 v3, v19
	ds_write_b128 v19, v[2:5] offset:3072
	s_branch .LBB156_188
.LBB156_193:                            ;   in Loop: Header=BB156_190 Depth=2
	v_add_co_u32 v39, vcc_lo, v39, s33
	v_add_co_ci_u32_e64 v40, null, 0, v40, vcc_lo
	v_add_co_u32 v35, s6, v35, s34
	v_add_co_ci_u32_e64 v36, null, s35, v36, s6
	v_cmp_le_u64_e32 vcc_lo, s[22:23], v[39:40]
	s_mov_b32 s45, 0
	s_orn2_b32 s6, vcc_lo, exec_lo
	s_branch .LBB156_189
.LBB156_194:                            ;   in Loop: Header=BB156_6 Depth=1
	s_inst_prefetch 0x2
	s_or_b32 exec_lo, exec_lo, s25
	s_andn2_b32 s6, s44, exec_lo
	s_and_b32 s22, s26, exec_lo
	s_or_b32 s44, s6, s22
.LBB156_195:                            ;   in Loop: Header=BB156_6 Depth=1
	s_or_b32 exec_lo, exec_lo, s24
	s_mov_b32 s73, 0
	s_mov_b32 s74, -1
.LBB156_196:                            ;   in Loop: Header=BB156_6 Depth=1
	s_orn2_b32 s6, s44, exec_lo
.LBB156_197:                            ;   in Loop: Header=BB156_6 Depth=1
	s_or_b32 exec_lo, exec_lo, s75
	s_mov_b32 s22, 0
	s_and_saveexec_b32 s75, s6
	s_cbranch_execz .LBB156_259
; %bb.198:                              ;   in Loop: Header=BB156_6 Depth=1
	v_mov_b32_e32 v35, 1
	v_mov_b32_e32 v36, 0
	;; [unrolled: 1-line block ×3, first 2 shown]
	s_xor_b32 s22, s104, -1
	s_mov_b32 s23, 0
	s_and_saveexec_b32 s6, s22
	s_cbranch_execz .LBB156_207
; %bb.199:                              ;   in Loop: Header=BB156_6 Depth=1
	s_mov_b32 s22, exec_lo
	v_cmpx_ge_u64_e64 s[18:19], v[37:38]
	s_xor_b32 s22, exec_lo, s22
	s_cbranch_execz .LBB156_204
; %bb.200:                              ;   in Loop: Header=BB156_6 Depth=1
	ds_read_b64 v[3:4], v19 offset:5120
	v_and_b32_e32 v5, s15, v15
	v_and_b32_e32 v8, s14, v14
	s_lshl_b64 s[24:25], 2, s93
	v_or_b32_e32 v13, s13, v13
	v_or_b32_e32 v12, s12, v12
	;; [unrolled: 1-line block ×4, first 2 shown]
	s_waitcnt lgkmcnt(0)
	v_cmp_ne_u64_e32 vcc_lo, 0, v[3:4]
	s_cbranch_vccnz .LBB156_204
; %bb.201:                              ;   in Loop: Header=BB156_6 Depth=1
	s_and_saveexec_b32 s23, s3
; %bb.202:                              ;   in Loop: Header=BB156_6 Depth=1
	v_mov_b32_e32 v3, s18
	v_mov_b32_e32 v4, s19
	ds_write_b64 v19, v[3:4] offset:5128
; %bb.203:                              ;   in Loop: Header=BB156_6 Depth=1
	s_or_b32 exec_lo, exec_lo, s23
	s_waitcnt lgkmcnt(0)
	s_barrier
	buffer_gl0_inv
.LBB156_204:                            ;   in Loop: Header=BB156_6 Depth=1
	s_or_saveexec_b32 s22, s22
	v_mov_b32_e32 v49, 8
	s_mov_b32 s23, 0
	s_xor_b32 exec_lo, exec_lo, s22
; %bb.205:                              ;   in Loop: Header=BB156_6 Depth=1
	v_sub_co_u32 v37, vcc_lo, v37, s18
	v_subrev_co_ci_u32_e64 v38, null, s19, v38, vcc_lo
	v_mov_b32_e32 v49, 0
	s_mov_b32 s23, exec_lo
; %bb.206:                              ;   in Loop: Header=BB156_6 Depth=1
	s_or_b32 exec_lo, exec_lo, s22
	v_mov_b32_e32 v35, v37
	v_mov_b32_e32 v36, v38
	s_and_b32 s23, s23, exec_lo
.LBB156_207:                            ;   in Loop: Header=BB156_6 Depth=1
	s_or_b32 exec_lo, exec_lo, s6
	s_mov_b32 s22, -1
                                        ; implicit-def: $sgpr45
                                        ; implicit-def: $sgpr6
	s_and_saveexec_b32 s104, s23
	s_cbranch_execz .LBB156_258
; %bb.208:                              ;   in Loop: Header=BB156_6 Depth=1
	v_cmp_eq_u64_e32 vcc_lo, 1, v[35:36]
	s_cmp_eq_u64 s[20:21], 1
	s_mov_b32 s23, -1
	s_cselect_b32 s6, -1, 0
                                        ; implicit-def: $sgpr45
	s_and_b32 vcc_hi, s6, vcc_lo
                                        ; implicit-def: $sgpr6
	s_and_saveexec_b32 s44, vcc_hi
	s_cbranch_execz .LBB156_246
; %bb.209:                              ;   in Loop: Header=BB156_6 Depth=1
	ds_read_b64 v[3:4], v19 offset:5120
	s_waitcnt lgkmcnt(0)
	s_barrier
	buffer_gl0_inv
	v_readfirstlane_b32 s22, v3
	v_readfirstlane_b32 s23, v4
	s_and_saveexec_b32 s6, s8
; %bb.210:                              ;   in Loop: Header=BB156_6 Depth=1
	v_mov_b32_e32 v18, v19
	ds_write_b64 v44, v[18:19]
; %bb.211:                              ;   in Loop: Header=BB156_6 Depth=1
	s_or_b32 exec_lo, exec_lo, s6
	v_or_b32_e32 v15, s13, v15
	v_or_b32_e32 v14, s12, v14
	;; [unrolled: 1-line block ×4, first 2 shown]
	s_mov_b32 s6, -1
	s_mov_b32 s45, 0
	s_cmp_eq_u64 s[22:23], 0
	s_mov_b32 s62, 0
	s_mov_b32 s26, -1
	s_waitcnt lgkmcnt(0)
	s_barrier
	buffer_gl0_inv
                                        ; implicit-def: $vgpr10_vgpr11
	s_cbranch_scc1 .LBB156_229
; %bb.212:                              ;   in Loop: Header=BB156_6 Depth=1
	s_add_u32 s54, s22, s80
	s_addc_u32 s25, s23, s81
	s_mov_b32 s24, s27
	s_cmp_lg_u64 s[24:25], 0
	s_cbranch_scc0 .LBB156_216
; %bb.213:                              ;   in Loop: Header=BB156_6 Depth=1
	v_cvt_f32_u32_e32 v3, s33
	s_sub_u32 s48, 0, s33
	s_subb_u32 s49, 0, 0
	v_fmac_f32_e64 v3, 0x4f800000, 0
	v_rcp_f32_e32 v3, v3
	v_mul_f32_e32 v3, 0x5f7ffffc, v3
	v_mul_f32_e32 v4, 0x2f800000, v3
	v_trunc_f32_e32 v4, v4
	v_fmac_f32_e32 v3, 0xcf800000, v4
	v_cvt_u32_f32_e32 v4, v4
	v_cvt_u32_f32_e32 v3, v3
	v_readfirstlane_b32 s24, v4
	v_readfirstlane_b32 s26, v3
	s_mul_i32 s62, s48, s24
	s_mul_hi_u32 vcc_lo, s48, s26
	s_mul_i32 s63, s49, s26
	s_add_i32 s47, vcc_lo, s62
	s_mul_i32 s46, s48, s26
	s_add_i32 s47, s47, s63
	s_mul_hi_u32 s62, s26, s46
	s_mul_i32 s50, s26, s47
	s_mul_hi_u32 s63, s26, s47
	s_mul_hi_u32 vcc_lo, s24, s46
	s_mul_i32 s46, s24, s46
	s_add_u32 s50, s62, s50
	s_addc_u32 s62, 0, s63
	s_mul_hi_u32 s51, s24, s47
	s_add_u32 s46, s50, s46
	s_mul_i32 s47, s24, s47
	s_addc_u32 s46, s62, vcc_lo
	s_addc_u32 s50, s51, 0
	s_add_u32 s46, s46, s47
	s_addc_u32 s47, 0, s50
	s_add_u32 s26, s26, s46
	s_cselect_b32 s46, -1, 0
	s_mul_hi_u32 s50, s48, s26
	s_cmp_lg_u32 s46, 0
	s_mul_i32 s46, s48, s26
	s_addc_u32 s24, s24, s47
	s_mul_i32 s49, s49, s26
	s_mul_i32 s48, s48, s24
	s_mul_hi_u32 s47, s26, s46
	s_add_i32 s48, s50, s48
	s_mul_hi_u32 s50, s24, s46
	s_add_i32 s48, s48, s49
	s_mul_i32 s46, s24, s46
	s_mul_i32 s62, s26, s48
	s_mul_hi_u32 s51, s26, s48
	s_add_u32 s47, s47, s62
	s_addc_u32 s51, 0, s51
	s_mul_hi_u32 s49, s24, s48
	s_add_u32 s46, s47, s46
	s_mul_i32 s48, s24, s48
	s_addc_u32 s46, s51, s50
	s_addc_u32 s47, s49, 0
	s_add_u32 s46, s46, s48
	s_addc_u32 s47, 0, s47
	s_add_u32 s26, s26, s46
	s_cselect_b32 s46, -1, 0
	s_mul_hi_u32 s48, s54, s26
	s_cmp_lg_u32 s46, 0
	s_mul_hi_u32 s46, s25, s26
	s_addc_u32 s24, s24, s47
	s_mul_i32 s26, s25, s26
	s_mul_i32 s49, s54, s24
	s_mul_hi_u32 s47, s54, s24
	s_add_u32 s48, s48, s49
	s_addc_u32 s47, 0, s47
	s_mul_hi_u32 s50, s25, s24
	s_add_u32 s26, s48, s26
	s_mul_i32 s24, s25, s24
	s_addc_u32 s26, s47, s46
	s_addc_u32 s46, s50, 0
	s_add_u32 s24, s26, s24
	s_addc_u32 s26, 0, s46
	s_mul_hi_u32 s46, s33, s24
	s_mul_i32 s26, s33, s26
	s_mul_i32 s24, s33, s24
	s_add_i32 s46, s46, s26
	s_sub_u32 s24, s54, s24
	s_cselect_b32 s26, -1, 0
	s_cmp_lg_u32 s26, 0
	s_subb_u32 s26, s25, s46
	s_sub_u32 s46, s24, s33
	s_cselect_b32 s47, -1, 0
	s_cmp_lg_u32 s47, 0
	s_subb_u32 s47, s26, 0
	;; [unrolled: 4-line block ×3, first 2 shown]
	s_cmp_ge_u32 s46, s33
	s_cselect_b32 s50, -1, 0
	s_cmp_eq_u32 s47, 0
	s_cselect_b32 s50, s50, -1
	s_cmp_lg_u32 s50, 0
	s_cselect_b32 s47, s49, s47
	s_cselect_b32 s46, s48, s46
	s_cmp_ge_u32 s24, s33
	s_cselect_b32 s48, -1, 0
	s_cmp_eq_u32 s26, 0
	s_cselect_b32 s48, s48, -1
	s_cmp_lg_u32 s48, 0
	s_cselect_b32 s63, s47, s26
	s_cselect_b32 s62, s46, s24
	s_mov_b32 s24, 0
	s_branch .LBB156_217
.LBB156_214:                            ;   in Loop: Header=BB156_6 Depth=1
                                        ; implicit-def: $sgpr62_sgpr63
	s_branch .LBB156_169
.LBB156_215:                            ;   in Loop: Header=BB156_6 Depth=1
                                        ; implicit-def: $sgpr22_sgpr23
	s_branch .LBB156_185
.LBB156_216:                            ;   in Loop: Header=BB156_6 Depth=1
	s_mov_b32 s24, -1
                                        ; implicit-def: $sgpr62_sgpr63
.LBB156_217:                            ;   in Loop: Header=BB156_6 Depth=1
	s_andn2_b32 vcc_lo, exec_lo, s24
	s_cbranch_vccnz .LBB156_219
; %bb.218:                              ;   in Loop: Header=BB156_6 Depth=1
	v_cvt_f32_u32_e32 v3, s33
	s_sub_i32 s26, 0, s33
	v_rcp_iflag_f32_e32 v3, v3
	v_mul_f32_e32 v3, 0x4f7ffffe, v3
	v_cvt_u32_f32_e32 v3, v3
	v_readfirstlane_b32 s24, v3
	s_mul_i32 s26, s26, s24
	s_mul_hi_u32 s26, s24, s26
	s_add_i32 s24, s24, s26
	s_mul_hi_u32 s24, s54, s24
	s_mul_i32 s24, s24, s33
	s_sub_i32 s24, s54, s24
	s_sub_i32 s26, s24, s33
	s_cmp_ge_u32 s24, s33
	s_cselect_b32 s24, s26, s24
	s_sub_i32 s26, s24, s33
	s_cmp_ge_u32 s24, s33
	s_cselect_b32 s26, s26, s24
	s_mov_b64 s[62:63], s[26:27]
.LBB156_219:                            ;   in Loop: Header=BB156_6 Depth=1
	s_sub_u32 s24, s54, s62
	s_subb_u32 s25, s25, s63
	s_mov_b32 s26, 0
	s_mov_b32 s62, 0
	s_mov_b32 s54, exec_lo
                                        ; implicit-def: $vgpr10_vgpr11
	v_cmpx_gt_u64_e64 s[24:25], v[0:1]
	s_cbranch_execz .LBB156_228
; %bb.220:                              ;   in Loop: Header=BB156_6 Depth=1
	v_mov_b32_e32 v38, v1
	v_mov_b32_e32 v18, v43
	;; [unrolled: 1-line block ×3, first 2 shown]
                                        ; implicit-def: $sgpr63
	s_inst_prefetch 0x1
	s_branch .LBB156_223
	.p2align	6
.LBB156_221:                            ;   in Loop: Header=BB156_223 Depth=2
	s_or_b32 exec_lo, exec_lo, s48
	s_waitcnt lgkmcnt(0)
	s_barrier
	buffer_gl0_inv
	ds_read_b128 v[8:11], v19 offset:3072
	s_mov_b32 s48, -1
	s_mov_b32 s49, -1
	s_waitcnt lgkmcnt(0)
	s_barrier
	buffer_gl0_inv
	v_cmp_ne_u64_e32 vcc_lo, 0, v[8:9]
	s_cbranch_vccz .LBB156_226
.LBB156_222:                            ;   in Loop: Header=BB156_223 Depth=2
	s_and_b32 s46, exec_lo, s48
	s_or_b32 s62, s46, s62
	s_andn2_b32 s46, s63, exec_lo
	s_and_b32 s47, s49, exec_lo
	s_or_b32 s63, s46, s47
	s_andn2_b32 exec_lo, exec_lo, s62
	s_cbranch_execz .LBB156_227
.LBB156_223:                            ;   Parent Loop BB156_6 Depth=1
                                        ; =>  This Inner Loop Header: Depth=2
	s_mov_b32 s48, exec_lo
	v_cmpx_gt_u64_e64 s[22:23], v[37:38]
	s_cbranch_execz .LBB156_221
; %bb.224:                              ;   in Loop: Header=BB156_223 Depth=2
	ds_read_b64 v[4:5], v18
	s_waitcnt lgkmcnt(0)
	v_xor_b32_e32 v3, 0x80000000, v5
	v_and_b32_e32 v8, v4, v12
	v_and_b32_e32 v9, v3, v13
	v_cmp_eq_u64_e32 vcc_lo, v[8:9], v[14:15]
	s_and_b32 exec_lo, exec_lo, vcc_lo
	s_cbranch_execz .LBB156_221
; %bb.225:                              ;   in Loop: Header=BB156_223 Depth=2
	v_mov_b32_e32 v3, v19
	ds_write_b128 v19, v[2:5] offset:3072
	s_branch .LBB156_221
.LBB156_226:                            ;   in Loop: Header=BB156_223 Depth=2
	v_add_co_u32 v37, vcc_lo, v37, s33
	v_add_co_ci_u32_e64 v38, null, 0, v38, vcc_lo
	v_add_nc_u32_e32 v18, s86, v18
	s_mov_b32 s49, 0
	v_cmp_le_u64_e32 vcc_lo, s[24:25], v[37:38]
	s_orn2_b32 s48, vcc_lo, exec_lo
	s_branch .LBB156_222
.LBB156_227:                            ;   in Loop: Header=BB156_6 Depth=1
	s_inst_prefetch 0x2
	s_or_b32 exec_lo, exec_lo, s62
	s_and_b32 s62, s63, exec_lo
.LBB156_228:                            ;   in Loop: Header=BB156_6 Depth=1
	s_or_b32 exec_lo, exec_lo, s54
.LBB156_229:                            ;   in Loop: Header=BB156_6 Depth=1
	s_and_b32 vcc_lo, exec_lo, s26
	s_cbranch_vccz .LBB156_245
; %bb.230:                              ;   in Loop: Header=BB156_6 Depth=1
	s_mov_b32 s54, s27
	s_cmp_lg_u64 s[54:55], 0
	s_cbranch_scc0 .LBB156_232
; %bb.231:                              ;   in Loop: Header=BB156_6 Depth=1
	v_cvt_f32_u32_e32 v3, s33
	s_sub_u32 s23, 0, s33
	s_subb_u32 s24, 0, 0
	v_fmac_f32_e64 v3, 0x4f800000, 0
	v_rcp_f32_e32 v3, v3
	v_mul_f32_e32 v3, 0x5f7ffffc, v3
	v_mul_f32_e32 v4, 0x2f800000, v3
	v_trunc_f32_e32 v4, v4
	v_fmac_f32_e32 v3, 0xcf800000, v4
	v_cvt_u32_f32_e32 v4, v4
	v_cvt_u32_f32_e32 v3, v3
	v_readfirstlane_b32 s6, v4
	v_readfirstlane_b32 s22, v3
	s_mul_i32 s25, s23, s6
	s_mul_hi_u32 s45, s23, s22
	s_mul_i32 s26, s24, s22
	s_add_i32 s25, s45, s25
	s_mul_i32 s46, s23, s22
	s_add_i32 s25, s25, s26
	s_mul_hi_u32 s45, s22, s46
	s_mul_i32 s48, s22, s25
	s_mul_hi_u32 s47, s6, s46
	s_mul_i32 s26, s6, s46
	s_mul_hi_u32 s46, s22, s25
	s_add_u32 s45, s45, s48
	s_addc_u32 s46, 0, s46
	s_mul_hi_u32 s49, s6, s25
	s_add_u32 s26, s45, s26
	s_mul_i32 s25, s6, s25
	s_addc_u32 s26, s46, s47
	s_addc_u32 s45, s49, 0
	s_add_u32 s25, s26, s25
	s_addc_u32 s26, 0, s45
	s_add_u32 s22, s22, s25
	s_cselect_b32 s25, -1, 0
	s_mul_hi_u32 s45, s23, s22
	s_cmp_lg_u32 s25, 0
	s_mul_i32 s25, s23, s22
	s_addc_u32 s6, s6, s26
	s_mul_i32 s24, s24, s22
	s_mul_i32 s23, s23, s6
	s_mul_hi_u32 s26, s22, s25
	s_add_i32 s23, s45, s23
	s_mul_hi_u32 s45, s6, s25
	s_add_i32 s23, s23, s24
	s_mul_i32 s24, s6, s25
	s_mul_i32 s47, s22, s23
	s_mul_hi_u32 s46, s22, s23
	s_add_u32 s26, s26, s47
	s_addc_u32 s46, 0, s46
	s_mul_hi_u32 s25, s6, s23
	s_add_u32 s24, s26, s24
	s_mul_i32 s23, s6, s23
	s_addc_u32 s24, s46, s45
	s_addc_u32 s25, s25, 0
	s_add_u32 s23, s24, s23
	s_addc_u32 s24, 0, s25
	s_add_u32 s22, s22, s23
	s_cselect_b32 s23, -1, 0
	s_mul_hi_u32 s25, s82, s22
	s_cmp_lg_u32 s23, 0
	s_mul_hi_u32 s23, s55, s22
	s_addc_u32 s6, s6, s24
	s_mul_i32 s22, s55, s22
	s_mul_i32 s26, s82, s6
	s_mul_hi_u32 s24, s82, s6
	s_add_u32 s25, s25, s26
	s_addc_u32 s24, 0, s24
	s_mul_hi_u32 s45, s55, s6
	s_add_u32 s22, s25, s22
	s_mul_i32 s6, s55, s6
	s_addc_u32 s22, s24, s23
	s_addc_u32 s23, s45, 0
	s_add_u32 s6, s22, s6
	s_addc_u32 s22, 0, s23
	s_mul_hi_u32 s23, s33, s6
	s_mul_i32 s22, s33, s22
	s_mul_i32 s6, s33, s6
	s_add_i32 s23, s23, s22
	s_sub_u32 s6, s82, s6
	s_cselect_b32 s22, -1, 0
	s_cmp_lg_u32 s22, 0
	s_subb_u32 s22, s55, s23
	s_sub_u32 s23, s6, s33
	s_cselect_b32 s24, -1, 0
	s_cmp_lg_u32 s24, 0
	s_subb_u32 s24, s22, 0
	;; [unrolled: 4-line block ×3, first 2 shown]
	s_cmp_ge_u32 s23, s33
	s_cselect_b32 s45, -1, 0
	s_cmp_eq_u32 s24, 0
	s_cselect_b32 s45, s45, -1
	s_cmp_lg_u32 s45, 0
	s_cselect_b32 s24, s26, s24
	s_cselect_b32 s25, s25, s23
	s_cmp_ge_u32 s6, s33
	s_cselect_b32 s23, -1, 0
	s_cmp_eq_u32 s22, 0
	s_cselect_b32 s23, s23, -1
	s_cmp_lg_u32 s23, 0
	s_cselect_b32 s23, s24, s22
	s_cselect_b32 s22, s25, s6
	s_mov_b32 s6, 0
	s_branch .LBB156_233
.LBB156_232:                            ;   in Loop: Header=BB156_6 Depth=1
	s_mov_b32 s6, -1
                                        ; implicit-def: $sgpr22_sgpr23
.LBB156_233:                            ;   in Loop: Header=BB156_6 Depth=1
	s_andn2_b32 vcc_lo, exec_lo, s6
	s_cbranch_vccnz .LBB156_235
; %bb.234:                              ;   in Loop: Header=BB156_6 Depth=1
	v_cvt_f32_u32_e32 v3, s33
	s_sub_i32 s22, 0, s33
	v_rcp_iflag_f32_e32 v3, v3
	v_mul_f32_e32 v3, 0x4f7ffffe, v3
	v_cvt_u32_f32_e32 v3, v3
	v_readfirstlane_b32 s6, v3
	s_mul_i32 s22, s22, s6
	s_mul_hi_u32 s22, s6, s22
	s_add_i32 s6, s6, s22
	s_mul_hi_u32 s6, s82, s6
	s_mul_i32 s6, s6, s33
	s_sub_i32 s6, s82, s6
	s_sub_i32 s22, s6, s33
	s_cmp_ge_u32 s6, s33
	s_cselect_b32 s6, s22, s6
	s_sub_i32 s22, s6, s33
	s_cmp_ge_u32 s6, s33
	s_cselect_b32 s26, s22, s6
	s_mov_b64 s[22:23], s[26:27]
.LBB156_235:                            ;   in Loop: Header=BB156_6 Depth=1
	s_sub_u32 s22, s82, s22
	s_subb_u32 s23, s55, s23
	s_mov_b32 s24, exec_lo
                                        ; implicit-def: $vgpr10_vgpr11
	v_cmpx_gt_u64_e64 s[22:23], v[0:1]
	s_cbranch_execz .LBB156_244
; %bb.236:                              ;   in Loop: Header=BB156_6 Depth=1
	v_mov_b32_e32 v38, v17
	v_mov_b32_e32 v40, v1
	;; [unrolled: 1-line block ×4, first 2 shown]
	s_mov_b32 s25, 0
                                        ; implicit-def: $sgpr26
	s_inst_prefetch 0x1
	s_branch .LBB156_239
	.p2align	6
.LBB156_237:                            ;   in Loop: Header=BB156_239 Depth=2
	s_or_b32 exec_lo, exec_lo, s6
	s_waitcnt lgkmcnt(0)
	s_barrier
	buffer_gl0_inv
	ds_read_b128 v[8:11], v19 offset:3072
	s_mov_b32 s6, -1
	s_mov_b32 s45, -1
	s_waitcnt lgkmcnt(0)
	s_barrier
	buffer_gl0_inv
	v_cmp_eq_u64_e32 vcc_lo, 0, v[8:9]
	s_cbranch_vccnz .LBB156_242
.LBB156_238:                            ;   in Loop: Header=BB156_239 Depth=2
	s_and_b32 s6, exec_lo, s6
	s_or_b32 s25, s6, s25
	s_andn2_b32 s6, s26, exec_lo
	s_and_b32 s26, s45, exec_lo
	s_or_b32 s26, s6, s26
	s_andn2_b32 exec_lo, exec_lo, s25
	s_cbranch_execz .LBB156_243
.LBB156_239:                            ;   Parent Loop BB156_6 Depth=1
                                        ; =>  This Inner Loop Header: Depth=2
	s_mov_b32 s6, exec_lo
	v_cmpx_gt_u64_e64 s[28:29], v[39:40]
	s_cbranch_execz .LBB156_237
; %bb.240:                              ;   in Loop: Header=BB156_239 Depth=2
	global_load_dwordx2 v[4:5], v[37:38], off
	s_waitcnt vmcnt(0)
	v_xor_b32_e32 v3, 0x80000000, v5
	v_and_b32_e32 v8, v4, v12
	v_and_b32_e32 v9, v3, v13
	v_cmp_eq_u64_e32 vcc_lo, v[8:9], v[14:15]
	s_and_b32 exec_lo, exec_lo, vcc_lo
	s_cbranch_execz .LBB156_237
; %bb.241:                              ;   in Loop: Header=BB156_239 Depth=2
	v_mov_b32_e32 v3, v19
	ds_write_b128 v19, v[2:5] offset:3072
	s_branch .LBB156_237
.LBB156_242:                            ;   in Loop: Header=BB156_239 Depth=2
	v_add_co_u32 v39, vcc_lo, v39, s33
	v_add_co_ci_u32_e64 v40, null, 0, v40, vcc_lo
	v_add_co_u32 v37, s6, v37, s34
	v_add_co_ci_u32_e64 v38, null, s35, v38, s6
	v_cmp_le_u64_e32 vcc_lo, s[22:23], v[39:40]
	s_mov_b32 s45, 0
	s_orn2_b32 s6, vcc_lo, exec_lo
	s_branch .LBB156_238
.LBB156_243:                            ;   in Loop: Header=BB156_6 Depth=1
	s_inst_prefetch 0x2
	s_or_b32 exec_lo, exec_lo, s25
	s_andn2_b32 s6, s62, exec_lo
	s_and_b32 s22, s26, exec_lo
	s_or_b32 s62, s6, s22
.LBB156_244:                            ;   in Loop: Header=BB156_6 Depth=1
	s_or_b32 exec_lo, exec_lo, s24
	s_mov_b32 s6, 0
	s_mov_b32 s45, -1
.LBB156_245:                            ;   in Loop: Header=BB156_6 Depth=1
	s_orn2_b32 s23, s62, exec_lo
.LBB156_246:                            ;   in Loop: Header=BB156_6 Depth=1
	s_or_b32 exec_lo, exec_lo, s44
	s_mov_b32 s24, 0
	s_and_saveexec_b32 s22, s23
	s_cbranch_execz .LBB156_257
; %bb.247:                              ;   in Loop: Header=BB156_6 Depth=1
	v_mov_b32_e32 v3, 1
	v_mov_b32_e32 v4, 0
	;; [unrolled: 1-line block ×3, first 2 shown]
	s_xor_b32 s24, vcc_hi, -1
	s_and_saveexec_b32 s23, s24
	s_cbranch_execz .LBB156_256
; %bb.248:                              ;   in Loop: Header=BB156_6 Depth=1
	s_mov_b32 s24, exec_lo
	v_cmpx_ge_u64_e64 s[20:21], v[35:36]
	s_xor_b32 s24, exec_lo, s24
	s_cbranch_execz .LBB156_253
; %bb.249:                              ;   in Loop: Header=BB156_6 Depth=1
	ds_read_b64 v[3:4], v19 offset:5120
	v_or_b32_e32 v15, s13, v15
	v_or_b32_e32 v14, s12, v14
	;; [unrolled: 1-line block ×4, first 2 shown]
	s_waitcnt lgkmcnt(0)
	v_cmp_ne_u64_e32 vcc_lo, 0, v[3:4]
	s_cbranch_vccnz .LBB156_253
; %bb.250:                              ;   in Loop: Header=BB156_6 Depth=1
	s_and_saveexec_b32 s25, s3
; %bb.251:                              ;   in Loop: Header=BB156_6 Depth=1
	v_mov_b32_e32 v3, s20
	v_mov_b32_e32 v4, s21
	ds_write_b64 v19, v[3:4] offset:5128
; %bb.252:                              ;   in Loop: Header=BB156_6 Depth=1
	s_or_b32 exec_lo, exec_lo, s25
	s_waitcnt lgkmcnt(0)
	s_barrier
	buffer_gl0_inv
.LBB156_253:                            ;   in Loop: Header=BB156_6 Depth=1
	s_andn2_saveexec_b32 s24, s24
; %bb.254:                              ;   in Loop: Header=BB156_6 Depth=1
	v_sub_co_u32 v35, vcc_lo, v35, s20
	v_subrev_co_ci_u32_e64 v36, null, s21, v36, vcc_lo
; %bb.255:                              ;   in Loop: Header=BB156_6 Depth=1
	s_or_b32 exec_lo, exec_lo, s24
	v_mov_b32_e32 v3, v35
	v_mov_b32_e32 v49, 8
	;; [unrolled: 1-line block ×3, first 2 shown]
.LBB156_256:                            ;   in Loop: Header=BB156_6 Depth=1
	s_or_b32 exec_lo, exec_lo, s23
	v_mov_b32_e32 v36, v4
	v_mov_b32_e32 v35, v3
	s_mov_b32 s24, exec_lo
.LBB156_257:                            ;   in Loop: Header=BB156_6 Depth=1
	s_or_b32 exec_lo, exec_lo, s22
	s_orn2_b32 s22, s24, exec_lo
.LBB156_258:                            ;   in Loop: Header=BB156_6 Depth=1
	s_or_b32 exec_lo, exec_lo, s104
	v_mov_b32_e32 v38, v36
	v_mov_b32_e32 v37, v35
	s_andn2_b32 s23, s74, exec_lo
	s_and_b32 s24, s45, exec_lo
	s_andn2_b32 s25, s73, exec_lo
	s_and_b32 s6, s6, exec_lo
	s_or_b32 s74, s23, s24
	s_or_b32 s73, s25, s6
	s_and_b32 s22, s22, exec_lo
.LBB156_259:                            ;   in Loop: Header=BB156_6 Depth=1
	s_or_b32 exec_lo, exec_lo, s75
	s_orn2_b32 s6, s22, exec_lo
.LBB156_260:                            ;   in Loop: Header=BB156_6 Depth=1
	s_or_b32 exec_lo, exec_lo, s72
	v_mov_b32_e32 v35, v37
	v_mov_b32_e32 v36, v38
	s_andn2_b32 s22, s70, exec_lo
	s_and_b32 s23, s74, exec_lo
	s_andn2_b32 s24, s69, exec_lo
	s_and_b32 s25, s73, exec_lo
	s_or_b32 s70, s22, s23
	s_or_b32 s69, s24, s25
	s_and_b32 s22, s6, exec_lo
.LBB156_261:                            ;   in Loop: Header=BB156_6 Depth=1
	s_or_b32 exec_lo, exec_lo, s71
	s_orn2_b32 s6, s22, exec_lo
.LBB156_262:                            ;   in Loop: Header=BB156_6 Depth=1
	s_or_b32 exec_lo, exec_lo, s68
	s_mov_b32 s22, 0
	s_mov_b32 s23, 0
	s_and_saveexec_b32 s24, s6
	s_xor_b32 s24, exec_lo, s24
; %bb.263:                              ;   in Loop: Header=BB156_6 Depth=1
	v_cmp_ne_u32_e32 vcc_lo, 8, v49
	v_cmp_eq_u32_e64 s6, 8, v49
	s_and_b32 s23, vcc_lo, exec_lo
	s_and_b32 s22, s6, exec_lo
; %bb.264:                              ;   in Loop: Header=BB156_6 Depth=1
	s_or_b32 exec_lo, exec_lo, s24
	s_andn2_b32 s6, s65, exec_lo
	s_and_b32 s24, s70, exec_lo
	s_andn2_b32 s25, s64, exec_lo
	s_and_b32 s26, s69, exec_lo
	s_or_b32 s65, s6, s24
	s_or_b32 s64, s25, s26
	s_and_b32 s62, s23, exec_lo
	s_and_b32 s63, s22, exec_lo
.LBB156_265:                            ;   in Loop: Header=BB156_6 Depth=1
	s_or_b32 exec_lo, exec_lo, s67
.LBB156_266:                            ;   in Loop: Header=BB156_6 Depth=1
	s_and_b32 vcc_lo, exec_lo, s66
	s_cbranch_vccz .LBB156_282
; %bb.267:                              ;   in Loop: Header=BB156_6 Depth=1
	s_cmp_eq_u64 s[20:21], 1
                                        ; implicit-def: $sgpr66
                                        ; implicit-def: $sgpr9
	s_cselect_b32 s6, -1, 0
	s_and_b32 s64, s6, s7
	s_mov_b32 s6, -1
	s_and_saveexec_b32 s65, s64
	s_cbranch_execz .LBB156_300
; %bb.268:                              ;   in Loop: Header=BB156_6 Depth=1
	ds_read_b64 v[3:4], v19 offset:5120
	s_waitcnt lgkmcnt(0)
	s_barrier
	buffer_gl0_inv
	v_readfirstlane_b32 s6, v3
	v_readfirstlane_b32 s7, v4
	s_and_saveexec_b32 s9, s8
; %bb.269:                              ;   in Loop: Header=BB156_6 Depth=1
	v_mov_b32_e32 v18, v19
	ds_write_b64 v44, v[18:19]
; %bb.270:                              ;   in Loop: Header=BB156_6 Depth=1
	s_or_b32 exec_lo, exec_lo, s9
	v_or_b32_e32 v30, s13, v30
	v_or_b32_e32 v29, s12, v29
	;; [unrolled: 1-line block ×4, first 2 shown]
	s_mov_b32 s9, -1
	s_mov_b32 s66, 0
	s_cmp_eq_u64 s[6:7], 0
	s_mov_b32 s24, 0
	s_mov_b32 s25, -1
	s_waitcnt lgkmcnt(0)
	s_barrier
	buffer_gl0_inv
                                        ; implicit-def: $vgpr6_vgpr7
	s_cbranch_scc1 .LBB156_285
; %bb.271:                              ;   in Loop: Header=BB156_6 Depth=1
	s_add_u32 s44, s6, s80
	s_addc_u32 s23, s7, s81
	s_mov_b32 s22, s27
	s_cmp_lg_u64 s[22:23], 0
	s_cbranch_scc0 .LBB156_326
; %bb.272:                              ;   in Loop: Header=BB156_6 Depth=1
	v_cvt_f32_u32_e32 v3, s33
	s_sub_u32 s25, 0, s33
	s_subb_u32 s26, 0, 0
	v_fmac_f32_e64 v3, 0x4f800000, 0
	v_rcp_f32_e32 v3, v3
	v_mul_f32_e32 v3, 0x5f7ffffc, v3
	v_mul_f32_e32 v4, 0x2f800000, v3
	v_trunc_f32_e32 v4, v4
	v_fmac_f32_e32 v3, 0xcf800000, v4
	v_cvt_u32_f32_e32 v4, v4
	v_cvt_u32_f32_e32 v3, v3
	v_readfirstlane_b32 s22, v4
	v_readfirstlane_b32 s24, v3
	s_mul_i32 s45, s25, s22
	s_mul_hi_u32 s49, s25, s24
	s_mul_i32 s48, s26, s24
	s_add_i32 s45, s49, s45
	s_mul_i32 s54, s25, s24
	s_add_i32 s45, s45, s48
	s_mul_hi_u32 s49, s24, s54
	s_mul_i32 s68, s24, s45
	s_mul_hi_u32 s67, s22, s54
	s_mul_i32 s48, s22, s54
	s_mul_hi_u32 s54, s24, s45
	s_add_u32 s49, s49, s68
	s_addc_u32 s54, 0, s54
	s_mul_hi_u32 s69, s22, s45
	s_add_u32 s48, s49, s48
	s_mul_i32 s45, s22, s45
	s_addc_u32 s48, s54, s67
	s_addc_u32 s49, s69, 0
	s_add_u32 s45, s48, s45
	s_addc_u32 s48, 0, s49
	s_add_u32 s24, s24, s45
	s_cselect_b32 s45, -1, 0
	s_mul_hi_u32 s49, s25, s24
	s_cmp_lg_u32 s45, 0
	s_mul_i32 s45, s25, s24
	s_addc_u32 s22, s22, s48
	s_mul_i32 s26, s26, s24
	s_mul_i32 s25, s25, s22
	s_mul_hi_u32 s48, s24, s45
	s_add_i32 s25, s49, s25
	s_mul_hi_u32 s49, s22, s45
	s_add_i32 s25, s25, s26
	s_mul_i32 s26, s22, s45
	s_mul_i32 s67, s24, s25
	s_mul_hi_u32 s54, s24, s25
	s_add_u32 s48, s48, s67
	s_addc_u32 s54, 0, s54
	s_mul_hi_u32 s45, s22, s25
	s_add_u32 s26, s48, s26
	s_mul_i32 s25, s22, s25
	s_addc_u32 s26, s54, s49
	s_addc_u32 s45, s45, 0
	s_add_u32 s25, s26, s25
	s_addc_u32 s26, 0, s45
	s_add_u32 s24, s24, s25
	s_cselect_b32 s25, -1, 0
	s_mul_hi_u32 s45, s44, s24
	s_cmp_lg_u32 s25, 0
	s_mul_hi_u32 s25, s23, s24
	s_addc_u32 s22, s22, s26
	s_mul_i32 s24, s23, s24
	s_mul_i32 s48, s44, s22
	s_mul_hi_u32 s26, s44, s22
	s_add_u32 s45, s45, s48
	s_addc_u32 s26, 0, s26
	s_mul_hi_u32 s49, s23, s22
	s_add_u32 s24, s45, s24
	s_mul_i32 s22, s23, s22
	s_addc_u32 s24, s26, s25
	s_addc_u32 s25, s49, 0
	s_add_u32 s22, s24, s22
	s_addc_u32 s24, 0, s25
	s_mul_hi_u32 s25, s33, s22
	s_mul_i32 s24, s33, s24
	s_mul_i32 s22, s33, s22
	s_add_i32 s25, s25, s24
	s_sub_u32 s22, s44, s22
	s_cselect_b32 s24, -1, 0
	s_cmp_lg_u32 s24, 0
	s_subb_u32 s24, s23, s25
	s_sub_u32 s25, s22, s33
	s_cselect_b32 s26, -1, 0
	s_cmp_lg_u32 s26, 0
	s_subb_u32 s26, s24, 0
	;; [unrolled: 4-line block ×3, first 2 shown]
	s_cmp_ge_u32 s25, s33
	s_cselect_b32 s49, -1, 0
	s_cmp_eq_u32 s26, 0
	s_cselect_b32 s49, s49, -1
	s_cmp_lg_u32 s49, 0
	s_cselect_b32 s26, s48, s26
	s_cselect_b32 s45, s45, s25
	s_cmp_ge_u32 s22, s33
	s_cselect_b32 s25, -1, 0
	s_cmp_eq_u32 s24, 0
	s_cselect_b32 s25, s25, -1
	s_cmp_lg_u32 s25, 0
	s_cselect_b32 s25, s26, s24
	s_cselect_b32 s24, s45, s22
	s_cbranch_execnz .LBB156_274
.LBB156_273:                            ;   in Loop: Header=BB156_6 Depth=1
	v_cvt_f32_u32_e32 v3, s33
	s_sub_i32 s24, 0, s33
	v_rcp_iflag_f32_e32 v3, v3
	v_mul_f32_e32 v3, 0x4f7ffffe, v3
	v_cvt_u32_f32_e32 v3, v3
	v_readfirstlane_b32 s22, v3
	s_mul_i32 s24, s24, s22
	s_mul_hi_u32 s24, s22, s24
	s_add_i32 s22, s22, s24
	s_mul_hi_u32 s22, s44, s22
	s_mul_i32 s22, s22, s33
	s_sub_i32 s22, s44, s22
	s_sub_i32 s24, s22, s33
	s_cmp_ge_u32 s22, s33
	s_cselect_b32 s22, s24, s22
	s_sub_i32 s24, s22, s33
	s_cmp_ge_u32 s22, s33
	s_cselect_b32 s26, s24, s22
	s_mov_b64 s[24:25], s[26:27]
.LBB156_274:                            ;   in Loop: Header=BB156_6 Depth=1
	s_sub_u32 s22, s44, s24
	s_subb_u32 s23, s23, s25
	s_mov_b32 s25, 0
	s_mov_b32 s24, 0
	s_mov_b32 s26, exec_lo
                                        ; implicit-def: $vgpr6_vgpr7
	v_cmpx_gt_u64_e64 s[22:23], v[0:1]
	s_cbranch_execz .LBB156_284
; %bb.275:                              ;   in Loop: Header=BB156_6 Depth=1
	v_mov_b32_e32 v9, v1
	v_mov_b32_e32 v10, v43
	;; [unrolled: 1-line block ×3, first 2 shown]
                                        ; implicit-def: $sgpr44
	s_inst_prefetch 0x1
	s_branch .LBB156_278
	.p2align	6
.LBB156_276:                            ;   in Loop: Header=BB156_278 Depth=2
	s_or_b32 exec_lo, exec_lo, s45
	s_waitcnt lgkmcnt(0)
	s_barrier
	buffer_gl0_inv
	ds_read_b128 v[4:7], v19 offset:3072
	s_mov_b32 s45, -1
	s_mov_b32 s48, -1
	s_waitcnt lgkmcnt(0)
	s_barrier
	buffer_gl0_inv
	v_cmp_ne_u64_e32 vcc_lo, 0, v[4:5]
	s_cbranch_vccz .LBB156_281
.LBB156_277:                            ;   in Loop: Header=BB156_278 Depth=2
	s_and_b32 s45, exec_lo, s45
	s_or_b32 s24, s45, s24
	s_andn2_b32 s44, s44, exec_lo
	s_and_b32 s45, s48, exec_lo
	s_or_b32 s44, s44, s45
	s_andn2_b32 exec_lo, exec_lo, s24
	s_cbranch_execz .LBB156_283
.LBB156_278:                            ;   Parent Loop BB156_6 Depth=1
                                        ; =>  This Inner Loop Header: Depth=2
	s_mov_b32 s45, exec_lo
	v_cmpx_gt_u64_e64 s[6:7], v[8:9]
	s_cbranch_execz .LBB156_276
; %bb.279:                              ;   in Loop: Header=BB156_278 Depth=2
	ds_read_b64 v[4:5], v10
	s_waitcnt lgkmcnt(0)
	v_xor_b32_e32 v3, 0x80000000, v5
	v_and_b32_e32 v6, v4, v31
	v_and_b32_e32 v7, v3, v32
	v_cmp_eq_u64_e32 vcc_lo, v[6:7], v[29:30]
	s_and_b32 exec_lo, exec_lo, vcc_lo
	s_cbranch_execz .LBB156_276
; %bb.280:                              ;   in Loop: Header=BB156_278 Depth=2
	v_mov_b32_e32 v3, v19
	ds_write_b128 v19, v[2:5] offset:3072
	s_branch .LBB156_276
.LBB156_281:                            ;   in Loop: Header=BB156_278 Depth=2
	v_add_co_u32 v8, vcc_lo, v8, s33
	v_add_co_ci_u32_e64 v9, null, 0, v9, vcc_lo
	v_add_nc_u32_e32 v10, s86, v10
	s_mov_b32 s48, 0
	v_cmp_le_u64_e32 vcc_lo, s[22:23], v[8:9]
	s_orn2_b32 s45, vcc_lo, exec_lo
	s_branch .LBB156_277
.LBB156_282:                            ;   in Loop: Header=BB156_6 Depth=1
	v_mov_b32_e32 v30, v15
	v_mov_b32_e32 v32, v13
	;; [unrolled: 1-line block ×6, first 2 shown]
	s_mov_b32 s66, 0
	s_and_saveexec_b32 s6, s63
	s_cbranch_execnz .LBB156_459
	s_branch .LBB156_460
.LBB156_283:                            ;   in Loop: Header=BB156_6 Depth=1
	s_inst_prefetch 0x2
	s_or_b32 exec_lo, exec_lo, s24
	s_and_b32 s24, s44, exec_lo
.LBB156_284:                            ;   in Loop: Header=BB156_6 Depth=1
	s_or_b32 exec_lo, exec_lo, s26
.LBB156_285:                            ;   in Loop: Header=BB156_6 Depth=1
	s_and_b32 vcc_lo, exec_lo, s25
	s_cbranch_vccz .LBB156_299
; %bb.286:                              ;   in Loop: Header=BB156_6 Depth=1
	s_mov_b32 s54, s27
	s_cmp_lg_u64 s[54:55], 0
	s_cbranch_scc0 .LBB156_327
; %bb.287:                              ;   in Loop: Header=BB156_6 Depth=1
	v_cvt_f32_u32_e32 v3, s33
	s_sub_u32 s9, 0, s33
	s_subb_u32 s22, 0, 0
	v_fmac_f32_e64 v3, 0x4f800000, 0
	v_rcp_f32_e32 v3, v3
	v_mul_f32_e32 v3, 0x5f7ffffc, v3
	v_mul_f32_e32 v4, 0x2f800000, v3
	v_trunc_f32_e32 v4, v4
	v_fmac_f32_e32 v3, 0xcf800000, v4
	v_cvt_u32_f32_e32 v4, v4
	v_cvt_u32_f32_e32 v3, v3
	v_readfirstlane_b32 s6, v4
	v_readfirstlane_b32 s7, v3
	s_mul_i32 s23, s9, s6
	s_mul_hi_u32 s26, s9, s7
	s_mul_i32 s25, s22, s7
	s_add_i32 s23, s26, s23
	s_mul_i32 s44, s9, s7
	s_add_i32 s23, s23, s25
	s_mul_hi_u32 s26, s7, s44
	s_mul_i32 s48, s7, s23
	s_mul_hi_u32 s45, s6, s44
	s_mul_i32 s25, s6, s44
	s_mul_hi_u32 s44, s7, s23
	s_add_u32 s26, s26, s48
	s_addc_u32 s44, 0, s44
	s_mul_hi_u32 s49, s6, s23
	s_add_u32 s25, s26, s25
	s_mul_i32 s23, s6, s23
	s_addc_u32 s25, s44, s45
	s_addc_u32 s26, s49, 0
	s_add_u32 s23, s25, s23
	s_addc_u32 s25, 0, s26
	s_add_u32 s7, s7, s23
	s_cselect_b32 s23, -1, 0
	s_mul_hi_u32 s26, s9, s7
	s_cmp_lg_u32 s23, 0
	s_mul_i32 s23, s9, s7
	s_addc_u32 s6, s6, s25
	s_mul_i32 s22, s22, s7
	s_mul_i32 s9, s9, s6
	s_mul_hi_u32 s25, s7, s23
	s_add_i32 s9, s26, s9
	s_mul_hi_u32 s26, s6, s23
	s_add_i32 s9, s9, s22
	s_mul_i32 s22, s6, s23
	s_mul_i32 s45, s7, s9
	s_mul_hi_u32 s44, s7, s9
	s_add_u32 s25, s25, s45
	s_addc_u32 s44, 0, s44
	s_mul_hi_u32 s23, s6, s9
	s_add_u32 s22, s25, s22
	s_mul_i32 s9, s6, s9
	s_addc_u32 s22, s44, s26
	s_addc_u32 s23, s23, 0
	s_add_u32 s9, s22, s9
	s_addc_u32 s22, 0, s23
	s_add_u32 s7, s7, s9
	s_cselect_b32 s9, -1, 0
	s_mul_hi_u32 s23, s82, s7
	s_cmp_lg_u32 s9, 0
	s_mul_hi_u32 s9, s55, s7
	s_addc_u32 s6, s6, s22
	s_mul_i32 s7, s55, s7
	s_mul_i32 s25, s82, s6
	s_mul_hi_u32 s22, s82, s6
	s_add_u32 s23, s23, s25
	s_addc_u32 s22, 0, s22
	s_mul_hi_u32 s26, s55, s6
	s_add_u32 s7, s23, s7
	s_mul_i32 s6, s55, s6
	s_addc_u32 s7, s22, s9
	s_addc_u32 s9, s26, 0
	s_add_u32 s6, s7, s6
	s_addc_u32 s7, 0, s9
	s_mul_hi_u32 s9, s33, s6
	s_mul_i32 s7, s33, s7
	s_mul_i32 s6, s33, s6
	s_add_i32 s9, s9, s7
	s_sub_u32 s6, s82, s6
	s_cselect_b32 s7, -1, 0
	s_cmp_lg_u32 s7, 0
	s_subb_u32 s7, s55, s9
	s_sub_u32 s9, s6, s33
	s_cselect_b32 s22, -1, 0
	s_cmp_lg_u32 s22, 0
	s_subb_u32 s22, s7, 0
	;; [unrolled: 4-line block ×3, first 2 shown]
	s_cmp_ge_u32 s9, s33
	s_cselect_b32 s26, -1, 0
	s_cmp_eq_u32 s22, 0
	s_cselect_b32 s26, s26, -1
	s_cmp_lg_u32 s26, 0
	s_cselect_b32 s22, s25, s22
	s_cselect_b32 s9, s23, s9
	s_cmp_ge_u32 s6, s33
	s_cselect_b32 s23, -1, 0
	s_cmp_eq_u32 s7, 0
	s_cselect_b32 s23, s23, -1
	s_cmp_lg_u32 s23, 0
	s_cselect_b32 s7, s22, s7
	s_cselect_b32 s6, s9, s6
	s_cbranch_execnz .LBB156_289
.LBB156_288:                            ;   in Loop: Header=BB156_6 Depth=1
	v_cvt_f32_u32_e32 v3, s33
	s_sub_i32 s7, 0, s33
	v_rcp_iflag_f32_e32 v3, v3
	v_mul_f32_e32 v3, 0x4f7ffffe, v3
	v_cvt_u32_f32_e32 v3, v3
	v_readfirstlane_b32 s6, v3
	s_mul_i32 s7, s7, s6
	s_mul_hi_u32 s7, s6, s7
	s_add_i32 s6, s6, s7
	s_mul_hi_u32 s6, s82, s6
	s_mul_i32 s6, s6, s33
	s_sub_i32 s6, s82, s6
	s_sub_i32 s7, s6, s33
	s_cmp_ge_u32 s6, s33
	s_cselect_b32 s6, s7, s6
	s_sub_i32 s7, s6, s33
	s_cmp_ge_u32 s6, s33
	s_cselect_b32 s26, s7, s6
	s_mov_b64 s[6:7], s[26:27]
.LBB156_289:                            ;   in Loop: Header=BB156_6 Depth=1
	s_sub_u32 s22, s82, s6
	s_subb_u32 s23, s55, s7
	s_mov_b32 s7, exec_lo
                                        ; implicit-def: $vgpr6_vgpr7
	v_cmpx_gt_u64_e64 s[22:23], v[0:1]
	s_cbranch_execz .LBB156_298
; %bb.290:                              ;   in Loop: Header=BB156_6 Depth=1
	v_mov_b32_e32 v8, v16
	v_mov_b32_e32 v11, v1
	v_mov_b32_e32 v9, v17
	v_mov_b32_e32 v10, v0
	s_mov_b32 s25, 0
                                        ; implicit-def: $sgpr9
	s_inst_prefetch 0x1
	s_branch .LBB156_293
	.p2align	6
.LBB156_291:                            ;   in Loop: Header=BB156_293 Depth=2
	s_or_b32 exec_lo, exec_lo, s6
	s_waitcnt lgkmcnt(0)
	s_barrier
	buffer_gl0_inv
	ds_read_b128 v[4:7], v19 offset:3072
	s_mov_b32 s6, -1
	s_mov_b32 s26, -1
	s_waitcnt lgkmcnt(0)
	s_barrier
	buffer_gl0_inv
	v_cmp_ne_u64_e32 vcc_lo, 0, v[4:5]
	s_cbranch_vccz .LBB156_296
.LBB156_292:                            ;   in Loop: Header=BB156_293 Depth=2
	s_and_b32 s6, exec_lo, s6
	s_or_b32 s25, s6, s25
	s_andn2_b32 s6, s9, exec_lo
	s_and_b32 s9, s26, exec_lo
	s_or_b32 s9, s6, s9
	s_andn2_b32 exec_lo, exec_lo, s25
	s_cbranch_execz .LBB156_297
.LBB156_293:                            ;   Parent Loop BB156_6 Depth=1
                                        ; =>  This Inner Loop Header: Depth=2
	s_mov_b32 s6, exec_lo
	v_cmpx_gt_u64_e64 s[28:29], v[10:11]
	s_cbranch_execz .LBB156_291
; %bb.294:                              ;   in Loop: Header=BB156_293 Depth=2
	global_load_dwordx2 v[4:5], v[8:9], off
	s_waitcnt vmcnt(0)
	v_xor_b32_e32 v3, 0x80000000, v5
	v_and_b32_e32 v6, v4, v31
	v_and_b32_e32 v7, v3, v32
	v_cmp_eq_u64_e32 vcc_lo, v[6:7], v[29:30]
	s_and_b32 exec_lo, exec_lo, vcc_lo
	s_cbranch_execz .LBB156_291
; %bb.295:                              ;   in Loop: Header=BB156_293 Depth=2
	v_mov_b32_e32 v3, v19
	ds_write_b128 v19, v[2:5] offset:3072
	s_branch .LBB156_291
.LBB156_296:                            ;   in Loop: Header=BB156_293 Depth=2
	v_add_co_u32 v10, vcc_lo, v10, s33
	v_add_co_ci_u32_e64 v11, null, 0, v11, vcc_lo
	v_add_co_u32 v8, s6, v8, s34
	v_add_co_ci_u32_e64 v9, null, s35, v9, s6
	v_cmp_le_u64_e32 vcc_lo, s[22:23], v[10:11]
	s_mov_b32 s26, 0
	s_orn2_b32 s6, vcc_lo, exec_lo
	s_branch .LBB156_292
.LBB156_297:                            ;   in Loop: Header=BB156_6 Depth=1
	s_inst_prefetch 0x2
	s_or_b32 exec_lo, exec_lo, s25
	s_andn2_b32 s6, s24, exec_lo
	s_and_b32 s9, s9, exec_lo
	s_or_b32 s24, s6, s9
.LBB156_298:                            ;   in Loop: Header=BB156_6 Depth=1
	s_or_b32 exec_lo, exec_lo, s7
	s_mov_b32 s9, 0
	s_mov_b32 s66, -1
.LBB156_299:                            ;   in Loop: Header=BB156_6 Depth=1
	s_orn2_b32 s6, s24, exec_lo
.LBB156_300:                            ;   in Loop: Header=BB156_6 Depth=1
	s_or_b32 exec_lo, exec_lo, s65
                                        ; implicit-def: $vgpr35_vgpr36
                                        ; implicit-def: $vgpr49
	s_and_saveexec_b32 s24, s6
	s_cbranch_execz .LBB156_458
; %bb.301:                              ;   in Loop: Header=BB156_6 Depth=1
	v_mov_b32_e32 v35, 1
	v_mov_b32_e32 v36, 0
	;; [unrolled: 1-line block ×3, first 2 shown]
	s_xor_b32 s22, s64, -1
	s_mov_b32 s7, 0
	s_and_saveexec_b32 s6, s22
	s_cbranch_execz .LBB156_310
; %bb.302:                              ;   in Loop: Header=BB156_6 Depth=1
	s_mov_b32 s7, exec_lo
	v_cmpx_ge_u64_e64 s[20:21], v[33:34]
	s_xor_b32 s7, exec_lo, s7
	s_cbranch_execz .LBB156_307
; %bb.303:                              ;   in Loop: Header=BB156_6 Depth=1
	ds_read_b64 v[3:4], v19 offset:5120
	v_or_b32_e32 v30, s13, v30
	v_or_b32_e32 v29, s12, v29
	;; [unrolled: 1-line block ×4, first 2 shown]
	s_waitcnt lgkmcnt(0)
	v_cmp_ne_u64_e32 vcc_lo, 0, v[3:4]
	s_cbranch_vccnz .LBB156_307
; %bb.304:                              ;   in Loop: Header=BB156_6 Depth=1
	s_and_saveexec_b32 s22, s3
; %bb.305:                              ;   in Loop: Header=BB156_6 Depth=1
	v_mov_b32_e32 v3, s20
	v_mov_b32_e32 v4, s21
	ds_write_b64 v19, v[3:4] offset:5128
; %bb.306:                              ;   in Loop: Header=BB156_6 Depth=1
	s_or_b32 exec_lo, exec_lo, s22
	s_waitcnt lgkmcnt(0)
	s_barrier
	buffer_gl0_inv
.LBB156_307:                            ;   in Loop: Header=BB156_6 Depth=1
	s_or_saveexec_b32 s7, s7
	v_mov_b32_e32 v49, 5
	s_mov_b32 s22, 0
	s_xor_b32 exec_lo, exec_lo, s7
; %bb.308:                              ;   in Loop: Header=BB156_6 Depth=1
	v_sub_co_u32 v33, vcc_lo, v33, s20
	v_subrev_co_ci_u32_e64 v34, null, s21, v34, vcc_lo
	v_mov_b32_e32 v49, 0
	s_mov_b32 s22, exec_lo
; %bb.309:                              ;   in Loop: Header=BB156_6 Depth=1
	s_or_b32 exec_lo, exec_lo, s7
	v_mov_b32_e32 v36, v34
	v_mov_b32_e32 v35, v33
	s_and_b32 s7, s22, exec_lo
.LBB156_310:                            ;   in Loop: Header=BB156_6 Depth=1
	s_or_b32 exec_lo, exec_lo, s6
	s_mov_b32 s6, -1
                                        ; implicit-def: $sgpr64
                                        ; implicit-def: $sgpr65
	s_and_saveexec_b32 s20, s7
	s_xor_b32 s25, exec_lo, s20
	s_cbranch_execz .LBB156_455
; %bb.311:                              ;   in Loop: Header=BB156_6 Depth=1
	v_cmp_eq_u64_e32 vcc_lo, 1, v[35:36]
	s_cmp_eq_u64 s[18:19], 1
                                        ; implicit-def: $sgpr65
                                        ; implicit-def: $sgpr64
	s_cselect_b32 s6, -1, 0
	s_and_b32 s67, s6, vcc_lo
	s_mov_b32 s6, -1
	s_and_saveexec_b32 s68, s67
	s_cbranch_execz .LBB156_345
; %bb.312:                              ;   in Loop: Header=BB156_6 Depth=1
	ds_read_b64 v[3:4], v19 offset:5120
	s_waitcnt lgkmcnt(0)
	s_barrier
	buffer_gl0_inv
	v_readfirstlane_b32 s6, v3
	v_readfirstlane_b32 s7, v4
	s_and_saveexec_b32 s20, s8
; %bb.313:                              ;   in Loop: Header=BB156_6 Depth=1
	v_mov_b32_e32 v18, v19
	ds_write_b64 v44, v[18:19]
; %bb.314:                              ;   in Loop: Header=BB156_6 Depth=1
	s_or_b32 exec_lo, exec_lo, s20
	v_and_b32_e32 v3, s15, v30
	v_and_b32_e32 v4, s14, v29
	s_lshl_b64 s[20:21], 2, s93
	v_or_b32_e32 v32, s13, v32
	v_or_b32_e32 v31, s12, v31
	;; [unrolled: 1-line block ×4, first 2 shown]
	s_mov_b32 s64, -1
	s_mov_b32 s65, 0
	s_cmp_eq_u64 s[6:7], 0
	s_mov_b32 s22, 0
	s_mov_b32 s23, -1
	s_waitcnt lgkmcnt(0)
	s_barrier
	buffer_gl0_inv
                                        ; implicit-def: $vgpr6_vgpr7
	s_cbranch_scc1 .LBB156_330
; %bb.315:                              ;   in Loop: Header=BB156_6 Depth=1
	s_add_u32 s44, s6, s80
	s_addc_u32 s21, s7, s81
	s_mov_b32 s20, s27
	s_cmp_lg_u64 s[20:21], 0
	s_cbranch_scc0 .LBB156_371
; %bb.316:                              ;   in Loop: Header=BB156_6 Depth=1
	v_cvt_f32_u32_e32 v3, s33
	s_sub_u32 s23, 0, s33
	s_subb_u32 s26, 0, 0
	v_fmac_f32_e64 v3, 0x4f800000, 0
	v_rcp_f32_e32 v3, v3
	v_mul_f32_e32 v3, 0x5f7ffffc, v3
	v_mul_f32_e32 v4, 0x2f800000, v3
	v_trunc_f32_e32 v4, v4
	v_fmac_f32_e32 v3, 0xcf800000, v4
	v_cvt_u32_f32_e32 v4, v4
	v_cvt_u32_f32_e32 v3, v3
	v_readfirstlane_b32 s20, v4
	v_readfirstlane_b32 s22, v3
	s_mul_i32 s45, s23, s20
	s_mul_hi_u32 s49, s23, s22
	s_mul_i32 s48, s26, s22
	s_add_i32 s45, s49, s45
	s_mul_i32 s54, s23, s22
	s_add_i32 s45, s45, s48
	s_mul_hi_u32 s49, s22, s54
	s_mul_i32 s70, s22, s45
	s_mul_hi_u32 s69, s20, s54
	s_mul_i32 s48, s20, s54
	s_mul_hi_u32 s54, s22, s45
	s_add_u32 s49, s49, s70
	s_addc_u32 s54, 0, s54
	s_mul_hi_u32 s71, s20, s45
	s_add_u32 s48, s49, s48
	s_mul_i32 s45, s20, s45
	s_addc_u32 s48, s54, s69
	s_addc_u32 s49, s71, 0
	s_add_u32 s45, s48, s45
	s_addc_u32 s48, 0, s49
	s_add_u32 s22, s22, s45
	s_cselect_b32 s45, -1, 0
	s_mul_hi_u32 s49, s23, s22
	s_cmp_lg_u32 s45, 0
	s_mul_i32 s45, s23, s22
	s_addc_u32 s20, s20, s48
	s_mul_i32 s26, s26, s22
	s_mul_i32 s23, s23, s20
	s_mul_hi_u32 s48, s22, s45
	s_add_i32 s23, s49, s23
	s_mul_hi_u32 s49, s20, s45
	s_add_i32 s23, s23, s26
	s_mul_i32 s26, s20, s45
	s_mul_i32 s69, s22, s23
	s_mul_hi_u32 s54, s22, s23
	s_add_u32 s48, s48, s69
	s_addc_u32 s54, 0, s54
	s_mul_hi_u32 s45, s20, s23
	s_add_u32 s26, s48, s26
	s_mul_i32 s23, s20, s23
	s_addc_u32 s26, s54, s49
	s_addc_u32 s45, s45, 0
	s_add_u32 s23, s26, s23
	s_addc_u32 s26, 0, s45
	s_add_u32 s22, s22, s23
	s_cselect_b32 s23, -1, 0
	s_mul_hi_u32 s45, s44, s22
	s_cmp_lg_u32 s23, 0
	s_mul_hi_u32 s23, s21, s22
	s_addc_u32 s20, s20, s26
	s_mul_i32 s22, s21, s22
	s_mul_i32 s48, s44, s20
	s_mul_hi_u32 s26, s44, s20
	s_add_u32 s45, s45, s48
	s_addc_u32 s26, 0, s26
	s_mul_hi_u32 s49, s21, s20
	s_add_u32 s22, s45, s22
	s_mul_i32 s20, s21, s20
	s_addc_u32 s22, s26, s23
	s_addc_u32 s23, s49, 0
	s_add_u32 s20, s22, s20
	s_addc_u32 s22, 0, s23
	s_mul_hi_u32 s23, s33, s20
	s_mul_i32 s22, s33, s22
	s_mul_i32 s20, s33, s20
	s_add_i32 s23, s23, s22
	s_sub_u32 s20, s44, s20
	s_cselect_b32 s22, -1, 0
	s_cmp_lg_u32 s22, 0
	s_subb_u32 s22, s21, s23
	s_sub_u32 s23, s20, s33
	s_cselect_b32 s26, -1, 0
	s_cmp_lg_u32 s26, 0
	s_subb_u32 s26, s22, 0
	;; [unrolled: 4-line block ×3, first 2 shown]
	s_cmp_ge_u32 s23, s33
	s_cselect_b32 s49, -1, 0
	s_cmp_eq_u32 s26, 0
	s_cselect_b32 s49, s49, -1
	s_cmp_lg_u32 s49, 0
	s_cselect_b32 s26, s48, s26
	s_cselect_b32 s45, s45, s23
	s_cmp_ge_u32 s20, s33
	s_cselect_b32 s23, -1, 0
	s_cmp_eq_u32 s22, 0
	s_cselect_b32 s23, s23, -1
	s_cmp_lg_u32 s23, 0
	s_cselect_b32 s23, s26, s22
	s_cselect_b32 s22, s45, s20
	s_cbranch_execnz .LBB156_318
.LBB156_317:                            ;   in Loop: Header=BB156_6 Depth=1
	v_cvt_f32_u32_e32 v3, s33
	s_sub_i32 s22, 0, s33
	v_rcp_iflag_f32_e32 v3, v3
	v_mul_f32_e32 v3, 0x4f7ffffe, v3
	v_cvt_u32_f32_e32 v3, v3
	v_readfirstlane_b32 s20, v3
	s_mul_i32 s22, s22, s20
	s_mul_hi_u32 s22, s20, s22
	s_add_i32 s20, s20, s22
	s_mul_hi_u32 s20, s44, s20
	s_mul_i32 s20, s20, s33
	s_sub_i32 s20, s44, s20
	s_sub_i32 s22, s20, s33
	s_cmp_ge_u32 s20, s33
	s_cselect_b32 s20, s22, s20
	s_sub_i32 s22, s20, s33
	s_cmp_ge_u32 s20, s33
	s_cselect_b32 s26, s22, s20
	s_mov_b64 s[22:23], s[26:27]
.LBB156_318:                            ;   in Loop: Header=BB156_6 Depth=1
	s_sub_u32 s20, s44, s22
	s_subb_u32 s21, s21, s23
	s_mov_b32 s23, 0
	s_mov_b32 s22, 0
	s_mov_b32 s26, exec_lo
                                        ; implicit-def: $vgpr6_vgpr7
	v_cmpx_gt_u64_e64 s[20:21], v[0:1]
	s_cbranch_execz .LBB156_329
; %bb.319:                              ;   in Loop: Header=BB156_6 Depth=1
	v_mov_b32_e32 v9, v1
	v_mov_b32_e32 v10, v43
	;; [unrolled: 1-line block ×3, first 2 shown]
                                        ; implicit-def: $sgpr44
	s_inst_prefetch 0x1
	s_branch .LBB156_322
	.p2align	6
.LBB156_320:                            ;   in Loop: Header=BB156_322 Depth=2
	s_or_b32 exec_lo, exec_lo, s45
	s_waitcnt lgkmcnt(0)
	s_barrier
	buffer_gl0_inv
	ds_read_b128 v[4:7], v19 offset:3072
	s_mov_b32 s45, -1
	s_mov_b32 s48, -1
	s_waitcnt lgkmcnt(0)
	s_barrier
	buffer_gl0_inv
	v_cmp_ne_u64_e32 vcc_lo, 0, v[4:5]
	s_cbranch_vccz .LBB156_325
.LBB156_321:                            ;   in Loop: Header=BB156_322 Depth=2
	s_and_b32 s45, exec_lo, s45
	s_or_b32 s22, s45, s22
	s_andn2_b32 s44, s44, exec_lo
	s_and_b32 s45, s48, exec_lo
	s_or_b32 s44, s44, s45
	s_andn2_b32 exec_lo, exec_lo, s22
	s_cbranch_execz .LBB156_328
.LBB156_322:                            ;   Parent Loop BB156_6 Depth=1
                                        ; =>  This Inner Loop Header: Depth=2
	s_mov_b32 s45, exec_lo
	v_cmpx_gt_u64_e64 s[6:7], v[8:9]
	s_cbranch_execz .LBB156_320
; %bb.323:                              ;   in Loop: Header=BB156_322 Depth=2
	ds_read_b64 v[4:5], v10
	s_waitcnt lgkmcnt(0)
	v_xor_b32_e32 v3, 0x80000000, v5
	v_and_b32_e32 v6, v4, v31
	v_and_b32_e32 v7, v3, v32
	v_cmp_eq_u64_e32 vcc_lo, v[6:7], v[29:30]
	s_and_b32 exec_lo, exec_lo, vcc_lo
	s_cbranch_execz .LBB156_320
; %bb.324:                              ;   in Loop: Header=BB156_322 Depth=2
	v_mov_b32_e32 v3, v19
	ds_write_b128 v19, v[2:5] offset:3072
	s_branch .LBB156_320
.LBB156_325:                            ;   in Loop: Header=BB156_322 Depth=2
	v_add_co_u32 v8, vcc_lo, v8, s33
	v_add_co_ci_u32_e64 v9, null, 0, v9, vcc_lo
	v_add_nc_u32_e32 v10, s86, v10
	s_mov_b32 s48, 0
	v_cmp_le_u64_e32 vcc_lo, s[20:21], v[8:9]
	s_orn2_b32 s45, vcc_lo, exec_lo
	s_branch .LBB156_321
.LBB156_326:                            ;   in Loop: Header=BB156_6 Depth=1
                                        ; implicit-def: $sgpr24_sgpr25
	s_branch .LBB156_273
.LBB156_327:                            ;   in Loop: Header=BB156_6 Depth=1
                                        ; implicit-def: $sgpr6_sgpr7
	s_branch .LBB156_288
.LBB156_328:                            ;   in Loop: Header=BB156_6 Depth=1
	s_inst_prefetch 0x2
	s_or_b32 exec_lo, exec_lo, s22
	s_and_b32 s22, s44, exec_lo
.LBB156_329:                            ;   in Loop: Header=BB156_6 Depth=1
	s_or_b32 exec_lo, exec_lo, s26
.LBB156_330:                            ;   in Loop: Header=BB156_6 Depth=1
	s_and_b32 vcc_lo, exec_lo, s23
	s_cbranch_vccz .LBB156_344
; %bb.331:                              ;   in Loop: Header=BB156_6 Depth=1
	s_mov_b32 s54, s27
	s_cmp_lg_u64 s[54:55], 0
	s_cbranch_scc0 .LBB156_372
; %bb.332:                              ;   in Loop: Header=BB156_6 Depth=1
	v_cvt_f32_u32_e32 v3, s33
	s_sub_u32 s20, 0, s33
	s_subb_u32 s21, 0, 0
	v_fmac_f32_e64 v3, 0x4f800000, 0
	v_rcp_f32_e32 v3, v3
	v_mul_f32_e32 v3, 0x5f7ffffc, v3
	v_mul_f32_e32 v4, 0x2f800000, v3
	v_trunc_f32_e32 v4, v4
	v_fmac_f32_e32 v3, 0xcf800000, v4
	v_cvt_u32_f32_e32 v4, v4
	v_cvt_u32_f32_e32 v3, v3
	v_readfirstlane_b32 s6, v4
	v_readfirstlane_b32 s7, v3
	s_mul_i32 s23, s20, s6
	s_mul_hi_u32 s44, s20, s7
	s_mul_i32 s26, s21, s7
	s_add_i32 s23, s44, s23
	s_mul_i32 s45, s20, s7
	s_add_i32 s23, s23, s26
	s_mul_hi_u32 s44, s7, s45
	s_mul_i32 s49, s7, s23
	s_mul_hi_u32 s48, s6, s45
	s_mul_i32 s26, s6, s45
	s_mul_hi_u32 s45, s7, s23
	s_add_u32 s44, s44, s49
	s_addc_u32 s45, 0, s45
	s_mul_hi_u32 s54, s6, s23
	s_add_u32 s26, s44, s26
	s_mul_i32 s23, s6, s23
	s_addc_u32 s26, s45, s48
	s_addc_u32 s44, s54, 0
	s_add_u32 s23, s26, s23
	s_addc_u32 s26, 0, s44
	s_add_u32 s7, s7, s23
	s_cselect_b32 s23, -1, 0
	s_mul_hi_u32 s44, s20, s7
	s_cmp_lg_u32 s23, 0
	s_mul_i32 s23, s20, s7
	s_addc_u32 s6, s6, s26
	s_mul_i32 s21, s21, s7
	s_mul_i32 s20, s20, s6
	s_mul_hi_u32 s26, s7, s23
	s_add_i32 s20, s44, s20
	s_mul_hi_u32 s44, s6, s23
	s_add_i32 s20, s20, s21
	s_mul_i32 s21, s6, s23
	s_mul_i32 s48, s7, s20
	s_mul_hi_u32 s45, s7, s20
	s_add_u32 s26, s26, s48
	s_addc_u32 s45, 0, s45
	s_mul_hi_u32 s23, s6, s20
	s_add_u32 s21, s26, s21
	s_mul_i32 s20, s6, s20
	s_addc_u32 s21, s45, s44
	s_addc_u32 s23, s23, 0
	s_add_u32 s20, s21, s20
	s_addc_u32 s21, 0, s23
	s_add_u32 s7, s7, s20
	s_cselect_b32 s20, -1, 0
	s_mul_hi_u32 s23, s82, s7
	s_cmp_lg_u32 s20, 0
	s_mul_hi_u32 s20, s55, s7
	s_addc_u32 s6, s6, s21
	s_mul_i32 s7, s55, s7
	s_mul_i32 s26, s82, s6
	s_mul_hi_u32 s21, s82, s6
	s_add_u32 s23, s23, s26
	s_addc_u32 s21, 0, s21
	s_mul_hi_u32 s44, s55, s6
	s_add_u32 s7, s23, s7
	s_mul_i32 s6, s55, s6
	s_addc_u32 s7, s21, s20
	s_addc_u32 s20, s44, 0
	s_add_u32 s6, s7, s6
	s_addc_u32 s7, 0, s20
	s_mul_hi_u32 s20, s33, s6
	s_mul_i32 s7, s33, s7
	s_mul_i32 s6, s33, s6
	s_add_i32 s20, s20, s7
	s_sub_u32 s6, s82, s6
	s_cselect_b32 s7, -1, 0
	s_cmp_lg_u32 s7, 0
	s_subb_u32 s7, s55, s20
	s_sub_u32 s20, s6, s33
	s_cselect_b32 s21, -1, 0
	s_cmp_lg_u32 s21, 0
	s_subb_u32 s21, s7, 0
	;; [unrolled: 4-line block ×3, first 2 shown]
	s_cmp_ge_u32 s20, s33
	s_cselect_b32 s44, -1, 0
	s_cmp_eq_u32 s21, 0
	s_cselect_b32 s44, s44, -1
	s_cmp_lg_u32 s44, 0
	s_cselect_b32 s21, s26, s21
	s_cselect_b32 s20, s23, s20
	s_cmp_ge_u32 s6, s33
	s_cselect_b32 s23, -1, 0
	s_cmp_eq_u32 s7, 0
	s_cselect_b32 s23, s23, -1
	s_cmp_lg_u32 s23, 0
	s_cselect_b32 s7, s21, s7
	s_cselect_b32 s6, s20, s6
	s_cbranch_execnz .LBB156_334
.LBB156_333:                            ;   in Loop: Header=BB156_6 Depth=1
	v_cvt_f32_u32_e32 v3, s33
	s_sub_i32 s7, 0, s33
	v_rcp_iflag_f32_e32 v3, v3
	v_mul_f32_e32 v3, 0x4f7ffffe, v3
	v_cvt_u32_f32_e32 v3, v3
	v_readfirstlane_b32 s6, v3
	s_mul_i32 s7, s7, s6
	s_mul_hi_u32 s7, s6, s7
	s_add_i32 s6, s6, s7
	s_mul_hi_u32 s6, s82, s6
	s_mul_i32 s6, s6, s33
	s_sub_i32 s6, s82, s6
	s_sub_i32 s7, s6, s33
	s_cmp_ge_u32 s6, s33
	s_cselect_b32 s6, s7, s6
	s_sub_i32 s7, s6, s33
	s_cmp_ge_u32 s6, s33
	s_cselect_b32 s26, s7, s6
	s_mov_b64 s[6:7], s[26:27]
.LBB156_334:                            ;   in Loop: Header=BB156_6 Depth=1
	s_sub_u32 s20, s82, s6
	s_subb_u32 s21, s55, s7
	s_mov_b32 s7, exec_lo
                                        ; implicit-def: $vgpr6_vgpr7
	v_cmpx_gt_u64_e64 s[20:21], v[0:1]
	s_cbranch_execz .LBB156_343
; %bb.335:                              ;   in Loop: Header=BB156_6 Depth=1
	v_mov_b32_e32 v8, v16
	v_mov_b32_e32 v11, v1
	;; [unrolled: 1-line block ×4, first 2 shown]
	s_mov_b32 s23, 0
                                        ; implicit-def: $sgpr26
	s_inst_prefetch 0x1
	s_branch .LBB156_338
	.p2align	6
.LBB156_336:                            ;   in Loop: Header=BB156_338 Depth=2
	s_or_b32 exec_lo, exec_lo, s6
	s_waitcnt lgkmcnt(0)
	s_barrier
	buffer_gl0_inv
	ds_read_b128 v[4:7], v19 offset:3072
	s_mov_b32 s6, -1
	s_mov_b32 s44, -1
	s_waitcnt lgkmcnt(0)
	s_barrier
	buffer_gl0_inv
	v_cmp_eq_u64_e32 vcc_lo, 0, v[4:5]
	s_cbranch_vccnz .LBB156_341
.LBB156_337:                            ;   in Loop: Header=BB156_338 Depth=2
	s_and_b32 s6, exec_lo, s6
	s_or_b32 s23, s6, s23
	s_andn2_b32 s6, s26, exec_lo
	s_and_b32 s26, s44, exec_lo
	s_or_b32 s26, s6, s26
	s_andn2_b32 exec_lo, exec_lo, s23
	s_cbranch_execz .LBB156_342
.LBB156_338:                            ;   Parent Loop BB156_6 Depth=1
                                        ; =>  This Inner Loop Header: Depth=2
	s_mov_b32 s6, exec_lo
	v_cmpx_gt_u64_e64 s[28:29], v[10:11]
	s_cbranch_execz .LBB156_336
; %bb.339:                              ;   in Loop: Header=BB156_338 Depth=2
	global_load_dwordx2 v[4:5], v[8:9], off
	s_waitcnt vmcnt(0)
	v_xor_b32_e32 v3, 0x80000000, v5
	v_and_b32_e32 v6, v4, v31
	v_and_b32_e32 v7, v3, v32
	v_cmp_eq_u64_e32 vcc_lo, v[6:7], v[29:30]
	s_and_b32 exec_lo, exec_lo, vcc_lo
	s_cbranch_execz .LBB156_336
; %bb.340:                              ;   in Loop: Header=BB156_338 Depth=2
	v_mov_b32_e32 v3, v19
	ds_write_b128 v19, v[2:5] offset:3072
	s_branch .LBB156_336
.LBB156_341:                            ;   in Loop: Header=BB156_338 Depth=2
	v_add_co_u32 v10, vcc_lo, v10, s33
	v_add_co_ci_u32_e64 v11, null, 0, v11, vcc_lo
	v_add_co_u32 v8, s6, v8, s34
	v_add_co_ci_u32_e64 v9, null, s35, v9, s6
	v_cmp_le_u64_e32 vcc_lo, s[20:21], v[10:11]
	s_mov_b32 s44, 0
	s_orn2_b32 s6, vcc_lo, exec_lo
	s_branch .LBB156_337
.LBB156_342:                            ;   in Loop: Header=BB156_6 Depth=1
	s_inst_prefetch 0x2
	s_or_b32 exec_lo, exec_lo, s23
	s_andn2_b32 s6, s22, exec_lo
	s_and_b32 s20, s26, exec_lo
	s_or_b32 s22, s6, s20
.LBB156_343:                            ;   in Loop: Header=BB156_6 Depth=1
	s_or_b32 exec_lo, exec_lo, s7
	s_mov_b32 s64, 0
	s_mov_b32 s65, -1
.LBB156_344:                            ;   in Loop: Header=BB156_6 Depth=1
	s_orn2_b32 s6, s22, exec_lo
.LBB156_345:                            ;   in Loop: Header=BB156_6 Depth=1
	s_or_b32 exec_lo, exec_lo, s68
	s_mov_b32 s7, 0
	s_and_saveexec_b32 s22, s6
	s_cbranch_execz .LBB156_454
; %bb.346:                              ;   in Loop: Header=BB156_6 Depth=1
	v_mov_b32_e32 v8, 1
	v_mov_b32_e32 v9, 0
	;; [unrolled: 1-line block ×3, first 2 shown]
	s_xor_b32 s20, s67, -1
	s_and_saveexec_b32 s6, s20
	s_cbranch_execz .LBB156_355
; %bb.347:                              ;   in Loop: Header=BB156_6 Depth=1
	s_mov_b32 s7, exec_lo
	v_cmpx_ge_u64_e64 s[18:19], v[35:36]
	s_xor_b32 s7, exec_lo, s7
	s_cbranch_execz .LBB156_352
; %bb.348:                              ;   in Loop: Header=BB156_6 Depth=1
	ds_read_b64 v[3:4], v19 offset:5120
	v_and_b32_e32 v5, s15, v30
	v_and_b32_e32 v8, s14, v29
	s_lshl_b64 s[20:21], 2, s93
	v_or_b32_e32 v32, s13, v32
	v_or_b32_e32 v31, s12, v31
	;; [unrolled: 1-line block ×4, first 2 shown]
	s_waitcnt lgkmcnt(0)
	v_cmp_ne_u64_e32 vcc_lo, 0, v[3:4]
	s_cbranch_vccnz .LBB156_352
; %bb.349:                              ;   in Loop: Header=BB156_6 Depth=1
	s_and_saveexec_b32 s20, s3
; %bb.350:                              ;   in Loop: Header=BB156_6 Depth=1
	v_mov_b32_e32 v3, s18
	v_mov_b32_e32 v4, s19
	ds_write_b64 v19, v[3:4] offset:5128
; %bb.351:                              ;   in Loop: Header=BB156_6 Depth=1
	s_or_b32 exec_lo, exec_lo, s20
	s_waitcnt lgkmcnt(0)
	s_barrier
	buffer_gl0_inv
.LBB156_352:                            ;   in Loop: Header=BB156_6 Depth=1
	s_or_saveexec_b32 s7, s7
	v_mov_b32_e32 v49, 5
	s_mov_b32 s20, 0
	s_xor_b32 exec_lo, exec_lo, s7
; %bb.353:                              ;   in Loop: Header=BB156_6 Depth=1
	v_sub_co_u32 v35, vcc_lo, v35, s18
	v_subrev_co_ci_u32_e64 v36, null, s19, v36, vcc_lo
	v_mov_b32_e32 v49, 0
	s_mov_b32 s20, exec_lo
; %bb.354:                              ;   in Loop: Header=BB156_6 Depth=1
	s_or_b32 exec_lo, exec_lo, s7
	v_mov_b32_e32 v8, v35
	v_mov_b32_e32 v9, v36
	s_and_b32 s7, s20, exec_lo
.LBB156_355:                            ;   in Loop: Header=BB156_6 Depth=1
	s_or_b32 exec_lo, exec_lo, s6
	s_mov_b32 s6, -1
                                        ; implicit-def: $sgpr67
                                        ; implicit-def: $sgpr68
	s_and_saveexec_b32 s23, s7
	s_cbranch_execz .LBB156_453
; %bb.356:                              ;   in Loop: Header=BB156_6 Depth=1
	v_cmp_eq_u64_e32 vcc_lo, 1, v[8:9]
	s_cmp_eq_u64 s[16:17], 1
                                        ; implicit-def: $sgpr68
                                        ; implicit-def: $sgpr67
	s_cselect_b32 s6, -1, 0
	s_and_b32 s69, s6, vcc_lo
	s_mov_b32 s6, -1
	s_and_saveexec_b32 s70, s69
	s_cbranch_execz .LBB156_390
; %bb.357:                              ;   in Loop: Header=BB156_6 Depth=1
	ds_read_b64 v[3:4], v19 offset:5120
	s_waitcnt lgkmcnt(0)
	s_barrier
	buffer_gl0_inv
	v_readfirstlane_b32 s6, v3
	v_readfirstlane_b32 s7, v4
	s_and_saveexec_b32 s18, s8
; %bb.358:                              ;   in Loop: Header=BB156_6 Depth=1
	v_mov_b32_e32 v18, v19
	ds_write_b64 v44, v[18:19]
; %bb.359:                              ;   in Loop: Header=BB156_6 Depth=1
	s_or_b32 exec_lo, exec_lo, s18
	v_and_b32_e32 v3, s15, v30
	v_and_b32_e32 v4, s14, v29
	s_lshl_b64 s[18:19], 1, s93
	v_or_b32_e32 v32, s13, v32
	v_or_b32_e32 v31, s12, v31
	;; [unrolled: 1-line block ×4, first 2 shown]
	s_mov_b32 s67, -1
	s_mov_b32 s68, 0
	s_cmp_eq_u64 s[6:7], 0
	s_mov_b32 s20, 0
	s_mov_b32 s21, -1
	s_waitcnt lgkmcnt(0)
	s_barrier
	buffer_gl0_inv
                                        ; implicit-def: $vgpr6_vgpr7
	s_cbranch_scc1 .LBB156_375
; %bb.360:                              ;   in Loop: Header=BB156_6 Depth=1
	s_add_u32 s44, s6, s80
	s_addc_u32 s19, s7, s81
	s_mov_b32 s18, s27
	s_cmp_lg_u64 s[18:19], 0
	s_cbranch_scc0 .LBB156_407
; %bb.361:                              ;   in Loop: Header=BB156_6 Depth=1
	v_cvt_f32_u32_e32 v3, s33
	s_sub_u32 s21, 0, s33
	s_subb_u32 s26, 0, 0
	v_fmac_f32_e64 v3, 0x4f800000, 0
	v_rcp_f32_e32 v3, v3
	v_mul_f32_e32 v3, 0x5f7ffffc, v3
	v_mul_f32_e32 v4, 0x2f800000, v3
	v_trunc_f32_e32 v4, v4
	v_fmac_f32_e32 v3, 0xcf800000, v4
	v_cvt_u32_f32_e32 v4, v4
	v_cvt_u32_f32_e32 v3, v3
	v_readfirstlane_b32 s18, v4
	v_readfirstlane_b32 s20, v3
	s_mul_i32 s45, s21, s18
	s_mul_hi_u32 s49, s21, s20
	s_mul_i32 s48, s26, s20
	s_add_i32 s45, s49, s45
	s_mul_i32 s54, s21, s20
	s_add_i32 s45, s45, s48
	s_mul_hi_u32 s49, s20, s54
	s_mul_i32 s72, s20, s45
	s_mul_hi_u32 s71, s18, s54
	s_mul_i32 s48, s18, s54
	s_mul_hi_u32 s54, s20, s45
	s_add_u32 s49, s49, s72
	s_addc_u32 s54, 0, s54
	s_mul_hi_u32 s73, s18, s45
	s_add_u32 s48, s49, s48
	s_mul_i32 s45, s18, s45
	s_addc_u32 s48, s54, s71
	s_addc_u32 s49, s73, 0
	s_add_u32 s45, s48, s45
	s_addc_u32 s48, 0, s49
	s_add_u32 s20, s20, s45
	s_cselect_b32 s45, -1, 0
	s_mul_hi_u32 s49, s21, s20
	s_cmp_lg_u32 s45, 0
	s_mul_i32 s45, s21, s20
	s_addc_u32 s18, s18, s48
	s_mul_i32 s26, s26, s20
	s_mul_i32 s21, s21, s18
	s_mul_hi_u32 s48, s20, s45
	s_add_i32 s21, s49, s21
	s_mul_hi_u32 s49, s18, s45
	s_add_i32 s21, s21, s26
	s_mul_i32 s26, s18, s45
	s_mul_i32 s71, s20, s21
	s_mul_hi_u32 s54, s20, s21
	s_add_u32 s48, s48, s71
	s_addc_u32 s54, 0, s54
	s_mul_hi_u32 s45, s18, s21
	s_add_u32 s26, s48, s26
	s_mul_i32 s21, s18, s21
	s_addc_u32 s26, s54, s49
	s_addc_u32 s45, s45, 0
	s_add_u32 s21, s26, s21
	s_addc_u32 s26, 0, s45
	s_add_u32 s20, s20, s21
	s_cselect_b32 s21, -1, 0
	s_mul_hi_u32 s45, s44, s20
	s_cmp_lg_u32 s21, 0
	s_mul_hi_u32 s21, s19, s20
	s_addc_u32 s18, s18, s26
	s_mul_i32 s20, s19, s20
	s_mul_i32 s48, s44, s18
	s_mul_hi_u32 s26, s44, s18
	s_add_u32 s45, s45, s48
	s_addc_u32 s26, 0, s26
	s_mul_hi_u32 s49, s19, s18
	s_add_u32 s20, s45, s20
	s_mul_i32 s18, s19, s18
	s_addc_u32 s20, s26, s21
	s_addc_u32 s21, s49, 0
	s_add_u32 s18, s20, s18
	s_addc_u32 s20, 0, s21
	s_mul_hi_u32 s21, s33, s18
	s_mul_i32 s20, s33, s20
	s_mul_i32 s18, s33, s18
	s_add_i32 s21, s21, s20
	s_sub_u32 s18, s44, s18
	s_cselect_b32 s20, -1, 0
	s_cmp_lg_u32 s20, 0
	s_subb_u32 s20, s19, s21
	s_sub_u32 s21, s18, s33
	s_cselect_b32 s26, -1, 0
	s_cmp_lg_u32 s26, 0
	s_subb_u32 s26, s20, 0
	;; [unrolled: 4-line block ×3, first 2 shown]
	s_cmp_ge_u32 s21, s33
	s_cselect_b32 s49, -1, 0
	s_cmp_eq_u32 s26, 0
	s_cselect_b32 s49, s49, -1
	s_cmp_lg_u32 s49, 0
	s_cselect_b32 s26, s48, s26
	s_cselect_b32 s45, s45, s21
	s_cmp_ge_u32 s18, s33
	s_cselect_b32 s21, -1, 0
	s_cmp_eq_u32 s20, 0
	s_cselect_b32 s21, s21, -1
	s_cmp_lg_u32 s21, 0
	s_cselect_b32 s21, s26, s20
	s_cselect_b32 s20, s45, s18
	s_cbranch_execnz .LBB156_363
.LBB156_362:                            ;   in Loop: Header=BB156_6 Depth=1
	v_cvt_f32_u32_e32 v3, s33
	s_sub_i32 s20, 0, s33
	v_rcp_iflag_f32_e32 v3, v3
	v_mul_f32_e32 v3, 0x4f7ffffe, v3
	v_cvt_u32_f32_e32 v3, v3
	v_readfirstlane_b32 s18, v3
	s_mul_i32 s20, s20, s18
	s_mul_hi_u32 s20, s18, s20
	s_add_i32 s18, s18, s20
	s_mul_hi_u32 s18, s44, s18
	s_mul_i32 s18, s18, s33
	s_sub_i32 s18, s44, s18
	s_sub_i32 s20, s18, s33
	s_cmp_ge_u32 s18, s33
	s_cselect_b32 s18, s20, s18
	s_sub_i32 s20, s18, s33
	s_cmp_ge_u32 s18, s33
	s_cselect_b32 s26, s20, s18
	s_mov_b64 s[20:21], s[26:27]
.LBB156_363:                            ;   in Loop: Header=BB156_6 Depth=1
	s_sub_u32 s18, s44, s20
	s_subb_u32 s19, s19, s21
	s_mov_b32 s21, 0
	s_mov_b32 s20, 0
	s_mov_b32 s26, exec_lo
                                        ; implicit-def: $vgpr6_vgpr7
	v_cmpx_gt_u64_e64 s[18:19], v[0:1]
	s_cbranch_execz .LBB156_374
; %bb.364:                              ;   in Loop: Header=BB156_6 Depth=1
	v_mov_b32_e32 v11, v1
	v_mov_b32_e32 v12, v43
	v_mov_b32_e32 v10, v0
                                        ; implicit-def: $sgpr44
	s_inst_prefetch 0x1
	s_branch .LBB156_367
	.p2align	6
.LBB156_365:                            ;   in Loop: Header=BB156_367 Depth=2
	s_or_b32 exec_lo, exec_lo, s45
	s_waitcnt lgkmcnt(0)
	s_barrier
	buffer_gl0_inv
	ds_read_b128 v[4:7], v19 offset:3072
	s_mov_b32 s45, -1
	s_mov_b32 s48, -1
	s_waitcnt lgkmcnt(0)
	s_barrier
	buffer_gl0_inv
	v_cmp_ne_u64_e32 vcc_lo, 0, v[4:5]
	s_cbranch_vccz .LBB156_370
.LBB156_366:                            ;   in Loop: Header=BB156_367 Depth=2
	s_and_b32 s45, exec_lo, s45
	s_or_b32 s20, s45, s20
	s_andn2_b32 s44, s44, exec_lo
	s_and_b32 s45, s48, exec_lo
	s_or_b32 s44, s44, s45
	s_andn2_b32 exec_lo, exec_lo, s20
	s_cbranch_execz .LBB156_373
.LBB156_367:                            ;   Parent Loop BB156_6 Depth=1
                                        ; =>  This Inner Loop Header: Depth=2
	s_mov_b32 s45, exec_lo
	v_cmpx_gt_u64_e64 s[6:7], v[10:11]
	s_cbranch_execz .LBB156_365
; %bb.368:                              ;   in Loop: Header=BB156_367 Depth=2
	ds_read_b64 v[4:5], v12
	s_waitcnt lgkmcnt(0)
	v_xor_b32_e32 v3, 0x80000000, v5
	v_and_b32_e32 v6, v4, v31
	v_and_b32_e32 v7, v3, v32
	v_cmp_eq_u64_e32 vcc_lo, v[6:7], v[29:30]
	s_and_b32 exec_lo, exec_lo, vcc_lo
	s_cbranch_execz .LBB156_365
; %bb.369:                              ;   in Loop: Header=BB156_367 Depth=2
	v_mov_b32_e32 v3, v19
	ds_write_b128 v19, v[2:5] offset:3072
	s_branch .LBB156_365
.LBB156_370:                            ;   in Loop: Header=BB156_367 Depth=2
	v_add_co_u32 v10, vcc_lo, v10, s33
	v_add_co_ci_u32_e64 v11, null, 0, v11, vcc_lo
	v_add_nc_u32_e32 v12, s86, v12
	s_mov_b32 s48, 0
	v_cmp_le_u64_e32 vcc_lo, s[18:19], v[10:11]
	s_orn2_b32 s45, vcc_lo, exec_lo
	s_branch .LBB156_366
.LBB156_371:                            ;   in Loop: Header=BB156_6 Depth=1
                                        ; implicit-def: $sgpr22_sgpr23
	s_branch .LBB156_317
.LBB156_372:                            ;   in Loop: Header=BB156_6 Depth=1
                                        ; implicit-def: $sgpr6_sgpr7
	s_branch .LBB156_333
.LBB156_373:                            ;   in Loop: Header=BB156_6 Depth=1
	s_inst_prefetch 0x2
	s_or_b32 exec_lo, exec_lo, s20
	s_and_b32 s20, s44, exec_lo
.LBB156_374:                            ;   in Loop: Header=BB156_6 Depth=1
	s_or_b32 exec_lo, exec_lo, s26
.LBB156_375:                            ;   in Loop: Header=BB156_6 Depth=1
	s_and_b32 vcc_lo, exec_lo, s21
	s_cbranch_vccz .LBB156_389
; %bb.376:                              ;   in Loop: Header=BB156_6 Depth=1
	s_mov_b32 s54, s27
	s_cmp_lg_u64 s[54:55], 0
	s_cbranch_scc0 .LBB156_408
; %bb.377:                              ;   in Loop: Header=BB156_6 Depth=1
	v_cvt_f32_u32_e32 v3, s33
	s_sub_u32 s18, 0, s33
	s_subb_u32 s19, 0, 0
	v_fmac_f32_e64 v3, 0x4f800000, 0
	v_rcp_f32_e32 v3, v3
	v_mul_f32_e32 v3, 0x5f7ffffc, v3
	v_mul_f32_e32 v4, 0x2f800000, v3
	v_trunc_f32_e32 v4, v4
	v_fmac_f32_e32 v3, 0xcf800000, v4
	v_cvt_u32_f32_e32 v4, v4
	v_cvt_u32_f32_e32 v3, v3
	v_readfirstlane_b32 s6, v4
	v_readfirstlane_b32 s7, v3
	s_mul_i32 s21, s18, s6
	s_mul_hi_u32 s44, s18, s7
	s_mul_i32 s26, s19, s7
	s_add_i32 s21, s44, s21
	s_mul_i32 s45, s18, s7
	s_add_i32 s21, s21, s26
	s_mul_hi_u32 s44, s7, s45
	s_mul_i32 s49, s7, s21
	s_mul_hi_u32 s48, s6, s45
	s_mul_i32 s26, s6, s45
	s_mul_hi_u32 s45, s7, s21
	s_add_u32 s44, s44, s49
	s_addc_u32 s45, 0, s45
	s_mul_hi_u32 s54, s6, s21
	s_add_u32 s26, s44, s26
	s_mul_i32 s21, s6, s21
	s_addc_u32 s26, s45, s48
	s_addc_u32 s44, s54, 0
	s_add_u32 s21, s26, s21
	s_addc_u32 s26, 0, s44
	s_add_u32 s7, s7, s21
	s_cselect_b32 s21, -1, 0
	s_mul_hi_u32 s44, s18, s7
	s_cmp_lg_u32 s21, 0
	s_mul_i32 s21, s18, s7
	s_addc_u32 s6, s6, s26
	s_mul_i32 s19, s19, s7
	s_mul_i32 s18, s18, s6
	s_mul_hi_u32 s26, s7, s21
	s_add_i32 s18, s44, s18
	s_mul_hi_u32 s44, s6, s21
	s_add_i32 s18, s18, s19
	s_mul_i32 s19, s6, s21
	s_mul_i32 s48, s7, s18
	s_mul_hi_u32 s45, s7, s18
	s_add_u32 s26, s26, s48
	s_addc_u32 s45, 0, s45
	s_mul_hi_u32 s21, s6, s18
	s_add_u32 s19, s26, s19
	s_mul_i32 s18, s6, s18
	s_addc_u32 s19, s45, s44
	s_addc_u32 s21, s21, 0
	s_add_u32 s18, s19, s18
	s_addc_u32 s19, 0, s21
	s_add_u32 s7, s7, s18
	s_cselect_b32 s18, -1, 0
	s_mul_hi_u32 s21, s82, s7
	s_cmp_lg_u32 s18, 0
	s_mul_hi_u32 s18, s55, s7
	s_addc_u32 s6, s6, s19
	s_mul_i32 s7, s55, s7
	s_mul_i32 s26, s82, s6
	s_mul_hi_u32 s19, s82, s6
	s_add_u32 s21, s21, s26
	s_addc_u32 s19, 0, s19
	s_mul_hi_u32 s44, s55, s6
	s_add_u32 s7, s21, s7
	s_mul_i32 s6, s55, s6
	s_addc_u32 s7, s19, s18
	s_addc_u32 s18, s44, 0
	s_add_u32 s6, s7, s6
	s_addc_u32 s7, 0, s18
	s_mul_hi_u32 s18, s33, s6
	s_mul_i32 s7, s33, s7
	s_mul_i32 s6, s33, s6
	s_add_i32 s18, s18, s7
	s_sub_u32 s6, s82, s6
	s_cselect_b32 s7, -1, 0
	s_cmp_lg_u32 s7, 0
	s_subb_u32 s7, s55, s18
	s_sub_u32 s18, s6, s33
	s_cselect_b32 s19, -1, 0
	s_cmp_lg_u32 s19, 0
	s_subb_u32 s19, s7, 0
	s_sub_u32 s21, s18, s33
	s_cselect_b32 s26, -1, 0
	s_cmp_lg_u32 s26, 0
	s_subb_u32 s26, s19, 0
	s_cmp_ge_u32 s18, s33
	s_cselect_b32 s44, -1, 0
	s_cmp_eq_u32 s19, 0
	s_cselect_b32 s44, s44, -1
	s_cmp_lg_u32 s44, 0
	s_cselect_b32 s19, s26, s19
	s_cselect_b32 s18, s21, s18
	s_cmp_ge_u32 s6, s33
	s_cselect_b32 s21, -1, 0
	s_cmp_eq_u32 s7, 0
	s_cselect_b32 s21, s21, -1
	s_cmp_lg_u32 s21, 0
	s_cselect_b32 s7, s19, s7
	s_cselect_b32 s6, s18, s6
	s_cbranch_execnz .LBB156_379
.LBB156_378:                            ;   in Loop: Header=BB156_6 Depth=1
	v_cvt_f32_u32_e32 v3, s33
	s_sub_i32 s7, 0, s33
	v_rcp_iflag_f32_e32 v3, v3
	v_mul_f32_e32 v3, 0x4f7ffffe, v3
	v_cvt_u32_f32_e32 v3, v3
	v_readfirstlane_b32 s6, v3
	s_mul_i32 s7, s7, s6
	s_mul_hi_u32 s7, s6, s7
	s_add_i32 s6, s6, s7
	s_mul_hi_u32 s6, s82, s6
	s_mul_i32 s6, s6, s33
	s_sub_i32 s6, s82, s6
	s_sub_i32 s7, s6, s33
	s_cmp_ge_u32 s6, s33
	s_cselect_b32 s6, s7, s6
	s_sub_i32 s7, s6, s33
	s_cmp_ge_u32 s6, s33
	s_cselect_b32 s26, s7, s6
	s_mov_b64 s[6:7], s[26:27]
.LBB156_379:                            ;   in Loop: Header=BB156_6 Depth=1
	s_sub_u32 s18, s82, s6
	s_subb_u32 s19, s55, s7
	s_mov_b32 s7, exec_lo
                                        ; implicit-def: $vgpr6_vgpr7
	v_cmpx_gt_u64_e64 s[18:19], v[0:1]
	s_cbranch_execz .LBB156_388
; %bb.380:                              ;   in Loop: Header=BB156_6 Depth=1
	v_mov_b32_e32 v10, v16
	v_mov_b32_e32 v13, v1
	;; [unrolled: 1-line block ×4, first 2 shown]
	s_mov_b32 s21, 0
                                        ; implicit-def: $sgpr26
	s_inst_prefetch 0x1
	s_branch .LBB156_383
	.p2align	6
.LBB156_381:                            ;   in Loop: Header=BB156_383 Depth=2
	s_or_b32 exec_lo, exec_lo, s6
	s_waitcnt lgkmcnt(0)
	s_barrier
	buffer_gl0_inv
	ds_read_b128 v[4:7], v19 offset:3072
	s_mov_b32 s6, -1
	s_mov_b32 s44, -1
	s_waitcnt lgkmcnt(0)
	s_barrier
	buffer_gl0_inv
	v_cmp_eq_u64_e32 vcc_lo, 0, v[4:5]
	s_cbranch_vccnz .LBB156_386
.LBB156_382:                            ;   in Loop: Header=BB156_383 Depth=2
	s_and_b32 s6, exec_lo, s6
	s_or_b32 s21, s6, s21
	s_andn2_b32 s6, s26, exec_lo
	s_and_b32 s26, s44, exec_lo
	s_or_b32 s26, s6, s26
	s_andn2_b32 exec_lo, exec_lo, s21
	s_cbranch_execz .LBB156_387
.LBB156_383:                            ;   Parent Loop BB156_6 Depth=1
                                        ; =>  This Inner Loop Header: Depth=2
	s_mov_b32 s6, exec_lo
	v_cmpx_gt_u64_e64 s[28:29], v[12:13]
	s_cbranch_execz .LBB156_381
; %bb.384:                              ;   in Loop: Header=BB156_383 Depth=2
	global_load_dwordx2 v[4:5], v[10:11], off
	s_waitcnt vmcnt(0)
	v_xor_b32_e32 v3, 0x80000000, v5
	v_and_b32_e32 v6, v4, v31
	v_and_b32_e32 v7, v3, v32
	v_cmp_eq_u64_e32 vcc_lo, v[6:7], v[29:30]
	s_and_b32 exec_lo, exec_lo, vcc_lo
	s_cbranch_execz .LBB156_381
; %bb.385:                              ;   in Loop: Header=BB156_383 Depth=2
	v_mov_b32_e32 v3, v19
	ds_write_b128 v19, v[2:5] offset:3072
	s_branch .LBB156_381
.LBB156_386:                            ;   in Loop: Header=BB156_383 Depth=2
	v_add_co_u32 v12, vcc_lo, v12, s33
	v_add_co_ci_u32_e64 v13, null, 0, v13, vcc_lo
	v_add_co_u32 v10, s6, v10, s34
	v_add_co_ci_u32_e64 v11, null, s35, v11, s6
	v_cmp_le_u64_e32 vcc_lo, s[18:19], v[12:13]
	s_mov_b32 s44, 0
	s_orn2_b32 s6, vcc_lo, exec_lo
	s_branch .LBB156_382
.LBB156_387:                            ;   in Loop: Header=BB156_6 Depth=1
	s_inst_prefetch 0x2
	s_or_b32 exec_lo, exec_lo, s21
	s_andn2_b32 s6, s20, exec_lo
	s_and_b32 s18, s26, exec_lo
	s_or_b32 s20, s6, s18
.LBB156_388:                            ;   in Loop: Header=BB156_6 Depth=1
	s_or_b32 exec_lo, exec_lo, s7
	s_mov_b32 s67, 0
	s_mov_b32 s68, -1
.LBB156_389:                            ;   in Loop: Header=BB156_6 Depth=1
	s_orn2_b32 s6, s20, exec_lo
.LBB156_390:                            ;   in Loop: Header=BB156_6 Depth=1
	s_or_b32 exec_lo, exec_lo, s70
	s_mov_b32 s7, 0
	s_and_saveexec_b32 s20, s6
	s_cbranch_execz .LBB156_452
; %bb.391:                              ;   in Loop: Header=BB156_6 Depth=1
	v_mov_b32_e32 v10, 1
	v_mov_b32_e32 v11, 0
	;; [unrolled: 1-line block ×3, first 2 shown]
	s_xor_b32 s18, s69, -1
	s_and_saveexec_b32 s6, s18
	s_cbranch_execz .LBB156_400
; %bb.392:                              ;   in Loop: Header=BB156_6 Depth=1
	s_mov_b32 s7, exec_lo
	v_cmpx_ge_u64_e64 s[16:17], v[8:9]
	s_xor_b32 s7, exec_lo, s7
	s_cbranch_execz .LBB156_397
; %bb.393:                              ;   in Loop: Header=BB156_6 Depth=1
	ds_read_b64 v[3:4], v19 offset:5120
	v_and_b32_e32 v5, s15, v30
	v_and_b32_e32 v10, s14, v29
	s_lshl_b64 s[18:19], 1, s93
	v_or_b32_e32 v32, s13, v32
	v_or_b32_e32 v31, s12, v31
	;; [unrolled: 1-line block ×4, first 2 shown]
	s_waitcnt lgkmcnt(0)
	v_cmp_ne_u64_e32 vcc_lo, 0, v[3:4]
	s_cbranch_vccnz .LBB156_397
; %bb.394:                              ;   in Loop: Header=BB156_6 Depth=1
	s_and_saveexec_b32 s18, s3
; %bb.395:                              ;   in Loop: Header=BB156_6 Depth=1
	v_mov_b32_e32 v3, s16
	v_mov_b32_e32 v4, s17
	ds_write_b64 v19, v[3:4] offset:5128
; %bb.396:                              ;   in Loop: Header=BB156_6 Depth=1
	s_or_b32 exec_lo, exec_lo, s18
	s_waitcnt lgkmcnt(0)
	s_barrier
	buffer_gl0_inv
.LBB156_397:                            ;   in Loop: Header=BB156_6 Depth=1
	s_or_saveexec_b32 s7, s7
	v_mov_b32_e32 v49, 5
	s_mov_b32 s18, 0
	s_xor_b32 exec_lo, exec_lo, s7
; %bb.398:                              ;   in Loop: Header=BB156_6 Depth=1
	v_sub_co_u32 v8, vcc_lo, v8, s16
	v_subrev_co_ci_u32_e64 v9, null, s17, v9, vcc_lo
	v_mov_b32_e32 v49, 0
	s_mov_b32 s18, exec_lo
; %bb.399:                              ;   in Loop: Header=BB156_6 Depth=1
	s_or_b32 exec_lo, exec_lo, s7
	v_mov_b32_e32 v11, v9
	v_mov_b32_e32 v10, v8
	s_and_b32 s7, s18, exec_lo
.LBB156_400:                            ;   in Loop: Header=BB156_6 Depth=1
	s_or_b32 exec_lo, exec_lo, s6
	s_mov_b32 s6, -1
                                        ; implicit-def: $sgpr45
                                        ; implicit-def: $sgpr44
	s_and_saveexec_b32 s21, s7
	s_cbranch_execz .LBB156_451
; %bb.401:                              ;   in Loop: Header=BB156_6 Depth=1
	v_cmp_eq_u64_e32 vcc_lo, 1, v[10:11]
	s_cmp_eq_u64 s[10:11], 1
	s_mov_b32 s7, -1
	s_cselect_b32 s6, -1, 0
                                        ; implicit-def: $sgpr45
                                        ; implicit-def: $sgpr44
	s_and_b32 s69, s6, vcc_lo
	s_and_saveexec_b32 s70, s69
	s_cbranch_execz .LBB156_439
; %bb.402:                              ;   in Loop: Header=BB156_6 Depth=1
	ds_read_b64 v[3:4], v19 offset:5120
	s_waitcnt lgkmcnt(0)
	s_barrier
	buffer_gl0_inv
	v_readfirstlane_b32 s6, v3
	v_readfirstlane_b32 s7, v4
	s_and_saveexec_b32 s16, s8
; %bb.403:                              ;   in Loop: Header=BB156_6 Depth=1
	v_mov_b32_e32 v18, v19
	ds_write_b64 v44, v[18:19]
; %bb.404:                              ;   in Loop: Header=BB156_6 Depth=1
	s_or_b32 exec_lo, exec_lo, s16
	v_and_b32_e32 v30, s15, v30
	v_and_b32_e32 v29, s14, v29
	v_or_b32_e32 v32, s13, v32
	v_or_b32_e32 v31, s12, v31
	s_mov_b32 s44, -1
	s_mov_b32 s45, 0
	s_cmp_eq_u64 s[6:7], 0
	s_mov_b32 s18, 0
	s_mov_b32 s19, -1
	s_waitcnt lgkmcnt(0)
	s_barrier
	buffer_gl0_inv
                                        ; implicit-def: $vgpr6_vgpr7
	s_cbranch_scc1 .LBB156_422
; %bb.405:                              ;   in Loop: Header=BB156_6 Depth=1
	s_add_u32 s54, s6, s80
	s_addc_u32 s17, s7, s81
	s_mov_b32 s16, s27
	s_cmp_lg_u64 s[16:17], 0
	s_cbranch_scc0 .LBB156_409
; %bb.406:                              ;   in Loop: Header=BB156_6 Depth=1
	v_cvt_f32_u32_e32 v3, s33
	s_sub_u32 s19, 0, s33
	s_subb_u32 s26, 0, 0
	v_fmac_f32_e64 v3, 0x4f800000, 0
	v_rcp_f32_e32 v3, v3
	v_mul_f32_e32 v3, 0x5f7ffffc, v3
	v_mul_f32_e32 v4, 0x2f800000, v3
	v_trunc_f32_e32 v4, v4
	v_fmac_f32_e32 v3, 0xcf800000, v4
	v_cvt_u32_f32_e32 v4, v4
	v_cvt_u32_f32_e32 v3, v3
	v_readfirstlane_b32 s16, v4
	v_readfirstlane_b32 s18, v3
	s_mul_i32 s48, s19, s16
	s_mul_hi_u32 s71, s19, s18
	s_mul_i32 s49, s26, s18
	s_add_i32 s48, s71, s48
	s_mul_i32 s72, s19, s18
	s_add_i32 s48, s48, s49
	s_mul_hi_u32 s71, s18, s72
	s_mul_i32 s74, s18, s48
	s_mul_hi_u32 s73, s16, s72
	s_mul_i32 s49, s16, s72
	s_mul_hi_u32 s72, s18, s48
	s_add_u32 s71, s71, s74
	s_addc_u32 s72, 0, s72
	s_mul_hi_u32 s75, s16, s48
	s_add_u32 s49, s71, s49
	s_mul_i32 s48, s16, s48
	s_addc_u32 s49, s72, s73
	s_addc_u32 s71, s75, 0
	s_add_u32 s48, s49, s48
	s_addc_u32 s49, 0, s71
	s_add_u32 s18, s18, s48
	s_cselect_b32 s48, -1, 0
	s_mul_hi_u32 s71, s19, s18
	s_cmp_lg_u32 s48, 0
	s_mul_i32 s48, s19, s18
	s_addc_u32 s16, s16, s49
	s_mul_i32 s26, s26, s18
	s_mul_i32 s19, s19, s16
	s_mul_hi_u32 s49, s18, s48
	s_add_i32 s19, s71, s19
	s_mul_hi_u32 s71, s16, s48
	s_add_i32 s19, s19, s26
	s_mul_i32 s26, s16, s48
	s_mul_i32 s73, s18, s19
	s_mul_hi_u32 s72, s18, s19
	s_add_u32 s49, s49, s73
	s_addc_u32 s72, 0, s72
	s_mul_hi_u32 s48, s16, s19
	s_add_u32 s26, s49, s26
	s_mul_i32 s19, s16, s19
	s_addc_u32 s26, s72, s71
	s_addc_u32 s48, s48, 0
	s_add_u32 s19, s26, s19
	s_addc_u32 s26, 0, s48
	s_add_u32 s18, s18, s19
	s_cselect_b32 s19, -1, 0
	s_mul_hi_u32 s48, s54, s18
	s_cmp_lg_u32 s19, 0
	s_mul_hi_u32 s19, s17, s18
	s_addc_u32 s16, s16, s26
	s_mul_i32 s18, s17, s18
	s_mul_i32 s49, s54, s16
	s_mul_hi_u32 s26, s54, s16
	s_add_u32 s48, s48, s49
	s_addc_u32 s26, 0, s26
	s_mul_hi_u32 s71, s17, s16
	s_add_u32 s18, s48, s18
	s_mul_i32 s16, s17, s16
	s_addc_u32 s18, s26, s19
	s_addc_u32 s19, s71, 0
	s_add_u32 s16, s18, s16
	s_addc_u32 s18, 0, s19
	s_mul_hi_u32 s19, s33, s16
	s_mul_i32 s18, s33, s18
	s_mul_i32 s16, s33, s16
	s_add_i32 s19, s19, s18
	s_sub_u32 s16, s54, s16
	s_cselect_b32 s18, -1, 0
	s_cmp_lg_u32 s18, 0
	s_subb_u32 s18, s17, s19
	s_sub_u32 s19, s16, s33
	s_cselect_b32 s26, -1, 0
	s_cmp_lg_u32 s26, 0
	s_subb_u32 s26, s18, 0
	;; [unrolled: 4-line block ×3, first 2 shown]
	s_cmp_ge_u32 s19, s33
	s_cselect_b32 s71, -1, 0
	s_cmp_eq_u32 s26, 0
	s_cselect_b32 s71, s71, -1
	s_cmp_lg_u32 s71, 0
	s_cselect_b32 s26, s49, s26
	s_cselect_b32 s48, s48, s19
	s_cmp_ge_u32 s16, s33
	s_cselect_b32 s19, -1, 0
	s_cmp_eq_u32 s18, 0
	s_cselect_b32 s19, s19, -1
	s_cmp_lg_u32 s19, 0
	s_cselect_b32 s19, s26, s18
	s_cselect_b32 s18, s48, s16
	s_mov_b32 s16, 0
	s_branch .LBB156_410
.LBB156_407:                            ;   in Loop: Header=BB156_6 Depth=1
                                        ; implicit-def: $sgpr20_sgpr21
	s_branch .LBB156_362
.LBB156_408:                            ;   in Loop: Header=BB156_6 Depth=1
                                        ; implicit-def: $sgpr6_sgpr7
	s_branch .LBB156_378
.LBB156_409:                            ;   in Loop: Header=BB156_6 Depth=1
	s_mov_b32 s16, -1
                                        ; implicit-def: $sgpr18_sgpr19
.LBB156_410:                            ;   in Loop: Header=BB156_6 Depth=1
	s_andn2_b32 vcc_lo, exec_lo, s16
	s_cbranch_vccnz .LBB156_412
; %bb.411:                              ;   in Loop: Header=BB156_6 Depth=1
	v_cvt_f32_u32_e32 v3, s33
	s_sub_i32 s18, 0, s33
	v_rcp_iflag_f32_e32 v3, v3
	v_mul_f32_e32 v3, 0x4f7ffffe, v3
	v_cvt_u32_f32_e32 v3, v3
	v_readfirstlane_b32 s16, v3
	s_mul_i32 s18, s18, s16
	s_mul_hi_u32 s18, s16, s18
	s_add_i32 s16, s16, s18
	s_mul_hi_u32 s16, s54, s16
	s_mul_i32 s16, s16, s33
	s_sub_i32 s16, s54, s16
	s_sub_i32 s18, s16, s33
	s_cmp_ge_u32 s16, s33
	s_cselect_b32 s16, s18, s16
	s_sub_i32 s18, s16, s33
	s_cmp_ge_u32 s16, s33
	s_cselect_b32 s26, s18, s16
	s_mov_b64 s[18:19], s[26:27]
.LBB156_412:                            ;   in Loop: Header=BB156_6 Depth=1
	s_sub_u32 s16, s54, s18
	s_subb_u32 s17, s17, s19
	s_mov_b32 s19, 0
	s_mov_b32 s18, 0
	s_mov_b32 s26, exec_lo
                                        ; implicit-def: $vgpr6_vgpr7
	v_cmpx_gt_u64_e64 s[16:17], v[0:1]
	s_cbranch_execz .LBB156_421
; %bb.413:                              ;   in Loop: Header=BB156_6 Depth=1
	v_mov_b32_e32 v9, v1
	v_mov_b32_e32 v12, v43
	;; [unrolled: 1-line block ×3, first 2 shown]
                                        ; implicit-def: $sgpr54
	s_inst_prefetch 0x1
	s_branch .LBB156_416
	.p2align	6
.LBB156_414:                            ;   in Loop: Header=BB156_416 Depth=2
	s_or_b32 exec_lo, exec_lo, s71
	s_waitcnt lgkmcnt(0)
	s_barrier
	buffer_gl0_inv
	ds_read_b128 v[4:7], v19 offset:3072
	s_mov_b32 s48, -1
	s_mov_b32 s49, -1
	s_waitcnt lgkmcnt(0)
	s_barrier
	buffer_gl0_inv
	v_cmp_ne_u64_e32 vcc_lo, 0, v[4:5]
	s_cbranch_vccz .LBB156_419
.LBB156_415:                            ;   in Loop: Header=BB156_416 Depth=2
	s_and_b32 s46, exec_lo, s48
	s_or_b32 s18, s46, s18
	s_andn2_b32 s46, s54, exec_lo
	s_and_b32 s47, s49, exec_lo
	s_or_b32 s54, s46, s47
	s_andn2_b32 exec_lo, exec_lo, s18
	s_cbranch_execz .LBB156_420
.LBB156_416:                            ;   Parent Loop BB156_6 Depth=1
                                        ; =>  This Inner Loop Header: Depth=2
	s_mov_b32 s71, exec_lo
	v_cmpx_gt_u64_e64 s[6:7], v[8:9]
	s_cbranch_execz .LBB156_414
; %bb.417:                              ;   in Loop: Header=BB156_416 Depth=2
	ds_read_b64 v[4:5], v12
	s_waitcnt lgkmcnt(0)
	v_xor_b32_e32 v3, 0x80000000, v5
	v_and_b32_e32 v6, v4, v31
	v_and_b32_e32 v7, v3, v32
	v_cmp_eq_u64_e32 vcc_lo, v[6:7], v[29:30]
	s_and_b32 exec_lo, exec_lo, vcc_lo
	s_cbranch_execz .LBB156_414
; %bb.418:                              ;   in Loop: Header=BB156_416 Depth=2
	v_mov_b32_e32 v3, v19
	ds_write_b128 v19, v[2:5] offset:3072
	s_branch .LBB156_414
.LBB156_419:                            ;   in Loop: Header=BB156_416 Depth=2
	v_add_co_u32 v8, vcc_lo, v8, s33
	v_add_co_ci_u32_e64 v9, null, 0, v9, vcc_lo
	v_add_nc_u32_e32 v12, s86, v12
	s_mov_b32 s49, 0
	v_cmp_le_u64_e32 vcc_lo, s[16:17], v[8:9]
	s_orn2_b32 s48, vcc_lo, exec_lo
	s_branch .LBB156_415
.LBB156_420:                            ;   in Loop: Header=BB156_6 Depth=1
	s_inst_prefetch 0x2
	s_or_b32 exec_lo, exec_lo, s18
	s_and_b32 s18, s54, exec_lo
.LBB156_421:                            ;   in Loop: Header=BB156_6 Depth=1
	s_or_b32 exec_lo, exec_lo, s26
.LBB156_422:                            ;   in Loop: Header=BB156_6 Depth=1
	s_and_b32 vcc_lo, exec_lo, s19
	s_cbranch_vccz .LBB156_438
; %bb.423:                              ;   in Loop: Header=BB156_6 Depth=1
	s_mov_b32 s54, s27
	s_cmp_lg_u64 s[54:55], 0
	s_cbranch_scc0 .LBB156_425
; %bb.424:                              ;   in Loop: Header=BB156_6 Depth=1
	v_cvt_f32_u32_e32 v3, s33
	s_sub_u32 s16, 0, s33
	s_subb_u32 s17, 0, 0
	v_fmac_f32_e64 v3, 0x4f800000, 0
	v_rcp_f32_e32 v3, v3
	v_mul_f32_e32 v3, 0x5f7ffffc, v3
	v_mul_f32_e32 v4, 0x2f800000, v3
	v_trunc_f32_e32 v4, v4
	v_fmac_f32_e32 v3, 0xcf800000, v4
	v_cvt_u32_f32_e32 v4, v4
	v_cvt_u32_f32_e32 v3, v3
	v_readfirstlane_b32 s6, v4
	v_readfirstlane_b32 s7, v3
	s_mul_i32 s19, s16, s6
	s_mul_hi_u32 s44, s16, s7
	s_mul_i32 s26, s17, s7
	s_add_i32 s19, s44, s19
	s_mul_i32 s45, s16, s7
	s_add_i32 s19, s19, s26
	s_mul_hi_u32 s44, s7, s45
	s_mul_i32 s49, s7, s19
	s_mul_hi_u32 s48, s6, s45
	s_mul_i32 s26, s6, s45
	s_mul_hi_u32 s45, s7, s19
	s_add_u32 s44, s44, s49
	s_addc_u32 s45, 0, s45
	s_mul_hi_u32 s54, s6, s19
	s_add_u32 s26, s44, s26
	s_mul_i32 s19, s6, s19
	s_addc_u32 s26, s45, s48
	s_addc_u32 s44, s54, 0
	s_add_u32 s19, s26, s19
	s_addc_u32 s26, 0, s44
	s_add_u32 s7, s7, s19
	s_cselect_b32 s19, -1, 0
	s_mul_hi_u32 s44, s16, s7
	s_cmp_lg_u32 s19, 0
	s_mul_i32 s19, s16, s7
	s_addc_u32 s6, s6, s26
	s_mul_i32 s17, s17, s7
	s_mul_i32 s16, s16, s6
	s_mul_hi_u32 s26, s7, s19
	s_add_i32 s16, s44, s16
	s_mul_hi_u32 s44, s6, s19
	s_add_i32 s16, s16, s17
	s_mul_i32 s17, s6, s19
	s_mul_i32 s48, s7, s16
	s_mul_hi_u32 s45, s7, s16
	s_add_u32 s26, s26, s48
	s_addc_u32 s45, 0, s45
	s_mul_hi_u32 s19, s6, s16
	s_add_u32 s17, s26, s17
	s_mul_i32 s16, s6, s16
	s_addc_u32 s17, s45, s44
	s_addc_u32 s19, s19, 0
	s_add_u32 s16, s17, s16
	s_addc_u32 s17, 0, s19
	s_add_u32 s7, s7, s16
	s_cselect_b32 s16, -1, 0
	s_mul_hi_u32 s19, s82, s7
	s_cmp_lg_u32 s16, 0
	s_mul_hi_u32 s16, s55, s7
	s_addc_u32 s6, s6, s17
	s_mul_i32 s7, s55, s7
	s_mul_i32 s26, s82, s6
	s_mul_hi_u32 s17, s82, s6
	s_add_u32 s19, s19, s26
	s_addc_u32 s17, 0, s17
	s_mul_hi_u32 s44, s55, s6
	s_add_u32 s7, s19, s7
	s_mul_i32 s6, s55, s6
	s_addc_u32 s7, s17, s16
	s_addc_u32 s16, s44, 0
	s_add_u32 s6, s7, s6
	s_addc_u32 s7, 0, s16
	s_mul_hi_u32 s16, s33, s6
	s_mul_i32 s7, s33, s7
	s_mul_i32 s6, s33, s6
	s_add_i32 s16, s16, s7
	s_sub_u32 s6, s82, s6
	s_cselect_b32 s7, -1, 0
	s_cmp_lg_u32 s7, 0
	s_subb_u32 s7, s55, s16
	s_sub_u32 s16, s6, s33
	s_cselect_b32 s17, -1, 0
	s_cmp_lg_u32 s17, 0
	s_subb_u32 s17, s7, 0
	;; [unrolled: 4-line block ×3, first 2 shown]
	s_cmp_ge_u32 s16, s33
	s_cselect_b32 s44, -1, 0
	s_cmp_eq_u32 s17, 0
	s_cselect_b32 s44, s44, -1
	s_cmp_lg_u32 s44, 0
	s_cselect_b32 s17, s26, s17
	s_cselect_b32 s16, s19, s16
	s_cmp_ge_u32 s6, s33
	s_cselect_b32 s19, -1, 0
	s_cmp_eq_u32 s7, 0
	s_cselect_b32 s19, s19, -1
	s_cmp_lg_u32 s19, 0
	s_cselect_b32 s7, s17, s7
	s_cselect_b32 s6, s16, s6
	s_mov_b32 s16, 0
	s_branch .LBB156_426
.LBB156_425:                            ;   in Loop: Header=BB156_6 Depth=1
	s_mov_b32 s16, -1
                                        ; implicit-def: $sgpr6_sgpr7
.LBB156_426:                            ;   in Loop: Header=BB156_6 Depth=1
	s_andn2_b32 vcc_lo, exec_lo, s16
	s_cbranch_vccnz .LBB156_428
; %bb.427:                              ;   in Loop: Header=BB156_6 Depth=1
	v_cvt_f32_u32_e32 v3, s33
	s_sub_i32 s7, 0, s33
	v_rcp_iflag_f32_e32 v3, v3
	v_mul_f32_e32 v3, 0x4f7ffffe, v3
	v_cvt_u32_f32_e32 v3, v3
	v_readfirstlane_b32 s6, v3
	s_mul_i32 s7, s7, s6
	s_mul_hi_u32 s7, s6, s7
	s_add_i32 s6, s6, s7
	s_mul_hi_u32 s6, s82, s6
	s_mul_i32 s6, s6, s33
	s_sub_i32 s6, s82, s6
	s_sub_i32 s7, s6, s33
	s_cmp_ge_u32 s6, s33
	s_cselect_b32 s6, s7, s6
	s_sub_i32 s7, s6, s33
	s_cmp_ge_u32 s6, s33
	s_cselect_b32 s26, s7, s6
	s_mov_b64 s[6:7], s[26:27]
.LBB156_428:                            ;   in Loop: Header=BB156_6 Depth=1
	s_sub_u32 s16, s82, s6
	s_subb_u32 s17, s55, s7
	s_mov_b32 s7, exec_lo
                                        ; implicit-def: $vgpr6_vgpr7
	v_cmpx_gt_u64_e64 s[16:17], v[0:1]
	s_cbranch_execz .LBB156_437
; %bb.429:                              ;   in Loop: Header=BB156_6 Depth=1
	v_mov_b32_e32 v8, v16
	v_mov_b32_e32 v13, v1
	;; [unrolled: 1-line block ×4, first 2 shown]
	s_mov_b32 s19, 0
                                        ; implicit-def: $sgpr26
	s_inst_prefetch 0x1
	s_branch .LBB156_432
	.p2align	6
.LBB156_430:                            ;   in Loop: Header=BB156_432 Depth=2
	s_or_b32 exec_lo, exec_lo, s6
	s_waitcnt lgkmcnt(0)
	s_barrier
	buffer_gl0_inv
	ds_read_b128 v[4:7], v19 offset:3072
	s_mov_b32 s6, -1
	s_mov_b32 s44, -1
	s_waitcnt lgkmcnt(0)
	s_barrier
	buffer_gl0_inv
	v_cmp_eq_u64_e32 vcc_lo, 0, v[4:5]
	s_cbranch_vccnz .LBB156_435
.LBB156_431:                            ;   in Loop: Header=BB156_432 Depth=2
	s_and_b32 s6, exec_lo, s6
	s_or_b32 s19, s6, s19
	s_andn2_b32 s6, s26, exec_lo
	s_and_b32 s26, s44, exec_lo
	s_or_b32 s26, s6, s26
	s_andn2_b32 exec_lo, exec_lo, s19
	s_cbranch_execz .LBB156_436
.LBB156_432:                            ;   Parent Loop BB156_6 Depth=1
                                        ; =>  This Inner Loop Header: Depth=2
	s_mov_b32 s6, exec_lo
	v_cmpx_gt_u64_e64 s[28:29], v[12:13]
	s_cbranch_execz .LBB156_430
; %bb.433:                              ;   in Loop: Header=BB156_432 Depth=2
	global_load_dwordx2 v[4:5], v[8:9], off
	s_waitcnt vmcnt(0)
	v_xor_b32_e32 v3, 0x80000000, v5
	v_and_b32_e32 v6, v4, v31
	v_and_b32_e32 v7, v3, v32
	v_cmp_eq_u64_e32 vcc_lo, v[6:7], v[29:30]
	s_and_b32 exec_lo, exec_lo, vcc_lo
	s_cbranch_execz .LBB156_430
; %bb.434:                              ;   in Loop: Header=BB156_432 Depth=2
	v_mov_b32_e32 v3, v19
	ds_write_b128 v19, v[2:5] offset:3072
	s_branch .LBB156_430
.LBB156_435:                            ;   in Loop: Header=BB156_432 Depth=2
	v_add_co_u32 v12, vcc_lo, v12, s33
	v_add_co_ci_u32_e64 v13, null, 0, v13, vcc_lo
	v_add_co_u32 v8, s6, v8, s34
	v_add_co_ci_u32_e64 v9, null, s35, v9, s6
	v_cmp_le_u64_e32 vcc_lo, s[16:17], v[12:13]
	s_mov_b32 s44, 0
	s_orn2_b32 s6, vcc_lo, exec_lo
	s_branch .LBB156_431
.LBB156_436:                            ;   in Loop: Header=BB156_6 Depth=1
	s_inst_prefetch 0x2
	s_or_b32 exec_lo, exec_lo, s19
	s_andn2_b32 s6, s18, exec_lo
	s_and_b32 s16, s26, exec_lo
	s_or_b32 s18, s6, s16
.LBB156_437:                            ;   in Loop: Header=BB156_6 Depth=1
	s_or_b32 exec_lo, exec_lo, s7
	s_mov_b32 s44, 0
	s_mov_b32 s45, -1
.LBB156_438:                            ;   in Loop: Header=BB156_6 Depth=1
	s_orn2_b32 s7, s18, exec_lo
.LBB156_439:                            ;   in Loop: Header=BB156_6 Depth=1
	s_or_b32 exec_lo, exec_lo, s70
	s_mov_b32 s16, 0
	s_and_saveexec_b32 s6, s7
	s_cbranch_execz .LBB156_450
; %bb.440:                              ;   in Loop: Header=BB156_6 Depth=1
	v_mov_b32_e32 v3, 1
	v_mov_b32_e32 v4, 0
	;; [unrolled: 1-line block ×3, first 2 shown]
	s_xor_b32 s16, s69, -1
	s_and_saveexec_b32 s7, s16
	s_cbranch_execz .LBB156_449
; %bb.441:                              ;   in Loop: Header=BB156_6 Depth=1
	s_mov_b32 s16, exec_lo
	v_cmpx_ge_u64_e64 s[10:11], v[10:11]
	s_xor_b32 s16, exec_lo, s16
	s_cbranch_execz .LBB156_446
; %bb.442:                              ;   in Loop: Header=BB156_6 Depth=1
	ds_read_b64 v[3:4], v19 offset:5120
	v_and_b32_e32 v30, s15, v30
	v_and_b32_e32 v29, s14, v29
	v_or_b32_e32 v32, s13, v32
	v_or_b32_e32 v31, s12, v31
	s_waitcnt lgkmcnt(0)
	v_cmp_ne_u64_e32 vcc_lo, 0, v[3:4]
	s_cbranch_vccnz .LBB156_446
; %bb.443:                              ;   in Loop: Header=BB156_6 Depth=1
	s_and_saveexec_b32 s12, s3
; %bb.444:                              ;   in Loop: Header=BB156_6 Depth=1
	v_mov_b32_e32 v3, s10
	v_mov_b32_e32 v4, s11
	ds_write_b64 v19, v[3:4] offset:5128
; %bb.445:                              ;   in Loop: Header=BB156_6 Depth=1
	s_or_b32 exec_lo, exec_lo, s12
	s_waitcnt lgkmcnt(0)
	s_barrier
	buffer_gl0_inv
.LBB156_446:                            ;   in Loop: Header=BB156_6 Depth=1
	s_andn2_saveexec_b32 s12, s16
; %bb.447:                              ;   in Loop: Header=BB156_6 Depth=1
	v_sub_co_u32 v10, vcc_lo, v10, s10
	v_subrev_co_ci_u32_e64 v11, null, s11, v11, vcc_lo
; %bb.448:                              ;   in Loop: Header=BB156_6 Depth=1
	s_or_b32 exec_lo, exec_lo, s12
	v_mov_b32_e32 v3, v10
	v_mov_b32_e32 v49, 5
	v_mov_b32_e32 v4, v11
.LBB156_449:                            ;   in Loop: Header=BB156_6 Depth=1
	s_or_b32 exec_lo, exec_lo, s7
	v_mov_b32_e32 v11, v4
	v_mov_b32_e32 v10, v3
	s_mov_b32 s16, exec_lo
.LBB156_450:                            ;   in Loop: Header=BB156_6 Depth=1
	s_or_b32 exec_lo, exec_lo, s6
	s_orn2_b32 s6, s16, exec_lo
.LBB156_451:                            ;   in Loop: Header=BB156_6 Depth=1
	s_or_b32 exec_lo, exec_lo, s21
	v_mov_b32_e32 v8, v10
	v_mov_b32_e32 v9, v11
	s_andn2_b32 s7, s68, exec_lo
	s_and_b32 s10, s45, exec_lo
	s_andn2_b32 s11, s67, exec_lo
	s_and_b32 s12, s44, exec_lo
	s_or_b32 s68, s7, s10
	s_or_b32 s67, s11, s12
	s_and_b32 s7, s6, exec_lo
.LBB156_452:                            ;   in Loop: Header=BB156_6 Depth=1
	s_or_b32 exec_lo, exec_lo, s20
	s_orn2_b32 s6, s7, exec_lo
.LBB156_453:                            ;   in Loop: Header=BB156_6 Depth=1
	s_or_b32 exec_lo, exec_lo, s23
	v_mov_b32_e32 v36, v9
	v_mov_b32_e32 v35, v8
	s_andn2_b32 s7, s65, exec_lo
	s_and_b32 s10, s68, exec_lo
	s_andn2_b32 s11, s64, exec_lo
	s_and_b32 s12, s67, exec_lo
	s_or_b32 s65, s7, s10
	s_or_b32 s64, s11, s12
	s_and_b32 s7, s6, exec_lo
.LBB156_454:                            ;   in Loop: Header=BB156_6 Depth=1
	s_or_b32 exec_lo, exec_lo, s22
	s_orn2_b32 s6, s7, exec_lo
.LBB156_455:                            ;   in Loop: Header=BB156_6 Depth=1
	s_or_b32 exec_lo, exec_lo, s25
	s_mov_b32 s7, s63
	s_mov_b32 s10, s62
	s_and_saveexec_b32 s11, s6
; %bb.456:                              ;   in Loop: Header=BB156_6 Depth=1
	v_cmp_ne_u32_e32 vcc_lo, 5, v49
	v_cmp_eq_u32_e64 s6, 5, v49
	s_andn2_b32 s7, s62, exec_lo
	s_andn2_b32 s12, s63, exec_lo
	s_and_b32 s10, vcc_lo, exec_lo
	s_and_b32 s6, s6, exec_lo
	s_or_b32 s10, s7, s10
	s_or_b32 s7, s12, s6
; %bb.457:                              ;   in Loop: Header=BB156_6 Depth=1
	s_or_b32 exec_lo, exec_lo, s11
	s_andn2_b32 s6, s66, exec_lo
	s_and_b32 s11, s65, exec_lo
	s_andn2_b32 s9, s9, exec_lo
	s_and_b32 s12, s64, exec_lo
	s_or_b32 s66, s6, s11
	s_andn2_b32 s6, s62, exec_lo
	s_and_b32 s10, s10, exec_lo
	s_andn2_b32 s11, s63, exec_lo
	s_and_b32 s7, s7, exec_lo
	s_or_b32 s9, s9, s12
	s_or_b32 s62, s6, s10
	;; [unrolled: 1-line block ×3, first 2 shown]
.LBB156_458:                            ;   in Loop: Header=BB156_6 Depth=1
	s_or_b32 exec_lo, exec_lo, s24
	s_mov_b32 s64, 0
	s_mov_b32 s65, 0
	s_and_saveexec_b32 s6, s63
.LBB156_459:                            ;   in Loop: Header=BB156_6 Depth=1
	v_mov_b32_e32 v49, 0
	s_or_b32 s62, s62, exec_lo
.LBB156_460:                            ;   in Loop: Header=BB156_6 Depth=1
	s_or_b32 exec_lo, exec_lo, s6
	s_andn2_b32 s6, s97, exec_lo
	s_and_b32 s10, s66, exec_lo
	s_andn2_b32 s11, s95, exec_lo
	s_and_b32 s9, s9, exec_lo
	v_mov_b32_e32 v33, v35
	v_mov_b32_e32 v34, v36
	s_or_b32 s97, s6, s10
	s_or_b32 s95, s11, s9
	s_andn2_b32 s6, s99, exec_lo
	s_and_b32 s9, s65, exec_lo
	s_andn2_b32 s10, s98, exec_lo
	s_and_b32 s11, s64, exec_lo
	s_mov_b32 s7, -1
	s_andn2_b32 s96, s96, exec_lo
	s_or_b32 s99, s6, s9
	s_or_b32 s98, s10, s11
	s_and_saveexec_b32 s6, s62
	s_xor_b32 s6, exec_lo, s6
	s_cbranch_execz .LBB156_5
; %bb.461:                              ;   in Loop: Header=BB156_6 Depth=1
	s_mov_b32 s9, -1
	s_mov_b32 s10, exec_lo
	v_cmpx_eq_u32_e32 0, v49
	s_cbranch_execz .LBB156_4
; %bb.462:                              ;   in Loop: Header=BB156_6 Depth=1
	s_xor_b32 s89, s89, 1
	s_add_i32 s11, s93, -2
	s_cmp_eq_u32 s93, 0
	s_mov_b32 s93, s11
	s_cselect_b32 s7, -1, 0
	s_xor_b32 s9, exec_lo, -1
	s_orn2_b32 s7, s7, exec_lo
	s_branch .LBB156_4
.LBB156_463:
	s_or_b32 exec_lo, exec_lo, s87
	s_xor_b32 s7, s94, -1
	s_xor_b32 s9, s91, -1
	;; [unrolled: 1-line block ×5, first 2 shown]
	s_mov_b32 s8, 0
	s_and_saveexec_b32 s12, s11
	s_xor_b32 s12, exec_lo, s12
	s_cbranch_execnz .LBB156_468
; %bb.464:
	s_andn2_saveexec_b32 s0, s12
	s_cbranch_execnz .LBB156_487
.LBB156_465:
	s_or_b32 exec_lo, exec_lo, s0
	s_and_saveexec_b32 s0, s8
.LBB156_466:
	; divergent unreachable
.LBB156_467:
	s_endpgm
.LBB156_468:
	s_and_saveexec_b32 s11, s10
	s_xor_b32 s13, exec_lo, s11
	s_cbranch_execz .LBB156_485
; %bb.469:
	s_and_saveexec_b32 s10, s9
	s_xor_b32 s14, exec_lo, s10
	s_cbranch_execz .LBB156_483
; %bb.470:
	;; [unrolled: 4-line block ×3, first 2 shown]
	s_and_saveexec_b32 s7, s6
	s_xor_b32 s6, exec_lo, s7
; %bb.472:
	v_xor_b32_e32 v30, 0x80000000, v30
	v_mov_b32_e32 v6, v29
	v_mov_b32_e32 v7, v30
; %bb.473:
	s_or_b32 exec_lo, exec_lo, s6
	s_and_saveexec_b32 s6, s3
; %bb.474:
	v_mov_b32_e32 v2, 0
	v_mov_b32_e32 v3, v2
	ds_write_b64 v2, v[2:3] offset:5136
; %bb.475:
	s_or_b32 exec_lo, exec_lo, s6
	v_mov_b32_e32 v2, 0
	v_mov_b32_e32 v3, 0
	s_waitcnt lgkmcnt(0)
	s_barrier
	buffer_gl0_inv
	s_and_saveexec_b32 s3, s1
	s_cbranch_execz .LBB156_477
; %bb.476:
	global_load_dwordx2 v[2:3], v[16:17], off
.LBB156_477:
	s_or_b32 exec_lo, exec_lo, s3
	s_clause 0x2
	s_load_dwordx2 s[20:21], s[4:5], 0x298
	s_load_dwordx2 s[8:9], s[4:5], 0x368
	;; [unrolled: 1-line block ×3, first 2 shown]
	v_readlane_b32 s18, v59, 0
	v_readlane_b32 s19, v59, 1
	s_add_u32 s3, s28, 31
	s_addc_u32 s7, s29, 0
	s_and_b32 s6, s3, 0xffffffe0
	s_mul_i32 s3, s19, s42
	v_cmp_gt_u64_e32 vcc_lo, s[6:7], v[0:1]
	s_waitcnt lgkmcnt(0)
	s_mul_i32 s16, s21, s42
	s_mul_hi_u32 s17, s20, s42
	s_mul_i32 s4, s20, s42
	v_readlane_b32 s20, v59, 4
	s_add_i32 s5, s17, s16
	s_mul_hi_u32 s16, s18, s42
	v_readlane_b32 s21, v59, 5
	s_add_i32 s19, s16, s3
	s_lshl_b64 s[16:17], s[4:5], 3
	s_mul_i32 s18, s18, s42
	s_add_u32 s5, s20, s16
	s_addc_u32 s16, s21, s17
	v_readlane_b32 s20, v59, 2
	v_readlane_b32 s21, v59, 3
	s_lshl_b64 s[18:19], s[18:19], 3
	s_mov_b32 s4, -1
	s_mov_b32 s3, 0
	s_add_u32 s17, s20, s18
	s_addc_u32 s18, s21, s19
	s_mov_b32 s19, 0
	s_and_saveexec_b32 s20, vcc_lo
	s_cbranch_execnz .LBB156_488
; %bb.478:
	s_or_b32 exec_lo, exec_lo, s20
	s_and_saveexec_b32 s2, s4
	s_cbranch_execnz .LBB156_503
.LBB156_479:
	s_or_b32 exec_lo, exec_lo, s2
	s_and_saveexec_b32 s0, s3
	s_xor_b32 s0, exec_lo, s0
	s_cbranch_execnz .LBB156_526
.LBB156_480:
	s_or_b32 exec_lo, exec_lo, s0
	s_and_b32 s8, s19, exec_lo
.LBB156_481:
	s_andn2_saveexec_b32 s0, s15
	s_cbranch_execnz .LBB156_528
.LBB156_482:
	s_or_b32 exec_lo, exec_lo, s0
	s_and_b32 s8, s8, exec_lo
.LBB156_483:
	s_andn2_saveexec_b32 s0, s14
	s_cbranch_execnz .LBB156_527
.LBB156_484:
	s_or_b32 exec_lo, exec_lo, s0
	s_and_b32 s8, s8, exec_lo
.LBB156_485:
	s_andn2_saveexec_b32 s0, s13
	s_cbranch_execnz .LBB156_522
.LBB156_486:
	s_or_b32 exec_lo, exec_lo, s0
	s_and_b32 s8, s8, exec_lo
	s_andn2_saveexec_b32 s0, s12
	s_cbranch_execz .LBB156_465
.LBB156_487:
	s_or_b32 s8, s8, exec_lo
	s_trap 2
	s_or_b32 exec_lo, exec_lo, s0
	s_and_saveexec_b32 s0, s8
	s_cbranch_execnz .LBB156_466
	s_branch .LBB156_467
.LBB156_488:
	v_add_nc_u32_e32 v5, s33, v0
	s_add_u32 s3, s36, s40
	s_addc_u32 s4, s37, s41
	v_mov_b32_e32 v21, v1
	v_mov_b32_e32 v20, v0
	v_mad_u64_u32 v[8:9], null, s38, v5, 0
	s_mov_b32 s21, 0
                                        ; implicit-def: $sgpr22
                                        ; implicit-def: $vgpr18_vgpr19
	v_mov_b32_e32 v4, v9
	v_mad_u64_u32 v[4:5], null, s39, v5, v[4:5]
	v_xor_b32_e32 v5, 0x80000000, v7
	v_mov_b32_e32 v9, v4
	v_mov_b32_e32 v4, v6
	v_lshlrev_b64 v[10:11], 3, v[8:9]
	v_mov_b32_e32 v9, 0
	v_add_co_u32 v10, s3, s3, v10
	v_add_co_ci_u32_e64 v11, null, s4, v11, s3
	s_branch .LBB156_490
.LBB156_489:                            ;   in Loop: Header=BB156_490 Depth=1
	s_or_b32 exec_lo, exec_lo, s23
	s_xor_b32 s3, s24, -1
	s_and_b32 s4, exec_lo, s4
	v_mov_b32_e32 v2, v14
	v_mov_b32_e32 v21, v13
	;; [unrolled: 1-line block ×3, first 2 shown]
	s_or_b32 s21, s4, s21
	v_mov_b32_e32 v20, v12
	s_andn2_b32 s4, s22, exec_lo
	s_and_b32 s3, s3, exec_lo
	s_or_b32 s22, s4, s3
	s_andn2_b32 exec_lo, exec_lo, s21
	s_cbranch_execz .LBB156_502
.LBB156_490:                            ; =>This Inner Loop Header: Depth=1
	v_add_co_u32 v12, s3, v20, s33
	v_mov_b32_e32 v14, 0
	v_add_co_ci_u32_e64 v13, null, 0, v21, s3
	v_mov_b32_e32 v15, 0
	s_mov_b32 s4, exec_lo
	v_cmpx_gt_u64_e64 s[28:29], v[12:13]
	s_cbranch_execz .LBB156_492
; %bb.491:                              ;   in Loop: Header=BB156_490 Depth=1
	global_load_dwordx2 v[14:15], v[10:11], off
.LBB156_492:                            ;   in Loop: Header=BB156_490 Depth=1
	s_or_b32 exec_lo, exec_lo, s4
	s_waitcnt vmcnt(0)
	v_xor_b32_e32 v23, 0x80000000, v3
	v_mov_b32_e32 v22, v2
	v_cmp_gt_u64_e64 s3, v[22:23], v[4:5]
	v_cndmask_b32_e64 v8, 0, 1, s3
	v_cmp_lt_u64_e64 s3, v[22:23], v[4:5]
	v_cndmask_b32_e64 v22, 0, 1, s3
	v_cmp_gt_u64_e64 s3, s[28:29], v[20:21]
	v_cndmask_b32_e64 v8, v22, v8, s2
	v_and_b32_e32 v8, 1, v8
	v_cmp_eq_u32_e64 s4, 1, v8
	s_and_b32 s24, s3, s4
	v_cndmask_b32_e64 v8, 0, 1, s24
	v_cmp_ne_u32_e64 s3, 0, v8
	s_cmp_lg_u32 s3, 0
	s_cselect_b32 s4, -1, 0
	s_and_b32 s4, s0, s4
	s_and_saveexec_b32 s23, s4
	s_cbranch_execz .LBB156_496
; %bb.493:                              ;   in Loop: Header=BB156_490 Depth=1
	s_mov_b32 s27, exec_lo
	s_bcnt1_i32_b32 s25, s3
	v_mbcnt_lo_u32_b32 v22, s27, 0
	s_mov_b32 s26, exec_lo
                                        ; implicit-def: $vgpr18_vgpr19
	v_cmpx_eq_u32_e32 0, v22
	s_cbranch_execz .LBB156_495
; %bb.494:                              ;   in Loop: Header=BB156_490 Depth=1
	s_bcnt1_i32_b32 s4, s27
	s_mul_i32 s4, s25, s4
	v_mov_b32_e32 v8, s4
	s_waitcnt lgkmcnt(0)
	ds_add_rtn_u64 v[18:19], v9, v[8:9] offset:5136
.LBB156_495:                            ;   in Loop: Header=BB156_490 Depth=1
	s_or_b32 exec_lo, exec_lo, s26
	s_waitcnt lgkmcnt(0)
	v_readfirstlane_b32 s27, v19
	v_readfirstlane_b32 s26, v18
	v_mad_u64_u32 v[18:19], null, s25, v22, s[26:27]
.LBB156_496:                            ;   in Loop: Header=BB156_490 Depth=1
	s_or_b32 exec_lo, exec_lo, s23
	s_waitcnt lgkmcnt(1)
	ds_bpermute_b32 v18, v9, v18
	s_waitcnt lgkmcnt(1)
	ds_bpermute_b32 v19, v9, v19
	s_mov_b32 s4, -1
	s_mov_b32 s25, -1
	s_and_saveexec_b32 s23, s24
	s_cbranch_execz .LBB156_500
; %bb.497:                              ;   in Loop: Header=BB156_490 Depth=1
	v_and_b32_e32 v8, s3, v41
	s_mov_b32 s24, 0
	s_mov_b32 s25, exec_lo
	v_bcnt_u32_b32 v8, v8, 0
	s_waitcnt lgkmcnt(1)
	v_add_co_u32 v22, s3, v18, v8
	s_waitcnt lgkmcnt(0)
	v_add_co_ci_u32_e64 v23, null, 0, v19, s3
	v_cmpx_gt_u64_e64 s[30:31], v[22:23]
; %bb.498:                              ;   in Loop: Header=BB156_490 Depth=1
	v_mul_lo_u32 v8, v23, s8
	v_mul_lo_u32 v26, v22, s9
	v_mad_u64_u32 v[24:25], null, v22, s8, 0
	v_mul_lo_u32 v27, v23, s10
	v_mul_lo_u32 v28, v22, s11
	v_mad_u64_u32 v[22:23], null, v22, s10, 0
	s_mov_b32 s24, exec_lo
	v_add3_u32 v25, v25, v26, v8
	v_add3_u32 v23, v23, v28, v27
	v_lshlrev_b64 v[24:25], 3, v[24:25]
	v_lshlrev_b64 v[22:23], 3, v[22:23]
	v_add_co_u32 v24, s3, s5, v24
	v_add_co_ci_u32_e64 v25, null, s16, v25, s3
	v_add_co_u32 v22, s3, s17, v22
	v_add_co_ci_u32_e64 v23, null, s18, v23, s3
	global_store_dwordx2 v[24:25], v[2:3], off
	global_store_dwordx2 v[22:23], v[20:21], off
; %bb.499:                              ;   in Loop: Header=BB156_490 Depth=1
	s_or_b32 exec_lo, exec_lo, s25
	s_orn2_b32 s25, s24, exec_lo
.LBB156_500:                            ;   in Loop: Header=BB156_490 Depth=1
	s_or_b32 exec_lo, exec_lo, s23
	s_mov_b32 s24, -1
	s_and_saveexec_b32 s23, s25
	s_cbranch_execz .LBB156_489
; %bb.501:                              ;   in Loop: Header=BB156_490 Depth=1
	v_cmp_le_u64_e64 s3, s[6:7], v[12:13]
	v_add_co_u32 v10, s4, v10, s34
	v_add_co_ci_u32_e64 v11, null, s35, v11, s4
	s_xor_b32 s24, exec_lo, -1
	s_orn2_b32 s4, s3, exec_lo
	s_branch .LBB156_489
.LBB156_502:
	s_or_b32 exec_lo, exec_lo, s21
	s_mov_b32 s3, exec_lo
	s_orn2_b32 s4, s22, exec_lo
	s_or_b32 exec_lo, exec_lo, s20
	s_and_saveexec_b32 s2, s4
	s_cbranch_execz .LBB156_479
.LBB156_503:
	v_mov_b32_e32 v14, 0
	v_mov_b32_e32 v15, 0
	s_waitcnt vmcnt(0) lgkmcnt(0)
	s_waitcnt_vscnt null, 0x0
	s_barrier
	buffer_gl0_inv
	s_and_saveexec_b32 s4, s1
	s_cbranch_execz .LBB156_505
; %bb.504:
	global_load_dwordx2 v[14:15], v[16:17], off
.LBB156_505:
	s_or_b32 exec_lo, exec_lo, s4
	s_mov_b32 s1, 0
	s_and_saveexec_b32 s4, vcc_lo
	s_cbranch_execz .LBB156_525
; %bb.506:
	v_add_nc_u32_e32 v4, s33, v0
	s_add_u32 s1, s36, s40
	s_addc_u32 s19, s37, s41
	v_mov_b32_e32 v5, 0
                                        ; implicit-def: $sgpr20
                                        ; implicit-def: $vgpr12_vgpr13
	v_mad_u64_u32 v[2:3], null, s38, v4, 0
	v_mad_u64_u32 v[3:4], null, s39, v4, v[3:4]
	v_lshlrev_b64 v[2:3], 3, v[2:3]
	v_add_co_u32 v2, vcc_lo, s1, v2
	v_add_co_ci_u32_e64 v3, null, s19, v3, vcc_lo
	s_mov_b32 s19, 0
	s_branch .LBB156_509
.LBB156_507:                            ;   in Loop: Header=BB156_509 Depth=1
	s_or_b32 exec_lo, exec_lo, s22
	s_orn2_b32 s24, s23, exec_lo
	s_orn2_b32 s23, s1, exec_lo
.LBB156_508:                            ;   in Loop: Header=BB156_509 Depth=1
	s_or_b32 exec_lo, exec_lo, s21
	s_xor_b32 s1, s24, -1
	s_and_b32 s21, exec_lo, s23
	v_mov_b32_e32 v0, v8
	v_mov_b32_e32 v15, v11
	;; [unrolled: 1-line block ×3, first 2 shown]
	s_or_b32 s19, s21, s19
	v_mov_b32_e32 v14, v10
	s_andn2_b32 s20, s20, exec_lo
	s_and_b32 s1, s1, exec_lo
	s_or_b32 s20, s20, s1
	s_andn2_b32 exec_lo, exec_lo, s19
	s_cbranch_execz .LBB156_523
.LBB156_509:                            ; =>This Inner Loop Header: Depth=1
	v_add_co_u32 v8, vcc_lo, v0, s33
	v_mov_b32_e32 v10, 0
	v_add_co_ci_u32_e64 v9, null, 0, v1, vcc_lo
	v_mov_b32_e32 v11, 0
	s_mov_b32 s1, exec_lo
	v_cmpx_gt_u64_e64 s[28:29], v[8:9]
	s_cbranch_execz .LBB156_511
; %bb.510:                              ;   in Loop: Header=BB156_509 Depth=1
	global_load_dwordx2 v[10:11], v[2:3], off
.LBB156_511:                            ;   in Loop: Header=BB156_509 Depth=1
	s_or_b32 exec_lo, exec_lo, s1
	v_cmp_gt_u64_e32 vcc_lo, s[28:29], v[0:1]
	s_waitcnt vmcnt(0)
	v_cmp_eq_u64_e64 s1, v[14:15], v[6:7]
	s_and_b32 s22, vcc_lo, s1
	v_cndmask_b32_e64 v4, 0, 1, s22
	v_cmp_ne_u32_e32 vcc_lo, 0, v4
	s_cmp_lg_u32 vcc_lo, 0
	s_cselect_b32 s1, -1, 0
	s_and_b32 s1, s0, s1
	s_and_saveexec_b32 s21, s1
	s_cbranch_execz .LBB156_515
; %bb.512:                              ;   in Loop: Header=BB156_509 Depth=1
	s_mov_b32 s25, exec_lo
	s_bcnt1_i32_b32 s23, vcc_lo
	v_mbcnt_lo_u32_b32 v14, s25, 0
	s_mov_b32 s24, exec_lo
                                        ; implicit-def: $vgpr12_vgpr13
	v_cmpx_eq_u32_e32 0, v14
; %bb.513:                              ;   in Loop: Header=BB156_509 Depth=1
	s_bcnt1_i32_b32 s1, s25
	s_mul_i32 s1, s23, s1
	v_mov_b32_e32 v4, s1
	ds_add_rtn_u64 v[12:13], v5, v[4:5] offset:5136
; %bb.514:                              ;   in Loop: Header=BB156_509 Depth=1
	s_or_b32 exec_lo, exec_lo, s24
	s_waitcnt lgkmcnt(0)
	v_readfirstlane_b32 s25, v13
	v_readfirstlane_b32 s24, v12
	v_mad_u64_u32 v[12:13], null, s23, v14, s[24:25]
.LBB156_515:                            ;   in Loop: Header=BB156_509 Depth=1
	s_or_b32 exec_lo, exec_lo, s21
	ds_bpermute_b32 v12, v5, v12
	ds_bpermute_b32 v13, v5, v13
	s_cmp_eq_u32 vcc_lo, 0
	s_mov_b32 s23, -1
	s_cselect_b32 s21, -1, 0
	s_mov_b32 s24, -1
	s_waitcnt lgkmcnt(0)
	v_cmp_gt_u64_e64 s1, s[30:31], v[12:13]
	s_or_b32 s1, s21, s1
	s_and_saveexec_b32 s21, s1
	s_cbranch_execz .LBB156_508
; %bb.516:                              ;   in Loop: Header=BB156_509 Depth=1
	v_and_b32_e32 v4, vcc_lo, v41
	v_sub_co_u32 v14, vcc_lo, s30, v12
	v_sub_co_ci_u32_e64 v15, null, s31, v13, vcc_lo
	v_bcnt_u32_b32 v4, v4, 0
	s_mov_b32 s1, -1
	v_bcnt_u32_b32 v4, 0, v4
	v_cmp_gt_u64_e32 vcc_lo, v[14:15], v[4:5]
	s_and_b32 s25, s22, vcc_lo
	s_and_saveexec_b32 s22, s25
	s_cbranch_execz .LBB156_520
; %bb.517:                              ;   in Loop: Header=BB156_509 Depth=1
	v_add_co_u32 v14, vcc_lo, v12, v4
	v_add_co_ci_u32_e64 v15, null, 0, v13, vcc_lo
	s_mov_b32 s24, 0
	s_mov_b32 s23, exec_lo
	v_cmpx_gt_u64_e64 s[30:31], v[14:15]
; %bb.518:                              ;   in Loop: Header=BB156_509 Depth=1
	v_mul_lo_u32 v4, v15, s8
	v_mul_lo_u32 v18, v14, s9
	v_mad_u64_u32 v[16:17], null, v14, s8, 0
	v_mul_lo_u32 v19, v15, s10
	v_mul_lo_u32 v20, v14, s11
	v_mad_u64_u32 v[14:15], null, v14, s10, 0
	s_mov_b32 s24, exec_lo
	v_add3_u32 v17, v17, v18, v4
	v_add3_u32 v15, v15, v20, v19
	v_lshlrev_b64 v[16:17], 3, v[16:17]
	v_lshlrev_b64 v[14:15], 3, v[14:15]
	v_add_co_u32 v16, vcc_lo, s5, v16
	v_add_co_ci_u32_e64 v17, null, s16, v17, vcc_lo
	v_add_co_u32 v14, vcc_lo, s17, v14
	v_add_co_ci_u32_e64 v15, null, s18, v15, vcc_lo
	global_store_dwordx2 v[16:17], v[6:7], off
	global_store_dwordx2 v[14:15], v[0:1], off
; %bb.519:                              ;   in Loop: Header=BB156_509 Depth=1
	s_or_b32 exec_lo, exec_lo, s23
	s_xor_b32 s23, exec_lo, -1
	s_orn2_b32 s24, s24, exec_lo
.LBB156_520:                            ;   in Loop: Header=BB156_509 Depth=1
	s_or_b32 exec_lo, exec_lo, s22
	s_and_saveexec_b32 s22, s24
	s_cbranch_execz .LBB156_507
; %bb.521:                              ;   in Loop: Header=BB156_509 Depth=1
	v_cmp_le_u64_e32 vcc_lo, s[6:7], v[8:9]
	v_add_co_u32 v2, s1, v2, s34
	v_add_co_ci_u32_e64 v3, null, s35, v3, s1
	s_or_b32 s23, s23, exec_lo
	s_orn2_b32 s1, vcc_lo, exec_lo
	s_branch .LBB156_507
.LBB156_522:
	s_or_b32 s8, s8, exec_lo
	s_trap 2
	s_branch .LBB156_486
.LBB156_523:
	s_or_b32 exec_lo, exec_lo, s19
	s_mov_b32 s0, 0
	s_and_saveexec_b32 s1, s20
	s_xor_b32 s1, exec_lo, s1
	s_cbranch_execnz .LBB156_529
.LBB156_524:
	s_or_b32 exec_lo, exec_lo, s1
	s_and_b32 s1, s0, exec_lo
.LBB156_525:
	s_or_b32 exec_lo, exec_lo, s4
	s_and_b32 s19, s1, exec_lo
	s_andn2_b32 s3, s3, exec_lo
	s_or_b32 exec_lo, exec_lo, s2
	s_and_saveexec_b32 s0, s3
	s_xor_b32 s0, exec_lo, s0
	s_cbranch_execz .LBB156_480
.LBB156_526:
	s_or_b32 s19, s19, exec_lo
	s_trap 2
	s_branch .LBB156_480
.LBB156_527:
	s_or_b32 s8, s8, exec_lo
	s_trap 2
	s_branch .LBB156_484
.LBB156_528:
	s_or_b32 s8, s8, exec_lo
	s_trap 2
	s_branch .LBB156_482
.LBB156_529:
	s_mov_b32 s0, exec_lo
	s_trap 2
	s_branch .LBB156_524
	.section	.rodata,"a",@progbits
	.p2align	6, 0x0
	.amdhsa_kernel _ZN2at6native6sbtopk10gatherTopKIlmLi1ELb0EEEvNS_4cuda6detail10TensorInfoIKT_T0_EES8_S8_bS8_S8_NS5_IS6_S8_EES8_NS5_IlS8_EES8_PS6_
		.amdhsa_group_segment_fixed_size 5152
		.amdhsa_private_segment_fixed_size 0
		.amdhsa_kernarg_size 1568
		.amdhsa_user_sgpr_count 6
		.amdhsa_user_sgpr_private_segment_buffer 1
		.amdhsa_user_sgpr_dispatch_ptr 0
		.amdhsa_user_sgpr_queue_ptr 0
		.amdhsa_user_sgpr_kernarg_segment_ptr 1
		.amdhsa_user_sgpr_dispatch_id 0
		.amdhsa_user_sgpr_flat_scratch_init 0
		.amdhsa_user_sgpr_private_segment_size 0
		.amdhsa_wavefront_size32 1
		.amdhsa_uses_dynamic_stack 0
		.amdhsa_system_sgpr_private_segment_wavefront_offset 0
		.amdhsa_system_sgpr_workgroup_id_x 1
		.amdhsa_system_sgpr_workgroup_id_y 1
		.amdhsa_system_sgpr_workgroup_id_z 1
		.amdhsa_system_sgpr_workgroup_info 0
		.amdhsa_system_vgpr_workitem_id 0
		.amdhsa_next_free_vgpr 60
		.amdhsa_next_free_sgpr 105
		.amdhsa_reserve_vcc 1
		.amdhsa_reserve_flat_scratch 0
		.amdhsa_float_round_mode_32 0
		.amdhsa_float_round_mode_16_64 0
		.amdhsa_float_denorm_mode_32 3
		.amdhsa_float_denorm_mode_16_64 3
		.amdhsa_dx10_clamp 1
		.amdhsa_ieee_mode 1
		.amdhsa_fp16_overflow 0
		.amdhsa_workgroup_processor_mode 1
		.amdhsa_memory_ordered 1
		.amdhsa_forward_progress 1
		.amdhsa_shared_vgpr_count 0
		.amdhsa_exception_fp_ieee_invalid_op 0
		.amdhsa_exception_fp_denorm_src 0
		.amdhsa_exception_fp_ieee_div_zero 0
		.amdhsa_exception_fp_ieee_overflow 0
		.amdhsa_exception_fp_ieee_underflow 0
		.amdhsa_exception_fp_ieee_inexact 0
		.amdhsa_exception_int_div_zero 0
	.end_amdhsa_kernel
	.section	.text._ZN2at6native6sbtopk10gatherTopKIlmLi1ELb0EEEvNS_4cuda6detail10TensorInfoIKT_T0_EES8_S8_bS8_S8_NS5_IS6_S8_EES8_NS5_IlS8_EES8_PS6_,"axG",@progbits,_ZN2at6native6sbtopk10gatherTopKIlmLi1ELb0EEEvNS_4cuda6detail10TensorInfoIKT_T0_EES8_S8_bS8_S8_NS5_IS6_S8_EES8_NS5_IlS8_EES8_PS6_,comdat
.Lfunc_end156:
	.size	_ZN2at6native6sbtopk10gatherTopKIlmLi1ELb0EEEvNS_4cuda6detail10TensorInfoIKT_T0_EES8_S8_bS8_S8_NS5_IS6_S8_EES8_NS5_IlS8_EES8_PS6_, .Lfunc_end156-_ZN2at6native6sbtopk10gatherTopKIlmLi1ELb0EEEvNS_4cuda6detail10TensorInfoIKT_T0_EES8_S8_bS8_S8_NS5_IS6_S8_EES8_NS5_IlS8_EES8_PS6_
                                        ; -- End function
	.set _ZN2at6native6sbtopk10gatherTopKIlmLi1ELb0EEEvNS_4cuda6detail10TensorInfoIKT_T0_EES8_S8_bS8_S8_NS5_IS6_S8_EES8_NS5_IlS8_EES8_PS6_.num_vgpr, 60
	.set _ZN2at6native6sbtopk10gatherTopKIlmLi1ELb0EEEvNS_4cuda6detail10TensorInfoIKT_T0_EES8_S8_bS8_S8_NS5_IS6_S8_EES8_NS5_IlS8_EES8_PS6_.num_agpr, 0
	.set _ZN2at6native6sbtopk10gatherTopKIlmLi1ELb0EEEvNS_4cuda6detail10TensorInfoIKT_T0_EES8_S8_bS8_S8_NS5_IS6_S8_EES8_NS5_IlS8_EES8_PS6_.numbered_sgpr, 105
	.set _ZN2at6native6sbtopk10gatherTopKIlmLi1ELb0EEEvNS_4cuda6detail10TensorInfoIKT_T0_EES8_S8_bS8_S8_NS5_IS6_S8_EES8_NS5_IlS8_EES8_PS6_.num_named_barrier, 0
	.set _ZN2at6native6sbtopk10gatherTopKIlmLi1ELb0EEEvNS_4cuda6detail10TensorInfoIKT_T0_EES8_S8_bS8_S8_NS5_IS6_S8_EES8_NS5_IlS8_EES8_PS6_.private_seg_size, 0
	.set _ZN2at6native6sbtopk10gatherTopKIlmLi1ELb0EEEvNS_4cuda6detail10TensorInfoIKT_T0_EES8_S8_bS8_S8_NS5_IS6_S8_EES8_NS5_IlS8_EES8_PS6_.uses_vcc, 1
	.set _ZN2at6native6sbtopk10gatherTopKIlmLi1ELb0EEEvNS_4cuda6detail10TensorInfoIKT_T0_EES8_S8_bS8_S8_NS5_IS6_S8_EES8_NS5_IlS8_EES8_PS6_.uses_flat_scratch, 0
	.set _ZN2at6native6sbtopk10gatherTopKIlmLi1ELb0EEEvNS_4cuda6detail10TensorInfoIKT_T0_EES8_S8_bS8_S8_NS5_IS6_S8_EES8_NS5_IlS8_EES8_PS6_.has_dyn_sized_stack, 0
	.set _ZN2at6native6sbtopk10gatherTopKIlmLi1ELb0EEEvNS_4cuda6detail10TensorInfoIKT_T0_EES8_S8_bS8_S8_NS5_IS6_S8_EES8_NS5_IlS8_EES8_PS6_.has_recursion, 0
	.set _ZN2at6native6sbtopk10gatherTopKIlmLi1ELb0EEEvNS_4cuda6detail10TensorInfoIKT_T0_EES8_S8_bS8_S8_NS5_IS6_S8_EES8_NS5_IlS8_EES8_PS6_.has_indirect_call, 0
	.section	.AMDGPU.csdata,"",@progbits
; Kernel info:
; codeLenInByte = 24996
; TotalNumSgprs: 107
; NumVgprs: 60
; ScratchSize: 0
; MemoryBound: 0
; FloatMode: 240
; IeeeMode: 1
; LDSByteSize: 5152 bytes/workgroup (compile time only)
; SGPRBlocks: 0
; VGPRBlocks: 7
; NumSGPRsForWavesPerEU: 107
; NumVGPRsForWavesPerEU: 60
; Occupancy: 16
; WaveLimiterHint : 1
; COMPUTE_PGM_RSRC2:SCRATCH_EN: 0
; COMPUTE_PGM_RSRC2:USER_SGPR: 6
; COMPUTE_PGM_RSRC2:TRAP_HANDLER: 0
; COMPUTE_PGM_RSRC2:TGID_X_EN: 1
; COMPUTE_PGM_RSRC2:TGID_Y_EN: 1
; COMPUTE_PGM_RSRC2:TGID_Z_EN: 1
; COMPUTE_PGM_RSRC2:TIDIG_COMP_CNT: 0
	.section	.text._ZN2at6native6mbtopk23computeBlockDigitCountsIlmmLi2EEEvNS_4cuda6detail10TensorInfoIKT_T0_EEjPjjS8_iijT1_PSB_Ps,"axG",@progbits,_ZN2at6native6mbtopk23computeBlockDigitCountsIlmmLi2EEEvNS_4cuda6detail10TensorInfoIKT_T0_EEjPjjS8_iijT1_PSB_Ps,comdat
	.protected	_ZN2at6native6mbtopk23computeBlockDigitCountsIlmmLi2EEEvNS_4cuda6detail10TensorInfoIKT_T0_EEjPjjS8_iijT1_PSB_Ps ; -- Begin function _ZN2at6native6mbtopk23computeBlockDigitCountsIlmmLi2EEEvNS_4cuda6detail10TensorInfoIKT_T0_EEjPjjS8_iijT1_PSB_Ps
	.globl	_ZN2at6native6mbtopk23computeBlockDigitCountsIlmmLi2EEEvNS_4cuda6detail10TensorInfoIKT_T0_EEjPjjS8_iijT1_PSB_Ps
	.p2align	8
	.type	_ZN2at6native6mbtopk23computeBlockDigitCountsIlmmLi2EEEvNS_4cuda6detail10TensorInfoIKT_T0_EEjPjjS8_iijT1_PSB_Ps,@function
_ZN2at6native6mbtopk23computeBlockDigitCountsIlmmLi2EEEvNS_4cuda6detail10TensorInfoIKT_T0_EEjPjjS8_iijT1_PSB_Ps: ; @_ZN2at6native6mbtopk23computeBlockDigitCountsIlmmLi2EEEvNS_4cuda6detail10TensorInfoIKT_T0_EEjPjjS8_iijT1_PSB_Ps
; %bb.0:
	s_clause 0x2
	s_load_dwordx4 s[0:3], s[4:5], 0x1c0
	s_load_dword s9, s[4:5], 0x1b0
	s_load_dwordx2 s[10:11], s[4:5], 0x1e8
	s_mov_b32 s13, 0
	s_waitcnt lgkmcnt(0)
	v_cvt_f32_u32_e32 v1, s2
	s_mul_i32 s8, s11, s8
	s_sub_i32 s11, 0, s2
	s_add_i32 s7, s8, s7
	v_rcp_iflag_f32_e32 v1, v1
	s_mul_i32 s18, s7, s10
	s_add_i32 s18, s18, s6
	v_mul_f32_e32 v1, 0x4f7ffffe, v1
	v_cvt_u32_f32_e32 v1, v1
	v_readfirstlane_b32 s3, v1
	s_mul_i32 s11, s11, s3
	s_mul_hi_u32 s7, s3, s11
	s_add_i32 s3, s3, s7
	s_mul_hi_u32 s3, s18, s3
	s_mul_i32 s6, s3, s2
	s_add_i32 s7, s3, 1
	s_sub_i32 s6, s18, s6
	s_sub_i32 s8, s6, s2
	s_cmp_ge_u32 s6, s2
	s_cselect_b32 s3, s7, s3
	s_cselect_b32 s6, s8, s6
	s_add_i32 s7, s3, 1
	s_cmp_ge_u32 s6, s2
	s_cselect_b32 s12, s7, s3
	s_cmp_ge_u32 s12, s9
	s_cbranch_scc1 .LBB157_23
; %bb.1:
	s_clause 0x2
	s_load_dwordx2 s[14:15], s[4:5], 0x10
	s_load_dwordx4 s[8:11], s[4:5], 0x1d0
	s_load_dwordx2 s[6:7], s[4:5], 0x1e0
	s_lshl_b64 s[16:17], s[12:13], 3
	s_waitcnt lgkmcnt(0)
	v_cmp_lt_u64_e64 s3, s[12:13], s[14:15]
	s_add_u32 s16, s10, s16
	s_addc_u32 s17, s11, s17
	s_mov_b64 s[10:11], 0
	s_and_b32 vcc_lo, exec_lo, s3
	s_cbranch_vccnz .LBB157_3
; %bb.2:
	v_cvt_f32_u32_e32 v1, s14
	s_sub_i32 s10, 0, s14
	v_rcp_iflag_f32_e32 v1, v1
	v_mul_f32_e32 v1, 0x4f7ffffe, v1
	v_cvt_u32_f32_e32 v1, v1
	v_readfirstlane_b32 s3, v1
	s_mul_i32 s10, s10, s3
	s_mul_hi_u32 s10, s3, s10
	s_add_i32 s3, s3, s10
	s_mul_hi_u32 s3, s12, s3
	s_mul_i32 s10, s3, s14
	s_add_i32 s11, s3, 1
	s_sub_i32 s10, s12, s10
	s_sub_i32 s13, s10, s14
	s_cmp_ge_u32 s10, s14
	s_cselect_b32 s3, s11, s3
	s_cselect_b32 s10, s13, s10
	s_add_i32 s11, s3, 1
	s_cmp_ge_u32 s10, s14
	s_cselect_b32 s10, s11, s3
.LBB157_3:
	v_cmp_gt_u32_e32 vcc_lo, 0x100, v0
	v_lshlrev_b32_e32 v3, 2, v0
	s_and_saveexec_b32 s3, vcc_lo
; %bb.4:
	v_mov_b32_e32 v1, 0
	ds_write_b32 v3, v1
; %bb.5:
	s_or_b32 exec_lo, exec_lo, s3
	s_load_dword s11, s[4:5], 0x1a0
	s_mul_i32 s3, s12, s2
	s_waitcnt lgkmcnt(0)
	s_sub_i32 s3, s18, s3
	s_barrier
	s_mul_i32 s13, s1, s3
	s_add_i32 s3, s3, 1
	s_lshl_b32 s13, s13, 8
	buffer_gl0_inv
	s_sub_i32 s19, s11, s13
	s_add_u32 s20, s19, 0xff
	s_addc_u32 s21, 0, 0
	s_mov_b32 s19, 0
	s_lshr_b64 s[20:21], s[20:21], 8
	s_cmp_lt_u32 s3, s2
	s_cselect_b32 s1, s1, s20
	s_cmp_lt_i32 s1, 1
	s_cbranch_scc1 .LBB157_21
; %bb.6:
	s_clause 0x1
	s_load_dwordx4 s[20:23], s[4:5], 0xd0
	s_load_dwordx2 s[24:25], s[4:5], 0x0
	s_load_dwordx2 s[2:3], s[16:17], 0x0
	;; [unrolled: 1-line block ×3, first 2 shown]
	s_mul_i32 s15, s10, s15
	s_mul_hi_u32 s16, s10, s14
	s_mul_i32 s14, s10, s14
	s_add_i32 s16, s16, s15
	s_sub_u32 s12, s12, s14
	s_subb_u32 s14, 0, s16
	v_add_nc_u32_e32 v4, s13, v0
	s_waitcnt lgkmcnt(0)
	s_mul_i32 s15, s12, s23
	s_mul_hi_u32 s23, s12, s22
	s_mul_i32 s26, s14, s22
	s_mul_i32 s14, s12, s22
	;; [unrolled: 1-line block ×3, first 2 shown]
	s_mul_hi_u32 s17, s10, s20
	s_mul_i32 s16, s10, s20
	s_add_i32 s17, s17, s12
	s_add_i32 s10, s23, s15
	s_lshl_b64 s[16:17], s[16:17], 3
	s_add_i32 s15, s10, s26
	s_add_u32 s10, s24, s16
	s_addc_u32 s16, s25, s17
	s_lshl_b64 s[14:15], s[14:15], 3
	s_add_u32 s12, s10, s14
	s_addc_u32 s13, s16, s15
	s_and_b32 s10, s0, 0xff
	s_cmp_eq_u32 s1, 1
	s_cbranch_scc1 .LBB157_16
; %bb.7:
	v_mov_b32_e32 v5, 1
	v_mov_b32_e32 v6, 2
	;; [unrolled: 1-line block ×3, first 2 shown]
	s_and_b32 s14, s1, 0x7ffffffe
	s_mov_b32 s15, 0
	s_branch .LBB157_9
.LBB157_8:                              ;   in Loop: Header=BB157_9 Depth=1
	s_or_b32 exec_lo, exec_lo, s16
	v_add_nc_u32_e32 v7, 0x200, v7
	s_add_i32 s15, s15, 2
	s_cmp_eq_u32 s14, s15
	s_cbranch_scc1 .LBB157_15
.LBB157_9:                              ; =>This Inner Loop Header: Depth=1
	s_mov_b32 s16, exec_lo
	v_cmpx_gt_u32_e64 s11, v7
	s_cbranch_execz .LBB157_12
; %bb.10:                               ;   in Loop: Header=BB157_9 Depth=1
	v_mad_u64_u32 v[1:2], null, s4, v7, 0
	v_mad_u64_u32 v[8:9], null, s5, v7, v[2:3]
	v_mov_b32_e32 v2, v8
	v_lshlrev_b64 v[1:2], 3, v[1:2]
	v_add_co_u32 v1, s0, s12, v1
	v_add_co_ci_u32_e64 v2, null, s13, v2, s0
	global_load_dwordx2 v[1:2], v[1:2], off
	s_waitcnt vmcnt(0)
	v_xor_b32_e32 v2, 0x80000000, v2
	v_xor_b32_e32 v10, s2, v1
	;; [unrolled: 1-line block ×3, first 2 shown]
	v_and_b32_e32 v9, s9, v8
	v_and_b32_e32 v8, s8, v10
	v_cmp_eq_u64_e64 s0, 0, v[8:9]
	s_and_b32 exec_lo, exec_lo, s0
; %bb.11:                               ;   in Loop: Header=BB157_9 Depth=1
	v_lshrrev_b64 v[1:2], s10, v[1:2]
	v_lshlrev_b32_sdwa v1, v6, v1 dst_sel:DWORD dst_unused:UNUSED_PAD src0_sel:DWORD src1_sel:BYTE_0
	ds_add_u32 v1, v5
.LBB157_12:                             ;   in Loop: Header=BB157_9 Depth=1
	s_or_b32 exec_lo, exec_lo, s16
	v_add_nc_u32_e32 v1, 0x100, v7
	s_mov_b32 s16, exec_lo
	v_cmpx_gt_u32_e64 s11, v1
	s_cbranch_execz .LBB157_8
; %bb.13:                               ;   in Loop: Header=BB157_9 Depth=1
	v_mad_u64_u32 v[8:9], null, s4, v1, 0
	v_mov_b32_e32 v2, v9
	v_mad_u64_u32 v[1:2], null, s5, v1, v[2:3]
	v_mov_b32_e32 v9, v1
	v_lshlrev_b64 v[1:2], 3, v[8:9]
	v_add_co_u32 v1, s0, s12, v1
	v_add_co_ci_u32_e64 v2, null, s13, v2, s0
	global_load_dwordx2 v[1:2], v[1:2], off
	s_waitcnt vmcnt(0)
	v_xor_b32_e32 v2, 0x80000000, v2
	v_xor_b32_e32 v10, s2, v1
	;; [unrolled: 1-line block ×3, first 2 shown]
	v_and_b32_e32 v9, s9, v8
	v_and_b32_e32 v8, s8, v10
	v_cmp_eq_u64_e64 s0, 0, v[8:9]
	s_and_b32 exec_lo, exec_lo, s0
	s_cbranch_execz .LBB157_8
; %bb.14:                               ;   in Loop: Header=BB157_9 Depth=1
	v_lshrrev_b64 v[1:2], s10, v[1:2]
	v_lshlrev_b32_sdwa v1, v6, v1 dst_sel:DWORD dst_unused:UNUSED_PAD src0_sel:DWORD src1_sel:BYTE_0
	ds_add_u32 v1, v5
	s_branch .LBB157_8
.LBB157_15:
	s_lshl_b32 s19, s14, 8
.LBB157_16:
	s_bitcmp0_b32 s1, 0
	s_cbranch_scc1 .LBB157_21
; %bb.17:
	v_add_nc_u32_e32 v1, s19, v4
	s_mov_b32 s1, exec_lo
	v_cmpx_gt_u32_e64 s11, v1
	s_cbranch_execz .LBB157_20
; %bb.18:
	v_mad_u64_u32 v[4:5], null, s4, v1, 0
	v_mov_b32_e32 v2, v5
	v_mad_u64_u32 v[1:2], null, s5, v1, v[2:3]
	v_mov_b32_e32 v5, v1
	v_lshlrev_b64 v[1:2], 3, v[4:5]
	v_add_co_u32 v1, s0, s12, v1
	v_add_co_ci_u32_e64 v2, null, s13, v2, s0
	global_load_dwordx2 v[1:2], v[1:2], off
	s_waitcnt vmcnt(0)
	v_xor_b32_e32 v2, 0x80000000, v2
	v_xor_b32_e32 v6, s2, v1
	;; [unrolled: 1-line block ×3, first 2 shown]
	v_and_b32_e32 v5, s9, v4
	v_and_b32_e32 v4, s8, v6
	v_cmp_eq_u64_e64 s0, 0, v[4:5]
	s_and_b32 exec_lo, exec_lo, s0
	s_cbranch_execz .LBB157_20
; %bb.19:
	v_lshrrev_b64 v[1:2], s10, v[1:2]
	v_mov_b32_e32 v2, 2
	v_lshlrev_b32_sdwa v1, v2, v1 dst_sel:DWORD dst_unused:UNUSED_PAD src0_sel:DWORD src1_sel:BYTE_0
	v_mov_b32_e32 v2, 1
	ds_add_u32 v1, v2
.LBB157_20:
	s_or_b32 exec_lo, exec_lo, s1
.LBB157_21:
	s_waitcnt lgkmcnt(0)
	s_barrier
	buffer_gl0_inv
	s_and_saveexec_b32 s0, vcc_lo
	s_cbranch_execz .LBB157_23
; %bb.22:
	ds_read_b32 v2, v3
	v_lshl_or_b32 v0, s18, 8, v0
	v_mov_b32_e32 v1, 0
	v_lshlrev_b64 v[0:1], 1, v[0:1]
	v_add_co_u32 v0, vcc_lo, s6, v0
	v_add_co_ci_u32_e64 v1, null, s7, v1, vcc_lo
	s_waitcnt lgkmcnt(0)
	global_store_short v[0:1], v2, off
.LBB157_23:
	s_endpgm
	.section	.rodata,"a",@progbits
	.p2align	6, 0x0
	.amdhsa_kernel _ZN2at6native6mbtopk23computeBlockDigitCountsIlmmLi2EEEvNS_4cuda6detail10TensorInfoIKT_T0_EEjPjjS8_iijT1_PSB_Ps
		.amdhsa_group_segment_fixed_size 1024
		.amdhsa_private_segment_fixed_size 0
		.amdhsa_kernarg_size 744
		.amdhsa_user_sgpr_count 6
		.amdhsa_user_sgpr_private_segment_buffer 1
		.amdhsa_user_sgpr_dispatch_ptr 0
		.amdhsa_user_sgpr_queue_ptr 0
		.amdhsa_user_sgpr_kernarg_segment_ptr 1
		.amdhsa_user_sgpr_dispatch_id 0
		.amdhsa_user_sgpr_flat_scratch_init 0
		.amdhsa_user_sgpr_private_segment_size 0
		.amdhsa_wavefront_size32 1
		.amdhsa_uses_dynamic_stack 0
		.amdhsa_system_sgpr_private_segment_wavefront_offset 0
		.amdhsa_system_sgpr_workgroup_id_x 1
		.amdhsa_system_sgpr_workgroup_id_y 1
		.amdhsa_system_sgpr_workgroup_id_z 1
		.amdhsa_system_sgpr_workgroup_info 0
		.amdhsa_system_vgpr_workitem_id 0
		.amdhsa_next_free_vgpr 11
		.amdhsa_next_free_sgpr 27
		.amdhsa_reserve_vcc 1
		.amdhsa_reserve_flat_scratch 0
		.amdhsa_float_round_mode_32 0
		.amdhsa_float_round_mode_16_64 0
		.amdhsa_float_denorm_mode_32 3
		.amdhsa_float_denorm_mode_16_64 3
		.amdhsa_dx10_clamp 1
		.amdhsa_ieee_mode 1
		.amdhsa_fp16_overflow 0
		.amdhsa_workgroup_processor_mode 1
		.amdhsa_memory_ordered 1
		.amdhsa_forward_progress 1
		.amdhsa_shared_vgpr_count 0
		.amdhsa_exception_fp_ieee_invalid_op 0
		.amdhsa_exception_fp_denorm_src 0
		.amdhsa_exception_fp_ieee_div_zero 0
		.amdhsa_exception_fp_ieee_overflow 0
		.amdhsa_exception_fp_ieee_underflow 0
		.amdhsa_exception_fp_ieee_inexact 0
		.amdhsa_exception_int_div_zero 0
	.end_amdhsa_kernel
	.section	.text._ZN2at6native6mbtopk23computeBlockDigitCountsIlmmLi2EEEvNS_4cuda6detail10TensorInfoIKT_T0_EEjPjjS8_iijT1_PSB_Ps,"axG",@progbits,_ZN2at6native6mbtopk23computeBlockDigitCountsIlmmLi2EEEvNS_4cuda6detail10TensorInfoIKT_T0_EEjPjjS8_iijT1_PSB_Ps,comdat
.Lfunc_end157:
	.size	_ZN2at6native6mbtopk23computeBlockDigitCountsIlmmLi2EEEvNS_4cuda6detail10TensorInfoIKT_T0_EEjPjjS8_iijT1_PSB_Ps, .Lfunc_end157-_ZN2at6native6mbtopk23computeBlockDigitCountsIlmmLi2EEEvNS_4cuda6detail10TensorInfoIKT_T0_EEjPjjS8_iijT1_PSB_Ps
                                        ; -- End function
	.set _ZN2at6native6mbtopk23computeBlockDigitCountsIlmmLi2EEEvNS_4cuda6detail10TensorInfoIKT_T0_EEjPjjS8_iijT1_PSB_Ps.num_vgpr, 11
	.set _ZN2at6native6mbtopk23computeBlockDigitCountsIlmmLi2EEEvNS_4cuda6detail10TensorInfoIKT_T0_EEjPjjS8_iijT1_PSB_Ps.num_agpr, 0
	.set _ZN2at6native6mbtopk23computeBlockDigitCountsIlmmLi2EEEvNS_4cuda6detail10TensorInfoIKT_T0_EEjPjjS8_iijT1_PSB_Ps.numbered_sgpr, 27
	.set _ZN2at6native6mbtopk23computeBlockDigitCountsIlmmLi2EEEvNS_4cuda6detail10TensorInfoIKT_T0_EEjPjjS8_iijT1_PSB_Ps.num_named_barrier, 0
	.set _ZN2at6native6mbtopk23computeBlockDigitCountsIlmmLi2EEEvNS_4cuda6detail10TensorInfoIKT_T0_EEjPjjS8_iijT1_PSB_Ps.private_seg_size, 0
	.set _ZN2at6native6mbtopk23computeBlockDigitCountsIlmmLi2EEEvNS_4cuda6detail10TensorInfoIKT_T0_EEjPjjS8_iijT1_PSB_Ps.uses_vcc, 1
	.set _ZN2at6native6mbtopk23computeBlockDigitCountsIlmmLi2EEEvNS_4cuda6detail10TensorInfoIKT_T0_EEjPjjS8_iijT1_PSB_Ps.uses_flat_scratch, 0
	.set _ZN2at6native6mbtopk23computeBlockDigitCountsIlmmLi2EEEvNS_4cuda6detail10TensorInfoIKT_T0_EEjPjjS8_iijT1_PSB_Ps.has_dyn_sized_stack, 0
	.set _ZN2at6native6mbtopk23computeBlockDigitCountsIlmmLi2EEEvNS_4cuda6detail10TensorInfoIKT_T0_EEjPjjS8_iijT1_PSB_Ps.has_recursion, 0
	.set _ZN2at6native6mbtopk23computeBlockDigitCountsIlmmLi2EEEvNS_4cuda6detail10TensorInfoIKT_T0_EEjPjjS8_iijT1_PSB_Ps.has_indirect_call, 0
	.section	.AMDGPU.csdata,"",@progbits
; Kernel info:
; codeLenInByte = 1148
; TotalNumSgprs: 29
; NumVgprs: 11
; ScratchSize: 0
; MemoryBound: 0
; FloatMode: 240
; IeeeMode: 1
; LDSByteSize: 1024 bytes/workgroup (compile time only)
; SGPRBlocks: 0
; VGPRBlocks: 1
; NumSGPRsForWavesPerEU: 29
; NumVGPRsForWavesPerEU: 11
; Occupancy: 16
; WaveLimiterHint : 1
; COMPUTE_PGM_RSRC2:SCRATCH_EN: 0
; COMPUTE_PGM_RSRC2:USER_SGPR: 6
; COMPUTE_PGM_RSRC2:TRAP_HANDLER: 0
; COMPUTE_PGM_RSRC2:TGID_X_EN: 1
; COMPUTE_PGM_RSRC2:TGID_Y_EN: 1
; COMPUTE_PGM_RSRC2:TGID_Z_EN: 1
; COMPUTE_PGM_RSRC2:TIDIG_COMP_CNT: 0
	.section	.text._ZN2at6native6mbtopk10gatherTopKIlmLi2EEEvNS_4cuda6detail10TensorInfoIKT_T0_EES8_S8_bjS8_NS5_IS6_S8_EES8_NS5_IlS8_EES8_jjPS6_PjSD_j,"axG",@progbits,_ZN2at6native6mbtopk10gatherTopKIlmLi2EEEvNS_4cuda6detail10TensorInfoIKT_T0_EES8_S8_bjS8_NS5_IS6_S8_EES8_NS5_IlS8_EES8_jjPS6_PjSD_j,comdat
	.protected	_ZN2at6native6mbtopk10gatherTopKIlmLi2EEEvNS_4cuda6detail10TensorInfoIKT_T0_EES8_S8_bjS8_NS5_IS6_S8_EES8_NS5_IlS8_EES8_jjPS6_PjSD_j ; -- Begin function _ZN2at6native6mbtopk10gatherTopKIlmLi2EEEvNS_4cuda6detail10TensorInfoIKT_T0_EES8_S8_bjS8_NS5_IS6_S8_EES8_NS5_IlS8_EES8_jjPS6_PjSD_j
	.globl	_ZN2at6native6mbtopk10gatherTopKIlmLi2EEEvNS_4cuda6detail10TensorInfoIKT_T0_EES8_S8_bjS8_NS5_IS6_S8_EES8_NS5_IlS8_EES8_jjPS6_PjSD_j
	.p2align	8
	.type	_ZN2at6native6mbtopk10gatherTopKIlmLi2EEEvNS_4cuda6detail10TensorInfoIKT_T0_EES8_S8_bjS8_NS5_IS6_S8_EES8_NS5_IlS8_EES8_jjPS6_PjSD_j,@function
_ZN2at6native6mbtopk10gatherTopKIlmLi2EEEvNS_4cuda6detail10TensorInfoIKT_T0_EES8_S8_bjS8_NS5_IS6_S8_EES8_NS5_IlS8_EES8_jjPS6_PjSD_j: ; @_ZN2at6native6mbtopk10gatherTopKIlmLi2EEEvNS_4cuda6detail10TensorInfoIKT_T0_EES8_S8_bjS8_NS5_IS6_S8_EES8_NS5_IlS8_EES8_jjPS6_PjSD_j
; %bb.0:
	s_clause 0x1
	s_load_dwordx2 s[0:1], s[4:5], 0x538
	s_load_dword s2, s[4:5], 0x530
	s_waitcnt lgkmcnt(0)
	s_mul_i32 s1, s1, s8
	s_add_i32 s1, s1, s7
	s_mul_i32 s0, s1, s0
	s_add_i32 s0, s0, s6
	s_cmp_ge_u32 s0, s2
	s_cbranch_scc1 .LBB158_48
; %bb.1:
	s_clause 0x3
	s_load_dwordx2 s[6:7], s[4:5], 0x510
	s_load_dwordx2 s[40:41], s[4:5], 0x1d0
	s_load_dwordx4 s[8:11], s[4:5], 0x1a0
	s_load_dwordx2 s[38:39], s[4:5], 0x10
	s_mov_b32 s37, 0
	s_waitcnt lgkmcnt(0)
	v_cvt_f32_u32_e32 v1, s7
	s_sub_i32 s2, 0, s7
	s_lshl_b32 s33, s6, 8
	v_rcp_iflag_f32_e32 v1, v1
	v_mul_f32_e32 v1, 0x4f7ffffe, v1
	v_cvt_u32_f32_e32 v1, v1
	v_readfirstlane_b32 s1, v1
	s_mul_i32 s2, s2, s1
	s_mul_hi_u32 s2, s1, s2
	s_add_i32 s1, s1, s2
	s_mul_hi_u32 s1, s0, s1
	s_mul_i32 s2, s1, s7
	s_add_i32 s3, s1, 1
	s_sub_i32 s2, s0, s2
	s_sub_i32 s12, s2, s7
	s_cmp_ge_u32 s2, s7
	s_cselect_b32 s1, s3, s1
	s_cselect_b32 s2, s12, s2
	s_add_i32 s3, s1, 1
	s_cmp_ge_u32 s2, s7
	s_cselect_b32 s36, s3, s1
	s_mul_i32 s16, s36, s7
	s_sub_i32 s52, s0, s16
	s_add_i32 s0, s52, 1
	s_cmp_lt_u32 s0, s7
	s_cbranch_scc1 .LBB158_3
; %bb.2:
	s_mul_i32 s0, s52, s33
	s_sub_u32 s0, s8, s0
	s_subb_u32 s1, s9, 0
	s_add_u32 s0, s0, 0xff
	s_addc_u32 s1, s1, 0
	s_ashr_i32 s2, s1, 31
	s_lshr_b32 s2, s2, 24
	s_add_u32 s0, s0, s2
	s_addc_u32 s1, s1, 0
	s_lshr_b64 s[0:1], s[0:1], 8
	s_mov_b32 s6, s0
.LBB158_3:
	s_load_dwordx2 s[42:43], s[4:5], 0x378
	v_cmp_lt_u64_e64 s0, s[36:37], s[38:39]
	s_mov_b64 s[44:45], 0
	s_mov_b64 s[46:47], 0
	s_and_b32 vcc_lo, exec_lo, s0
	s_cbranch_vccz .LBB158_20
; %bb.4:
	v_cmp_lt_u64_e64 s0, s[36:37], s[40:41]
	s_and_b32 vcc_lo, exec_lo, s0
	s_cbranch_vccz .LBB158_21
.LBB158_5:
	s_waitcnt lgkmcnt(0)
	v_cmp_lt_u64_e64 s0, s[36:37], s[42:43]
	s_mov_b64 s[48:49], 0
	s_and_b32 vcc_lo, exec_lo, s0
	s_cbranch_vccnz .LBB158_7
.LBB158_6:
	v_cvt_f32_u32_e32 v1, s42
	s_sub_i32 s1, 0, s42
	v_rcp_iflag_f32_e32 v1, v1
	v_mul_f32_e32 v1, 0x4f7ffffe, v1
	v_cvt_u32_f32_e32 v1, v1
	v_readfirstlane_b32 s0, v1
	s_mul_i32 s1, s1, s0
	s_mul_hi_u32 s1, s0, s1
	s_add_i32 s0, s0, s1
	s_mul_hi_u32 s0, s36, s0
	s_mul_i32 s1, s0, s42
	s_add_i32 s2, s0, 1
	s_sub_i32 s1, s36, s1
	s_sub_i32 s3, s1, s42
	s_cmp_ge_u32 s1, s42
	s_cselect_b32 s0, s2, s0
	s_cselect_b32 s1, s3, s1
	s_add_i32 s2, s0, 1
	s_cmp_ge_u32 s1, s42
	s_cselect_b32 s48, s2, s0
.LBB158_7:
	s_load_dwordx4 s[0:3], s[4:5], 0x518
	s_lshl_b64 s[12:13], s[36:37], 3
	s_mov_b32 s17, 0
	s_waitcnt lgkmcnt(0)
	s_add_u32 s0, s0, s12
	s_addc_u32 s1, s1, s13
	s_load_dwordx2 s[50:51], s[4:5], 0x0
	s_load_dwordx2 s[34:35], s[0:1], 0x0
	v_cmp_ne_u32_e64 s0, 0, v0
	v_cmp_eq_u32_e64 s1, 0, v0
	s_and_saveexec_b32 s24, s1
	s_cbranch_execz .LBB158_25
; %bb.8:
	s_load_dwordx2 s[18:19], s[4:5], 0x528
	s_lshl_b64 s[20:21], s[16:17], 2
	s_mov_b32 s16, 0
	s_add_u32 s12, s2, s20
	s_addc_u32 s13, s3, s21
	s_mov_b32 s25, 0
	s_waitcnt lgkmcnt(0)
	s_add_u32 s14, s18, s20
	s_addc_u32 s15, s19, s21
	s_cmp_lt_u32 s7, 4
	s_cbranch_scc1 .LBB158_22
; %bb.9:
	s_mov_b32 s26, 0
.LBB158_10:                             ; =>This Inner Loop Header: Depth=1
	s_add_u32 s12, s2, s20
	s_addc_u32 s13, s3, s21
	s_add_u32 s22, s18, s20
	s_load_dwordx4 s[12:15], s[12:13], 0x0
	s_addc_u32 s23, s19, s21
	s_cmp_ge_u32 s26, s52
	s_cbranch_scc0 .LBB158_17
; %bb.11:                               ;   in Loop: Header=BB158_10 Depth=1
	s_add_i32 s27, s26, 1
	s_cmp_ge_u32 s27, s52
	s_cbranch_scc0 .LBB158_18
.LBB158_12:                             ;   in Loop: Header=BB158_10 Depth=1
	s_add_i32 s27, s27, 1
	s_cmp_ge_u32 s27, s52
	s_cbranch_scc0 .LBB158_19
.LBB158_13:                             ;   in Loop: Header=BB158_10 Depth=1
	s_add_i32 s27, s27, 1
	s_cmp_ge_u32 s27, s52
	s_cbranch_scc1 .LBB158_15
.LBB158_14:                             ;   in Loop: Header=BB158_10 Depth=1
	s_load_dword s22, s[22:23], 0xc
	s_waitcnt lgkmcnt(0)
	s_add_i32 s17, s17, s15
	s_add_i32 s16, s22, s16
.LBB158_15:                             ;   in Loop: Header=BB158_10 Depth=1
	s_waitcnt lgkmcnt(0)
	s_add_i32 s12, s12, s25
	s_add_i32 s12, s12, s13
	;; [unrolled: 1-line block ×4, first 2 shown]
	s_add_u32 s2, s2, 16
	s_addc_u32 s3, s3, 0
	s_add_u32 s18, s18, 16
	s_addc_u32 s19, s19, 0
	s_add_i32 s23, s27, 4
	s_add_u32 s14, s18, s20
	s_addc_u32 s15, s19, s21
	s_add_u32 s12, s2, s20
	s_addc_u32 s13, s3, s21
	s_add_i32 s22, s27, 1
	s_cmp_ge_u32 s23, s7
	s_cbranch_scc1 .LBB158_23
; %bb.16:                               ;   in Loop: Header=BB158_10 Depth=1
	s_mov_b32 s26, s22
	s_branch .LBB158_10
.LBB158_17:                             ;   in Loop: Header=BB158_10 Depth=1
	s_load_dword s27, s[22:23], 0x0
	s_waitcnt lgkmcnt(0)
	s_add_i32 s17, s12, s17
	s_add_i32 s16, s27, s16
	;; [unrolled: 1-line block ×3, first 2 shown]
	s_cmp_ge_u32 s27, s52
	s_cbranch_scc1 .LBB158_12
.LBB158_18:                             ;   in Loop: Header=BB158_10 Depth=1
	s_load_dword s28, s[22:23], 0x4
	s_waitcnt lgkmcnt(0)
	s_add_i32 s17, s17, s13
	s_add_i32 s16, s28, s16
	;; [unrolled: 1-line block ×3, first 2 shown]
	s_cmp_ge_u32 s27, s52
	s_cbranch_scc1 .LBB158_13
.LBB158_19:                             ;   in Loop: Header=BB158_10 Depth=1
	s_load_dword s28, s[22:23], 0x8
	s_waitcnt lgkmcnt(0)
	s_add_i32 s17, s17, s14
	s_add_i32 s16, s28, s16
	;; [unrolled: 1-line block ×3, first 2 shown]
	s_cmp_ge_u32 s27, s52
	s_cbranch_scc0 .LBB158_14
	s_branch .LBB158_15
.LBB158_20:
	v_cvt_f32_u32_e32 v1, s38
	s_sub_i32 s1, 0, s38
	v_rcp_iflag_f32_e32 v1, v1
	v_mul_f32_e32 v1, 0x4f7ffffe, v1
	v_cvt_u32_f32_e32 v1, v1
	v_readfirstlane_b32 s0, v1
	s_mul_i32 s1, s1, s0
	s_mul_hi_u32 s1, s0, s1
	s_add_i32 s0, s0, s1
	s_mul_hi_u32 s0, s36, s0
	s_mul_i32 s1, s0, s38
	s_add_i32 s2, s0, 1
	s_sub_i32 s1, s36, s1
	s_sub_i32 s3, s1, s38
	s_cmp_ge_u32 s1, s38
	s_cselect_b32 s0, s2, s0
	s_cselect_b32 s1, s3, s1
	s_add_i32 s2, s0, 1
	s_cmp_ge_u32 s1, s38
	s_cselect_b32 s46, s2, s0
	v_cmp_lt_u64_e64 s0, s[36:37], s[40:41]
	s_and_b32 vcc_lo, exec_lo, s0
	s_cbranch_vccnz .LBB158_5
.LBB158_21:
	v_cvt_f32_u32_e32 v1, s40
	s_sub_i32 s1, 0, s40
	v_rcp_iflag_f32_e32 v1, v1
	v_mul_f32_e32 v1, 0x4f7ffffe, v1
	v_cvt_u32_f32_e32 v1, v1
	v_readfirstlane_b32 s0, v1
	s_mul_i32 s1, s1, s0
	s_mul_hi_u32 s1, s0, s1
	s_add_i32 s0, s0, s1
	s_mul_hi_u32 s0, s36, s0
	s_mul_i32 s1, s0, s40
	s_add_i32 s2, s0, 1
	s_sub_i32 s1, s36, s1
	s_sub_i32 s3, s1, s40
	s_cmp_ge_u32 s1, s40
	s_cselect_b32 s0, s2, s0
	s_cselect_b32 s1, s3, s1
	s_add_i32 s2, s0, 1
	s_cmp_ge_u32 s1, s40
	s_cselect_b32 s44, s2, s0
	s_waitcnt lgkmcnt(0)
	v_cmp_lt_u64_e64 s0, s[36:37], s[42:43]
	s_mov_b64 s[48:49], 0
	s_and_b32 vcc_lo, exec_lo, s0
	s_cbranch_vccz .LBB158_6
	s_branch .LBB158_7
.LBB158_22:
	s_mov_b32 s2, 0
	s_cmp_ge_u32 s2, s7
	s_cbranch_scc0 .LBB158_46
	s_branch .LBB158_24
.LBB158_23:
	s_add_i32 s2, s26, 4
	s_cmp_ge_u32 s2, s7
	s_cbranch_scc0 .LBB158_46
.LBB158_24:
	v_mov_b32_e32 v1, s16
	v_mov_b32_e32 v2, s25
	;; [unrolled: 1-line block ×4, first 2 shown]
	ds_write_b96 v4, v[1:3] offset:1056
.LBB158_25:
	s_or_b32 exec_lo, exec_lo, s24
	s_clause 0x4
	s_load_dwordx4 s[12:15], s[4:5], 0x1b8
	s_load_dwordx4 s[28:31], s[4:5], 0xd0
	;; [unrolled: 1-line block ×5, first 2 shown]
	s_cmp_eq_u32 s6, 0
	s_waitcnt lgkmcnt(0)
	s_barrier
	buffer_gl0_inv
	s_cbranch_scc1 .LBB158_48
; %bb.26:
	s_mul_i32 s2, s44, s41
	s_mul_hi_u32 s3, s44, s40
	s_mul_i32 s7, s44, s40
	s_add_i32 s3, s3, s2
	s_sub_u32 s2, s36, s7
	s_subb_u32 s3, 0, s3
	s_mul_i32 s7, s2, s27
	s_mul_hi_u32 s27, s2, s26
	s_mul_i32 s3, s3, s26
	s_add_i32 s7, s27, s7
	s_mul_i32 s25, s44, s25
	s_mul_hi_u32 s27, s44, s24
	s_add_i32 s3, s7, s3
	s_add_i32 s25, s27, s25
	s_mul_i32 s7, s46, s39
	s_mul_hi_u32 s27, s46, s38
	s_mul_i32 s37, s46, s38
	s_add_i32 s27, s27, s7
	s_sub_u32 s7, s36, s37
	s_subb_u32 s27, 0, s27
	s_mul_i32 s31, s7, s31
	s_mul_hi_u32 s37, s7, s30
	s_mul_i32 s27, s27, s30
	s_add_i32 s31, s37, s31
	s_mul_i32 s29, s46, s29
	s_mul_hi_u32 s37, s46, s28
	s_add_i32 s31, s31, s27
	s_add_i32 s29, s37, s29
	s_mul_i32 s27, s48, s43
	s_mul_hi_u32 s37, s48, s42
	s_mul_i32 s38, s48, s42
	s_add_i32 s37, s37, s27
	s_sub_u32 s38, s36, s38
	s_mul_i32 s30, s7, s30
	s_mul_i32 s7, s38, s23
	s_mul_hi_u32 s23, s38, s22
	s_subb_u32 s27, 0, s37
	s_add_i32 s7, s23, s7
	s_mul_i32 s27, s27, s22
	s_mul_i32 s28, s46, s28
	s_add_i32 s27, s7, s27
	s_mul_i32 s7, s48, s21
	s_mul_hi_u32 s21, s48, s20
	v_mov_b32_e32 v5, 0
	s_lshl_b64 s[28:29], s[28:29], 3
	s_add_i32 s37, s21, s7
	s_add_u32 s7, s50, s28
	s_addc_u32 s21, s51, s29
	s_lshl_b64 s[28:29], s[30:31], 3
	s_mul_i32 s24, s44, s24
	ds_read_b96 v[1:3], v5 offset:1056
	s_add_u32 s7, s7, s28
	s_addc_u32 s21, s21, s29
	s_lshl_b64 s[24:25], s[24:25], 3
	s_mul_i32 s2, s2, s26
	s_add_u32 s14, s14, s24
	s_addc_u32 s15, s15, s25
	s_lshl_b64 s[2:3], s[2:3], 3
	s_mul_i32 s36, s48, s20
	;; [unrolled: 4-line block ×3, first 2 shown]
	s_add_u32 s14, s18, s2
	s_addc_u32 s15, s19, s3
	s_lshl_b64 s[2:3], s[26:27], 3
	v_add_nc_u32_e32 v4, -1, v0
	s_add_u32 s18, s14, s2
	s_addc_u32 s19, s15, s3
	s_clause 0x1
	s_load_dword s3, s[4:5], 0x1b0
	s_load_dwordx2 s[4:5], s[4:5], 0x508
	v_lshrrev_b32_e32 v6, 3, v0
	v_lshrrev_b32_e32 v7, 3, v4
	s_waitcnt lgkmcnt(0)
	v_add_nc_u32_e32 v1, v1, v2
	v_and_b32_e32 v8, 0xfc, v0
	v_lshlrev_b32_e32 v9, 5, v0
	v_and_b32_e32 v2, 28, v6
	v_and_b32_e32 v12, 0x1ffffffc, v7
	v_mad_u64_u32 v[6:7], null, s52, s33, v[0:1]
	v_mbcnt_lo_u32_b32 v10, -1, 0
	s_xor_b32 s15, s35, 0x80000000
	v_lshl_add_u32 v11, v0, 2, v2
	v_cmp_gt_u32_e64 s2, 32, v0
	v_lshl_add_u32 v0, v4, 2, v12
	v_add_nc_u32_e32 v12, v8, v9
	v_and_b32_e32 v13, 15, v10
	v_bfe_i32 v14, v10, 4, 1
	v_add_nc_u32_e32 v15, -1, v10
	v_mov_b32_e32 v4, v6
	s_bitcmp1_b32 s3, 0
	s_mov_b32 s14, s34
	s_cselect_b32 s3, -1, 0
                                        ; implicit-def: $vgpr6_vgpr7
	s_branch .LBB158_29
.LBB158_27:                             ;   in Loop: Header=BB158_29 Depth=1
	s_or_b32 exec_lo, exec_lo, s22
	v_add_nc_u32_e32 v1, v2, v1
.LBB158_28:                             ;   in Loop: Header=BB158_29 Depth=1
	v_add_nc_u32_e32 v3, v16, v3
	v_add_nc_u32_e32 v4, 0x100, v4
	s_add_i32 s6, s6, -1
	s_cmp_lg_u32 s6, 0
	s_cbranch_scc0 .LBB158_48
.LBB158_29:                             ; =>This Inner Loop Header: Depth=1
	v_mov_b32_e32 v2, v5
	v_mov_b32_e32 v8, v5
	s_mov_b32 s22, exec_lo
	v_cmpx_gt_u64_e64 s[8:9], v[4:5]
	s_cbranch_execz .LBB158_31
; %bb.30:                               ;   in Loop: Header=BB158_29 Depth=1
	v_mad_u64_u32 v[6:7], null, s12, v4, 0
	v_mov_b32_e32 v2, v7
	v_mad_u64_u32 v[7:8], null, s13, v4, v[2:3]
	v_lshlrev_b64 v[6:7], 3, v[6:7]
	v_add_co_u32 v6, vcc_lo, s7, v6
	v_add_co_ci_u32_e64 v7, null, s21, v7, vcc_lo
	global_load_dwordx2 v[6:7], v[6:7], off
	s_waitcnt vmcnt(0)
	v_xor_b32_e32 v9, 0x80000000, v7
	v_mov_b32_e32 v8, v6
	v_cmp_lt_u64_e32 vcc_lo, s[14:15], v[8:9]
	v_cndmask_b32_e64 v2, 0, 1, vcc_lo
	v_cmp_gt_u64_e32 vcc_lo, s[14:15], v[8:9]
	v_cndmask_b32_e64 v8, 0, 1, vcc_lo
	v_cmp_eq_u64_e32 vcc_lo, s[34:35], v[6:7]
	v_cndmask_b32_e64 v2, v8, v2, s3
	v_cndmask_b32_e64 v8, 0, 1, vcc_lo
	v_and_b32_e32 v2, 1, v2
.LBB158_31:                             ;   in Loop: Header=BB158_29 Depth=1
	s_or_b32 exec_lo, exec_lo, s22
	ds_write_b32 v11, v2
	s_waitcnt lgkmcnt(0)
	s_barrier
	buffer_gl0_inv
	s_and_saveexec_b32 s22, s2
	s_cbranch_execz .LBB158_33
; %bb.32:                               ;   in Loop: Header=BB158_29 Depth=1
	ds_read2_b32 v[16:17], v12 offset1:1
	ds_read2_b32 v[18:19], v12 offset0:2 offset1:3
	ds_read2_b32 v[20:21], v12 offset0:4 offset1:5
	;; [unrolled: 1-line block ×3, first 2 shown]
	v_cmp_ne_u32_e32 vcc_lo, 0, v13
	; wave barrier
	s_waitcnt lgkmcnt(3)
	v_add_nc_u32_e32 v9, v17, v16
	s_waitcnt lgkmcnt(2)
	v_add3_u32 v9, v9, v18, v19
	s_waitcnt lgkmcnt(1)
	v_add3_u32 v9, v9, v20, v21
	;; [unrolled: 2-line block ×3, first 2 shown]
	v_mov_b32_dpp v17, v9 row_shr:1 row_mask:0xf bank_mask:0xf
	v_cndmask_b32_e32 v17, 0, v17, vcc_lo
	v_cmp_lt_u32_e32 vcc_lo, 1, v13
	v_add_nc_u32_e32 v9, v17, v9
	v_mov_b32_dpp v17, v9 row_shr:2 row_mask:0xf bank_mask:0xf
	v_cndmask_b32_e32 v17, 0, v17, vcc_lo
	v_cmp_lt_u32_e32 vcc_lo, 3, v13
	v_add_nc_u32_e32 v9, v9, v17
	;; [unrolled: 4-line block ×3, first 2 shown]
	v_mov_b32_dpp v17, v9 row_shr:8 row_mask:0xf bank_mask:0xf
	v_cndmask_b32_e32 v17, 0, v17, vcc_lo
	v_cmp_gt_i32_e32 vcc_lo, 0, v15
	v_add_nc_u32_e32 v9, v9, v17
	v_cndmask_b32_e32 v18, v15, v10, vcc_lo
	ds_swizzle_b32 v17, v9 offset:swizzle(BROADCAST,32,15)
	v_lshlrev_b32_e32 v18, 2, v18
	s_waitcnt lgkmcnt(0)
	v_and_b32_e32 v17, v14, v17
	v_add_nc_u32_e32 v9, v9, v17
	ds_bpermute_b32 v9, v18, v9
	s_waitcnt lgkmcnt(0)
	v_add_nc_u32_e32 v9, v9, v16
	v_cndmask_b32_e64 v9, v9, v2, s1
	ds_write_b32 v12, v9
	; wave barrier
	ds_read2_b32 v[16:17], v12 offset0:1 offset1:2
	ds_read2_b32 v[18:19], v12 offset0:3 offset1:4
	;; [unrolled: 1-line block ×3, first 2 shown]
	ds_read_b32 v22, v12 offset:28
	s_waitcnt lgkmcnt(3)
	v_add_nc_u32_e32 v9, v16, v9
	v_add_nc_u32_e32 v16, v17, v9
	s_waitcnt lgkmcnt(2)
	v_add_nc_u32_e32 v17, v18, v16
	v_add_nc_u32_e32 v18, v19, v17
	;; [unrolled: 3-line block ×3, first 2 shown]
	s_waitcnt lgkmcnt(0)
	v_add_nc_u32_e32 v21, v22, v20
	ds_write2_b32 v12, v9, v16 offset0:1 offset1:2
	ds_write2_b32 v12, v17, v18 offset0:3 offset1:4
	;; [unrolled: 1-line block ×3, first 2 shown]
	ds_write_b32 v12, v21 offset:28
.LBB158_33:                             ;   in Loop: Header=BB158_29 Depth=1
	s_or_b32 exec_lo, exec_lo, s22
	v_mov_b32_e32 v9, 0
	s_waitcnt lgkmcnt(0)
	s_barrier
	buffer_gl0_inv
	s_and_saveexec_b32 s22, s0
; %bb.34:                               ;   in Loop: Header=BB158_29 Depth=1
	ds_read_b32 v9, v0
; %bb.35:                               ;   in Loop: Header=BB158_29 Depth=1
	s_or_b32 exec_lo, exec_lo, s22
	ds_read_b32 v16, v5 offset:1048
	s_mov_b32 s22, exec_lo
	s_waitcnt lgkmcnt(0)
	s_barrier
	buffer_gl0_inv
	v_cmpx_ne_u32_e32 0, v2
	s_cbranch_execz .LBB158_37
; %bb.36:                               ;   in Loop: Header=BB158_29 Depth=1
	v_add_nc_u32_e32 v22, v9, v3
	v_mad_u64_u32 v[17:18], null, s16, v22, 0
	v_mad_u64_u32 v[19:20], null, s4, v22, 0
	v_mov_b32_e32 v2, v18
	v_mov_b32_e32 v9, v20
	v_mad_u64_u32 v[20:21], null, s17, v22, v[2:3]
	v_mad_u64_u32 v[21:22], null, s5, v22, v[9:10]
	v_mov_b32_e32 v18, v20
	v_mov_b32_e32 v20, v21
	v_lshlrev_b64 v[17:18], 3, v[17:18]
	v_lshlrev_b64 v[19:20], 3, v[19:20]
	v_add_co_u32 v17, vcc_lo, s20, v17
	v_add_co_ci_u32_e64 v18, null, s23, v18, vcc_lo
	v_add_co_u32 v19, vcc_lo, s18, v19
	v_add_co_ci_u32_e64 v20, null, s19, v20, vcc_lo
	global_store_dwordx2 v[17:18], v[6:7], off
	global_store_dwordx2 v[19:20], v[4:5], off
.LBB158_37:                             ;   in Loop: Header=BB158_29 Depth=1
	s_or_b32 exec_lo, exec_lo, s22
	v_mov_b32_e32 v2, v5
	v_cmp_le_u64_e32 vcc_lo, s[10:11], v[1:2]
	s_cbranch_vccnz .LBB158_28
; %bb.38:                               ;   in Loop: Header=BB158_29 Depth=1
	ds_write_b32 v11, v8
	s_waitcnt lgkmcnt(0)
	s_waitcnt_vscnt null, 0x0
	s_barrier
	buffer_gl0_inv
	s_and_saveexec_b32 s22, s2
	s_cbranch_execz .LBB158_40
; %bb.39:                               ;   in Loop: Header=BB158_29 Depth=1
	ds_read2_b32 v[17:18], v12 offset1:1
	ds_read2_b32 v[19:20], v12 offset0:2 offset1:3
	ds_read2_b32 v[21:22], v12 offset0:4 offset1:5
	;; [unrolled: 1-line block ×3, first 2 shown]
	v_cmp_ne_u32_e32 vcc_lo, 0, v13
	; wave barrier
	s_waitcnt lgkmcnt(3)
	v_add_nc_u32_e32 v2, v18, v17
	s_waitcnt lgkmcnt(2)
	v_add3_u32 v2, v2, v19, v20
	s_waitcnt lgkmcnt(1)
	v_add3_u32 v2, v2, v21, v22
	;; [unrolled: 2-line block ×3, first 2 shown]
	v_mov_b32_dpp v9, v2 row_shr:1 row_mask:0xf bank_mask:0xf
	v_cndmask_b32_e32 v9, 0, v9, vcc_lo
	v_cmp_lt_u32_e32 vcc_lo, 1, v13
	v_add_nc_u32_e32 v2, v9, v2
	v_mov_b32_dpp v9, v2 row_shr:2 row_mask:0xf bank_mask:0xf
	v_cndmask_b32_e32 v9, 0, v9, vcc_lo
	v_cmp_lt_u32_e32 vcc_lo, 3, v13
	v_add_nc_u32_e32 v2, v2, v9
	;; [unrolled: 4-line block ×3, first 2 shown]
	v_mov_b32_dpp v9, v2 row_shr:8 row_mask:0xf bank_mask:0xf
	v_cndmask_b32_e32 v9, 0, v9, vcc_lo
	v_cmp_gt_i32_e32 vcc_lo, 0, v15
	v_add_nc_u32_e32 v2, v2, v9
	v_cndmask_b32_e32 v18, v15, v10, vcc_lo
	ds_swizzle_b32 v9, v2 offset:swizzle(BROADCAST,32,15)
	v_lshlrev_b32_e32 v18, 2, v18
	s_waitcnt lgkmcnt(0)
	v_and_b32_e32 v9, v14, v9
	v_add_nc_u32_e32 v2, v2, v9
	ds_bpermute_b32 v2, v18, v2
	s_waitcnt lgkmcnt(0)
	v_add_nc_u32_e32 v2, v2, v17
	v_cndmask_b32_e64 v2, v2, v8, s1
	ds_write_b32 v12, v2
	; wave barrier
	ds_read2_b32 v[17:18], v12 offset0:1 offset1:2
	ds_read2_b32 v[19:20], v12 offset0:3 offset1:4
	;; [unrolled: 1-line block ×3, first 2 shown]
	ds_read_b32 v9, v12 offset:28
	s_waitcnt lgkmcnt(3)
	v_add_nc_u32_e32 v2, v17, v2
	v_add_nc_u32_e32 v17, v18, v2
	s_waitcnt lgkmcnt(2)
	v_add_nc_u32_e32 v18, v19, v17
	v_add_nc_u32_e32 v19, v20, v18
	;; [unrolled: 3-line block ×3, first 2 shown]
	s_waitcnt lgkmcnt(0)
	v_add_nc_u32_e32 v9, v9, v21
	ds_write2_b32 v12, v2, v17 offset0:1 offset1:2
	ds_write2_b32 v12, v18, v19 offset0:3 offset1:4
	;; [unrolled: 1-line block ×3, first 2 shown]
	ds_write_b32 v12, v9 offset:28
.LBB158_40:                             ;   in Loop: Header=BB158_29 Depth=1
	s_or_b32 exec_lo, exec_lo, s22
	v_mov_b32_e32 v9, 0
	s_waitcnt lgkmcnt(0)
	s_barrier
	buffer_gl0_inv
	s_and_saveexec_b32 s22, s0
; %bb.41:                               ;   in Loop: Header=BB158_29 Depth=1
	ds_read_b32 v9, v0
; %bb.42:                               ;   in Loop: Header=BB158_29 Depth=1
	s_or_b32 exec_lo, exec_lo, s22
	ds_read_b32 v2, v5 offset:1048
	s_mov_b32 s22, exec_lo
	s_waitcnt lgkmcnt(0)
	s_barrier
	buffer_gl0_inv
	v_cmpx_ne_u32_e32 0, v8
	s_cbranch_execz .LBB158_27
; %bb.43:                               ;   in Loop: Header=BB158_29 Depth=1
	v_add_nc_u32_e32 v8, v9, v1
	v_mov_b32_e32 v9, v5
	v_cmp_gt_u64_e32 vcc_lo, s[10:11], v[8:9]
	s_and_b32 exec_lo, exec_lo, vcc_lo
	s_cbranch_execz .LBB158_27
; %bb.44:                               ;   in Loop: Header=BB158_29 Depth=1
	v_mad_u64_u32 v[17:18], null, s16, v8, 0
	v_mad_u64_u32 v[19:20], null, s4, v8, 0
	v_mov_b32_e32 v9, v18
	v_mov_b32_e32 v18, v20
	v_mad_u64_u32 v[20:21], null, s17, v8, v[9:10]
	v_mad_u64_u32 v[8:9], null, s5, v8, v[18:19]
	v_mov_b32_e32 v18, v20
	v_mov_b32_e32 v20, v8
	v_lshlrev_b64 v[8:9], 3, v[17:18]
	v_lshlrev_b64 v[17:18], 3, v[19:20]
	v_add_co_u32 v8, vcc_lo, s20, v8
	v_add_co_ci_u32_e64 v9, null, s23, v9, vcc_lo
	v_add_co_u32 v17, vcc_lo, s18, v17
	v_add_co_ci_u32_e64 v18, null, s19, v18, vcc_lo
	global_store_dwordx2 v[8:9], v[6:7], off
	global_store_dwordx2 v[17:18], v[4:5], off
	s_branch .LBB158_27
	.p2align	6
.LBB158_45:                             ;   in Loop: Header=BB158_46 Depth=1
	s_add_u32 s12, s12, 4
	s_addc_u32 s13, s13, 0
	s_waitcnt lgkmcnt(0)
	s_add_i32 s25, s3, s25
	s_add_u32 s14, s14, 4
	s_addc_u32 s15, s15, 0
	s_add_i32 s2, s2, 1
	s_cmp_lt_u32 s2, s7
	s_cbranch_scc0 .LBB158_24
.LBB158_46:                             ; =>This Inner Loop Header: Depth=1
	s_load_dword s3, s[12:13], 0x0
	s_cmp_ge_u32 s2, s52
	s_cbranch_scc1 .LBB158_45
; %bb.47:                               ;   in Loop: Header=BB158_46 Depth=1
	s_load_dword s18, s[14:15], 0x0
	s_waitcnt lgkmcnt(0)
	s_add_i32 s17, s3, s17
	s_add_i32 s16, s18, s16
	s_branch .LBB158_45
.LBB158_48:
	s_endpgm
	.section	.rodata,"a",@progbits
	.p2align	6, 0x0
	.amdhsa_kernel _ZN2at6native6mbtopk10gatherTopKIlmLi2EEEvNS_4cuda6detail10TensorInfoIKT_T0_EES8_S8_bjS8_NS5_IS6_S8_EES8_NS5_IlS8_EES8_jjPS6_PjSD_j
		.amdhsa_group_segment_fixed_size 1068
		.amdhsa_private_segment_fixed_size 0
		.amdhsa_kernarg_size 1592
		.amdhsa_user_sgpr_count 6
		.amdhsa_user_sgpr_private_segment_buffer 1
		.amdhsa_user_sgpr_dispatch_ptr 0
		.amdhsa_user_sgpr_queue_ptr 0
		.amdhsa_user_sgpr_kernarg_segment_ptr 1
		.amdhsa_user_sgpr_dispatch_id 0
		.amdhsa_user_sgpr_flat_scratch_init 0
		.amdhsa_user_sgpr_private_segment_size 0
		.amdhsa_wavefront_size32 1
		.amdhsa_uses_dynamic_stack 0
		.amdhsa_system_sgpr_private_segment_wavefront_offset 0
		.amdhsa_system_sgpr_workgroup_id_x 1
		.amdhsa_system_sgpr_workgroup_id_y 1
		.amdhsa_system_sgpr_workgroup_id_z 1
		.amdhsa_system_sgpr_workgroup_info 0
		.amdhsa_system_vgpr_workitem_id 0
		.amdhsa_next_free_vgpr 25
		.amdhsa_next_free_sgpr 53
		.amdhsa_reserve_vcc 1
		.amdhsa_reserve_flat_scratch 0
		.amdhsa_float_round_mode_32 0
		.amdhsa_float_round_mode_16_64 0
		.amdhsa_float_denorm_mode_32 3
		.amdhsa_float_denorm_mode_16_64 3
		.amdhsa_dx10_clamp 1
		.amdhsa_ieee_mode 1
		.amdhsa_fp16_overflow 0
		.amdhsa_workgroup_processor_mode 1
		.amdhsa_memory_ordered 1
		.amdhsa_forward_progress 1
		.amdhsa_shared_vgpr_count 0
		.amdhsa_exception_fp_ieee_invalid_op 0
		.amdhsa_exception_fp_denorm_src 0
		.amdhsa_exception_fp_ieee_div_zero 0
		.amdhsa_exception_fp_ieee_overflow 0
		.amdhsa_exception_fp_ieee_underflow 0
		.amdhsa_exception_fp_ieee_inexact 0
		.amdhsa_exception_int_div_zero 0
	.end_amdhsa_kernel
	.section	.text._ZN2at6native6mbtopk10gatherTopKIlmLi2EEEvNS_4cuda6detail10TensorInfoIKT_T0_EES8_S8_bjS8_NS5_IS6_S8_EES8_NS5_IlS8_EES8_jjPS6_PjSD_j,"axG",@progbits,_ZN2at6native6mbtopk10gatherTopKIlmLi2EEEvNS_4cuda6detail10TensorInfoIKT_T0_EES8_S8_bjS8_NS5_IS6_S8_EES8_NS5_IlS8_EES8_jjPS6_PjSD_j,comdat
.Lfunc_end158:
	.size	_ZN2at6native6mbtopk10gatherTopKIlmLi2EEEvNS_4cuda6detail10TensorInfoIKT_T0_EES8_S8_bjS8_NS5_IS6_S8_EES8_NS5_IlS8_EES8_jjPS6_PjSD_j, .Lfunc_end158-_ZN2at6native6mbtopk10gatherTopKIlmLi2EEEvNS_4cuda6detail10TensorInfoIKT_T0_EES8_S8_bjS8_NS5_IS6_S8_EES8_NS5_IlS8_EES8_jjPS6_PjSD_j
                                        ; -- End function
	.set _ZN2at6native6mbtopk10gatherTopKIlmLi2EEEvNS_4cuda6detail10TensorInfoIKT_T0_EES8_S8_bjS8_NS5_IS6_S8_EES8_NS5_IlS8_EES8_jjPS6_PjSD_j.num_vgpr, 25
	.set _ZN2at6native6mbtopk10gatherTopKIlmLi2EEEvNS_4cuda6detail10TensorInfoIKT_T0_EES8_S8_bjS8_NS5_IS6_S8_EES8_NS5_IlS8_EES8_jjPS6_PjSD_j.num_agpr, 0
	.set _ZN2at6native6mbtopk10gatherTopKIlmLi2EEEvNS_4cuda6detail10TensorInfoIKT_T0_EES8_S8_bjS8_NS5_IS6_S8_EES8_NS5_IlS8_EES8_jjPS6_PjSD_j.numbered_sgpr, 53
	.set _ZN2at6native6mbtopk10gatherTopKIlmLi2EEEvNS_4cuda6detail10TensorInfoIKT_T0_EES8_S8_bjS8_NS5_IS6_S8_EES8_NS5_IlS8_EES8_jjPS6_PjSD_j.num_named_barrier, 0
	.set _ZN2at6native6mbtopk10gatherTopKIlmLi2EEEvNS_4cuda6detail10TensorInfoIKT_T0_EES8_S8_bjS8_NS5_IS6_S8_EES8_NS5_IlS8_EES8_jjPS6_PjSD_j.private_seg_size, 0
	.set _ZN2at6native6mbtopk10gatherTopKIlmLi2EEEvNS_4cuda6detail10TensorInfoIKT_T0_EES8_S8_bjS8_NS5_IS6_S8_EES8_NS5_IlS8_EES8_jjPS6_PjSD_j.uses_vcc, 1
	.set _ZN2at6native6mbtopk10gatherTopKIlmLi2EEEvNS_4cuda6detail10TensorInfoIKT_T0_EES8_S8_bjS8_NS5_IS6_S8_EES8_NS5_IlS8_EES8_jjPS6_PjSD_j.uses_flat_scratch, 0
	.set _ZN2at6native6mbtopk10gatherTopKIlmLi2EEEvNS_4cuda6detail10TensorInfoIKT_T0_EES8_S8_bjS8_NS5_IS6_S8_EES8_NS5_IlS8_EES8_jjPS6_PjSD_j.has_dyn_sized_stack, 0
	.set _ZN2at6native6mbtopk10gatherTopKIlmLi2EEEvNS_4cuda6detail10TensorInfoIKT_T0_EES8_S8_bjS8_NS5_IS6_S8_EES8_NS5_IlS8_EES8_jjPS6_PjSD_j.has_recursion, 0
	.set _ZN2at6native6mbtopk10gatherTopKIlmLi2EEEvNS_4cuda6detail10TensorInfoIKT_T0_EES8_S8_bjS8_NS5_IS6_S8_EES8_NS5_IlS8_EES8_jjPS6_PjSD_j.has_indirect_call, 0
	.section	.AMDGPU.csdata,"",@progbits
; Kernel info:
; codeLenInByte = 2960
; TotalNumSgprs: 55
; NumVgprs: 25
; ScratchSize: 0
; MemoryBound: 0
; FloatMode: 240
; IeeeMode: 1
; LDSByteSize: 1068 bytes/workgroup (compile time only)
; SGPRBlocks: 0
; VGPRBlocks: 3
; NumSGPRsForWavesPerEU: 55
; NumVGPRsForWavesPerEU: 25
; Occupancy: 16
; WaveLimiterHint : 1
; COMPUTE_PGM_RSRC2:SCRATCH_EN: 0
; COMPUTE_PGM_RSRC2:USER_SGPR: 6
; COMPUTE_PGM_RSRC2:TRAP_HANDLER: 0
; COMPUTE_PGM_RSRC2:TGID_X_EN: 1
; COMPUTE_PGM_RSRC2:TGID_Y_EN: 1
; COMPUTE_PGM_RSRC2:TGID_Z_EN: 1
; COMPUTE_PGM_RSRC2:TIDIG_COMP_CNT: 0
	.section	.text._ZN2at6native6sbtopk10gatherTopKIlmLi2ELb0EEEvNS_4cuda6detail10TensorInfoIKT_T0_EES8_S8_bS8_S8_NS5_IS6_S8_EES8_NS5_IlS8_EES8_PS6_,"axG",@progbits,_ZN2at6native6sbtopk10gatherTopKIlmLi2ELb0EEEvNS_4cuda6detail10TensorInfoIKT_T0_EES8_S8_bS8_S8_NS5_IS6_S8_EES8_NS5_IlS8_EES8_PS6_,comdat
	.protected	_ZN2at6native6sbtopk10gatherTopKIlmLi2ELb0EEEvNS_4cuda6detail10TensorInfoIKT_T0_EES8_S8_bS8_S8_NS5_IS6_S8_EES8_NS5_IlS8_EES8_PS6_ ; -- Begin function _ZN2at6native6sbtopk10gatherTopKIlmLi2ELb0EEEvNS_4cuda6detail10TensorInfoIKT_T0_EES8_S8_bS8_S8_NS5_IS6_S8_EES8_NS5_IlS8_EES8_PS6_
	.globl	_ZN2at6native6sbtopk10gatherTopKIlmLi2ELb0EEEvNS_4cuda6detail10TensorInfoIKT_T0_EES8_S8_bS8_S8_NS5_IS6_S8_EES8_NS5_IlS8_EES8_PS6_
	.p2align	8
	.type	_ZN2at6native6sbtopk10gatherTopKIlmLi2ELb0EEEvNS_4cuda6detail10TensorInfoIKT_T0_EES8_S8_bS8_S8_NS5_IS6_S8_EES8_NS5_IlS8_EES8_PS6_,@function
_ZN2at6native6sbtopk10gatherTopKIlmLi2ELb0EEEvNS_4cuda6detail10TensorInfoIKT_T0_EES8_S8_bS8_S8_NS5_IS6_S8_EES8_NS5_IlS8_EES8_PS6_: ; @_ZN2at6native6sbtopk10gatherTopKIlmLi2ELb0EEEvNS_4cuda6detail10TensorInfoIKT_T0_EES8_S8_bS8_S8_NS5_IS6_S8_EES8_NS5_IlS8_EES8_PS6_
; %bb.0:
	s_clause 0x1
	s_load_dwordx2 s[14:15], s[4:5], 0x520
	s_load_dwordx4 s[28:31], s[4:5], 0x1b8
	s_add_u32 s12, s4, 0x520
	s_addc_u32 s13, s5, 0
	s_mov_b32 s35, 0
	s_waitcnt lgkmcnt(0)
	s_mul_i32 s0, s15, s8
	s_add_i32 s0, s0, s7
	s_mul_i32 s0, s0, s14
	s_add_i32 s34, s0, s6
	v_cmp_le_u64_e64 s0, s[28:29], s[34:35]
	s_and_b32 vcc_lo, exec_lo, s0
	s_cbranch_vccnz .LBB159_473
; %bb.1:
	s_clause 0x2
	s_load_dwordx2 s[16:17], s[4:5], 0x10
	s_load_dwordx2 s[28:29], s[4:5], 0x380
	s_load_dwordx2 s[50:51], s[4:5], 0x1d8
	s_mov_b64 s[48:49], 0
	s_waitcnt lgkmcnt(0)
	v_cmp_lt_u64_e64 s0, s[34:35], s[16:17]
	s_and_b32 vcc_lo, exec_lo, s0
	s_mov_b64 s[0:1], 0
	s_cbranch_vccnz .LBB159_3
; %bb.2:
	v_cvt_f32_u32_e32 v1, s16
	s_sub_i32 s1, 0, s16
	v_rcp_iflag_f32_e32 v1, v1
	v_mul_f32_e32 v1, 0x4f7ffffe, v1
	v_cvt_u32_f32_e32 v1, v1
	v_readfirstlane_b32 s0, v1
	s_mul_i32 s1, s1, s0
	s_mul_hi_u32 s1, s0, s1
	s_add_i32 s0, s0, s1
	s_mul_hi_u32 s0, s34, s0
	s_mul_i32 s1, s0, s16
	s_add_i32 s2, s0, 1
	s_sub_i32 s1, s34, s1
	s_sub_i32 s3, s1, s16
	s_cmp_ge_u32 s1, s16
	s_cselect_b32 s0, s2, s0
	s_cselect_b32 s1, s3, s1
	s_add_i32 s2, s0, 1
	s_cmp_ge_u32 s1, s16
	s_cselect_b32 s0, s2, s0
.LBB159_3:
	v_cmp_lt_u64_e64 s1, s[34:35], s[50:51]
	s_and_b32 vcc_lo, exec_lo, s1
	s_cbranch_vccnz .LBB159_5
; %bb.4:
	v_cvt_f32_u32_e32 v1, s50
	s_sub_i32 s2, 0, s50
	v_rcp_iflag_f32_e32 v1, v1
	v_mul_f32_e32 v1, 0x4f7ffffe, v1
	v_cvt_u32_f32_e32 v1, v1
	v_readfirstlane_b32 s1, v1
	s_mul_i32 s2, s2, s1
	s_mul_hi_u32 s2, s1, s2
	s_add_i32 s1, s1, s2
	s_mul_hi_u32 s1, s34, s1
	s_mul_i32 s2, s1, s50
	s_add_i32 s3, s1, 1
	s_sub_i32 s2, s34, s2
	s_sub_i32 s7, s2, s50
	s_cmp_ge_u32 s2, s50
	s_cselect_b32 s1, s3, s1
	s_cselect_b32 s2, s7, s2
	s_add_i32 s3, s1, 1
	s_cmp_ge_u32 s2, s50
	s_cselect_b32 s48, s3, s1
.LBB159_5:
	s_load_dwordx2 s[18:19], s[4:5], 0x0
	v_cmp_lt_u64_e64 s1, s[34:35], s[28:29]
	s_mov_b64 s[52:53], 0
	s_and_b32 vcc_lo, exec_lo, s1
	s_cbranch_vccnz .LBB159_7
; %bb.6:
	v_cvt_f32_u32_e32 v1, s28
	s_sub_i32 s2, 0, s28
	v_rcp_iflag_f32_e32 v1, v1
	v_mul_f32_e32 v1, 0x4f7ffffe, v1
	v_cvt_u32_f32_e32 v1, v1
	v_readfirstlane_b32 s1, v1
	s_mul_i32 s2, s2, s1
	s_mul_hi_u32 s2, s1, s2
	s_add_i32 s1, s1, s2
	s_mul_hi_u32 s1, s34, s1
	s_mul_i32 s2, s1, s28
	s_add_i32 s3, s1, 1
	s_sub_i32 s2, s34, s2
	s_sub_i32 s7, s2, s28
	s_cmp_ge_u32 s2, s28
	s_cselect_b32 s1, s3, s1
	s_cselect_b32 s2, s7, s2
	s_add_i32 s3, s1, 1
	s_cmp_ge_u32 s2, s28
	s_cselect_b32 s52, s3, s1
.LBB159_7:
	s_clause 0x2
	s_load_dwordx2 s[2:3], s[4:5], 0x370
	; meta instruction
	s_load_dwordx4 s[8:11], s[4:5], 0xd0
	s_load_dwordx4 s[36:39], s[4:5], 0x1a0
	s_mov_b32 s27, 0
	s_waitcnt lgkmcnt(0)
	v_writelane_b32 v51, s2, 0
	v_writelane_b32 v51, s3, 1
	s_load_dwordx2 s[2:3], s[4:5], 0x1c8
	s_waitcnt lgkmcnt(0)
	v_writelane_b32 v51, s2, 2
	v_writelane_b32 v51, s3, 3
	v_cmp_eq_u32_e64 s3, 0, v0
	s_and_saveexec_b32 s1, s3
	s_cbranch_execz .LBB159_9
; %bb.8:
	v_mov_b32_e32 v1, 0
	v_mov_b32_e32 v3, s36
	;; [unrolled: 1-line block ×4, first 2 shown]
	ds_write_b32 v1, v1 offset:5144
	ds_write_b128 v1, v[1:4] offset:5120
.LBB159_9:
	s_or_b32 exec_lo, exec_lo, s1
	s_mul_i32 s1, s0, s17
	s_mul_hi_u32 s2, s0, s16
	s_mul_i32 s7, s0, s16
	s_add_i32 s2, s2, s1
	s_sub_u32 s7, s34, s7
	s_subb_u32 s2, 0, s2
	s_mul_i32 s1, s7, s11
	s_mul_hi_u32 s11, s7, s10
	s_mul_i32 s2, s2, s10
	s_add_i32 s11, s11, s1
	s_mul_i32 s1, s0, s9
	s_mul_hi_u32 s9, s0, s8
	s_mul_i32 s0, s0, s8
	s_add_i32 s1, s9, s1
	s_add_i32 s9, s11, s2
	s_lshl_b64 s[0:1], s[0:1], 3
	s_mul_i32 s8, s7, s10
	s_add_u32 s2, s18, s0
	s_addc_u32 s7, s19, s1
	s_lshl_b64 s[0:1], s[8:9], 3
	s_clause 0x1
	s_load_dwordx4 s[40:43], s[4:5], 0x440
	s_load_dword s15, s[4:5], 0x1b0
	s_add_u32 s33, s2, s0
	s_addc_u32 s35, s7, s1
	s_waitcnt lgkmcnt(0)
	s_barrier
	buffer_gl0_inv
	s_load_dword s7, s[12:13], 0xc
	v_mad_u64_u32 v[2:3], null, s30, v0, 0
	v_mbcnt_lo_u32_b32 v33, -1, 0
	v_cmp_gt_u32_e32 vcc_lo, 32, v0
	v_mov_b32_e32 v19, 0
	v_lshlrev_b32_e32 v34, 3, v0
	v_cmp_lt_u64_e64 s77, 0x180, s[36:37]
	v_cmp_gt_i32_e64 s1, 4, v33
	v_mov_b32_e32 v1, v3
	v_mov_b32_e32 v6, 0
	;; [unrolled: 1-line block ×5, first 2 shown]
	s_bitcmp1_b32 s15, 0
	v_mad_u64_u32 v[3:4], null, s31, v0, v[1:2]
	s_cselect_b32 s2, -1, 0
	s_and_b32 s76, vcc_lo, s1
	s_xor_b32 s53, s2, -1
	s_waitcnt lgkmcnt(0)
	s_and_b32 s49, s7, 0xffff
	s_bfe_u32 s7, s7, 0xb0005
	s_bfe_u32 s9, s49, 0x80008
	v_lshlrev_b64 v[2:3], 3, v[2:3]
	s_lshl_b32 s78, s9, 3
	s_cmp_gt_u32 s49, 31
	v_mov_b32_e32 v1, v19
	s_cselect_b32 s79, -1, 0
	s_add_u32 s80, s49, -1
	s_addc_u32 s81, 0, -1
	s_add_u32 s82, s80, s36
	s_addc_u32 s59, s81, s37
	s_cmp_lt_u32 s6, s14
	v_add_co_u32 v16, vcc_lo, s33, v2
	s_cselect_b32 s6, 12, 18
	v_add_co_ci_u32_e64 v17, null, s35, v3, vcc_lo
	s_add_u32 s60, s12, s6
	v_lshlrev_b64 v[2:3], v33, -1
	s_addc_u32 s61, s13, 0
	s_add_i32 s7, s7, -1
	s_bfe_u32 s83, s49, 0x30005
	s_and_b32 s6, s7, 0xffff
	v_cmp_gt_u64_e64 s1, s[36:37], v[0:1]
	s_cmp_gt_u32 s6, 6
	s_movk_i32 s6, 0x3e0
	v_cmp_eq_u32_e64 s0, 0, v33
	v_lshlrev_b32_e32 v20, 2, v0
	v_mov_b32_e32 v21, v19
	v_cmp_gt_u32_e64 s8, 2, v0
	v_add_nc_u32_e32 v35, 0xc00, v34
	v_not_b32_e32 v32, v2
	v_and_or_b32 v36, v0, s6, 0xc00
	v_lshlrev_b32_e32 v37, 5, v0
	v_lshl_or_b32 v38, v33, 3, 0xc00
	v_mov_b32_e32 v7, 0
	v_mov_b32_e32 v27, s39
	;; [unrolled: 1-line block ×5, first 2 shown]
	s_cselect_b32 s84, -1, 0
	s_cmp_lg_u32 s83, 0
	s_mov_b32 s93, 62
	s_cselect_b32 s85, -1, 0
	s_lshl_b32 s86, s49, 3
	s_mov_b32 s87, 0
	s_mov_b32 s89, 0
                                        ; implicit-def: $sgpr88
                                        ; implicit-def: $sgpr92
                                        ; implicit-def: $sgpr91
                                        ; implicit-def: $sgpr94
                                        ; implicit-def: $sgpr90
                                        ; implicit-def: $sgpr98
                                        ; implicit-def: $sgpr99
                                        ; implicit-def: $sgpr95
                                        ; implicit-def: $sgpr97
                                        ; implicit-def: $sgpr96
	s_branch .LBB159_12
.LBB159_10:                             ;   in Loop: Header=BB159_12 Depth=1
	s_or_b32 exec_lo, exec_lo, s10
	v_mov_b32_e32 v26, v28
	v_mov_b32_e32 v27, v29
	s_andn2_b32 s10, s96, exec_lo
	s_and_b32 s9, s9, exec_lo
	s_andn2_b32 s97, s97, exec_lo
	s_or_b32 s96, s10, s9
	s_andn2_b32 s95, s95, exec_lo
	s_andn2_b32 s99, s99, exec_lo
	;; [unrolled: 1-line block ×3, first 2 shown]
	s_orn2_b32 s7, s7, exec_lo
.LBB159_11:                             ;   in Loop: Header=BB159_12 Depth=1
	s_or_b32 exec_lo, exec_lo, s6
	s_and_b32 s6, exec_lo, s7
	s_or_b32 s87, s6, s87
	s_andn2_b32 s6, s90, exec_lo
	s_and_b32 s7, s96, exec_lo
	s_andn2_b32 s9, s94, exec_lo
	s_or_b32 s90, s6, s7
	s_and_b32 s6, s97, exec_lo
	s_andn2_b32 s7, s91, exec_lo
	s_and_b32 s10, s95, exec_lo
	s_or_b32 s94, s9, s6
	s_or_b32 s91, s7, s10
	s_andn2_b32 s6, s92, exec_lo
	s_and_b32 s7, s99, exec_lo
	s_andn2_b32 s9, s88, exec_lo
	s_and_b32 s10, s98, exec_lo
	s_or_b32 s92, s6, s7
	s_or_b32 s88, s9, s10
	s_andn2_b32 exec_lo, exec_lo, s87
	s_cbranch_execz .LBB159_469
.LBB159_12:                             ; =>This Loop Header: Depth=1
                                        ;     Child Loop BB159_18 Depth 2
                                        ;     Child Loop BB159_31 Depth 2
	;; [unrolled: 1-line block ×24, first 2 shown]
	ds_read_b128 v[8:11], v19 offset:5120
	s_waitcnt lgkmcnt(0)
	v_readfirstlane_b32 s63, v9
	v_readfirstlane_b32 s62, v8
	s_cmp_lg_u64 s[62:63], 0
	s_cbranch_scc1 .LBB159_39
; %bb.13:                               ;   in Loop: Header=BB159_12 Depth=1
	s_and_b32 vcc_lo, exec_lo, s77
	s_cbranch_vccz .LBB159_26
; %bb.14:                               ;   in Loop: Header=BB159_12 Depth=1
	v_cmp_gt_u64_e32 vcc_lo, 0x181, v[10:11]
	s_mov_b32 s9, 0
	s_mov_b32 s6, 0
	s_cbranch_vccz .LBB159_27
; %bb.15:                               ;   in Loop: Header=BB159_12 Depth=1
	s_and_saveexec_b32 s10, s1
	s_cbranch_execz .LBB159_93
; %bb.16:                               ;   in Loop: Header=BB159_12 Depth=1
	global_load_ushort v5, v19, s[60:61]
	global_load_dwordx2 v[3:4], v[16:17], off
	v_mov_b32_e32 v9, v1
	v_mov_b32_e32 v8, v0
	s_mov_b32 s11, 0
	s_waitcnt vmcnt(1)
	v_and_b32_e32 v5, 0xffff, v5
	s_branch .LBB159_18
.LBB159_17:                             ;   in Loop: Header=BB159_18 Depth=2
	s_or_b32 exec_lo, exec_lo, s7
	v_mov_b32_e32 v3, v10
	v_mov_b32_e32 v4, v11
	s_andn2_b32 exec_lo, exec_lo, s11
	s_cbranch_execz .LBB159_93
.LBB159_18:                             ;   Parent Loop BB159_12 Depth=1
                                        ; =>  This Inner Loop Header: Depth=2
	v_add_co_u32 v8, vcc_lo, v8, v5
	v_mov_b32_e32 v10, 0
	v_add_co_ci_u32_e64 v9, null, 0, v9, vcc_lo
	v_mov_b32_e32 v11, 0
	s_mov_b32 s7, exec_lo
	v_cmp_le_u64_e32 vcc_lo, s[36:37], v[8:9]
	v_cmpx_gt_u64_e64 s[36:37], v[8:9]
	s_cbranch_execz .LBB159_20
; %bb.19:                               ;   in Loop: Header=BB159_18 Depth=2
	s_waitcnt lgkmcnt(0)
	v_mul_lo_u32 v12, v9, s30
	v_mul_lo_u32 v13, v8, s31
	v_mad_u64_u32 v[10:11], null, v8, s30, 0
	v_add3_u32 v11, v11, v13, v12
	v_lshlrev_b64 v[10:11], 3, v[10:11]
	v_add_co_u32 v10, s6, s33, v10
	v_add_co_ci_u32_e64 v11, null, s35, v11, s6
	global_load_dwordx2 v[10:11], v[10:11], off
.LBB159_20:                             ;   in Loop: Header=BB159_18 Depth=2
	s_or_b32 exec_lo, exec_lo, s7
	s_waitcnt vmcnt(0) lgkmcnt(0)
	v_xor_b32_e32 v12, 0x80000000, v4
	v_and_b32_e32 v13, v12, v25
	v_and_b32_e32 v12, v3, v24
	v_cmp_eq_u64_e64 s6, v[12:13], v[22:23]
	v_mov_b32_e32 v12, 0
	s_cmp_lg_u32 s6, 0
	s_cselect_b32 s7, -1, 0
	s_and_b32 s7, s0, s7
	s_and_saveexec_b32 s12, s7
	s_cbranch_execz .LBB159_24
; %bb.21:                               ;   in Loop: Header=BB159_18 Depth=2
	s_mov_b32 s15, exec_lo
	s_bcnt1_i32_b32 s13, s6
	v_mbcnt_lo_u32_b32 v12, s15, 0
	s_mov_b32 s14, exec_lo
                                        ; implicit-def: $vgpr13
	v_cmpx_eq_u32_e32 0, v12
; %bb.22:                               ;   in Loop: Header=BB159_18 Depth=2
	s_bcnt1_i32_b32 s7, s15
	s_mul_i32 s7, s13, s7
	v_mov_b32_e32 v13, s7
	ds_add_rtn_u32 v13, v19, v13 offset:5144
; %bb.23:                               ;   in Loop: Header=BB159_18 Depth=2
	s_or_b32 exec_lo, exec_lo, s14
	s_waitcnt lgkmcnt(0)
	v_readfirstlane_b32 s7, v13
	v_mad_u32_u24 v12, s13, v12, s7
.LBB159_24:                             ;   in Loop: Header=BB159_18 Depth=2
	s_or_b32 exec_lo, exec_lo, s12
	ds_bpermute_b32 v12, v19, v12
	s_and_b32 s7, exec_lo, vcc_lo
	s_or_b32 s11, s7, s11
	s_and_saveexec_b32 s7, s6
	s_cbranch_execz .LBB159_17
; %bb.25:                               ;   in Loop: Header=BB159_18 Depth=2
	v_and_b32_e32 v13, s6, v32
	v_bcnt_u32_b32 v13, v13, 0
	v_lshlrev_b32_e32 v13, 3, v13
	s_waitcnt lgkmcnt(0)
	v_lshl_add_u32 v12, v12, 3, v13
	ds_write_b64 v12, v[3:4]
	s_branch .LBB159_17
.LBB159_26:                             ;   in Loop: Header=BB159_12 Depth=1
	s_mov_b32 s9, -1
	s_mov_b32 s6, 0
.LBB159_27:                             ;   in Loop: Header=BB159_12 Depth=1
	s_and_b32 vcc_lo, exec_lo, s9
	s_cbranch_vccz .LBB159_37
.LBB159_28:                             ;   in Loop: Header=BB159_12 Depth=1
	s_and_saveexec_b32 s6, s1
	s_cbranch_execz .LBB159_34
; %bb.29:                               ;   in Loop: Header=BB159_12 Depth=1
	global_load_ushort v5, v19, s[60:61]
	global_load_dwordx2 v[3:4], v[16:17], off
	v_mov_b32_e32 v8, v0
	s_mov_b32 s7, exec_lo
	s_waitcnt vmcnt(1)
	v_and_b32_e32 v5, 0xffff, v5
	v_add_nc_u32_e32 v18, v5, v0
	v_cmpx_gt_u64_e64 s[36:37], v[18:19]
	s_cbranch_execz .LBB159_33
; %bb.30:                               ;   in Loop: Header=BB159_12 Depth=1
	v_mov_b32_e32 v10, v18
	v_mov_b32_e32 v9, v1
	;; [unrolled: 1-line block ×4, first 2 shown]
	s_mov_b32 s9, 0
	s_inst_prefetch 0x1
	.p2align	6
.LBB159_31:                             ;   Parent Loop BB159_12 Depth=1
                                        ; =>  This Inner Loop Header: Depth=2
	v_mov_b32_e32 v15, v11
	v_mov_b32_e32 v14, v10
	v_lshlrev_b32_e32 v8, 3, v8
	v_mul_lo_u32 v11, v15, s30
	v_mul_lo_u32 v12, v14, s31
	v_mad_u64_u32 v[9:10], null, v14, s30, 0
	s_waitcnt vmcnt(0)
	ds_write_b64 v8, v[3:4]
	v_add3_u32 v10, v10, v12, v11
	v_lshlrev_b64 v[9:10], 3, v[9:10]
	v_add_co_u32 v9, vcc_lo, s33, v9
	v_add_co_ci_u32_e64 v10, null, s35, v10, vcc_lo
	global_load_dwordx2 v[12:13], v[9:10], off
	v_add_co_u32 v10, vcc_lo, v14, v5
	v_add_co_ci_u32_e64 v11, null, 0, v15, vcc_lo
	v_mov_b32_e32 v8, v14
	v_mov_b32_e32 v9, v15
	v_cmp_le_u64_e32 vcc_lo, s[36:37], v[10:11]
	s_or_b32 s9, vcc_lo, s9
	s_waitcnt vmcnt(0)
	v_mov_b32_e32 v3, v12
	v_mov_b32_e32 v4, v13
	s_andn2_b32 exec_lo, exec_lo, s9
	s_cbranch_execnz .LBB159_31
; %bb.32:                               ;   in Loop: Header=BB159_12 Depth=1
	s_inst_prefetch 0x2
	s_or_b32 exec_lo, exec_lo, s9
	v_mov_b32_e32 v3, v12
	v_sub_nc_u32_e32 v8, v10, v5
	v_mov_b32_e32 v4, v13
.LBB159_33:                             ;   in Loop: Header=BB159_12 Depth=1
	s_or_b32 exec_lo, exec_lo, s7
	v_lshlrev_b32_e32 v5, 3, v8
	s_waitcnt vmcnt(0)
	ds_write_b64 v5, v[3:4]
.LBB159_34:                             ;   in Loop: Header=BB159_12 Depth=1
	s_or_b32 exec_lo, exec_lo, s6
	s_waitcnt lgkmcnt(0)
	s_barrier
	buffer_gl0_inv
	s_and_saveexec_b32 s6, s3
; %bb.35:                               ;   in Loop: Header=BB159_12 Depth=1
	v_mov_b32_e32 v3, s36
	v_mov_b32_e32 v4, s37
	ds_write_b64 v19, v[3:4] offset:5120
; %bb.36:                               ;   in Loop: Header=BB159_12 Depth=1
	s_or_b32 exec_lo, exec_lo, s6
	s_mov_b32 s6, -1
	s_waitcnt lgkmcnt(0)
	s_barrier
.LBB159_37:                             ;   in Loop: Header=BB159_12 Depth=1
	s_and_b32 vcc_lo, exec_lo, s6
	s_mov_b64 s[62:63], 0
	s_cbranch_vccz .LBB159_39
; %bb.38:                               ;   in Loop: Header=BB159_12 Depth=1
	buffer_gl0_inv
	ds_read_b64 v[3:4], v19 offset:5120
	s_waitcnt lgkmcnt(0)
	v_readfirstlane_b32 s62, v3
.LBB159_39:                             ;   in Loop: Header=BB159_12 Depth=1
	s_cmp_lt_i32 s62, 1
	s_mov_b32 s6, -1
                                        ; implicit-def: $vgpr14_vgpr15
                                        ; implicit-def: $vgpr10_vgpr11
	s_cbranch_scc1 .LBB159_49
; %bb.40:                               ;   in Loop: Header=BB159_12 Depth=1
	s_and_b32 vcc_lo, exec_lo, s6
	s_cbranch_vccnz .LBB159_63
.LBB159_41:                             ;   in Loop: Header=BB159_12 Depth=1
	s_lshl_b32 s6, s89, 7
	s_and_saveexec_b32 s7, s0
	s_cbranch_execz .LBB159_43
.LBB159_42:                             ;   in Loop: Header=BB159_12 Depth=1
	v_lshl_add_u32 v3, s6, 3, v36
	ds_write_b128 v3, v[8:11]
	ds_write_b128 v3, v[12:15] offset:16
.LBB159_43:                             ;   in Loop: Header=BB159_12 Depth=1
	s_or_b32 exec_lo, exec_lo, s7
	s_waitcnt lgkmcnt(0)
	s_barrier
	buffer_gl0_inv
	s_and_saveexec_b32 s7, s76
	s_cbranch_execz .LBB159_77
; %bb.44:                               ;   in Loop: Header=BB159_12 Depth=1
	v_mov_b32_e32 v3, 0
	v_mov_b32_e32 v4, 0
	s_andn2_b32 vcc_lo, exec_lo, s79
	s_cbranch_vccnz .LBB159_76
; %bb.45:                               ;   in Loop: Header=BB159_12 Depth=1
	v_mov_b32_e32 v3, 0
	v_mov_b32_e32 v4, 0
	s_andn2_b32 vcc_lo, exec_lo, s84
	s_cbranch_vccnz .LBB159_73
; %bb.46:                               ;   in Loop: Header=BB159_12 Depth=1
	v_lshl_add_u32 v5, s89, 10, v38
	s_mov_b32 s9, 0
	s_inst_prefetch 0x1
	.p2align	6
.LBB159_47:                             ;   Parent Loop BB159_12 Depth=1
                                        ; =>  This Inner Loop Header: Depth=2
	ds_read2_b64 v[8:11], v5 offset1:4
	ds_read2_b64 v[12:15], v5 offset0:8 offset1:12
	ds_read2_b64 v[28:31], v5 offset0:16 offset1:20
	s_add_i32 s9, s9, 8
	s_cmp_eq_u32 s78, s9
	s_waitcnt lgkmcnt(2)
	v_add_co_u32 v3, vcc_lo, v8, v3
	v_add_co_ci_u32_e64 v4, null, v9, v4, vcc_lo
	v_add_co_u32 v3, vcc_lo, v10, v3
	v_add_co_ci_u32_e64 v4, null, v11, v4, vcc_lo
	ds_read2_b64 v[8:11], v5 offset0:24 offset1:28
	s_waitcnt lgkmcnt(2)
	v_add_co_u32 v3, vcc_lo, v12, v3
	v_add_co_ci_u32_e64 v4, null, v13, v4, vcc_lo
	v_add_nc_u32_e32 v5, 0x100, v5
	v_add_co_u32 v3, vcc_lo, v14, v3
	v_add_co_ci_u32_e64 v4, null, v15, v4, vcc_lo
	s_waitcnt lgkmcnt(1)
	v_add_co_u32 v3, vcc_lo, v28, v3
	v_add_co_ci_u32_e64 v4, null, v29, v4, vcc_lo
	v_add_co_u32 v3, vcc_lo, v30, v3
	v_add_co_ci_u32_e64 v4, null, v31, v4, vcc_lo
	s_waitcnt lgkmcnt(0)
	v_add_co_u32 v3, vcc_lo, v8, v3
	v_add_co_ci_u32_e64 v4, null, v9, v4, vcc_lo
	v_add_co_u32 v3, vcc_lo, v10, v3
	v_add_co_ci_u32_e64 v4, null, v11, v4, vcc_lo
	s_cbranch_scc0 .LBB159_47
; %bb.48:                               ;   in Loop: Header=BB159_12 Depth=1
	s_inst_prefetch 0x2
	s_mov_b32 s9, s78
	s_andn2_b32 vcc_lo, exec_lo, s85
	s_cbranch_vccz .LBB159_74
	s_branch .LBB159_76
.LBB159_49:                             ;   in Loop: Header=BB159_12 Depth=1
	global_load_ushort v5, v19, s[60:61]
	s_mov_b32 s7, s37
	s_waitcnt vmcnt(0)
	v_readfirstlane_b32 s6, v5
	s_and_b32 s9, 0xffff, s6
	s_mov_b32 s6, s27
	s_lshl_b32 s58, s9, 2
	s_cmp_lg_u64 s[6:7], 0
	s_cbranch_scc0 .LBB159_72
; %bb.50:                               ;   in Loop: Header=BB159_12 Depth=1
	v_cvt_f32_u32_e32 v3, s58
	s_sub_u32 s9, 0, s58
	s_subb_u32 s10, 0, 0
	v_fmac_f32_e64 v3, 0x4f800000, 0
	v_rcp_f32_e32 v3, v3
	v_mul_f32_e32 v3, 0x5f7ffffc, v3
	v_mul_f32_e32 v4, 0x2f800000, v3
	v_trunc_f32_e32 v4, v4
	v_fmac_f32_e32 v3, 0xcf800000, v4
	v_cvt_u32_f32_e32 v4, v4
	v_cvt_u32_f32_e32 v3, v3
	v_readfirstlane_b32 s6, v4
	v_readfirstlane_b32 s7, v3
	s_mul_i32 s11, s9, s6
	s_mul_hi_u32 s13, s9, s7
	s_mul_i32 s12, s10, s7
	s_add_i32 s11, s13, s11
	s_mul_i32 s14, s9, s7
	s_add_i32 s11, s11, s12
	s_mul_hi_u32 s13, s7, s14
	s_mul_i32 s16, s7, s11
	s_mul_hi_u32 s15, s6, s14
	s_mul_i32 s12, s6, s14
	s_mul_hi_u32 s14, s7, s11
	s_add_u32 s13, s13, s16
	s_addc_u32 s14, 0, s14
	s_mul_hi_u32 s17, s6, s11
	s_add_u32 s12, s13, s12
	s_mul_i32 s11, s6, s11
	s_addc_u32 s12, s14, s15
	s_addc_u32 s13, s17, 0
	s_add_u32 s11, s12, s11
	s_addc_u32 s12, 0, s13
	s_add_u32 s7, s7, s11
	s_cselect_b32 s11, -1, 0
	s_mul_hi_u32 s13, s9, s7
	s_cmp_lg_u32 s11, 0
	s_mul_i32 s11, s9, s7
	s_addc_u32 s6, s6, s12
	s_mul_i32 s10, s10, s7
	s_mul_i32 s9, s9, s6
	s_mul_hi_u32 s12, s7, s11
	s_add_i32 s9, s13, s9
	s_mul_hi_u32 s13, s6, s11
	s_add_i32 s9, s9, s10
	s_mul_i32 s10, s6, s11
	s_mul_i32 s15, s7, s9
	s_mul_hi_u32 s14, s7, s9
	s_add_u32 s12, s12, s15
	s_addc_u32 s14, 0, s14
	s_mul_hi_u32 s11, s6, s9
	s_add_u32 s10, s12, s10
	s_mul_i32 s9, s6, s9
	s_addc_u32 s10, s14, s13
	s_addc_u32 s11, s11, 0
	s_add_u32 s9, s10, s9
	s_addc_u32 s10, 0, s11
	s_add_u32 s7, s7, s9
	s_cselect_b32 s9, -1, 0
	s_mul_hi_u32 s11, s36, s7
	s_cmp_lg_u32 s9, 0
	s_mul_hi_u32 s9, s37, s7
	s_addc_u32 s6, s6, s10
	s_mul_i32 s7, s37, s7
	s_mul_i32 s12, s36, s6
	s_mul_hi_u32 s10, s36, s6
	s_add_u32 s11, s11, s12
	s_addc_u32 s10, 0, s10
	s_mul_hi_u32 s13, s37, s6
	s_add_u32 s7, s11, s7
	s_mul_i32 s6, s37, s6
	s_addc_u32 s7, s10, s9
	s_addc_u32 s9, s13, 0
	s_add_u32 s6, s7, s6
	s_addc_u32 s7, 0, s9
	s_mul_hi_u32 s9, s58, s6
	s_mul_i32 s7, s58, s7
	s_mul_i32 s6, s58, s6
	s_add_i32 s9, s9, s7
	s_sub_u32 s6, s36, s6
	s_cselect_b32 s7, -1, 0
	s_cmp_lg_u32 s7, 0
	s_subb_u32 s7, s37, s9
	s_sub_u32 s9, s6, s58
	s_cselect_b32 s10, -1, 0
	s_cmp_lg_u32 s10, 0
	s_subb_u32 s10, s7, 0
	;; [unrolled: 4-line block ×3, first 2 shown]
	s_cmp_ge_u32 s9, s58
	s_cselect_b32 s13, -1, 0
	s_cmp_eq_u32 s10, 0
	s_cselect_b32 s13, s13, -1
	s_cmp_lg_u32 s13, 0
	s_cselect_b32 s10, s12, s10
	s_cselect_b32 s9, s11, s9
	s_cmp_ge_u32 s6, s58
	s_cselect_b32 s11, -1, 0
	s_cmp_eq_u32 s7, 0
	s_cselect_b32 s11, s11, -1
	s_cmp_lg_u32 s11, 0
	s_cselect_b32 s7, s10, s7
	s_cselect_b32 s6, s9, s6
	s_cbranch_execnz .LBB159_52
.LBB159_51:                             ;   in Loop: Header=BB159_12 Depth=1
	v_cvt_f32_u32_e32 v3, s58
	s_sub_i32 s7, 0, s58
	v_rcp_iflag_f32_e32 v3, v3
	v_mul_f32_e32 v3, 0x4f7ffffe, v3
	v_cvt_u32_f32_e32 v3, v3
	v_readfirstlane_b32 s6, v3
	s_mul_i32 s7, s7, s6
	s_mul_hi_u32 s7, s6, s7
	s_add_i32 s6, s6, s7
	s_mul_hi_u32 s6, s36, s6
	s_mul_i32 s6, s6, s58
	s_sub_i32 s6, s36, s6
	s_sub_i32 s7, s6, s58
	s_cmp_ge_u32 s6, s58
	s_cselect_b32 s6, s7, s6
	s_sub_i32 s7, s6, s58
	s_cmp_ge_u32 s6, s58
	s_cselect_b32 s26, s7, s6
	s_mov_b64 s[6:7], s[26:27]
.LBB159_52:                             ;   in Loop: Header=BB159_12 Depth=1
	v_mov_b32_e32 v8, 0
	v_mov_b32_e32 v10, 0
	;; [unrolled: 1-line block ×8, first 2 shown]
	s_sub_u32 s64, s36, s6
	s_subb_u32 s65, s37, s7
	s_mov_b32 s44, exec_lo
	v_cmpx_gt_u64_e64 s[64:65], v[20:21]
	s_cbranch_execz .LBB159_56
; %bb.53:                               ;   in Loop: Header=BB159_12 Depth=1
	v_mov_b32_e32 v3, v20
	v_mov_b32_e32 v4, v21
	s_mov_b64 s[66:67], 0
	s_mov_b32 s45, 0
	s_mov_b64 s[68:69], 0
	s_mov_b64 s[70:71], 0
	s_mov_b64 s[72:73], 0
.LBB159_54:                             ;   Parent Loop BB159_12 Depth=1
                                        ; =>  This Inner Loop Header: Depth=2
	v_mul_lo_u32 v10, v4, s30
	v_mul_lo_u32 v11, v3, s31
	v_mad_u64_u32 v[8:9], null, v3, s30, 0
	s_lshl_b64 s[6:7], s[30:31], 3
	v_mov_b32_e32 v29, v19
	v_mov_b32_e32 v31, v19
	;; [unrolled: 1-line block ×3, first 2 shown]
	v_add3_u32 v9, v9, v11, v10
	v_lshlrev_b64 v[8:9], 3, v[8:9]
	v_add_co_u32 v8, vcc_lo, s33, v8
	v_add_co_ci_u32_e64 v9, null, s35, v9, vcc_lo
	v_add_co_u32 v10, vcc_lo, v8, s6
	v_add_co_ci_u32_e64 v11, null, s7, v9, vcc_lo
	global_load_dwordx2 v[8:9], v[8:9], off
	v_add_co_u32 v12, vcc_lo, v10, s6
	v_add_co_ci_u32_e64 v13, null, s7, v11, vcc_lo
	s_clause 0x1
	global_load_dwordx2 v[10:11], v[10:11], off
	global_load_dwordx2 v[14:15], v[12:13], off
	v_add_co_u32 v12, vcc_lo, v12, s6
	v_add_co_ci_u32_e64 v13, null, s7, v13, vcc_lo
	v_add_co_u32 v3, vcc_lo, v3, s58
	v_add_co_ci_u32_e64 v4, null, 0, v4, vcc_lo
	global_load_dwordx2 v[12:13], v[12:13], off
	v_cmp_le_u64_e32 vcc_lo, s[64:65], v[3:4]
	s_waitcnt vmcnt(3)
	v_xor_b32_e32 v9, 0x80000000, v9
	v_and_b32_e32 v41, v8, v24
	v_and_b32_e32 v42, v9, v25
	s_waitcnt vmcnt(2)
	v_xor_b32_e32 v11, 0x80000000, v11
	s_waitcnt vmcnt(1)
	v_xor_b32_e32 v15, 0x80000000, v15
	v_lshrrev_b64 v[8:9], s93, v[8:9]
	v_and_b32_e32 v43, v10, v24
	v_cmp_eq_u64_e64 s6, v[41:42], v[22:23]
	v_lshrrev_b64 v[41:42], s93, v[10:11]
	v_and_b32_e32 v9, v14, v24
	v_and_b32_e32 v10, v15, v25
	;; [unrolled: 1-line block ×4, first 2 shown]
	s_waitcnt vmcnt(0)
	v_xor_b32_e32 v13, 0x80000000, v13
	v_lshrrev_b64 v[14:15], s93, v[14:15]
	v_and_b32_e32 v28, 3, v41
	v_cmp_eq_u64_e64 s13, v[9:10], v[22:23]
	v_cmp_eq_u64_e64 s7, v[43:44], v[22:23]
	v_lshrrev_b64 v[10:11], s93, v[12:13]
	v_cmp_eq_u64_e64 s9, 0, v[18:19]
	v_cmp_eq_u64_e64 s14, 0, v[28:29]
	v_and_b32_e32 v30, 3, v14
	v_and_b32_e32 v8, v12, v24
	;; [unrolled: 1-line block ×4, first 2 shown]
	s_and_b32 s9, s6, s9
	v_cmp_eq_u64_e64 s18, 0, v[30:31]
	s_and_b32 s14, s7, s14
	v_cndmask_b32_e64 v11, 0, 1, s9
	v_cmp_eq_u64_e64 s9, v[8:9], v[22:23]
	v_cndmask_b32_e64 v8, 0, 1, s14
	v_cmp_eq_u64_e64 s14, 0, v[39:40]
	s_and_b32 s18, s13, s18
	v_cmp_ne_u32_e64 s22, 0, v11
	v_cmp_eq_u64_e64 s10, 1, v[18:19]
	v_cmp_ne_u32_e64 s26, 0, v8
	v_cndmask_b32_e64 v8, 0, 1, s18
	s_and_b32 s14, s9, s14
	s_bcnt1_i32_b32 s18, s22
	v_cndmask_b32_e64 v9, 0, 1, s14
	s_bcnt1_i32_b32 s22, s26
	v_cmp_ne_u32_e64 s14, 0, v8
	s_add_i32 s22, s22, s18
	v_cmp_eq_u64_e64 s15, 1, v[28:29]
	v_cmp_ne_u32_e64 s18, 0, v9
	v_cmp_eq_u64_e64 s19, 1, v[30:31]
	s_bcnt1_i32_b32 s14, s14
	v_cmp_eq_u64_e64 s23, 1, v[39:40]
	s_add_i32 s14, s22, s14
	s_bcnt1_i32_b32 s18, s18
	v_cmp_eq_u64_e64 s11, 2, v[18:19]
	s_add_i32 s14, s14, s18
	v_cmp_eq_u64_e64 s16, 2, v[28:29]
	s_add_u32 s72, s72, s14
	s_addc_u32 s73, s73, 0
	s_and_b32 s10, s6, s10
	v_cmp_eq_u64_e64 s20, 2, v[30:31]
	v_cndmask_b32_e64 v8, 0, 1, s10
	s_and_b32 s10, s7, s15
	v_cmp_eq_u64_e64 s24, 2, v[39:40]
	v_cndmask_b32_e64 v9, 0, 1, s10
	;; [unrolled: 3-line block ×3, first 2 shown]
	s_and_b32 s10, s9, s23
	v_cmp_ne_u32_e64 s14, 0, v9
	v_cndmask_b32_e64 v11, 0, 1, s10
	v_cmp_ne_u32_e64 s10, 0, v8
	v_cmp_ne_u32_e64 s15, 0, v10
	v_cmp_eq_u64_e64 s17, 3, v[28:29]
	s_bcnt1_i32_b32 s14, s14
	v_cmp_ne_u32_e64 s18, 0, v11
	s_bcnt1_i32_b32 s10, s10
	s_bcnt1_i32_b32 s15, s15
	s_add_i32 s10, s14, s10
	v_cmp_eq_u64_e64 s21, 3, v[30:31]
	s_bcnt1_i32_b32 s18, s18
	s_add_i32 s10, s10, s15
	v_cmp_eq_u64_e64 s25, 3, v[39:40]
	s_add_i32 s10, s10, s18
	s_add_u32 s70, s70, s10
	s_addc_u32 s71, s71, 0
	s_and_b32 s10, s6, s11
	v_cndmask_b32_e64 v8, 0, 1, s10
	s_and_b32 s10, s7, s16
	v_cndmask_b32_e64 v9, 0, 1, s10
	;; [unrolled: 2-line block ×3, first 2 shown]
	s_and_b32 s10, s9, s24
	v_cmp_ne_u32_e64 s11, 0, v9
	v_cndmask_b32_e64 v11, 0, 1, s10
	v_cmp_ne_u32_e64 s10, 0, v8
	v_cmp_ne_u32_e64 s14, 0, v10
	s_bcnt1_i32_b32 s11, s11
	v_cmp_ne_u32_e64 s15, 0, v11
	s_bcnt1_i32_b32 s10, s10
	s_bcnt1_i32_b32 s14, s14
	s_add_i32 s10, s11, s10
	s_bcnt1_i32_b32 s15, s15
	s_add_i32 s10, s10, s14
	s_add_i32 s10, s10, s15
	s_add_u32 s68, s68, s10
	s_addc_u32 s69, s69, 0
	s_and_b32 s6, s6, s12
	v_mov_b32_e32 v12, s68
	v_cndmask_b32_e64 v8, 0, 1, s6
	s_and_b32 s6, s7, s17
	v_mov_b32_e32 v13, s69
	v_cndmask_b32_e64 v9, 0, 1, s6
	s_and_b32 s6, s13, s21
	v_cndmask_b32_e64 v10, 0, 1, s6
	s_and_b32 s6, s9, s25
	v_cmp_ne_u32_e64 s7, 0, v9
	v_cndmask_b32_e64 v11, 0, 1, s6
	v_cmp_ne_u32_e64 s6, 0, v8
	v_cmp_ne_u32_e64 s9, 0, v10
	v_mov_b32_e32 v8, s72
	s_bcnt1_i32_b32 s7, s7
	v_cmp_ne_u32_e64 s10, 0, v11
	s_bcnt1_i32_b32 s6, s6
	s_bcnt1_i32_b32 s9, s9
	s_add_i32 s6, s7, s6
	v_mov_b32_e32 v10, s70
	s_bcnt1_i32_b32 s7, s10
	s_add_i32 s6, s6, s9
	v_mov_b32_e32 v9, s73
	s_add_i32 s6, s6, s7
	v_mov_b32_e32 v11, s71
	s_add_u32 s66, s66, s6
	s_addc_u32 s67, s67, 0
	v_mov_b32_e32 v14, s66
	v_mov_b32_e32 v15, s67
	s_or_b32 s45, vcc_lo, s45
	s_andn2_b32 exec_lo, exec_lo, s45
	s_cbranch_execnz .LBB159_54
; %bb.55:                               ;   in Loop: Header=BB159_12 Depth=1
	s_or_b32 exec_lo, exec_lo, s45
.LBB159_56:                             ;   in Loop: Header=BB159_12 Depth=1
	s_or_b32 exec_lo, exec_lo, s44
	v_add_co_u32 v3, s6, s64, v0
	v_and_b32_e32 v5, 0xffff, v5
	v_add_co_ci_u32_e64 v4, null, s65, 0, s6
	s_mov_b32 s11, exec_lo
	v_cmpx_gt_u64_e64 s[36:37], v[3:4]
	s_cbranch_execz .LBB159_62
; %bb.57:                               ;   in Loop: Header=BB159_12 Depth=1
	v_mul_lo_u32 v18, v4, s30
	v_mul_lo_u32 v30, v3, s31
	v_mad_u64_u32 v[28:29], null, v3, s30, 0
	s_mov_b32 s12, 0
	v_add3_u32 v29, v29, v30, v18
	v_lshlrev_b64 v[28:29], 3, v[28:29]
	v_add_co_u32 v28, vcc_lo, s33, v28
	v_add_co_ci_u32_e64 v29, null, s35, v29, vcc_lo
	global_load_dwordx2 v[30:31], v[28:29], off
	s_branch .LBB159_59
.LBB159_58:                             ;   in Loop: Header=BB159_59 Depth=2
	s_or_b32 exec_lo, exec_lo, s7
	s_waitcnt vmcnt(0)
	v_xor_b32_e32 v31, 0x80000000, v31
	s_and_b32 s9, exec_lo, vcc_lo
	s_or_b32 s12, s9, s12
	v_lshrrev_b64 v[39:40], s93, v[30:31]
	v_and_b32_e32 v30, v30, v24
	v_and_b32_e32 v31, v31, v25
	;; [unrolled: 1-line block ×3, first 2 shown]
	v_cmp_eq_u64_e64 s6, v[30:31], v[22:23]
	v_cmp_eq_u64_e64 s7, 0, v[18:19]
	v_cmp_eq_u64_e32 vcc_lo, 1, v[18:19]
	v_cmp_eq_u64_e64 s9, 2, v[18:19]
	v_cmp_eq_u64_e64 s10, 3, v[18:19]
	s_and_b32 s7, s6, s7
	v_cndmask_b32_e64 v18, 0, 1, s7
	s_and_b32 s7, s6, vcc_lo
	v_cndmask_b32_e64 v30, 0, 1, s7
	s_and_b32 s7, s6, s9
	s_and_b32 s6, s6, s10
	v_cndmask_b32_e64 v31, 0, 1, s7
	v_cmp_ne_u32_e32 vcc_lo, 0, v18
	v_cndmask_b32_e64 v39, 0, 1, s6
	v_cmp_ne_u32_e64 s6, 0, v30
	v_cmp_ne_u32_e64 s7, 0, v31
	s_bcnt1_i32_b32 s10, vcc_lo
	v_cmp_ne_u32_e64 s9, 0, v39
	s_bcnt1_i32_b32 s6, s6
	v_add_co_u32 v8, vcc_lo, v8, s10
	s_bcnt1_i32_b32 s7, s7
	v_add_co_ci_u32_e64 v9, null, 0, v9, vcc_lo
	v_add_co_u32 v10, vcc_lo, v10, s6
	v_add_co_ci_u32_e64 v11, null, 0, v11, vcc_lo
	v_add_co_u32 v12, vcc_lo, v12, s7
	s_bcnt1_i32_b32 s6, s9
	v_add_co_ci_u32_e64 v13, null, 0, v13, vcc_lo
	v_add_co_u32 v14, vcc_lo, v14, s6
	v_mov_b32_e32 v31, v29
	v_add_co_ci_u32_e64 v15, null, 0, v15, vcc_lo
	v_mov_b32_e32 v30, v28
	s_andn2_b32 exec_lo, exec_lo, s12
	s_cbranch_execz .LBB159_61
.LBB159_59:                             ;   Parent Loop BB159_12 Depth=1
                                        ; =>  This Inner Loop Header: Depth=2
	v_add_co_u32 v3, vcc_lo, v3, v5
	v_mov_b32_e32 v28, 0
	v_add_co_ci_u32_e64 v4, null, 0, v4, vcc_lo
	v_mov_b32_e32 v29, 0
	s_mov_b32 s7, exec_lo
	v_cmp_le_u64_e32 vcc_lo, s[36:37], v[3:4]
	v_cmpx_gt_u64_e64 s[36:37], v[3:4]
	s_cbranch_execz .LBB159_58
; %bb.60:                               ;   in Loop: Header=BB159_59 Depth=2
	v_mul_lo_u32 v18, v4, s30
	v_mul_lo_u32 v39, v3, s31
	v_mad_u64_u32 v[28:29], null, v3, s30, 0
	v_add3_u32 v29, v29, v39, v18
	v_lshlrev_b64 v[28:29], 3, v[28:29]
	v_add_co_u32 v28, s6, s33, v28
	v_add_co_ci_u32_e64 v29, null, s35, v29, s6
	global_load_dwordx2 v[28:29], v[28:29], off
	s_branch .LBB159_58
.LBB159_61:                             ;   in Loop: Header=BB159_12 Depth=1
	s_or_b32 exec_lo, exec_lo, s12
.LBB159_62:                             ;   in Loop: Header=BB159_12 Depth=1
	s_or_b32 exec_lo, exec_lo, s11
	s_branch .LBB159_41
.LBB159_63:                             ;   in Loop: Header=BB159_12 Depth=1
	global_load_ushort v5, v19, s[60:61]
	v_mov_b32_e32 v8, 0
	v_mov_b32_e32 v10, 0
	;; [unrolled: 1-line block ×8, first 2 shown]
	s_mov_b32 s46, exec_lo
	s_waitcnt vmcnt(0)
	v_readfirstlane_b32 s6, v5
	s_and_b32 s44, 0xffff, s6
	s_lshl_b32 s45, s44, 2
	v_cvt_f32_u32_e32 v3, s45
	s_sub_i32 s7, 0, s45
	v_rcp_iflag_f32_e32 v3, v3
	v_mul_f32_e32 v3, 0x4f7ffffe, v3
	v_cvt_u32_f32_e32 v3, v3
	v_readfirstlane_b32 s6, v3
	s_mul_i32 s7, s7, s6
	s_mul_hi_u32 s7, s6, s7
	s_add_i32 s6, s6, s7
	s_mul_hi_u32 s6, s62, s6
	s_mul_i32 s7, s6, s45
	s_add_i32 s9, s6, 1
	s_sub_i32 s7, s62, s7
	s_sub_i32 s10, s7, s45
	s_cmp_ge_u32 s7, s45
	s_cselect_b32 s6, s9, s6
	s_cselect_b32 s7, s10, s7
	s_add_i32 s9, s6, 1
	s_cmp_ge_u32 s7, s45
	s_cselect_b32 s6, s9, s6
	s_mul_hi_u32 s65, s44, s6
	s_mul_i32 s64, s44, s6
	s_lshl_b64 s[66:67], s[64:65], 2
	v_cmpx_gt_u64_e64 s[66:67], v[20:21]
	s_cbranch_execz .LBB159_67
; %bb.64:                               ;   in Loop: Header=BB159_12 Depth=1
	v_mov_b32_e32 v3, v20
	v_mov_b32_e32 v28, v37
	;; [unrolled: 1-line block ×3, first 2 shown]
	s_lshl_b32 s47, s44, 5
	s_mov_b64 s[68:69], 0
	s_mov_b32 s58, 0
	s_mov_b64 s[70:71], 0
	s_mov_b64 s[72:73], 0
	;; [unrolled: 1-line block ×3, first 2 shown]
.LBB159_65:                             ;   Parent Loop BB159_12 Depth=1
                                        ; =>  This Inner Loop Header: Depth=2
	ds_read_b128 v[8:11], v28
	ds_read_b128 v[12:15], v28 offset:16
	v_mov_b32_e32 v30, v19
	v_mov_b32_e32 v40, v19
	;; [unrolled: 1-line block ×3, first 2 shown]
	v_add_co_u32 v3, vcc_lo, v3, s45
	v_add_co_ci_u32_e64 v4, null, 0, v4, vcc_lo
	v_add_nc_u32_e32 v28, s47, v28
	v_cmp_le_u64_e32 vcc_lo, s[66:67], v[3:4]
	s_waitcnt lgkmcnt(1)
	v_xor_b32_e32 v9, 0x80000000, v9
	v_xor_b32_e32 v11, 0x80000000, v11
	s_waitcnt lgkmcnt(0)
	v_xor_b32_e32 v13, 0x80000000, v13
	v_and_b32_e32 v43, v8, v24
	v_xor_b32_e32 v15, 0x80000000, v15
	v_and_b32_e32 v44, v9, v25
	v_lshrrev_b64 v[8:9], s93, v[8:9]
	v_and_b32_e32 v45, v10, v24
	v_lshrrev_b64 v[9:10], s93, v[10:11]
	v_and_b32_e32 v46, v11, v25
	v_lshrrev_b64 v[10:11], s93, v[12:13]
	v_and_b32_e32 v47, v12, v24
	v_lshrrev_b64 v[11:12], s93, v[14:15]
	v_and_b32_e32 v18, 3, v8
	v_and_b32_e32 v29, 3, v9
	;; [unrolled: 1-line block ×4, first 2 shown]
	v_cmp_eq_u64_e64 s6, v[43:44], v[22:23]
	v_cmp_eq_u64_e64 s11, 0, v[18:19]
	v_and_b32_e32 v49, v14, v24
	v_and_b32_e32 v50, v15, v25
	;; [unrolled: 1-line block ×3, first 2 shown]
	v_cmp_eq_u64_e64 s7, v[45:46], v[22:23]
	v_cmp_eq_u64_e64 s12, 0, v[29:30]
	;; [unrolled: 1-line block ×6, first 2 shown]
	s_and_b32 s11, s6, s11
	v_cmp_eq_u64_e64 s15, 1, v[18:19]
	v_cndmask_b32_e64 v8, 0, 1, s11
	s_and_b32 s11, s7, s12
	v_cmp_eq_u64_e64 s16, 1, v[29:30]
	v_cndmask_b32_e64 v9, 0, 1, s11
	;; [unrolled: 3-line block ×3, first 2 shown]
	s_and_b32 s11, s10, s14
	v_cmp_ne_u32_e64 s12, 0, v9
	v_cndmask_b32_e64 v11, 0, 1, s11
	v_cmp_ne_u32_e64 s11, 0, v8
	v_cmp_ne_u32_e64 s13, 0, v10
	v_cmp_eq_u64_e64 s18, 1, v[41:42]
	s_bcnt1_i32_b32 s12, s12
	v_cmp_ne_u32_e64 s14, 0, v11
	s_bcnt1_i32_b32 s11, s11
	s_bcnt1_i32_b32 s13, s13
	s_add_i32 s11, s12, s11
	v_cmp_eq_u64_e64 s19, 2, v[18:19]
	s_bcnt1_i32_b32 s14, s14
	s_add_i32 s11, s11, s13
	v_cmp_eq_u64_e64 s20, 2, v[29:30]
	s_add_i32 s11, s11, s14
	v_cmp_eq_u64_e64 s21, 2, v[39:40]
	s_add_u32 s74, s74, s11
	s_addc_u32 s75, s75, 0
	s_and_b32 s11, s6, s15
	v_cmp_eq_u64_e64 s22, 2, v[41:42]
	v_cndmask_b32_e64 v8, 0, 1, s11
	s_and_b32 s11, s7, s16
	v_cmp_eq_u64_e64 s23, 3, v[18:19]
	v_cndmask_b32_e64 v9, 0, 1, s11
	;; [unrolled: 3-line block ×3, first 2 shown]
	s_and_b32 s11, s10, s18
	v_cmp_ne_u32_e64 s12, 0, v9
	v_cndmask_b32_e64 v11, 0, 1, s11
	v_cmp_ne_u32_e64 s11, 0, v8
	v_cmp_ne_u32_e64 s13, 0, v10
	v_cmp_eq_u64_e64 s25, 3, v[39:40]
	s_bcnt1_i32_b32 s12, s12
	v_cmp_ne_u32_e64 s14, 0, v11
	s_bcnt1_i32_b32 s11, s11
	s_bcnt1_i32_b32 s13, s13
	s_add_i32 s11, s12, s11
	v_cmp_eq_u64_e64 s26, 3, v[41:42]
	s_bcnt1_i32_b32 s14, s14
	s_add_i32 s11, s11, s13
	s_add_i32 s11, s11, s14
	s_add_u32 s72, s72, s11
	s_addc_u32 s73, s73, 0
	s_and_b32 s11, s6, s19
	v_cndmask_b32_e64 v8, 0, 1, s11
	s_and_b32 s11, s7, s20
	v_cndmask_b32_e64 v9, 0, 1, s11
	;; [unrolled: 2-line block ×3, first 2 shown]
	s_and_b32 s11, s10, s22
	v_cmp_ne_u32_e64 s12, 0, v9
	v_cndmask_b32_e64 v11, 0, 1, s11
	v_cmp_ne_u32_e64 s11, 0, v8
	v_cmp_ne_u32_e64 s13, 0, v10
	s_bcnt1_i32_b32 s12, s12
	v_cmp_ne_u32_e64 s14, 0, v11
	s_bcnt1_i32_b32 s11, s11
	s_bcnt1_i32_b32 s13, s13
	s_add_i32 s11, s12, s11
	s_bcnt1_i32_b32 s14, s14
	s_add_i32 s11, s11, s13
	s_add_i32 s11, s11, s14
	s_add_u32 s70, s70, s11
	s_addc_u32 s71, s71, 0
	s_and_b32 s6, s6, s23
	v_mov_b32_e32 v12, s70
	v_cndmask_b32_e64 v8, 0, 1, s6
	s_and_b32 s6, s7, s24
	v_mov_b32_e32 v13, s71
	v_cndmask_b32_e64 v9, 0, 1, s6
	s_and_b32 s6, s9, s25
	v_cndmask_b32_e64 v10, 0, 1, s6
	s_and_b32 s6, s10, s26
	v_cmp_ne_u32_e64 s7, 0, v9
	v_cndmask_b32_e64 v11, 0, 1, s6
	v_cmp_ne_u32_e64 s6, 0, v8
	v_cmp_ne_u32_e64 s9, 0, v10
	v_mov_b32_e32 v8, s74
	s_bcnt1_i32_b32 s7, s7
	v_cmp_ne_u32_e64 s10, 0, v11
	s_bcnt1_i32_b32 s6, s6
	s_bcnt1_i32_b32 s9, s9
	s_add_i32 s6, s7, s6
	v_mov_b32_e32 v10, s72
	s_bcnt1_i32_b32 s7, s10
	s_add_i32 s6, s6, s9
	v_mov_b32_e32 v9, s75
	s_add_i32 s6, s6, s7
	v_mov_b32_e32 v11, s73
	s_add_u32 s68, s68, s6
	s_addc_u32 s69, s69, 0
	v_mov_b32_e32 v14, s68
	v_mov_b32_e32 v15, s69
	s_or_b32 s58, vcc_lo, s58
	s_andn2_b32 exec_lo, exec_lo, s58
	s_cbranch_execnz .LBB159_65
; %bb.66:                               ;   in Loop: Header=BB159_12 Depth=1
	s_or_b32 exec_lo, exec_lo, s58
.LBB159_67:                             ;   in Loop: Header=BB159_12 Depth=1
	s_or_b32 exec_lo, exec_lo, s46
	v_add_co_u32 v3, s6, s66, v0
	v_and_b32_e32 v5, 0xffff, v5
	v_add_co_ci_u32_e64 v4, null, s67, 0, s6
	s_and_b32 s26, s62, 0x7fffffff
	s_mov_b32 s12, exec_lo
	v_cmpx_gt_u64_e64 s[26:27], v[3:4]
	s_cbranch_execz .LBB159_71
; %bb.68:                               ;   in Loop: Header=BB159_12 Depth=1
	v_lshl_add_u32 v28, s64, 5, v34
	s_lshl_b32 s14, s44, 3
	s_mov_b32 s13, 0
.LBB159_69:                             ;   Parent Loop BB159_12 Depth=1
                                        ; =>  This Inner Loop Header: Depth=2
	ds_read_b64 v[29:30], v28
	v_add_co_u32 v3, vcc_lo, v3, v5
	v_add_co_ci_u32_e64 v4, null, 0, v4, vcc_lo
	v_add_nc_u32_e32 v28, s14, v28
	v_cmp_le_u64_e32 vcc_lo, s[26:27], v[3:4]
	s_waitcnt lgkmcnt(0)
	v_xor_b32_e32 v30, 0x80000000, v30
	v_and_b32_e32 v39, v29, v24
	v_and_b32_e32 v40, v30, v25
	v_lshrrev_b64 v[29:30], s93, v[29:30]
	v_cmp_eq_u64_e64 s6, v[39:40], v[22:23]
	v_and_b32_e32 v18, 3, v29
	v_cmp_eq_u64_e64 s7, 0, v[18:19]
	v_cmp_eq_u64_e64 s9, 1, v[18:19]
	v_cmp_eq_u64_e64 s10, 2, v[18:19]
	v_cmp_eq_u64_e64 s11, 3, v[18:19]
	s_and_b32 s7, s6, s7
	v_cndmask_b32_e64 v18, 0, 1, s7
	s_and_b32 s7, s6, s9
	v_cndmask_b32_e64 v29, 0, 1, s7
	s_and_b32 s7, s6, s10
	s_and_b32 s6, s6, s11
	v_cndmask_b32_e64 v30, 0, 1, s7
	v_cndmask_b32_e64 v31, 0, 1, s6
	v_cmp_ne_u32_e64 s6, 0, v18
	v_cmp_ne_u32_e64 s7, 0, v29
	;; [unrolled: 1-line block ×4, first 2 shown]
	s_bcnt1_i32_b32 s6, s6
	s_bcnt1_i32_b32 s7, s7
	v_add_co_u32 v8, s6, v8, s6
	s_bcnt1_i32_b32 s9, s9
	v_add_co_ci_u32_e64 v9, null, 0, v9, s6
	v_add_co_u32 v10, s6, v10, s7
	s_bcnt1_i32_b32 s10, s10
	v_add_co_ci_u32_e64 v11, null, 0, v11, s6
	v_add_co_u32 v12, s6, v12, s9
	v_add_co_ci_u32_e64 v13, null, 0, v13, s6
	v_add_co_u32 v14, s6, v14, s10
	v_add_co_ci_u32_e64 v15, null, 0, v15, s6
	s_or_b32 s13, vcc_lo, s13
	s_andn2_b32 exec_lo, exec_lo, s13
	s_cbranch_execnz .LBB159_69
; %bb.70:                               ;   in Loop: Header=BB159_12 Depth=1
	s_or_b32 exec_lo, exec_lo, s13
.LBB159_71:                             ;   in Loop: Header=BB159_12 Depth=1
	s_or_b32 exec_lo, exec_lo, s12
	s_lshl_b32 s6, s89, 7
	s_and_saveexec_b32 s7, s0
	s_cbranch_execnz .LBB159_42
	s_branch .LBB159_43
.LBB159_72:                             ;   in Loop: Header=BB159_12 Depth=1
                                        ; implicit-def: $sgpr6_sgpr7
	s_branch .LBB159_51
.LBB159_73:                             ;   in Loop: Header=BB159_12 Depth=1
	s_mov_b32 s9, 0
	s_andn2_b32 vcc_lo, exec_lo, s85
	s_cbranch_vccnz .LBB159_76
.LBB159_74:                             ;   in Loop: Header=BB159_12 Depth=1
	s_lshl_b32 s10, s89, 10
	s_lshl_b32 s9, s9, 5
	v_add3_u32 v5, s10, s9, v38
	s_mov_b32 s9, s83
.LBB159_75:                             ;   Parent Loop BB159_12 Depth=1
                                        ; =>  This Inner Loop Header: Depth=2
	ds_read_b64 v[8:9], v5
	v_add_nc_u32_e32 v5, 32, v5
	s_add_i32 s9, s9, -1
	s_cmp_lg_u32 s9, 0
	s_waitcnt lgkmcnt(0)
	v_add_co_u32 v3, vcc_lo, v8, v3
	v_add_co_ci_u32_e64 v4, null, v9, v4, vcc_lo
	s_cbranch_scc1 .LBB159_75
.LBB159_76:                             ;   in Loop: Header=BB159_12 Depth=1
	v_add_lshl_u32 v5, s6, v33, 3
	ds_write_b64 v5, v[3:4] offset:3072
.LBB159_77:                             ;   in Loop: Header=BB159_12 Depth=1
	s_or_b32 exec_lo, exec_lo, s7
	s_lshl_b32 s6, s6, 3
	s_waitcnt lgkmcnt(0)
	v_mov_b32_e32 v3, s6
	s_barrier
	buffer_gl0_inv
	v_cmp_eq_u64_e64 s7, 1, v[26:27]
	s_lshl_b64 s[12:13], 3, s93
	ds_read_b128 v[8:11], v3 offset:3072
	ds_read_b128 v[12:15], v3 offset:3088
	s_mov_b32 s66, -1
	s_not_b64 s[14:15], s[12:13]
	s_mov_b32 s9, 0
	s_andn2_b32 vcc_lo, exec_lo, s53
	s_mov_b32 s63, 0
	s_mov_b32 s62, 0
                                        ; implicit-def: $sgpr64
                                        ; implicit-def: $sgpr65
                                        ; implicit-def: $vgpr28_vgpr29
                                        ; implicit-def: $vgpr39
	s_waitcnt lgkmcnt(1)
	v_readfirstlane_b32 s11, v9
	v_readfirstlane_b32 s10, v8
	;; [unrolled: 1-line block ×4, first 2 shown]
	s_waitcnt lgkmcnt(0)
	v_readfirstlane_b32 s19, v13
	v_readfirstlane_b32 s18, v12
	;; [unrolled: 1-line block ×4, first 2 shown]
                                        ; implicit-def: $vgpr14_vgpr15
                                        ; implicit-def: $vgpr12_vgpr13
                                        ; implicit-def: $vgpr10_vgpr11
	s_cbranch_vccnz .LBB159_272
; %bb.78:                               ;   in Loop: Header=BB159_12 Depth=1
	s_cmp_eq_u64 s[10:11], 1
	v_mov_b32_e32 v14, v22
	v_mov_b32_e32 v12, v24
	v_mov_b32_e32 v11, v7
	v_mov_b32_e32 v15, v23
	v_mov_b32_e32 v13, v25
	v_mov_b32_e32 v10, v6
	s_cselect_b32 s6, -1, 0
	s_mov_b32 s22, -1
	s_and_b32 s6, s6, s7
                                        ; implicit-def: $sgpr65
                                        ; implicit-def: $sgpr64
	s_and_saveexec_b32 s66, s6
	s_cbranch_execz .LBB159_113
; %bb.79:                               ;   in Loop: Header=BB159_12 Depth=1
	ds_read_b64 v[3:4], v19 offset:5120
	s_waitcnt lgkmcnt(0)
	s_barrier
	buffer_gl0_inv
	v_readfirstlane_b32 s22, v3
	v_readfirstlane_b32 s23, v4
	s_and_saveexec_b32 s24, s8
; %bb.80:                               ;   in Loop: Header=BB159_12 Depth=1
	v_mov_b32_e32 v18, v19
	ds_write_b64 v35, v[18:19]
; %bb.81:                               ;   in Loop: Header=BB159_12 Depth=1
	s_or_b32 exec_lo, exec_lo, s24
	v_and_b32_e32 v15, s15, v23
	v_and_b32_e32 v14, s14, v22
	v_or_b32_e32 v13, s13, v25
	v_or_b32_e32 v12, s12, v24
	s_mov_b32 s64, -1
	s_mov_b32 s65, 0
	s_cmp_eq_u64 s[22:23], 0
	s_mov_b32 s44, 0
	s_mov_b32 s26, -1
	s_waitcnt lgkmcnt(0)
	s_barrier
	buffer_gl0_inv
                                        ; implicit-def: $vgpr10_vgpr11
	s_cbranch_scc1 .LBB159_98
; %bb.82:                               ;   in Loop: Header=BB159_12 Depth=1
	s_add_u32 s44, s22, s80
	s_addc_u32 s25, s23, s81
	s_mov_b32 s24, s27
	s_cmp_lg_u64 s[24:25], 0
	s_cbranch_scc0 .LBB159_139
; %bb.83:                               ;   in Loop: Header=BB159_12 Depth=1
	v_cvt_f32_u32_e32 v3, s49
	s_sub_u32 s45, 0, s49
	s_subb_u32 s46, 0, 0
	v_fmac_f32_e64 v3, 0x4f800000, 0
	v_rcp_f32_e32 v3, v3
	v_mul_f32_e32 v3, 0x5f7ffffc, v3
	v_mul_f32_e32 v4, 0x2f800000, v3
	v_trunc_f32_e32 v4, v4
	v_fmac_f32_e32 v3, 0xcf800000, v4
	v_cvt_u32_f32_e32 v4, v4
	v_cvt_u32_f32_e32 v3, v3
	v_readfirstlane_b32 s24, v4
	v_readfirstlane_b32 s26, v3
	s_mul_i32 s47, s45, s24
	s_mul_hi_u32 s55, s45, s26
	s_mul_i32 s54, s46, s26
	s_add_i32 s47, s55, s47
	s_mul_i32 s56, s45, s26
	s_add_i32 s47, s47, s54
	s_mul_hi_u32 s55, s26, s56
	s_mul_i32 s58, s26, s47
	s_mul_hi_u32 s57, s24, s56
	s_mul_i32 s54, s24, s56
	s_mul_hi_u32 s56, s26, s47
	s_add_u32 s55, s55, s58
	s_addc_u32 s56, 0, s56
	s_mul_hi_u32 s62, s24, s47
	s_add_u32 s54, s55, s54
	s_mul_i32 s47, s24, s47
	s_addc_u32 s54, s56, s57
	s_addc_u32 s55, s62, 0
	s_add_u32 s47, s54, s47
	s_addc_u32 s54, 0, s55
	s_add_u32 s26, s26, s47
	s_cselect_b32 s47, -1, 0
	s_mul_hi_u32 s55, s45, s26
	s_cmp_lg_u32 s47, 0
	s_mul_i32 s47, s45, s26
	s_addc_u32 s24, s24, s54
	s_mul_i32 s46, s46, s26
	s_mul_i32 s45, s45, s24
	s_mul_hi_u32 s54, s26, s47
	s_add_i32 s45, s55, s45
	s_mul_hi_u32 s55, s24, s47
	s_add_i32 s45, s45, s46
	s_mul_i32 s46, s24, s47
	s_mul_i32 s57, s26, s45
	s_mul_hi_u32 s56, s26, s45
	s_add_u32 s54, s54, s57
	s_addc_u32 s56, 0, s56
	s_mul_hi_u32 s47, s24, s45
	s_add_u32 s46, s54, s46
	s_mul_i32 s45, s24, s45
	s_addc_u32 s46, s56, s55
	s_addc_u32 s47, s47, 0
	s_add_u32 s45, s46, s45
	s_addc_u32 s46, 0, s47
	s_add_u32 s26, s26, s45
	s_cselect_b32 s45, -1, 0
	s_mul_hi_u32 s47, s44, s26
	s_cmp_lg_u32 s45, 0
	s_mul_hi_u32 s45, s25, s26
	s_addc_u32 s24, s24, s46
	s_mul_i32 s26, s25, s26
	s_mul_i32 s54, s44, s24
	s_mul_hi_u32 s46, s44, s24
	s_add_u32 s47, s47, s54
	s_addc_u32 s46, 0, s46
	s_mul_hi_u32 s55, s25, s24
	s_add_u32 s26, s47, s26
	s_mul_i32 s24, s25, s24
	s_addc_u32 s26, s46, s45
	s_addc_u32 s45, s55, 0
	s_add_u32 s24, s26, s24
	s_addc_u32 s26, 0, s45
	s_mul_hi_u32 s45, s49, s24
	s_mul_i32 s26, s49, s26
	s_mul_i32 s24, s49, s24
	s_add_i32 s45, s45, s26
	s_sub_u32 s24, s44, s24
	s_cselect_b32 s26, -1, 0
	s_cmp_lg_u32 s26, 0
	s_subb_u32 s26, s25, s45
	s_sub_u32 s45, s24, s49
	s_cselect_b32 s46, -1, 0
	s_cmp_lg_u32 s46, 0
	s_subb_u32 s46, s26, 0
	;; [unrolled: 4-line block ×3, first 2 shown]
	s_cmp_ge_u32 s45, s49
	s_cselect_b32 s55, -1, 0
	s_cmp_eq_u32 s46, 0
	s_cselect_b32 s55, s55, -1
	s_cmp_lg_u32 s55, 0
	s_cselect_b32 s46, s54, s46
	s_cselect_b32 s45, s47, s45
	s_cmp_ge_u32 s24, s49
	s_cselect_b32 s47, -1, 0
	s_cmp_eq_u32 s26, 0
	s_cselect_b32 s47, s47, -1
	s_cmp_lg_u32 s47, 0
	s_cselect_b32 s63, s46, s26
	s_cselect_b32 s62, s45, s24
	s_cbranch_execnz .LBB159_85
.LBB159_84:                             ;   in Loop: Header=BB159_12 Depth=1
	v_cvt_f32_u32_e32 v3, s49
	s_sub_i32 s26, 0, s49
	v_rcp_iflag_f32_e32 v3, v3
	v_mul_f32_e32 v3, 0x4f7ffffe, v3
	v_cvt_u32_f32_e32 v3, v3
	v_readfirstlane_b32 s24, v3
	s_mul_i32 s26, s26, s24
	s_mul_hi_u32 s26, s24, s26
	s_add_i32 s24, s24, s26
	s_mul_hi_u32 s24, s44, s24
	s_mul_i32 s24, s24, s49
	s_sub_i32 s24, s44, s24
	s_sub_i32 s26, s24, s49
	s_cmp_ge_u32 s24, s49
	s_cselect_b32 s24, s26, s24
	s_sub_i32 s26, s24, s49
	s_cmp_ge_u32 s24, s49
	s_cselect_b32 s26, s26, s24
	s_mov_b64 s[62:63], s[26:27]
.LBB159_85:                             ;   in Loop: Header=BB159_12 Depth=1
	s_sub_u32 s24, s44, s62
	s_subb_u32 s25, s25, s63
	s_mov_b32 s26, 0
	s_mov_b32 s44, 0
	s_mov_b32 s45, exec_lo
                                        ; implicit-def: $vgpr10_vgpr11
	v_cmpx_gt_u64_e64 s[24:25], v[0:1]
	s_cbranch_execz .LBB159_97
; %bb.86:                               ;   in Loop: Header=BB159_12 Depth=1
	v_mov_b32_e32 v29, v1
	v_mov_b32_e32 v18, v34
	;; [unrolled: 1-line block ×3, first 2 shown]
                                        ; implicit-def: $sgpr46
	s_inst_prefetch 0x1
	s_branch .LBB159_89
	.p2align	6
.LBB159_87:                             ;   in Loop: Header=BB159_89 Depth=2
	s_or_b32 exec_lo, exec_lo, s47
	s_waitcnt lgkmcnt(0)
	s_barrier
	buffer_gl0_inv
	ds_read_b128 v[8:11], v19 offset:3072
	s_mov_b32 s47, -1
	s_mov_b32 s58, -1
	s_waitcnt lgkmcnt(0)
	s_barrier
	buffer_gl0_inv
	v_cmp_ne_u64_e32 vcc_lo, 0, v[8:9]
	s_cbranch_vccz .LBB159_92
.LBB159_88:                             ;   in Loop: Header=BB159_89 Depth=2
	s_and_b32 s47, exec_lo, s47
	s_or_b32 s44, s47, s44
	s_andn2_b32 s46, s46, exec_lo
	s_and_b32 s47, s58, exec_lo
	s_or_b32 s46, s46, s47
	s_andn2_b32 exec_lo, exec_lo, s44
	s_cbranch_execz .LBB159_96
.LBB159_89:                             ;   Parent Loop BB159_12 Depth=1
                                        ; =>  This Inner Loop Header: Depth=2
	s_mov_b32 s47, exec_lo
	v_cmpx_gt_u64_e64 s[22:23], v[28:29]
	s_cbranch_execz .LBB159_87
; %bb.90:                               ;   in Loop: Header=BB159_89 Depth=2
	ds_read_b64 v[4:5], v18
	s_waitcnt lgkmcnt(0)
	v_xor_b32_e32 v3, 0x80000000, v5
	v_and_b32_e32 v8, v4, v12
	v_and_b32_e32 v9, v3, v13
	v_cmp_eq_u64_e32 vcc_lo, v[8:9], v[14:15]
	s_and_b32 exec_lo, exec_lo, vcc_lo
	s_cbranch_execz .LBB159_87
; %bb.91:                               ;   in Loop: Header=BB159_89 Depth=2
	v_mov_b32_e32 v3, v19
	ds_write_b128 v19, v[2:5] offset:3072
	s_branch .LBB159_87
.LBB159_92:                             ;   in Loop: Header=BB159_89 Depth=2
	v_add_co_u32 v28, vcc_lo, v28, s49
	v_add_co_ci_u32_e64 v29, null, 0, v29, vcc_lo
	v_add_nc_u32_e32 v18, s86, v18
	s_mov_b32 s58, 0
	v_cmp_le_u64_e32 vcc_lo, s[24:25], v[28:29]
	s_orn2_b32 s47, vcc_lo, exec_lo
	s_branch .LBB159_88
.LBB159_93:                             ;   in Loop: Header=BB159_12 Depth=1
	s_or_b32 exec_lo, exec_lo, s10
	s_waitcnt lgkmcnt(0)
	s_barrier
	buffer_gl0_inv
	s_and_saveexec_b32 s6, s3
	s_cbranch_execz .LBB159_95
; %bb.94:                               ;   in Loop: Header=BB159_12 Depth=1
	ds_read_b32 v3, v19 offset:5144
	s_waitcnt lgkmcnt(0)
	v_ashrrev_i32_e32 v4, 31, v3
	ds_write_b64 v19, v[3:4] offset:5120
.LBB159_95:                             ;   in Loop: Header=BB159_12 Depth=1
	s_or_b32 exec_lo, exec_lo, s6
	s_waitcnt lgkmcnt(0)
	s_mov_b32 s6, -1
	s_barrier
	s_and_b32 vcc_lo, exec_lo, s9
	s_cbranch_vccnz .LBB159_28
	s_branch .LBB159_37
.LBB159_96:                             ;   in Loop: Header=BB159_12 Depth=1
	s_inst_prefetch 0x2
	s_or_b32 exec_lo, exec_lo, s44
	s_and_b32 s44, s46, exec_lo
.LBB159_97:                             ;   in Loop: Header=BB159_12 Depth=1
	s_or_b32 exec_lo, exec_lo, s45
.LBB159_98:                             ;   in Loop: Header=BB159_12 Depth=1
	s_and_b32 vcc_lo, exec_lo, s26
	s_cbranch_vccz .LBB159_112
; %bb.99:                               ;   in Loop: Header=BB159_12 Depth=1
	s_mov_b32 s58, s27
	s_cmp_lg_u64 s[58:59], 0
	s_cbranch_scc0 .LBB159_140
; %bb.100:                              ;   in Loop: Header=BB159_12 Depth=1
	v_cvt_f32_u32_e32 v3, s49
	s_sub_u32 s24, 0, s49
	s_subb_u32 s25, 0, 0
	v_fmac_f32_e64 v3, 0x4f800000, 0
	v_rcp_f32_e32 v3, v3
	v_mul_f32_e32 v3, 0x5f7ffffc, v3
	v_mul_f32_e32 v4, 0x2f800000, v3
	v_trunc_f32_e32 v4, v4
	v_fmac_f32_e32 v3, 0xcf800000, v4
	v_cvt_u32_f32_e32 v4, v4
	v_cvt_u32_f32_e32 v3, v3
	v_readfirstlane_b32 s22, v4
	v_readfirstlane_b32 s23, v3
	s_mul_i32 s26, s24, s22
	s_mul_hi_u32 s46, s24, s23
	s_mul_i32 s45, s25, s23
	s_add_i32 s26, s46, s26
	s_mul_i32 s47, s24, s23
	s_add_i32 s26, s26, s45
	s_mul_hi_u32 s46, s23, s47
	s_mul_i32 s55, s23, s26
	s_mul_hi_u32 s54, s22, s47
	s_mul_i32 s45, s22, s47
	s_mul_hi_u32 s47, s23, s26
	s_add_u32 s46, s46, s55
	s_addc_u32 s47, 0, s47
	s_mul_hi_u32 s56, s22, s26
	s_add_u32 s45, s46, s45
	s_mul_i32 s26, s22, s26
	s_addc_u32 s45, s47, s54
	s_addc_u32 s46, s56, 0
	s_add_u32 s26, s45, s26
	s_addc_u32 s45, 0, s46
	s_add_u32 s23, s23, s26
	s_cselect_b32 s26, -1, 0
	s_mul_hi_u32 s46, s24, s23
	s_cmp_lg_u32 s26, 0
	s_mul_i32 s26, s24, s23
	s_addc_u32 s22, s22, s45
	s_mul_i32 s25, s25, s23
	s_mul_i32 s24, s24, s22
	s_mul_hi_u32 s45, s23, s26
	s_add_i32 s24, s46, s24
	s_mul_hi_u32 s46, s22, s26
	s_add_i32 s24, s24, s25
	s_mul_i32 s25, s22, s26
	s_mul_i32 s54, s23, s24
	s_mul_hi_u32 s47, s23, s24
	s_add_u32 s45, s45, s54
	s_addc_u32 s47, 0, s47
	s_mul_hi_u32 s26, s22, s24
	s_add_u32 s25, s45, s25
	s_mul_i32 s24, s22, s24
	s_addc_u32 s25, s47, s46
	s_addc_u32 s26, s26, 0
	s_add_u32 s24, s25, s24
	s_addc_u32 s25, 0, s26
	s_add_u32 s23, s23, s24
	s_cselect_b32 s24, -1, 0
	s_mul_hi_u32 s26, s82, s23
	s_cmp_lg_u32 s24, 0
	s_mul_hi_u32 s24, s59, s23
	s_addc_u32 s22, s22, s25
	s_mul_i32 s23, s59, s23
	s_mul_i32 s45, s82, s22
	s_mul_hi_u32 s25, s82, s22
	s_add_u32 s26, s26, s45
	s_addc_u32 s25, 0, s25
	s_mul_hi_u32 s46, s59, s22
	s_add_u32 s23, s26, s23
	s_mul_i32 s22, s59, s22
	s_addc_u32 s23, s25, s24
	s_addc_u32 s24, s46, 0
	s_add_u32 s22, s23, s22
	s_addc_u32 s23, 0, s24
	s_mul_hi_u32 s24, s49, s22
	s_mul_i32 s23, s49, s23
	s_mul_i32 s22, s49, s22
	s_add_i32 s24, s24, s23
	s_sub_u32 s22, s82, s22
	s_cselect_b32 s23, -1, 0
	s_cmp_lg_u32 s23, 0
	s_subb_u32 s23, s59, s24
	s_sub_u32 s24, s22, s49
	s_cselect_b32 s25, -1, 0
	s_cmp_lg_u32 s25, 0
	s_subb_u32 s25, s23, 0
	;; [unrolled: 4-line block ×3, first 2 shown]
	s_cmp_ge_u32 s24, s49
	s_cselect_b32 s46, -1, 0
	s_cmp_eq_u32 s25, 0
	s_cselect_b32 s46, s46, -1
	s_cmp_lg_u32 s46, 0
	s_cselect_b32 s25, s45, s25
	s_cselect_b32 s24, s26, s24
	s_cmp_ge_u32 s22, s49
	s_cselect_b32 s26, -1, 0
	s_cmp_eq_u32 s23, 0
	s_cselect_b32 s26, s26, -1
	s_cmp_lg_u32 s26, 0
	s_cselect_b32 s23, s25, s23
	s_cselect_b32 s22, s24, s22
	s_cbranch_execnz .LBB159_102
.LBB159_101:                            ;   in Loop: Header=BB159_12 Depth=1
	v_cvt_f32_u32_e32 v3, s49
	s_sub_i32 s23, 0, s49
	v_rcp_iflag_f32_e32 v3, v3
	v_mul_f32_e32 v3, 0x4f7ffffe, v3
	v_cvt_u32_f32_e32 v3, v3
	v_readfirstlane_b32 s22, v3
	s_mul_i32 s23, s23, s22
	s_mul_hi_u32 s23, s22, s23
	s_add_i32 s22, s22, s23
	s_mul_hi_u32 s22, s82, s22
	s_mul_i32 s22, s22, s49
	s_sub_i32 s22, s82, s22
	s_sub_i32 s23, s22, s49
	s_cmp_ge_u32 s22, s49
	s_cselect_b32 s22, s23, s22
	s_sub_i32 s23, s22, s49
	s_cmp_ge_u32 s22, s49
	s_cselect_b32 s26, s23, s22
	s_mov_b64 s[22:23], s[26:27]
.LBB159_102:                            ;   in Loop: Header=BB159_12 Depth=1
	s_sub_u32 s22, s82, s22
	s_subb_u32 s23, s59, s23
	s_mov_b32 s24, exec_lo
                                        ; implicit-def: $vgpr10_vgpr11
	v_cmpx_gt_u64_e64 s[22:23], v[0:1]
	s_cbranch_execz .LBB159_111
; %bb.103:                              ;   in Loop: Header=BB159_12 Depth=1
	v_mov_b32_e32 v29, v1
	v_mov_b32_e32 v28, v0
	s_mov_b32 s26, 0
                                        ; implicit-def: $sgpr25
	s_branch .LBB159_106
.LBB159_104:                            ;   in Loop: Header=BB159_106 Depth=2
	s_or_b32 exec_lo, exec_lo, s45
	s_waitcnt lgkmcnt(0)
	s_barrier
	buffer_gl0_inv
	ds_read_b128 v[8:11], v19 offset:3072
	s_mov_b32 s46, -1
	s_mov_b32 s45, -1
	s_waitcnt lgkmcnt(0)
	s_barrier
	buffer_gl0_inv
	v_cmp_ne_u64_e32 vcc_lo, 0, v[8:9]
	s_cbranch_vccz .LBB159_109
.LBB159_105:                            ;   in Loop: Header=BB159_106 Depth=2
	s_and_b32 s46, exec_lo, s46
	s_or_b32 s26, s46, s26
	s_andn2_b32 s25, s25, exec_lo
	s_and_b32 s45, s45, exec_lo
	s_or_b32 s25, s25, s45
	s_andn2_b32 exec_lo, exec_lo, s26
	s_cbranch_execz .LBB159_110
.LBB159_106:                            ;   Parent Loop BB159_12 Depth=1
                                        ; =>  This Inner Loop Header: Depth=2
	s_mov_b32 s45, exec_lo
	v_cmpx_gt_u64_e64 s[36:37], v[28:29]
	s_cbranch_execz .LBB159_104
; %bb.107:                              ;   in Loop: Header=BB159_106 Depth=2
	v_mul_lo_u32 v5, v29, s30
	v_mul_lo_u32 v8, v28, s31
	v_mad_u64_u32 v[3:4], null, v28, s30, 0
	v_add3_u32 v4, v4, v8, v5
	v_lshlrev_b64 v[3:4], 3, v[3:4]
	v_add_co_u32 v3, vcc_lo, s33, v3
	v_add_co_ci_u32_e64 v4, null, s35, v4, vcc_lo
	global_load_dwordx2 v[4:5], v[3:4], off
	s_waitcnt vmcnt(0)
	v_xor_b32_e32 v3, 0x80000000, v5
	v_and_b32_e32 v8, v4, v12
	v_and_b32_e32 v9, v3, v13
	v_cmp_eq_u64_e32 vcc_lo, v[8:9], v[14:15]
	s_and_b32 exec_lo, exec_lo, vcc_lo
	s_cbranch_execz .LBB159_104
; %bb.108:                              ;   in Loop: Header=BB159_106 Depth=2
	v_mov_b32_e32 v3, v19
	ds_write_b128 v19, v[2:5] offset:3072
	s_branch .LBB159_104
.LBB159_109:                            ;   in Loop: Header=BB159_106 Depth=2
	v_add_co_u32 v28, vcc_lo, v28, s49
	v_add_co_ci_u32_e64 v29, null, 0, v29, vcc_lo
	s_mov_b32 s45, 0
	v_cmp_le_u64_e32 vcc_lo, s[22:23], v[28:29]
	s_orn2_b32 s46, vcc_lo, exec_lo
	s_branch .LBB159_105
.LBB159_110:                            ;   in Loop: Header=BB159_12 Depth=1
	s_or_b32 exec_lo, exec_lo, s26
	s_andn2_b32 s22, s44, exec_lo
	s_and_b32 s23, s25, exec_lo
	s_or_b32 s44, s22, s23
.LBB159_111:                            ;   in Loop: Header=BB159_12 Depth=1
	s_or_b32 exec_lo, exec_lo, s24
	s_mov_b32 s64, 0
	s_mov_b32 s65, -1
.LBB159_112:                            ;   in Loop: Header=BB159_12 Depth=1
	s_orn2_b32 s22, s44, exec_lo
.LBB159_113:                            ;   in Loop: Header=BB159_12 Depth=1
	s_or_b32 exec_lo, exec_lo, s66
	s_mov_b32 s66, 0
	s_mov_b32 s63, 0
	;; [unrolled: 1-line block ×3, first 2 shown]
                                        ; implicit-def: $vgpr28_vgpr29
                                        ; implicit-def: $vgpr39
	s_and_saveexec_b32 s67, s22
	s_cbranch_execz .LBB159_271
; %bb.114:                              ;   in Loop: Header=BB159_12 Depth=1
	v_mov_b32_e32 v28, 1
	v_mov_b32_e32 v29, 0
	;; [unrolled: 1-line block ×3, first 2 shown]
	s_xor_b32 s22, s6, -1
	s_mov_b32 s23, 0
	s_and_saveexec_b32 s6, s22
	s_cbranch_execz .LBB159_123
; %bb.115:                              ;   in Loop: Header=BB159_12 Depth=1
	s_mov_b32 s22, exec_lo
	v_cmpx_ge_u64_e64 s[10:11], v[26:27]
	s_xor_b32 s22, exec_lo, s22
	s_cbranch_execz .LBB159_120
; %bb.116:                              ;   in Loop: Header=BB159_12 Depth=1
	ds_read_b64 v[3:4], v19 offset:5120
	v_and_b32_e32 v15, s15, v15
	v_and_b32_e32 v14, s14, v14
	v_or_b32_e32 v13, s13, v13
	v_or_b32_e32 v12, s12, v12
	s_waitcnt lgkmcnt(0)
	v_cmp_ne_u64_e32 vcc_lo, 0, v[3:4]
	s_cbranch_vccnz .LBB159_120
; %bb.117:                              ;   in Loop: Header=BB159_12 Depth=1
	s_and_saveexec_b32 s23, s3
; %bb.118:                              ;   in Loop: Header=BB159_12 Depth=1
	v_mov_b32_e32 v3, s10
	v_mov_b32_e32 v4, s11
	ds_write_b64 v19, v[3:4] offset:5128
; %bb.119:                              ;   in Loop: Header=BB159_12 Depth=1
	s_or_b32 exec_lo, exec_lo, s23
	s_waitcnt lgkmcnt(0)
	s_barrier
	buffer_gl0_inv
.LBB159_120:                            ;   in Loop: Header=BB159_12 Depth=1
	s_or_saveexec_b32 s22, s22
	v_mov_b32_e32 v29, v27
	v_mov_b32_e32 v39, 8
	;; [unrolled: 1-line block ×3, first 2 shown]
	s_mov_b32 s23, 0
	s_xor_b32 exec_lo, exec_lo, s22
; %bb.121:                              ;   in Loop: Header=BB159_12 Depth=1
	v_sub_co_u32 v28, vcc_lo, v26, s10
	v_subrev_co_ci_u32_e64 v29, null, s11, v27, vcc_lo
	v_mov_b32_e32 v39, 0
	s_mov_b32 s23, exec_lo
; %bb.122:                              ;   in Loop: Header=BB159_12 Depth=1
	s_or_b32 exec_lo, exec_lo, s22
	s_and_b32 s23, s23, exec_lo
.LBB159_123:                            ;   in Loop: Header=BB159_12 Depth=1
	s_or_b32 exec_lo, exec_lo, s6
	s_mov_b32 s22, -1
                                        ; implicit-def: $sgpr68
                                        ; implicit-def: $sgpr69
	s_and_saveexec_b32 s6, s23
	s_xor_b32 s6, exec_lo, s6
	s_cbranch_execz .LBB159_268
; %bb.124:                              ;   in Loop: Header=BB159_12 Depth=1
	v_cmp_eq_u64_e32 vcc_lo, 1, v[28:29]
	s_cmp_eq_u64 s[16:17], 1
                                        ; implicit-def: $sgpr69
                                        ; implicit-def: $sgpr68
	s_cselect_b32 s22, -1, 0
	s_and_b32 s71, s22, vcc_lo
	s_mov_b32 s22, -1
	s_and_saveexec_b32 s70, s71
	s_cbranch_execz .LBB159_158
; %bb.125:                              ;   in Loop: Header=BB159_12 Depth=1
	ds_read_b64 v[3:4], v19 offset:5120
	s_waitcnt lgkmcnt(0)
	s_barrier
	buffer_gl0_inv
	v_readfirstlane_b32 s22, v3
	v_readfirstlane_b32 s23, v4
	s_and_saveexec_b32 s24, s8
; %bb.126:                              ;   in Loop: Header=BB159_12 Depth=1
	v_mov_b32_e32 v18, v19
	ds_write_b64 v35, v[18:19]
; %bb.127:                              ;   in Loop: Header=BB159_12 Depth=1
	s_or_b32 exec_lo, exec_lo, s24
	v_and_b32_e32 v3, s15, v15
	v_and_b32_e32 v4, s14, v14
	s_lshl_b64 s[24:25], 1, s93
	v_or_b32_e32 v13, s13, v13
	v_or_b32_e32 v12, s12, v12
	v_or_b32_e32 v15, s25, v3
	v_or_b32_e32 v14, s24, v4
	s_mov_b32 s68, -1
	s_mov_b32 s69, 0
	s_cmp_eq_u64 s[22:23], 0
	s_mov_b32 s44, 0
	s_mov_b32 s26, -1
	s_waitcnt lgkmcnt(0)
	s_barrier
	buffer_gl0_inv
                                        ; implicit-def: $vgpr10_vgpr11
	s_cbranch_scc1 .LBB159_143
; %bb.128:                              ;   in Loop: Header=BB159_12 Depth=1
	s_add_u32 s44, s22, s80
	s_addc_u32 s25, s23, s81
	s_mov_b32 s24, s27
	s_cmp_lg_u64 s[24:25], 0
	s_cbranch_scc0 .LBB159_184
; %bb.129:                              ;   in Loop: Header=BB159_12 Depth=1
	v_cvt_f32_u32_e32 v3, s49
	s_sub_u32 s45, 0, s49
	s_subb_u32 s46, 0, 0
	v_fmac_f32_e64 v3, 0x4f800000, 0
	v_rcp_f32_e32 v3, v3
	v_mul_f32_e32 v3, 0x5f7ffffc, v3
	v_mul_f32_e32 v4, 0x2f800000, v3
	v_trunc_f32_e32 v4, v4
	v_fmac_f32_e32 v3, 0xcf800000, v4
	v_cvt_u32_f32_e32 v4, v4
	v_cvt_u32_f32_e32 v3, v3
	v_readfirstlane_b32 s24, v4
	v_readfirstlane_b32 s26, v3
	s_mul_i32 s47, s45, s24
	s_mul_hi_u32 s62, s45, s26
	s_mul_i32 s58, s46, s26
	s_add_i32 s47, s62, s47
	s_mul_i32 s63, s45, s26
	s_add_i32 s47, s47, s58
	s_mul_hi_u32 s62, s26, s63
	s_mul_i32 s73, s26, s47
	s_mul_hi_u32 s72, s24, s63
	s_mul_i32 s58, s24, s63
	s_mul_hi_u32 s63, s26, s47
	s_add_u32 s62, s62, s73
	s_addc_u32 s63, 0, s63
	s_mul_hi_u32 s74, s24, s47
	s_add_u32 s58, s62, s58
	s_mul_i32 s47, s24, s47
	s_addc_u32 s58, s63, s72
	s_addc_u32 s62, s74, 0
	s_add_u32 s47, s58, s47
	s_addc_u32 s58, 0, s62
	s_add_u32 s26, s26, s47
	s_cselect_b32 s47, -1, 0
	s_mul_hi_u32 s62, s45, s26
	s_cmp_lg_u32 s47, 0
	s_mul_i32 s47, s45, s26
	s_addc_u32 s24, s24, s58
	s_mul_i32 s46, s46, s26
	s_mul_i32 s45, s45, s24
	s_mul_hi_u32 s58, s26, s47
	s_add_i32 s45, s62, s45
	s_mul_hi_u32 s62, s24, s47
	s_add_i32 s45, s45, s46
	s_mul_i32 s46, s24, s47
	s_mul_i32 s72, s26, s45
	s_mul_hi_u32 s63, s26, s45
	s_add_u32 s58, s58, s72
	s_addc_u32 s63, 0, s63
	s_mul_hi_u32 s47, s24, s45
	s_add_u32 s46, s58, s46
	s_mul_i32 s45, s24, s45
	s_addc_u32 s46, s63, s62
	s_addc_u32 s47, s47, 0
	s_add_u32 s45, s46, s45
	s_addc_u32 s46, 0, s47
	s_add_u32 s26, s26, s45
	s_cselect_b32 s45, -1, 0
	s_mul_hi_u32 s47, s44, s26
	s_cmp_lg_u32 s45, 0
	s_mul_hi_u32 s45, s25, s26
	s_addc_u32 s24, s24, s46
	s_mul_i32 s26, s25, s26
	s_mul_i32 s58, s44, s24
	s_mul_hi_u32 s46, s44, s24
	s_add_u32 s47, s47, s58
	s_addc_u32 s46, 0, s46
	s_mul_hi_u32 s62, s25, s24
	s_add_u32 s26, s47, s26
	s_mul_i32 s24, s25, s24
	s_addc_u32 s26, s46, s45
	s_addc_u32 s45, s62, 0
	s_add_u32 s24, s26, s24
	s_addc_u32 s26, 0, s45
	s_mul_hi_u32 s45, s49, s24
	s_mul_i32 s26, s49, s26
	s_mul_i32 s24, s49, s24
	s_add_i32 s45, s45, s26
	s_sub_u32 s24, s44, s24
	s_cselect_b32 s26, -1, 0
	s_cmp_lg_u32 s26, 0
	s_subb_u32 s26, s25, s45
	s_sub_u32 s45, s24, s49
	s_cselect_b32 s46, -1, 0
	s_cmp_lg_u32 s46, 0
	s_subb_u32 s46, s26, 0
	;; [unrolled: 4-line block ×3, first 2 shown]
	s_cmp_ge_u32 s45, s49
	s_cselect_b32 s62, -1, 0
	s_cmp_eq_u32 s46, 0
	s_cselect_b32 s62, s62, -1
	s_cmp_lg_u32 s62, 0
	s_cselect_b32 s46, s58, s46
	s_cselect_b32 s45, s47, s45
	s_cmp_ge_u32 s24, s49
	s_cselect_b32 s47, -1, 0
	s_cmp_eq_u32 s26, 0
	s_cselect_b32 s47, s47, -1
	s_cmp_lg_u32 s47, 0
	s_cselect_b32 s63, s46, s26
	s_cselect_b32 s62, s45, s24
	s_cbranch_execnz .LBB159_131
.LBB159_130:                            ;   in Loop: Header=BB159_12 Depth=1
	v_cvt_f32_u32_e32 v3, s49
	s_sub_i32 s26, 0, s49
	v_rcp_iflag_f32_e32 v3, v3
	v_mul_f32_e32 v3, 0x4f7ffffe, v3
	v_cvt_u32_f32_e32 v3, v3
	v_readfirstlane_b32 s24, v3
	s_mul_i32 s26, s26, s24
	s_mul_hi_u32 s26, s24, s26
	s_add_i32 s24, s24, s26
	s_mul_hi_u32 s24, s44, s24
	s_mul_i32 s24, s24, s49
	s_sub_i32 s24, s44, s24
	s_sub_i32 s26, s24, s49
	s_cmp_ge_u32 s24, s49
	s_cselect_b32 s24, s26, s24
	s_sub_i32 s26, s24, s49
	s_cmp_ge_u32 s24, s49
	s_cselect_b32 s26, s26, s24
	s_mov_b64 s[62:63], s[26:27]
.LBB159_131:                            ;   in Loop: Header=BB159_12 Depth=1
	s_sub_u32 s24, s44, s62
	s_subb_u32 s25, s25, s63
	s_mov_b32 s26, 0
	s_mov_b32 s44, 0
	s_mov_b32 s45, exec_lo
                                        ; implicit-def: $vgpr10_vgpr11
	v_cmpx_gt_u64_e64 s[24:25], v[0:1]
	s_cbranch_execz .LBB159_142
; %bb.132:                              ;   in Loop: Header=BB159_12 Depth=1
	v_mov_b32_e32 v31, v1
	v_mov_b32_e32 v18, v34
	;; [unrolled: 1-line block ×3, first 2 shown]
                                        ; implicit-def: $sgpr46
	s_inst_prefetch 0x1
	s_branch .LBB159_135
	.p2align	6
.LBB159_133:                            ;   in Loop: Header=BB159_135 Depth=2
	s_or_b32 exec_lo, exec_lo, s47
	s_waitcnt lgkmcnt(0)
	s_barrier
	buffer_gl0_inv
	ds_read_b128 v[8:11], v19 offset:3072
	s_mov_b32 s47, -1
	s_mov_b32 s58, -1
	s_waitcnt lgkmcnt(0)
	s_barrier
	buffer_gl0_inv
	v_cmp_ne_u64_e32 vcc_lo, 0, v[8:9]
	s_cbranch_vccz .LBB159_138
.LBB159_134:                            ;   in Loop: Header=BB159_135 Depth=2
	s_and_b32 s47, exec_lo, s47
	s_or_b32 s44, s47, s44
	s_andn2_b32 s46, s46, exec_lo
	s_and_b32 s47, s58, exec_lo
	s_or_b32 s46, s46, s47
	s_andn2_b32 exec_lo, exec_lo, s44
	s_cbranch_execz .LBB159_141
.LBB159_135:                            ;   Parent Loop BB159_12 Depth=1
                                        ; =>  This Inner Loop Header: Depth=2
	s_mov_b32 s47, exec_lo
	v_cmpx_gt_u64_e64 s[22:23], v[30:31]
	s_cbranch_execz .LBB159_133
; %bb.136:                              ;   in Loop: Header=BB159_135 Depth=2
	ds_read_b64 v[4:5], v18
	s_waitcnt lgkmcnt(0)
	v_xor_b32_e32 v3, 0x80000000, v5
	v_and_b32_e32 v8, v4, v12
	v_and_b32_e32 v9, v3, v13
	v_cmp_eq_u64_e32 vcc_lo, v[8:9], v[14:15]
	s_and_b32 exec_lo, exec_lo, vcc_lo
	s_cbranch_execz .LBB159_133
; %bb.137:                              ;   in Loop: Header=BB159_135 Depth=2
	v_mov_b32_e32 v3, v19
	ds_write_b128 v19, v[2:5] offset:3072
	s_branch .LBB159_133
.LBB159_138:                            ;   in Loop: Header=BB159_135 Depth=2
	v_add_co_u32 v30, vcc_lo, v30, s49
	v_add_co_ci_u32_e64 v31, null, 0, v31, vcc_lo
	v_add_nc_u32_e32 v18, s86, v18
	s_mov_b32 s58, 0
	v_cmp_le_u64_e32 vcc_lo, s[24:25], v[30:31]
	s_orn2_b32 s47, vcc_lo, exec_lo
	s_branch .LBB159_134
.LBB159_139:                            ;   in Loop: Header=BB159_12 Depth=1
                                        ; implicit-def: $sgpr62_sgpr63
	s_branch .LBB159_84
.LBB159_140:                            ;   in Loop: Header=BB159_12 Depth=1
                                        ; implicit-def: $sgpr22_sgpr23
	s_branch .LBB159_101
.LBB159_141:                            ;   in Loop: Header=BB159_12 Depth=1
	s_inst_prefetch 0x2
	s_or_b32 exec_lo, exec_lo, s44
	s_and_b32 s44, s46, exec_lo
.LBB159_142:                            ;   in Loop: Header=BB159_12 Depth=1
	s_or_b32 exec_lo, exec_lo, s45
.LBB159_143:                            ;   in Loop: Header=BB159_12 Depth=1
	s_and_b32 vcc_lo, exec_lo, s26
	s_cbranch_vccz .LBB159_157
; %bb.144:                              ;   in Loop: Header=BB159_12 Depth=1
	s_mov_b32 s58, s27
	s_cmp_lg_u64 s[58:59], 0
	s_cbranch_scc0 .LBB159_185
; %bb.145:                              ;   in Loop: Header=BB159_12 Depth=1
	v_cvt_f32_u32_e32 v3, s49
	s_sub_u32 s24, 0, s49
	s_subb_u32 s25, 0, 0
	v_fmac_f32_e64 v3, 0x4f800000, 0
	v_rcp_f32_e32 v3, v3
	v_mul_f32_e32 v3, 0x5f7ffffc, v3
	v_mul_f32_e32 v4, 0x2f800000, v3
	v_trunc_f32_e32 v4, v4
	v_fmac_f32_e32 v3, 0xcf800000, v4
	v_cvt_u32_f32_e32 v4, v4
	v_cvt_u32_f32_e32 v3, v3
	v_readfirstlane_b32 s22, v4
	v_readfirstlane_b32 s23, v3
	s_mul_i32 s26, s24, s22
	s_mul_hi_u32 s46, s24, s23
	s_mul_i32 s45, s25, s23
	s_add_i32 s26, s46, s26
	s_mul_i32 s47, s24, s23
	s_add_i32 s26, s26, s45
	s_mul_hi_u32 s46, s23, s47
	s_mul_i32 s62, s23, s26
	s_mul_hi_u32 s58, s22, s47
	s_mul_i32 s45, s22, s47
	s_mul_hi_u32 s47, s23, s26
	s_add_u32 s46, s46, s62
	s_addc_u32 s47, 0, s47
	s_mul_hi_u32 s63, s22, s26
	s_add_u32 s45, s46, s45
	s_mul_i32 s26, s22, s26
	s_addc_u32 s45, s47, s58
	s_addc_u32 s46, s63, 0
	s_add_u32 s26, s45, s26
	s_addc_u32 s45, 0, s46
	s_add_u32 s23, s23, s26
	s_cselect_b32 s26, -1, 0
	s_mul_hi_u32 s46, s24, s23
	s_cmp_lg_u32 s26, 0
	s_mul_i32 s26, s24, s23
	s_addc_u32 s22, s22, s45
	s_mul_i32 s25, s25, s23
	s_mul_i32 s24, s24, s22
	s_mul_hi_u32 s45, s23, s26
	s_add_i32 s24, s46, s24
	s_mul_hi_u32 s46, s22, s26
	s_add_i32 s24, s24, s25
	s_mul_i32 s25, s22, s26
	s_mul_i32 s58, s23, s24
	s_mul_hi_u32 s47, s23, s24
	s_add_u32 s45, s45, s58
	s_addc_u32 s47, 0, s47
	s_mul_hi_u32 s26, s22, s24
	s_add_u32 s25, s45, s25
	s_mul_i32 s24, s22, s24
	s_addc_u32 s25, s47, s46
	s_addc_u32 s26, s26, 0
	s_add_u32 s24, s25, s24
	s_addc_u32 s25, 0, s26
	s_add_u32 s23, s23, s24
	s_cselect_b32 s24, -1, 0
	s_mul_hi_u32 s26, s82, s23
	s_cmp_lg_u32 s24, 0
	s_mul_hi_u32 s24, s59, s23
	s_addc_u32 s22, s22, s25
	s_mul_i32 s23, s59, s23
	s_mul_i32 s45, s82, s22
	s_mul_hi_u32 s25, s82, s22
	s_add_u32 s26, s26, s45
	s_addc_u32 s25, 0, s25
	s_mul_hi_u32 s46, s59, s22
	s_add_u32 s23, s26, s23
	s_mul_i32 s22, s59, s22
	s_addc_u32 s23, s25, s24
	s_addc_u32 s24, s46, 0
	s_add_u32 s22, s23, s22
	s_addc_u32 s23, 0, s24
	s_mul_hi_u32 s24, s49, s22
	s_mul_i32 s23, s49, s23
	s_mul_i32 s22, s49, s22
	s_add_i32 s24, s24, s23
	s_sub_u32 s22, s82, s22
	s_cselect_b32 s23, -1, 0
	s_cmp_lg_u32 s23, 0
	s_subb_u32 s23, s59, s24
	s_sub_u32 s24, s22, s49
	s_cselect_b32 s25, -1, 0
	s_cmp_lg_u32 s25, 0
	s_subb_u32 s25, s23, 0
	;; [unrolled: 4-line block ×3, first 2 shown]
	s_cmp_ge_u32 s24, s49
	s_cselect_b32 s46, -1, 0
	s_cmp_eq_u32 s25, 0
	s_cselect_b32 s46, s46, -1
	s_cmp_lg_u32 s46, 0
	s_cselect_b32 s25, s45, s25
	s_cselect_b32 s24, s26, s24
	s_cmp_ge_u32 s22, s49
	s_cselect_b32 s26, -1, 0
	s_cmp_eq_u32 s23, 0
	s_cselect_b32 s26, s26, -1
	s_cmp_lg_u32 s26, 0
	s_cselect_b32 s23, s25, s23
	s_cselect_b32 s22, s24, s22
	s_cbranch_execnz .LBB159_147
.LBB159_146:                            ;   in Loop: Header=BB159_12 Depth=1
	v_cvt_f32_u32_e32 v3, s49
	s_sub_i32 s23, 0, s49
	v_rcp_iflag_f32_e32 v3, v3
	v_mul_f32_e32 v3, 0x4f7ffffe, v3
	v_cvt_u32_f32_e32 v3, v3
	v_readfirstlane_b32 s22, v3
	s_mul_i32 s23, s23, s22
	s_mul_hi_u32 s23, s22, s23
	s_add_i32 s22, s22, s23
	s_mul_hi_u32 s22, s82, s22
	s_mul_i32 s22, s22, s49
	s_sub_i32 s22, s82, s22
	s_sub_i32 s23, s22, s49
	s_cmp_ge_u32 s22, s49
	s_cselect_b32 s22, s23, s22
	s_sub_i32 s23, s22, s49
	s_cmp_ge_u32 s22, s49
	s_cselect_b32 s26, s23, s22
	s_mov_b64 s[22:23], s[26:27]
.LBB159_147:                            ;   in Loop: Header=BB159_12 Depth=1
	s_sub_u32 s22, s82, s22
	s_subb_u32 s23, s59, s23
	s_mov_b32 s24, exec_lo
                                        ; implicit-def: $vgpr10_vgpr11
	v_cmpx_gt_u64_e64 s[22:23], v[0:1]
	s_cbranch_execz .LBB159_156
; %bb.148:                              ;   in Loop: Header=BB159_12 Depth=1
	v_mov_b32_e32 v31, v1
	v_mov_b32_e32 v30, v0
	s_mov_b32 s25, 0
                                        ; implicit-def: $sgpr26
	s_branch .LBB159_151
.LBB159_149:                            ;   in Loop: Header=BB159_151 Depth=2
	s_or_b32 exec_lo, exec_lo, s45
	s_waitcnt lgkmcnt(0)
	s_barrier
	buffer_gl0_inv
	ds_read_b128 v[8:11], v19 offset:3072
	s_mov_b32 s46, -1
	s_mov_b32 s45, -1
	s_waitcnt lgkmcnt(0)
	s_barrier
	buffer_gl0_inv
	v_cmp_eq_u64_e32 vcc_lo, 0, v[8:9]
	s_cbranch_vccnz .LBB159_154
.LBB159_150:                            ;   in Loop: Header=BB159_151 Depth=2
	s_and_b32 s46, exec_lo, s46
	s_or_b32 s25, s46, s25
	s_andn2_b32 s26, s26, exec_lo
	s_and_b32 s45, s45, exec_lo
	s_or_b32 s26, s26, s45
	s_andn2_b32 exec_lo, exec_lo, s25
	s_cbranch_execz .LBB159_155
.LBB159_151:                            ;   Parent Loop BB159_12 Depth=1
                                        ; =>  This Inner Loop Header: Depth=2
	s_mov_b32 s45, exec_lo
	v_cmpx_gt_u64_e64 s[36:37], v[30:31]
	s_cbranch_execz .LBB159_149
; %bb.152:                              ;   in Loop: Header=BB159_151 Depth=2
	v_mul_lo_u32 v5, v31, s30
	v_mul_lo_u32 v8, v30, s31
	v_mad_u64_u32 v[3:4], null, v30, s30, 0
	v_add3_u32 v4, v4, v8, v5
	v_lshlrev_b64 v[3:4], 3, v[3:4]
	v_add_co_u32 v3, vcc_lo, s33, v3
	v_add_co_ci_u32_e64 v4, null, s35, v4, vcc_lo
	global_load_dwordx2 v[4:5], v[3:4], off
	s_waitcnt vmcnt(0)
	v_xor_b32_e32 v3, 0x80000000, v5
	v_and_b32_e32 v8, v4, v12
	v_and_b32_e32 v9, v3, v13
	v_cmp_eq_u64_e32 vcc_lo, v[8:9], v[14:15]
	s_and_b32 exec_lo, exec_lo, vcc_lo
	s_cbranch_execz .LBB159_149
; %bb.153:                              ;   in Loop: Header=BB159_151 Depth=2
	v_mov_b32_e32 v3, v19
	ds_write_b128 v19, v[2:5] offset:3072
	s_branch .LBB159_149
.LBB159_154:                            ;   in Loop: Header=BB159_151 Depth=2
	v_add_co_u32 v30, vcc_lo, v30, s49
	v_add_co_ci_u32_e64 v31, null, 0, v31, vcc_lo
	s_mov_b32 s45, 0
	v_cmp_le_u64_e32 vcc_lo, s[22:23], v[30:31]
	s_orn2_b32 s46, vcc_lo, exec_lo
	s_branch .LBB159_150
.LBB159_155:                            ;   in Loop: Header=BB159_12 Depth=1
	s_or_b32 exec_lo, exec_lo, s25
	s_andn2_b32 s22, s44, exec_lo
	s_and_b32 s23, s26, exec_lo
	s_or_b32 s44, s22, s23
.LBB159_156:                            ;   in Loop: Header=BB159_12 Depth=1
	s_or_b32 exec_lo, exec_lo, s24
	s_mov_b32 s68, 0
	s_mov_b32 s69, -1
.LBB159_157:                            ;   in Loop: Header=BB159_12 Depth=1
	s_orn2_b32 s22, s44, exec_lo
.LBB159_158:                            ;   in Loop: Header=BB159_12 Depth=1
	s_or_b32 exec_lo, exec_lo, s70
	s_mov_b32 s23, 0
	s_and_saveexec_b32 s70, s22
	s_cbranch_execz .LBB159_267
; %bb.159:                              ;   in Loop: Header=BB159_12 Depth=1
	v_mov_b32_e32 v30, 1
	v_mov_b32_e32 v31, 0
	;; [unrolled: 1-line block ×3, first 2 shown]
	s_xor_b32 s24, s71, -1
	s_and_saveexec_b32 s22, s24
	s_cbranch_execz .LBB159_168
; %bb.160:                              ;   in Loop: Header=BB159_12 Depth=1
	s_mov_b32 s23, exec_lo
	v_cmpx_ge_u64_e64 s[16:17], v[28:29]
	s_xor_b32 s23, exec_lo, s23
	s_cbranch_execz .LBB159_165
; %bb.161:                              ;   in Loop: Header=BB159_12 Depth=1
	ds_read_b64 v[3:4], v19 offset:5120
	v_and_b32_e32 v5, s15, v15
	v_and_b32_e32 v8, s14, v14
	s_lshl_b64 s[24:25], 1, s93
	v_or_b32_e32 v13, s13, v13
	v_or_b32_e32 v12, s12, v12
	;; [unrolled: 1-line block ×4, first 2 shown]
	s_waitcnt lgkmcnt(0)
	v_cmp_ne_u64_e32 vcc_lo, 0, v[3:4]
	s_cbranch_vccnz .LBB159_165
; %bb.162:                              ;   in Loop: Header=BB159_12 Depth=1
	s_and_saveexec_b32 s24, s3
; %bb.163:                              ;   in Loop: Header=BB159_12 Depth=1
	v_mov_b32_e32 v3, s16
	v_mov_b32_e32 v4, s17
	ds_write_b64 v19, v[3:4] offset:5128
; %bb.164:                              ;   in Loop: Header=BB159_12 Depth=1
	s_or_b32 exec_lo, exec_lo, s24
	s_waitcnt lgkmcnt(0)
	s_barrier
	buffer_gl0_inv
.LBB159_165:                            ;   in Loop: Header=BB159_12 Depth=1
	s_or_saveexec_b32 s23, s23
	v_mov_b32_e32 v39, 8
	s_mov_b32 s24, 0
	s_xor_b32 exec_lo, exec_lo, s23
; %bb.166:                              ;   in Loop: Header=BB159_12 Depth=1
	v_sub_co_u32 v28, vcc_lo, v28, s16
	v_subrev_co_ci_u32_e64 v29, null, s17, v29, vcc_lo
	v_mov_b32_e32 v39, 0
	s_mov_b32 s24, exec_lo
; %bb.167:                              ;   in Loop: Header=BB159_12 Depth=1
	s_or_b32 exec_lo, exec_lo, s23
	v_mov_b32_e32 v31, v29
	v_mov_b32_e32 v30, v28
	s_and_b32 s23, s24, exec_lo
.LBB159_168:                            ;   in Loop: Header=BB159_12 Depth=1
	s_or_b32 exec_lo, exec_lo, s22
	s_mov_b32 s22, -1
                                        ; implicit-def: $sgpr72
                                        ; implicit-def: $sgpr73
	s_and_saveexec_b32 s71, s23
	s_cbranch_execz .LBB159_266
; %bb.169:                              ;   in Loop: Header=BB159_12 Depth=1
	v_cmp_eq_u64_e32 vcc_lo, 1, v[30:31]
	s_cmp_eq_u64 s[18:19], 1
                                        ; implicit-def: $sgpr73
                                        ; implicit-def: $sgpr72
	s_cselect_b32 s22, -1, 0
	s_and_b32 s75, s22, vcc_lo
	s_mov_b32 s22, -1
	s_and_saveexec_b32 s74, s75
	s_cbranch_execz .LBB159_203
; %bb.170:                              ;   in Loop: Header=BB159_12 Depth=1
	ds_read_b64 v[3:4], v19 offset:5120
	s_waitcnt lgkmcnt(0)
	s_barrier
	buffer_gl0_inv
	v_readfirstlane_b32 s22, v3
	v_readfirstlane_b32 s23, v4
	s_and_saveexec_b32 s24, s8
; %bb.171:                              ;   in Loop: Header=BB159_12 Depth=1
	v_mov_b32_e32 v18, v19
	ds_write_b64 v35, v[18:19]
; %bb.172:                              ;   in Loop: Header=BB159_12 Depth=1
	s_or_b32 exec_lo, exec_lo, s24
	v_and_b32_e32 v3, s15, v15
	v_and_b32_e32 v4, s14, v14
	s_lshl_b64 s[24:25], 2, s93
	v_or_b32_e32 v13, s13, v13
	v_or_b32_e32 v12, s12, v12
	;; [unrolled: 1-line block ×4, first 2 shown]
	s_mov_b32 s72, -1
	s_mov_b32 s73, 0
	s_cmp_eq_u64 s[22:23], 0
	s_mov_b32 s44, 0
	s_mov_b32 s26, -1
	s_waitcnt lgkmcnt(0)
	s_barrier
	buffer_gl0_inv
                                        ; implicit-def: $vgpr10_vgpr11
	s_cbranch_scc1 .LBB159_188
; %bb.173:                              ;   in Loop: Header=BB159_12 Depth=1
	s_add_u32 s44, s22, s80
	s_addc_u32 s25, s23, s81
	s_mov_b32 s24, s27
	s_cmp_lg_u64 s[24:25], 0
	s_cbranch_scc0 .LBB159_220
; %bb.174:                              ;   in Loop: Header=BB159_12 Depth=1
	v_cvt_f32_u32_e32 v3, s49
	s_sub_u32 s45, 0, s49
	s_subb_u32 s46, 0, 0
	v_fmac_f32_e64 v3, 0x4f800000, 0
	v_rcp_f32_e32 v3, v3
	v_mul_f32_e32 v3, 0x5f7ffffc, v3
	v_mul_f32_e32 v4, 0x2f800000, v3
	v_trunc_f32_e32 v4, v4
	v_fmac_f32_e32 v3, 0xcf800000, v4
	v_cvt_u32_f32_e32 v4, v4
	v_cvt_u32_f32_e32 v3, v3
	v_readfirstlane_b32 s24, v4
	v_readfirstlane_b32 s26, v3
	s_mul_i32 s47, s45, s24
	s_mul_hi_u32 s62, s45, s26
	s_mul_i32 s58, s46, s26
	s_add_i32 s47, s62, s47
	s_mul_i32 s63, s45, s26
	s_add_i32 s47, s47, s58
	s_mul_hi_u32 s62, s26, s63
	s_mul_i32 vcc_lo, s26, s47
	s_mul_hi_u32 s104, s24, s63
	s_mul_i32 s58, s24, s63
	s_mul_hi_u32 s63, s26, s47
	s_add_u32 s62, s62, vcc_lo
	s_addc_u32 s63, 0, s63
	s_mul_hi_u32 vcc_hi, s24, s47
	s_add_u32 s58, s62, s58
	s_mul_i32 s47, s24, s47
	s_addc_u32 s58, s63, s104
	s_addc_u32 s62, vcc_hi, 0
	s_add_u32 s47, s58, s47
	s_addc_u32 s58, 0, s62
	s_add_u32 s26, s26, s47
	s_cselect_b32 s47, -1, 0
	s_mul_hi_u32 s62, s45, s26
	s_cmp_lg_u32 s47, 0
	s_mul_i32 s47, s45, s26
	s_addc_u32 s24, s24, s58
	s_mul_i32 s46, s46, s26
	s_mul_i32 s45, s45, s24
	s_mul_hi_u32 s58, s26, s47
	s_add_i32 s45, s62, s45
	s_mul_hi_u32 s62, s24, s47
	s_add_i32 s45, s45, s46
	s_mul_i32 s46, s24, s47
	s_mul_i32 s104, s26, s45
	s_mul_hi_u32 s63, s26, s45
	s_add_u32 s58, s58, s104
	s_addc_u32 s63, 0, s63
	s_mul_hi_u32 s47, s24, s45
	s_add_u32 s46, s58, s46
	s_mul_i32 s45, s24, s45
	s_addc_u32 s46, s63, s62
	s_addc_u32 s47, s47, 0
	s_add_u32 s45, s46, s45
	s_addc_u32 s46, 0, s47
	s_add_u32 s26, s26, s45
	s_cselect_b32 s45, -1, 0
	s_mul_hi_u32 s47, s44, s26
	s_cmp_lg_u32 s45, 0
	s_mul_hi_u32 s45, s25, s26
	s_addc_u32 s24, s24, s46
	s_mul_i32 s26, s25, s26
	s_mul_i32 s58, s44, s24
	s_mul_hi_u32 s46, s44, s24
	s_add_u32 s47, s47, s58
	s_addc_u32 s46, 0, s46
	s_mul_hi_u32 s62, s25, s24
	s_add_u32 s26, s47, s26
	s_mul_i32 s24, s25, s24
	s_addc_u32 s26, s46, s45
	s_addc_u32 s45, s62, 0
	s_add_u32 s24, s26, s24
	s_addc_u32 s26, 0, s45
	s_mul_hi_u32 s45, s49, s24
	s_mul_i32 s26, s49, s26
	s_mul_i32 s24, s49, s24
	s_add_i32 s45, s45, s26
	s_sub_u32 s24, s44, s24
	s_cselect_b32 s26, -1, 0
	s_cmp_lg_u32 s26, 0
	s_subb_u32 s26, s25, s45
	s_sub_u32 s45, s24, s49
	s_cselect_b32 s46, -1, 0
	s_cmp_lg_u32 s46, 0
	s_subb_u32 s46, s26, 0
	;; [unrolled: 4-line block ×3, first 2 shown]
	s_cmp_ge_u32 s45, s49
	s_cselect_b32 s62, -1, 0
	s_cmp_eq_u32 s46, 0
	s_cselect_b32 s62, s62, -1
	s_cmp_lg_u32 s62, 0
	s_cselect_b32 s46, s58, s46
	s_cselect_b32 s45, s47, s45
	s_cmp_ge_u32 s24, s49
	s_cselect_b32 s47, -1, 0
	s_cmp_eq_u32 s26, 0
	s_cselect_b32 s47, s47, -1
	s_cmp_lg_u32 s47, 0
	s_cselect_b32 s63, s46, s26
	s_cselect_b32 s62, s45, s24
	s_cbranch_execnz .LBB159_176
.LBB159_175:                            ;   in Loop: Header=BB159_12 Depth=1
	v_cvt_f32_u32_e32 v3, s49
	s_sub_i32 s26, 0, s49
	v_rcp_iflag_f32_e32 v3, v3
	v_mul_f32_e32 v3, 0x4f7ffffe, v3
	v_cvt_u32_f32_e32 v3, v3
	v_readfirstlane_b32 s24, v3
	s_mul_i32 s26, s26, s24
	s_mul_hi_u32 s26, s24, s26
	s_add_i32 s24, s24, s26
	s_mul_hi_u32 s24, s44, s24
	s_mul_i32 s24, s24, s49
	s_sub_i32 s24, s44, s24
	s_sub_i32 s26, s24, s49
	s_cmp_ge_u32 s24, s49
	s_cselect_b32 s24, s26, s24
	s_sub_i32 s26, s24, s49
	s_cmp_ge_u32 s24, s49
	s_cselect_b32 s26, s26, s24
	s_mov_b64 s[62:63], s[26:27]
.LBB159_176:                            ;   in Loop: Header=BB159_12 Depth=1
	s_sub_u32 s24, s44, s62
	s_subb_u32 s25, s25, s63
	s_mov_b32 s26, 0
	s_mov_b32 s44, 0
	s_mov_b32 s45, exec_lo
                                        ; implicit-def: $vgpr10_vgpr11
	v_cmpx_gt_u64_e64 s[24:25], v[0:1]
	s_cbranch_execz .LBB159_187
; %bb.177:                              ;   in Loop: Header=BB159_12 Depth=1
	v_mov_b32_e32 v29, v1
	v_mov_b32_e32 v18, v34
	;; [unrolled: 1-line block ×3, first 2 shown]
                                        ; implicit-def: $sgpr46
	s_inst_prefetch 0x1
	s_branch .LBB159_180
	.p2align	6
.LBB159_178:                            ;   in Loop: Header=BB159_180 Depth=2
	s_or_b32 exec_lo, exec_lo, s47
	s_waitcnt lgkmcnt(0)
	s_barrier
	buffer_gl0_inv
	ds_read_b128 v[8:11], v19 offset:3072
	s_mov_b32 s47, -1
	s_mov_b32 s58, -1
	s_waitcnt lgkmcnt(0)
	s_barrier
	buffer_gl0_inv
	v_cmp_ne_u64_e32 vcc_lo, 0, v[8:9]
	s_cbranch_vccz .LBB159_183
.LBB159_179:                            ;   in Loop: Header=BB159_180 Depth=2
	s_and_b32 s47, exec_lo, s47
	s_or_b32 s44, s47, s44
	s_andn2_b32 s46, s46, exec_lo
	s_and_b32 s47, s58, exec_lo
	s_or_b32 s46, s46, s47
	s_andn2_b32 exec_lo, exec_lo, s44
	s_cbranch_execz .LBB159_186
.LBB159_180:                            ;   Parent Loop BB159_12 Depth=1
                                        ; =>  This Inner Loop Header: Depth=2
	s_mov_b32 s47, exec_lo
	v_cmpx_gt_u64_e64 s[22:23], v[28:29]
	s_cbranch_execz .LBB159_178
; %bb.181:                              ;   in Loop: Header=BB159_180 Depth=2
	ds_read_b64 v[4:5], v18
	s_waitcnt lgkmcnt(0)
	v_xor_b32_e32 v3, 0x80000000, v5
	v_and_b32_e32 v8, v4, v12
	v_and_b32_e32 v9, v3, v13
	v_cmp_eq_u64_e32 vcc_lo, v[8:9], v[14:15]
	s_and_b32 exec_lo, exec_lo, vcc_lo
	s_cbranch_execz .LBB159_178
; %bb.182:                              ;   in Loop: Header=BB159_180 Depth=2
	v_mov_b32_e32 v3, v19
	ds_write_b128 v19, v[2:5] offset:3072
	s_branch .LBB159_178
.LBB159_183:                            ;   in Loop: Header=BB159_180 Depth=2
	v_add_co_u32 v28, vcc_lo, v28, s49
	v_add_co_ci_u32_e64 v29, null, 0, v29, vcc_lo
	v_add_nc_u32_e32 v18, s86, v18
	s_mov_b32 s58, 0
	v_cmp_le_u64_e32 vcc_lo, s[24:25], v[28:29]
	s_orn2_b32 s47, vcc_lo, exec_lo
	s_branch .LBB159_179
.LBB159_184:                            ;   in Loop: Header=BB159_12 Depth=1
                                        ; implicit-def: $sgpr62_sgpr63
	s_branch .LBB159_130
.LBB159_185:                            ;   in Loop: Header=BB159_12 Depth=1
                                        ; implicit-def: $sgpr22_sgpr23
	s_branch .LBB159_146
.LBB159_186:                            ;   in Loop: Header=BB159_12 Depth=1
	s_inst_prefetch 0x2
	s_or_b32 exec_lo, exec_lo, s44
	s_and_b32 s44, s46, exec_lo
.LBB159_187:                            ;   in Loop: Header=BB159_12 Depth=1
	s_or_b32 exec_lo, exec_lo, s45
.LBB159_188:                            ;   in Loop: Header=BB159_12 Depth=1
	s_and_b32 vcc_lo, exec_lo, s26
	s_cbranch_vccz .LBB159_202
; %bb.189:                              ;   in Loop: Header=BB159_12 Depth=1
	s_mov_b32 s58, s27
	s_cmp_lg_u64 s[58:59], 0
	s_cbranch_scc0 .LBB159_221
; %bb.190:                              ;   in Loop: Header=BB159_12 Depth=1
	v_cvt_f32_u32_e32 v3, s49
	s_sub_u32 s24, 0, s49
	s_subb_u32 s25, 0, 0
	v_fmac_f32_e64 v3, 0x4f800000, 0
	v_rcp_f32_e32 v3, v3
	v_mul_f32_e32 v3, 0x5f7ffffc, v3
	v_mul_f32_e32 v4, 0x2f800000, v3
	v_trunc_f32_e32 v4, v4
	v_fmac_f32_e32 v3, 0xcf800000, v4
	v_cvt_u32_f32_e32 v4, v4
	v_cvt_u32_f32_e32 v3, v3
	v_readfirstlane_b32 s22, v4
	v_readfirstlane_b32 s23, v3
	s_mul_i32 s26, s24, s22
	s_mul_hi_u32 s46, s24, s23
	s_mul_i32 s45, s25, s23
	s_add_i32 s26, s46, s26
	s_mul_i32 s47, s24, s23
	s_add_i32 s26, s26, s45
	s_mul_hi_u32 s46, s23, s47
	s_mul_i32 s62, s23, s26
	s_mul_hi_u32 s58, s22, s47
	s_mul_i32 s45, s22, s47
	s_mul_hi_u32 s47, s23, s26
	s_add_u32 s46, s46, s62
	s_addc_u32 s47, 0, s47
	s_mul_hi_u32 s63, s22, s26
	s_add_u32 s45, s46, s45
	s_mul_i32 s26, s22, s26
	s_addc_u32 s45, s47, s58
	s_addc_u32 s46, s63, 0
	s_add_u32 s26, s45, s26
	s_addc_u32 s45, 0, s46
	s_add_u32 s23, s23, s26
	s_cselect_b32 s26, -1, 0
	s_mul_hi_u32 s46, s24, s23
	s_cmp_lg_u32 s26, 0
	s_mul_i32 s26, s24, s23
	s_addc_u32 s22, s22, s45
	s_mul_i32 s25, s25, s23
	s_mul_i32 s24, s24, s22
	s_mul_hi_u32 s45, s23, s26
	s_add_i32 s24, s46, s24
	s_mul_hi_u32 s46, s22, s26
	s_add_i32 s24, s24, s25
	s_mul_i32 s25, s22, s26
	s_mul_i32 s58, s23, s24
	s_mul_hi_u32 s47, s23, s24
	s_add_u32 s45, s45, s58
	s_addc_u32 s47, 0, s47
	s_mul_hi_u32 s26, s22, s24
	s_add_u32 s25, s45, s25
	s_mul_i32 s24, s22, s24
	s_addc_u32 s25, s47, s46
	s_addc_u32 s26, s26, 0
	s_add_u32 s24, s25, s24
	s_addc_u32 s25, 0, s26
	s_add_u32 s23, s23, s24
	s_cselect_b32 s24, -1, 0
	s_mul_hi_u32 s26, s82, s23
	s_cmp_lg_u32 s24, 0
	s_mul_hi_u32 s24, s59, s23
	s_addc_u32 s22, s22, s25
	s_mul_i32 s23, s59, s23
	s_mul_i32 s45, s82, s22
	s_mul_hi_u32 s25, s82, s22
	s_add_u32 s26, s26, s45
	s_addc_u32 s25, 0, s25
	s_mul_hi_u32 s46, s59, s22
	s_add_u32 s23, s26, s23
	s_mul_i32 s22, s59, s22
	s_addc_u32 s23, s25, s24
	s_addc_u32 s24, s46, 0
	s_add_u32 s22, s23, s22
	s_addc_u32 s23, 0, s24
	s_mul_hi_u32 s24, s49, s22
	s_mul_i32 s23, s49, s23
	s_mul_i32 s22, s49, s22
	s_add_i32 s24, s24, s23
	s_sub_u32 s22, s82, s22
	s_cselect_b32 s23, -1, 0
	s_cmp_lg_u32 s23, 0
	s_subb_u32 s23, s59, s24
	s_sub_u32 s24, s22, s49
	s_cselect_b32 s25, -1, 0
	s_cmp_lg_u32 s25, 0
	s_subb_u32 s25, s23, 0
	;; [unrolled: 4-line block ×3, first 2 shown]
	s_cmp_ge_u32 s24, s49
	s_cselect_b32 s46, -1, 0
	s_cmp_eq_u32 s25, 0
	s_cselect_b32 s46, s46, -1
	s_cmp_lg_u32 s46, 0
	s_cselect_b32 s25, s45, s25
	s_cselect_b32 s24, s26, s24
	s_cmp_ge_u32 s22, s49
	s_cselect_b32 s26, -1, 0
	s_cmp_eq_u32 s23, 0
	s_cselect_b32 s26, s26, -1
	s_cmp_lg_u32 s26, 0
	s_cselect_b32 s23, s25, s23
	s_cselect_b32 s22, s24, s22
	s_cbranch_execnz .LBB159_192
.LBB159_191:                            ;   in Loop: Header=BB159_12 Depth=1
	v_cvt_f32_u32_e32 v3, s49
	s_sub_i32 s23, 0, s49
	v_rcp_iflag_f32_e32 v3, v3
	v_mul_f32_e32 v3, 0x4f7ffffe, v3
	v_cvt_u32_f32_e32 v3, v3
	v_readfirstlane_b32 s22, v3
	s_mul_i32 s23, s23, s22
	s_mul_hi_u32 s23, s22, s23
	s_add_i32 s22, s22, s23
	s_mul_hi_u32 s22, s82, s22
	s_mul_i32 s22, s22, s49
	s_sub_i32 s22, s82, s22
	s_sub_i32 s23, s22, s49
	s_cmp_ge_u32 s22, s49
	s_cselect_b32 s22, s23, s22
	s_sub_i32 s23, s22, s49
	s_cmp_ge_u32 s22, s49
	s_cselect_b32 s26, s23, s22
	s_mov_b64 s[22:23], s[26:27]
.LBB159_192:                            ;   in Loop: Header=BB159_12 Depth=1
	s_sub_u32 s22, s82, s22
	s_subb_u32 s23, s59, s23
	s_mov_b32 s24, exec_lo
                                        ; implicit-def: $vgpr10_vgpr11
	v_cmpx_gt_u64_e64 s[22:23], v[0:1]
	s_cbranch_execz .LBB159_201
; %bb.193:                              ;   in Loop: Header=BB159_12 Depth=1
	v_mov_b32_e32 v29, v1
	v_mov_b32_e32 v28, v0
	s_mov_b32 s25, 0
                                        ; implicit-def: $sgpr26
	s_branch .LBB159_196
.LBB159_194:                            ;   in Loop: Header=BB159_196 Depth=2
	s_or_b32 exec_lo, exec_lo, s45
	s_waitcnt lgkmcnt(0)
	s_barrier
	buffer_gl0_inv
	ds_read_b128 v[8:11], v19 offset:3072
	s_mov_b32 s46, -1
	s_mov_b32 s45, -1
	s_waitcnt lgkmcnt(0)
	s_barrier
	buffer_gl0_inv
	v_cmp_eq_u64_e32 vcc_lo, 0, v[8:9]
	s_cbranch_vccnz .LBB159_199
.LBB159_195:                            ;   in Loop: Header=BB159_196 Depth=2
	s_and_b32 s46, exec_lo, s46
	s_or_b32 s25, s46, s25
	s_andn2_b32 s26, s26, exec_lo
	s_and_b32 s45, s45, exec_lo
	s_or_b32 s26, s26, s45
	s_andn2_b32 exec_lo, exec_lo, s25
	s_cbranch_execz .LBB159_200
.LBB159_196:                            ;   Parent Loop BB159_12 Depth=1
                                        ; =>  This Inner Loop Header: Depth=2
	s_mov_b32 s45, exec_lo
	v_cmpx_gt_u64_e64 s[36:37], v[28:29]
	s_cbranch_execz .LBB159_194
; %bb.197:                              ;   in Loop: Header=BB159_196 Depth=2
	v_mul_lo_u32 v5, v29, s30
	v_mul_lo_u32 v8, v28, s31
	v_mad_u64_u32 v[3:4], null, v28, s30, 0
	v_add3_u32 v4, v4, v8, v5
	v_lshlrev_b64 v[3:4], 3, v[3:4]
	v_add_co_u32 v3, vcc_lo, s33, v3
	v_add_co_ci_u32_e64 v4, null, s35, v4, vcc_lo
	global_load_dwordx2 v[4:5], v[3:4], off
	s_waitcnt vmcnt(0)
	v_xor_b32_e32 v3, 0x80000000, v5
	v_and_b32_e32 v8, v4, v12
	v_and_b32_e32 v9, v3, v13
	v_cmp_eq_u64_e32 vcc_lo, v[8:9], v[14:15]
	s_and_b32 exec_lo, exec_lo, vcc_lo
	s_cbranch_execz .LBB159_194
; %bb.198:                              ;   in Loop: Header=BB159_196 Depth=2
	v_mov_b32_e32 v3, v19
	ds_write_b128 v19, v[2:5] offset:3072
	s_branch .LBB159_194
.LBB159_199:                            ;   in Loop: Header=BB159_196 Depth=2
	v_add_co_u32 v28, vcc_lo, v28, s49
	v_add_co_ci_u32_e64 v29, null, 0, v29, vcc_lo
	s_mov_b32 s45, 0
	v_cmp_le_u64_e32 vcc_lo, s[22:23], v[28:29]
	s_orn2_b32 s46, vcc_lo, exec_lo
	s_branch .LBB159_195
.LBB159_200:                            ;   in Loop: Header=BB159_12 Depth=1
	s_or_b32 exec_lo, exec_lo, s25
	s_andn2_b32 s22, s44, exec_lo
	s_and_b32 s23, s26, exec_lo
	s_or_b32 s44, s22, s23
.LBB159_201:                            ;   in Loop: Header=BB159_12 Depth=1
	s_or_b32 exec_lo, exec_lo, s24
	s_mov_b32 s72, 0
	s_mov_b32 s73, -1
.LBB159_202:                            ;   in Loop: Header=BB159_12 Depth=1
	s_orn2_b32 s22, s44, exec_lo
.LBB159_203:                            ;   in Loop: Header=BB159_12 Depth=1
	s_or_b32 exec_lo, exec_lo, s74
	s_mov_b32 s23, 0
	s_and_saveexec_b32 s74, s22
	s_cbranch_execz .LBB159_265
; %bb.204:                              ;   in Loop: Header=BB159_12 Depth=1
	v_mov_b32_e32 v28, 1
	v_mov_b32_e32 v29, 0
	;; [unrolled: 1-line block ×3, first 2 shown]
	s_xor_b32 s24, s75, -1
	s_and_saveexec_b32 s22, s24
	s_cbranch_execz .LBB159_213
; %bb.205:                              ;   in Loop: Header=BB159_12 Depth=1
	s_mov_b32 s23, exec_lo
	v_cmpx_ge_u64_e64 s[18:19], v[30:31]
	s_xor_b32 s23, exec_lo, s23
	s_cbranch_execz .LBB159_210
; %bb.206:                              ;   in Loop: Header=BB159_12 Depth=1
	ds_read_b64 v[3:4], v19 offset:5120
	v_and_b32_e32 v5, s15, v15
	v_and_b32_e32 v8, s14, v14
	s_lshl_b64 s[24:25], 2, s93
	v_or_b32_e32 v13, s13, v13
	v_or_b32_e32 v12, s12, v12
	;; [unrolled: 1-line block ×4, first 2 shown]
	s_waitcnt lgkmcnt(0)
	v_cmp_ne_u64_e32 vcc_lo, 0, v[3:4]
	s_cbranch_vccnz .LBB159_210
; %bb.207:                              ;   in Loop: Header=BB159_12 Depth=1
	s_and_saveexec_b32 s24, s3
; %bb.208:                              ;   in Loop: Header=BB159_12 Depth=1
	v_mov_b32_e32 v3, s18
	v_mov_b32_e32 v4, s19
	ds_write_b64 v19, v[3:4] offset:5128
; %bb.209:                              ;   in Loop: Header=BB159_12 Depth=1
	s_or_b32 exec_lo, exec_lo, s24
	s_waitcnt lgkmcnt(0)
	s_barrier
	buffer_gl0_inv
.LBB159_210:                            ;   in Loop: Header=BB159_12 Depth=1
	s_or_saveexec_b32 s23, s23
	v_mov_b32_e32 v39, 8
	s_mov_b32 s24, 0
	s_xor_b32 exec_lo, exec_lo, s23
; %bb.211:                              ;   in Loop: Header=BB159_12 Depth=1
	v_sub_co_u32 v30, vcc_lo, v30, s18
	v_subrev_co_ci_u32_e64 v31, null, s19, v31, vcc_lo
	v_mov_b32_e32 v39, 0
	s_mov_b32 s24, exec_lo
; %bb.212:                              ;   in Loop: Header=BB159_12 Depth=1
	s_or_b32 exec_lo, exec_lo, s23
	v_mov_b32_e32 v28, v30
	v_mov_b32_e32 v29, v31
	s_and_b32 s23, s24, exec_lo
.LBB159_213:                            ;   in Loop: Header=BB159_12 Depth=1
	s_or_b32 exec_lo, exec_lo, s22
	s_mov_b32 s22, -1
                                        ; implicit-def: $sgpr44
                                        ; implicit-def: $sgpr58
	s_and_saveexec_b32 s75, s23
	s_cbranch_execz .LBB159_264
; %bb.214:                              ;   in Loop: Header=BB159_12 Depth=1
	v_cmp_eq_u64_e32 vcc_lo, 1, v[28:29]
	s_cmp_eq_u64 s[20:21], 1
	s_mov_b32 s23, -1
	s_cselect_b32 s22, -1, 0
                                        ; implicit-def: $sgpr44
                                        ; implicit-def: $sgpr58
	s_and_b32 s104, s22, vcc_lo
	s_and_saveexec_b32 vcc_hi, s104
	s_cbranch_execz .LBB159_252
; %bb.215:                              ;   in Loop: Header=BB159_12 Depth=1
	ds_read_b64 v[3:4], v19 offset:5120
	s_waitcnt lgkmcnt(0)
	s_barrier
	buffer_gl0_inv
	v_readfirstlane_b32 s22, v3
	v_readfirstlane_b32 s23, v4
	s_and_saveexec_b32 s24, s8
; %bb.216:                              ;   in Loop: Header=BB159_12 Depth=1
	v_mov_b32_e32 v18, v19
	ds_write_b64 v35, v[18:19]
; %bb.217:                              ;   in Loop: Header=BB159_12 Depth=1
	s_or_b32 exec_lo, exec_lo, s24
	v_or_b32_e32 v15, s13, v15
	v_or_b32_e32 v14, s12, v14
	;; [unrolled: 1-line block ×4, first 2 shown]
	s_mov_b32 s58, -1
	s_mov_b32 s44, 0
	s_cmp_eq_u64 s[22:23], 0
	s_mov_b32 s45, 0
	s_mov_b32 s26, -1
	s_waitcnt lgkmcnt(0)
	s_barrier
	buffer_gl0_inv
                                        ; implicit-def: $vgpr10_vgpr11
	s_cbranch_scc1 .LBB159_235
; %bb.218:                              ;   in Loop: Header=BB159_12 Depth=1
	s_add_u32 s45, s22, s80
	s_addc_u32 s25, s23, s81
	s_mov_b32 s24, s27
	s_cmp_lg_u64 s[24:25], 0
	s_cbranch_scc0 .LBB159_222
; %bb.219:                              ;   in Loop: Header=BB159_12 Depth=1
	v_cvt_f32_u32_e32 v3, s49
	s_sub_u32 s46, 0, s49
	s_subb_u32 s47, 0, 0
	v_fmac_f32_e64 v3, 0x4f800000, 0
	v_rcp_f32_e32 v3, v3
	v_mul_f32_e32 v3, 0x5f7ffffc, v3
	v_mul_f32_e32 v4, 0x2f800000, v3
	v_trunc_f32_e32 v4, v4
	v_fmac_f32_e32 v3, 0xcf800000, v4
	v_cvt_u32_f32_e32 v4, v4
	v_cvt_u32_f32_e32 v3, v3
	v_readfirstlane_b32 s24, v4
	v_readfirstlane_b32 s26, v3
	s_mul_i32 s62, s46, s24
	s_mul_hi_u32 vcc_lo, s46, s26
	s_mul_i32 s63, s47, s26
	s_add_i32 s55, vcc_lo, s62
	s_mul_i32 s54, s46, s26
	s_add_i32 s55, s55, s63
	s_mul_hi_u32 s62, s26, s54
	s_mul_i32 s56, s26, s55
	s_mul_hi_u32 s63, s26, s55
	s_mul_hi_u32 vcc_lo, s24, s54
	s_mul_i32 s54, s24, s54
	s_add_u32 s56, s62, s56
	s_addc_u32 s62, 0, s63
	s_mul_hi_u32 s57, s24, s55
	s_add_u32 s54, s56, s54
	s_mul_i32 s55, s24, s55
	s_addc_u32 s54, s62, vcc_lo
	s_addc_u32 s56, s57, 0
	s_add_u32 s54, s54, s55
	s_addc_u32 s55, 0, s56
	s_add_u32 s26, s26, s54
	s_cselect_b32 s54, -1, 0
	s_mul_hi_u32 s56, s46, s26
	s_cmp_lg_u32 s54, 0
	s_mul_i32 s54, s46, s26
	s_addc_u32 s24, s24, s55
	s_mul_i32 s47, s47, s26
	s_mul_i32 s46, s46, s24
	s_mul_hi_u32 s55, s26, s54
	s_add_i32 s46, s56, s46
	s_mul_hi_u32 s56, s24, s54
	s_add_i32 s46, s46, s47
	s_mul_i32 s47, s24, s54
	s_mul_i32 s62, s26, s46
	s_mul_hi_u32 s57, s26, s46
	s_add_u32 s55, s55, s62
	s_addc_u32 s57, 0, s57
	s_mul_hi_u32 s54, s24, s46
	s_add_u32 s47, s55, s47
	s_mul_i32 s46, s24, s46
	s_addc_u32 s47, s57, s56
	s_addc_u32 s54, s54, 0
	s_add_u32 s46, s47, s46
	s_addc_u32 s47, 0, s54
	s_add_u32 s26, s26, s46
	s_cselect_b32 s46, -1, 0
	s_mul_hi_u32 s54, s45, s26
	s_cmp_lg_u32 s46, 0
	s_mul_hi_u32 s46, s25, s26
	s_addc_u32 s24, s24, s47
	s_mul_i32 s26, s25, s26
	s_mul_i32 s55, s45, s24
	s_mul_hi_u32 s47, s45, s24
	s_add_u32 s54, s54, s55
	s_addc_u32 s47, 0, s47
	s_mul_hi_u32 s56, s25, s24
	s_add_u32 s26, s54, s26
	s_mul_i32 s24, s25, s24
	s_addc_u32 s26, s47, s46
	s_addc_u32 s46, s56, 0
	s_add_u32 s24, s26, s24
	s_addc_u32 s26, 0, s46
	s_mul_hi_u32 s46, s49, s24
	s_mul_i32 s26, s49, s26
	s_mul_i32 s24, s49, s24
	s_add_i32 s46, s46, s26
	s_sub_u32 s24, s45, s24
	s_cselect_b32 s26, -1, 0
	s_cmp_lg_u32 s26, 0
	s_subb_u32 s26, s25, s46
	s_sub_u32 s46, s24, s49
	s_cselect_b32 s47, -1, 0
	s_cmp_lg_u32 s47, 0
	s_subb_u32 s47, s26, 0
	;; [unrolled: 4-line block ×3, first 2 shown]
	s_cmp_ge_u32 s46, s49
	s_cselect_b32 s56, -1, 0
	s_cmp_eq_u32 s47, 0
	s_cselect_b32 s56, s56, -1
	s_cmp_lg_u32 s56, 0
	s_cselect_b32 s47, s55, s47
	s_cselect_b32 s46, s54, s46
	s_cmp_ge_u32 s24, s49
	s_cselect_b32 s54, -1, 0
	s_cmp_eq_u32 s26, 0
	s_cselect_b32 s54, s54, -1
	s_cmp_lg_u32 s54, 0
	s_cselect_b32 s63, s47, s26
	s_cselect_b32 s62, s46, s24
	s_mov_b32 s24, 0
	s_branch .LBB159_223
.LBB159_220:                            ;   in Loop: Header=BB159_12 Depth=1
                                        ; implicit-def: $sgpr62_sgpr63
	s_branch .LBB159_175
.LBB159_221:                            ;   in Loop: Header=BB159_12 Depth=1
                                        ; implicit-def: $sgpr22_sgpr23
	s_branch .LBB159_191
.LBB159_222:                            ;   in Loop: Header=BB159_12 Depth=1
	s_mov_b32 s24, -1
                                        ; implicit-def: $sgpr62_sgpr63
.LBB159_223:                            ;   in Loop: Header=BB159_12 Depth=1
	s_andn2_b32 vcc_lo, exec_lo, s24
	s_cbranch_vccnz .LBB159_225
; %bb.224:                              ;   in Loop: Header=BB159_12 Depth=1
	v_cvt_f32_u32_e32 v3, s49
	s_sub_i32 s26, 0, s49
	v_rcp_iflag_f32_e32 v3, v3
	v_mul_f32_e32 v3, 0x4f7ffffe, v3
	v_cvt_u32_f32_e32 v3, v3
	v_readfirstlane_b32 s24, v3
	s_mul_i32 s26, s26, s24
	s_mul_hi_u32 s26, s24, s26
	s_add_i32 s24, s24, s26
	s_mul_hi_u32 s24, s45, s24
	s_mul_i32 s24, s24, s49
	s_sub_i32 s24, s45, s24
	s_sub_i32 s26, s24, s49
	s_cmp_ge_u32 s24, s49
	s_cselect_b32 s24, s26, s24
	s_sub_i32 s26, s24, s49
	s_cmp_ge_u32 s24, s49
	s_cselect_b32 s26, s26, s24
	s_mov_b64 s[62:63], s[26:27]
.LBB159_225:                            ;   in Loop: Header=BB159_12 Depth=1
	s_sub_u32 s24, s45, s62
	s_subb_u32 s25, s25, s63
	s_mov_b32 s26, 0
	s_mov_b32 s45, 0
	s_mov_b32 s46, exec_lo
                                        ; implicit-def: $vgpr10_vgpr11
	v_cmpx_gt_u64_e64 s[24:25], v[0:1]
	s_cbranch_execz .LBB159_234
; %bb.226:                              ;   in Loop: Header=BB159_12 Depth=1
	v_mov_b32_e32 v31, v1
	v_mov_b32_e32 v18, v34
	;; [unrolled: 1-line block ×3, first 2 shown]
                                        ; implicit-def: $sgpr47
	s_inst_prefetch 0x1
	s_branch .LBB159_229
	.p2align	6
.LBB159_227:                            ;   in Loop: Header=BB159_229 Depth=2
	s_or_b32 exec_lo, exec_lo, s62
	s_waitcnt lgkmcnt(0)
	s_barrier
	buffer_gl0_inv
	ds_read_b128 v[8:11], v19 offset:3072
	s_mov_b32 s62, -1
	s_mov_b32 s63, -1
	s_waitcnt lgkmcnt(0)
	s_barrier
	buffer_gl0_inv
	v_cmp_ne_u64_e32 vcc_lo, 0, v[8:9]
	s_cbranch_vccz .LBB159_232
.LBB159_228:                            ;   in Loop: Header=BB159_229 Depth=2
	s_and_b32 s54, exec_lo, s62
	s_or_b32 s45, s54, s45
	s_andn2_b32 s47, s47, exec_lo
	s_and_b32 s54, s63, exec_lo
	s_or_b32 s47, s47, s54
	s_andn2_b32 exec_lo, exec_lo, s45
	s_cbranch_execz .LBB159_233
.LBB159_229:                            ;   Parent Loop BB159_12 Depth=1
                                        ; =>  This Inner Loop Header: Depth=2
	s_mov_b32 s62, exec_lo
	v_cmpx_gt_u64_e64 s[22:23], v[30:31]
	s_cbranch_execz .LBB159_227
; %bb.230:                              ;   in Loop: Header=BB159_229 Depth=2
	ds_read_b64 v[4:5], v18
	s_waitcnt lgkmcnt(0)
	v_xor_b32_e32 v3, 0x80000000, v5
	v_and_b32_e32 v8, v4, v12
	v_and_b32_e32 v9, v3, v13
	v_cmp_eq_u64_e32 vcc_lo, v[8:9], v[14:15]
	s_and_b32 exec_lo, exec_lo, vcc_lo
	s_cbranch_execz .LBB159_227
; %bb.231:                              ;   in Loop: Header=BB159_229 Depth=2
	v_mov_b32_e32 v3, v19
	ds_write_b128 v19, v[2:5] offset:3072
	s_branch .LBB159_227
.LBB159_232:                            ;   in Loop: Header=BB159_229 Depth=2
	v_add_co_u32 v30, vcc_lo, v30, s49
	v_add_co_ci_u32_e64 v31, null, 0, v31, vcc_lo
	v_add_nc_u32_e32 v18, s86, v18
	s_mov_b32 s63, 0
	v_cmp_le_u64_e32 vcc_lo, s[24:25], v[30:31]
	s_orn2_b32 s62, vcc_lo, exec_lo
	s_branch .LBB159_228
.LBB159_233:                            ;   in Loop: Header=BB159_12 Depth=1
	s_inst_prefetch 0x2
	s_or_b32 exec_lo, exec_lo, s45
	s_and_b32 s45, s47, exec_lo
.LBB159_234:                            ;   in Loop: Header=BB159_12 Depth=1
	s_or_b32 exec_lo, exec_lo, s46
.LBB159_235:                            ;   in Loop: Header=BB159_12 Depth=1
	s_and_b32 vcc_lo, exec_lo, s26
	s_cbranch_vccz .LBB159_251
; %bb.236:                              ;   in Loop: Header=BB159_12 Depth=1
	s_mov_b32 s58, s27
	s_cmp_lg_u64 s[58:59], 0
	s_cbranch_scc0 .LBB159_238
; %bb.237:                              ;   in Loop: Header=BB159_12 Depth=1
	v_cvt_f32_u32_e32 v3, s49
	s_sub_u32 s24, 0, s49
	s_subb_u32 s25, 0, 0
	v_fmac_f32_e64 v3, 0x4f800000, 0
	v_rcp_f32_e32 v3, v3
	v_mul_f32_e32 v3, 0x5f7ffffc, v3
	v_mul_f32_e32 v4, 0x2f800000, v3
	v_trunc_f32_e32 v4, v4
	v_fmac_f32_e32 v3, 0xcf800000, v4
	v_cvt_u32_f32_e32 v4, v4
	v_cvt_u32_f32_e32 v3, v3
	v_readfirstlane_b32 s22, v4
	v_readfirstlane_b32 s23, v3
	s_mul_i32 s26, s24, s22
	s_mul_hi_u32 s46, s24, s23
	s_mul_i32 s44, s25, s23
	s_add_i32 s26, s46, s26
	s_mul_i32 s47, s24, s23
	s_add_i32 s26, s26, s44
	s_mul_hi_u32 s46, s23, s47
	s_mul_i32 s55, s23, s26
	s_mul_hi_u32 s54, s22, s47
	s_mul_i32 s44, s22, s47
	s_mul_hi_u32 s47, s23, s26
	s_add_u32 s46, s46, s55
	s_addc_u32 s47, 0, s47
	s_mul_hi_u32 s56, s22, s26
	s_add_u32 s44, s46, s44
	s_mul_i32 s26, s22, s26
	s_addc_u32 s44, s47, s54
	s_addc_u32 s46, s56, 0
	s_add_u32 s26, s44, s26
	s_addc_u32 s44, 0, s46
	s_add_u32 s23, s23, s26
	s_cselect_b32 s26, -1, 0
	s_mul_hi_u32 s46, s24, s23
	s_cmp_lg_u32 s26, 0
	s_mul_i32 s26, s24, s23
	s_addc_u32 s22, s22, s44
	s_mul_i32 s25, s25, s23
	s_mul_i32 s24, s24, s22
	s_mul_hi_u32 s44, s23, s26
	s_add_i32 s24, s46, s24
	s_mul_hi_u32 s46, s22, s26
	s_add_i32 s24, s24, s25
	s_mul_i32 s25, s22, s26
	s_mul_i32 s54, s23, s24
	s_mul_hi_u32 s47, s23, s24
	s_add_u32 s44, s44, s54
	s_addc_u32 s47, 0, s47
	s_mul_hi_u32 s26, s22, s24
	s_add_u32 s25, s44, s25
	s_mul_i32 s24, s22, s24
	s_addc_u32 s25, s47, s46
	s_addc_u32 s26, s26, 0
	s_add_u32 s24, s25, s24
	s_addc_u32 s25, 0, s26
	s_add_u32 s23, s23, s24
	s_cselect_b32 s24, -1, 0
	s_mul_hi_u32 s26, s82, s23
	s_cmp_lg_u32 s24, 0
	s_mul_hi_u32 s24, s59, s23
	s_addc_u32 s22, s22, s25
	s_mul_i32 s23, s59, s23
	s_mul_i32 s44, s82, s22
	s_mul_hi_u32 s25, s82, s22
	s_add_u32 s26, s26, s44
	s_addc_u32 s25, 0, s25
	s_mul_hi_u32 s46, s59, s22
	s_add_u32 s23, s26, s23
	s_mul_i32 s22, s59, s22
	s_addc_u32 s23, s25, s24
	s_addc_u32 s24, s46, 0
	s_add_u32 s22, s23, s22
	s_addc_u32 s23, 0, s24
	s_mul_hi_u32 s24, s49, s22
	s_mul_i32 s23, s49, s23
	s_mul_i32 s22, s49, s22
	s_add_i32 s24, s24, s23
	s_sub_u32 s22, s82, s22
	s_cselect_b32 s23, -1, 0
	s_cmp_lg_u32 s23, 0
	s_subb_u32 s23, s59, s24
	s_sub_u32 s24, s22, s49
	s_cselect_b32 s25, -1, 0
	s_cmp_lg_u32 s25, 0
	s_subb_u32 s25, s23, 0
	s_sub_u32 s26, s24, s49
	s_cselect_b32 s44, -1, 0
	s_cmp_lg_u32 s44, 0
	s_subb_u32 s44, s25, 0
	s_cmp_ge_u32 s24, s49
	s_cselect_b32 s46, -1, 0
	s_cmp_eq_u32 s25, 0
	s_cselect_b32 s46, s46, -1
	s_cmp_lg_u32 s46, 0
	s_cselect_b32 s25, s44, s25
	s_cselect_b32 s24, s26, s24
	s_cmp_ge_u32 s22, s49
	s_cselect_b32 s26, -1, 0
	s_cmp_eq_u32 s23, 0
	s_cselect_b32 s26, s26, -1
	s_cmp_lg_u32 s26, 0
	s_cselect_b32 s23, s25, s23
	s_cselect_b32 s22, s24, s22
	s_mov_b32 s24, 0
	s_branch .LBB159_239
.LBB159_238:                            ;   in Loop: Header=BB159_12 Depth=1
	s_mov_b32 s24, -1
                                        ; implicit-def: $sgpr22_sgpr23
.LBB159_239:                            ;   in Loop: Header=BB159_12 Depth=1
	s_andn2_b32 vcc_lo, exec_lo, s24
	s_cbranch_vccnz .LBB159_241
; %bb.240:                              ;   in Loop: Header=BB159_12 Depth=1
	v_cvt_f32_u32_e32 v3, s49
	s_sub_i32 s23, 0, s49
	v_rcp_iflag_f32_e32 v3, v3
	v_mul_f32_e32 v3, 0x4f7ffffe, v3
	v_cvt_u32_f32_e32 v3, v3
	v_readfirstlane_b32 s22, v3
	s_mul_i32 s23, s23, s22
	s_mul_hi_u32 s23, s22, s23
	s_add_i32 s22, s22, s23
	s_mul_hi_u32 s22, s82, s22
	s_mul_i32 s22, s22, s49
	s_sub_i32 s22, s82, s22
	s_sub_i32 s23, s22, s49
	s_cmp_ge_u32 s22, s49
	s_cselect_b32 s22, s23, s22
	s_sub_i32 s23, s22, s49
	s_cmp_ge_u32 s22, s49
	s_cselect_b32 s26, s23, s22
	s_mov_b64 s[22:23], s[26:27]
.LBB159_241:                            ;   in Loop: Header=BB159_12 Depth=1
	s_sub_u32 s22, s82, s22
	s_subb_u32 s23, s59, s23
	s_mov_b32 s24, exec_lo
                                        ; implicit-def: $vgpr10_vgpr11
	v_cmpx_gt_u64_e64 s[22:23], v[0:1]
	s_cbranch_execz .LBB159_250
; %bb.242:                              ;   in Loop: Header=BB159_12 Depth=1
	v_mov_b32_e32 v31, v1
	v_mov_b32_e32 v30, v0
	s_mov_b32 s25, 0
                                        ; implicit-def: $sgpr26
	s_branch .LBB159_245
.LBB159_243:                            ;   in Loop: Header=BB159_245 Depth=2
	s_or_b32 exec_lo, exec_lo, s44
	s_waitcnt lgkmcnt(0)
	s_barrier
	buffer_gl0_inv
	ds_read_b128 v[8:11], v19 offset:3072
	s_mov_b32 s46, -1
	s_mov_b32 s44, -1
	s_waitcnt lgkmcnt(0)
	s_barrier
	buffer_gl0_inv
	v_cmp_eq_u64_e32 vcc_lo, 0, v[8:9]
	s_cbranch_vccnz .LBB159_248
.LBB159_244:                            ;   in Loop: Header=BB159_245 Depth=2
	s_and_b32 s46, exec_lo, s46
	s_or_b32 s25, s46, s25
	s_andn2_b32 s26, s26, exec_lo
	s_and_b32 s44, s44, exec_lo
	s_or_b32 s26, s26, s44
	s_andn2_b32 exec_lo, exec_lo, s25
	s_cbranch_execz .LBB159_249
.LBB159_245:                            ;   Parent Loop BB159_12 Depth=1
                                        ; =>  This Inner Loop Header: Depth=2
	s_mov_b32 s44, exec_lo
	v_cmpx_gt_u64_e64 s[36:37], v[30:31]
	s_cbranch_execz .LBB159_243
; %bb.246:                              ;   in Loop: Header=BB159_245 Depth=2
	v_mul_lo_u32 v5, v31, s30
	v_mul_lo_u32 v8, v30, s31
	v_mad_u64_u32 v[3:4], null, v30, s30, 0
	v_add3_u32 v4, v4, v8, v5
	v_lshlrev_b64 v[3:4], 3, v[3:4]
	v_add_co_u32 v3, vcc_lo, s33, v3
	v_add_co_ci_u32_e64 v4, null, s35, v4, vcc_lo
	global_load_dwordx2 v[4:5], v[3:4], off
	s_waitcnt vmcnt(0)
	v_xor_b32_e32 v3, 0x80000000, v5
	v_and_b32_e32 v8, v4, v12
	v_and_b32_e32 v9, v3, v13
	v_cmp_eq_u64_e32 vcc_lo, v[8:9], v[14:15]
	s_and_b32 exec_lo, exec_lo, vcc_lo
	s_cbranch_execz .LBB159_243
; %bb.247:                              ;   in Loop: Header=BB159_245 Depth=2
	v_mov_b32_e32 v3, v19
	ds_write_b128 v19, v[2:5] offset:3072
	s_branch .LBB159_243
.LBB159_248:                            ;   in Loop: Header=BB159_245 Depth=2
	v_add_co_u32 v30, vcc_lo, v30, s49
	v_add_co_ci_u32_e64 v31, null, 0, v31, vcc_lo
	s_mov_b32 s44, 0
	v_cmp_le_u64_e32 vcc_lo, s[22:23], v[30:31]
	s_orn2_b32 s46, vcc_lo, exec_lo
	s_branch .LBB159_244
.LBB159_249:                            ;   in Loop: Header=BB159_12 Depth=1
	s_or_b32 exec_lo, exec_lo, s25
	s_andn2_b32 s22, s45, exec_lo
	s_and_b32 s23, s26, exec_lo
	s_or_b32 s45, s22, s23
.LBB159_250:                            ;   in Loop: Header=BB159_12 Depth=1
	s_or_b32 exec_lo, exec_lo, s24
	s_mov_b32 s58, 0
	s_mov_b32 s44, -1
.LBB159_251:                            ;   in Loop: Header=BB159_12 Depth=1
	s_orn2_b32 s23, s45, exec_lo
.LBB159_252:                            ;   in Loop: Header=BB159_12 Depth=1
	s_or_b32 exec_lo, exec_lo, vcc_hi
	s_mov_b32 s24, 0
	s_and_saveexec_b32 s22, s23
	s_cbranch_execz .LBB159_263
; %bb.253:                              ;   in Loop: Header=BB159_12 Depth=1
	v_mov_b32_e32 v3, 1
	v_mov_b32_e32 v4, 0
	;; [unrolled: 1-line block ×3, first 2 shown]
	s_xor_b32 s24, s104, -1
	s_and_saveexec_b32 s23, s24
	s_cbranch_execz .LBB159_262
; %bb.254:                              ;   in Loop: Header=BB159_12 Depth=1
	s_mov_b32 s24, exec_lo
	v_cmpx_ge_u64_e64 s[20:21], v[28:29]
	s_xor_b32 s24, exec_lo, s24
	s_cbranch_execz .LBB159_259
; %bb.255:                              ;   in Loop: Header=BB159_12 Depth=1
	ds_read_b64 v[3:4], v19 offset:5120
	v_or_b32_e32 v15, s13, v15
	v_or_b32_e32 v14, s12, v14
	;; [unrolled: 1-line block ×4, first 2 shown]
	s_waitcnt lgkmcnt(0)
	v_cmp_ne_u64_e32 vcc_lo, 0, v[3:4]
	s_cbranch_vccnz .LBB159_259
; %bb.256:                              ;   in Loop: Header=BB159_12 Depth=1
	s_and_saveexec_b32 s25, s3
; %bb.257:                              ;   in Loop: Header=BB159_12 Depth=1
	v_mov_b32_e32 v3, s20
	v_mov_b32_e32 v4, s21
	ds_write_b64 v19, v[3:4] offset:5128
; %bb.258:                              ;   in Loop: Header=BB159_12 Depth=1
	s_or_b32 exec_lo, exec_lo, s25
	s_waitcnt lgkmcnt(0)
	s_barrier
	buffer_gl0_inv
.LBB159_259:                            ;   in Loop: Header=BB159_12 Depth=1
	s_andn2_saveexec_b32 s24, s24
; %bb.260:                              ;   in Loop: Header=BB159_12 Depth=1
	v_sub_co_u32 v28, vcc_lo, v28, s20
	v_subrev_co_ci_u32_e64 v29, null, s21, v29, vcc_lo
; %bb.261:                              ;   in Loop: Header=BB159_12 Depth=1
	s_or_b32 exec_lo, exec_lo, s24
	v_mov_b32_e32 v3, v28
	v_mov_b32_e32 v39, 8
	;; [unrolled: 1-line block ×3, first 2 shown]
.LBB159_262:                            ;   in Loop: Header=BB159_12 Depth=1
	s_or_b32 exec_lo, exec_lo, s23
	v_mov_b32_e32 v29, v4
	v_mov_b32_e32 v28, v3
	s_mov_b32 s24, exec_lo
.LBB159_263:                            ;   in Loop: Header=BB159_12 Depth=1
	s_or_b32 exec_lo, exec_lo, s22
	s_orn2_b32 s22, s24, exec_lo
.LBB159_264:                            ;   in Loop: Header=BB159_12 Depth=1
	s_or_b32 exec_lo, exec_lo, s75
	v_mov_b32_e32 v31, v29
	v_mov_b32_e32 v30, v28
	s_andn2_b32 s23, s73, exec_lo
	s_and_b32 s24, s44, exec_lo
	s_andn2_b32 s25, s72, exec_lo
	s_and_b32 s26, s58, exec_lo
	s_or_b32 s73, s23, s24
	s_or_b32 s72, s25, s26
	s_and_b32 s23, s22, exec_lo
.LBB159_265:                            ;   in Loop: Header=BB159_12 Depth=1
	s_or_b32 exec_lo, exec_lo, s74
	s_orn2_b32 s22, s23, exec_lo
.LBB159_266:                            ;   in Loop: Header=BB159_12 Depth=1
	s_or_b32 exec_lo, exec_lo, s71
	v_mov_b32_e32 v28, v30
	v_mov_b32_e32 v29, v31
	s_andn2_b32 s23, s69, exec_lo
	s_and_b32 s24, s73, exec_lo
	s_andn2_b32 s25, s68, exec_lo
	s_and_b32 s26, s72, exec_lo
	s_or_b32 s69, s23, s24
	s_or_b32 s68, s25, s26
	s_and_b32 s23, s22, exec_lo
.LBB159_267:                            ;   in Loop: Header=BB159_12 Depth=1
	s_or_b32 exec_lo, exec_lo, s70
	s_orn2_b32 s22, s23, exec_lo
.LBB159_268:                            ;   in Loop: Header=BB159_12 Depth=1
	s_or_b32 exec_lo, exec_lo, s6
	s_mov_b32 s6, 0
	s_mov_b32 s23, 0
	s_and_saveexec_b32 s24, s22
	s_xor_b32 s22, exec_lo, s24
; %bb.269:                              ;   in Loop: Header=BB159_12 Depth=1
	v_cmp_ne_u32_e32 vcc_lo, 8, v39
	v_cmp_eq_u32_e64 s6, 8, v39
	s_and_b32 s23, vcc_lo, exec_lo
	s_and_b32 s6, s6, exec_lo
; %bb.270:                              ;   in Loop: Header=BB159_12 Depth=1
	s_or_b32 exec_lo, exec_lo, s22
	s_andn2_b32 s22, s65, exec_lo
	s_and_b32 s24, s69, exec_lo
	s_andn2_b32 s25, s64, exec_lo
	s_and_b32 s26, s68, exec_lo
	s_or_b32 s65, s22, s24
	s_or_b32 s64, s25, s26
	s_and_b32 s62, s23, exec_lo
	s_and_b32 s63, s6, exec_lo
.LBB159_271:                            ;   in Loop: Header=BB159_12 Depth=1
	s_or_b32 exec_lo, exec_lo, s67
.LBB159_272:                            ;   in Loop: Header=BB159_12 Depth=1
	s_and_b32 vcc_lo, exec_lo, s66
	s_cbranch_vccz .LBB159_288
; %bb.273:                              ;   in Loop: Header=BB159_12 Depth=1
	s_cmp_eq_u64 s[20:21], 1
                                        ; implicit-def: $sgpr66
                                        ; implicit-def: $sgpr9
	s_cselect_b32 s6, -1, 0
	s_and_b32 s64, s6, s7
	s_mov_b32 s6, -1
	s_and_saveexec_b32 s65, s64
	s_cbranch_execz .LBB159_306
; %bb.274:                              ;   in Loop: Header=BB159_12 Depth=1
	ds_read_b64 v[3:4], v19 offset:5120
	s_waitcnt lgkmcnt(0)
	s_barrier
	buffer_gl0_inv
	v_readfirstlane_b32 s6, v3
	v_readfirstlane_b32 s7, v4
	s_and_saveexec_b32 s9, s8
; %bb.275:                              ;   in Loop: Header=BB159_12 Depth=1
	v_mov_b32_e32 v18, v19
	ds_write_b64 v35, v[18:19]
; %bb.276:                              ;   in Loop: Header=BB159_12 Depth=1
	s_or_b32 exec_lo, exec_lo, s9
	v_or_b32_e32 v23, s13, v23
	v_or_b32_e32 v22, s12, v22
	;; [unrolled: 1-line block ×4, first 2 shown]
	s_mov_b32 s9, -1
	s_mov_b32 s66, 0
	s_cmp_eq_u64 s[6:7], 0
	s_mov_b32 s24, 0
	s_mov_b32 s25, -1
	s_waitcnt lgkmcnt(0)
	s_barrier
	buffer_gl0_inv
                                        ; implicit-def: $vgpr6_vgpr7
	s_cbranch_scc1 .LBB159_291
; %bb.277:                              ;   in Loop: Header=BB159_12 Depth=1
	s_add_u32 s44, s6, s80
	s_addc_u32 s23, s7, s81
	s_mov_b32 s22, s27
	s_cmp_lg_u64 s[22:23], 0
	s_cbranch_scc0 .LBB159_332
; %bb.278:                              ;   in Loop: Header=BB159_12 Depth=1
	v_cvt_f32_u32_e32 v3, s49
	s_sub_u32 s25, 0, s49
	s_subb_u32 s26, 0, 0
	v_fmac_f32_e64 v3, 0x4f800000, 0
	v_rcp_f32_e32 v3, v3
	v_mul_f32_e32 v3, 0x5f7ffffc, v3
	v_mul_f32_e32 v4, 0x2f800000, v3
	v_trunc_f32_e32 v4, v4
	v_fmac_f32_e32 v3, 0xcf800000, v4
	v_cvt_u32_f32_e32 v4, v4
	v_cvt_u32_f32_e32 v3, v3
	v_readfirstlane_b32 s22, v4
	v_readfirstlane_b32 s24, v3
	s_mul_i32 s45, s25, s22
	s_mul_hi_u32 s47, s25, s24
	s_mul_i32 s46, s26, s24
	s_add_i32 s45, s47, s45
	s_mul_i32 s58, s25, s24
	s_add_i32 s45, s45, s46
	s_mul_hi_u32 s47, s24, s58
	s_mul_i32 s68, s24, s45
	s_mul_hi_u32 s67, s22, s58
	s_mul_i32 s46, s22, s58
	s_mul_hi_u32 s58, s24, s45
	s_add_u32 s47, s47, s68
	s_addc_u32 s58, 0, s58
	s_mul_hi_u32 s69, s22, s45
	s_add_u32 s46, s47, s46
	s_mul_i32 s45, s22, s45
	s_addc_u32 s46, s58, s67
	s_addc_u32 s47, s69, 0
	s_add_u32 s45, s46, s45
	s_addc_u32 s46, 0, s47
	s_add_u32 s24, s24, s45
	s_cselect_b32 s45, -1, 0
	s_mul_hi_u32 s47, s25, s24
	s_cmp_lg_u32 s45, 0
	s_mul_i32 s45, s25, s24
	s_addc_u32 s22, s22, s46
	s_mul_i32 s26, s26, s24
	s_mul_i32 s25, s25, s22
	s_mul_hi_u32 s46, s24, s45
	s_add_i32 s25, s47, s25
	s_mul_hi_u32 s47, s22, s45
	s_add_i32 s25, s25, s26
	s_mul_i32 s26, s22, s45
	s_mul_i32 s67, s24, s25
	s_mul_hi_u32 s58, s24, s25
	s_add_u32 s46, s46, s67
	s_addc_u32 s58, 0, s58
	s_mul_hi_u32 s45, s22, s25
	s_add_u32 s26, s46, s26
	s_mul_i32 s25, s22, s25
	s_addc_u32 s26, s58, s47
	s_addc_u32 s45, s45, 0
	s_add_u32 s25, s26, s25
	s_addc_u32 s26, 0, s45
	s_add_u32 s24, s24, s25
	s_cselect_b32 s25, -1, 0
	s_mul_hi_u32 s45, s44, s24
	s_cmp_lg_u32 s25, 0
	s_mul_hi_u32 s25, s23, s24
	s_addc_u32 s22, s22, s26
	s_mul_i32 s24, s23, s24
	s_mul_i32 s46, s44, s22
	s_mul_hi_u32 s26, s44, s22
	s_add_u32 s45, s45, s46
	s_addc_u32 s26, 0, s26
	s_mul_hi_u32 s47, s23, s22
	s_add_u32 s24, s45, s24
	s_mul_i32 s22, s23, s22
	s_addc_u32 s24, s26, s25
	s_addc_u32 s25, s47, 0
	s_add_u32 s22, s24, s22
	s_addc_u32 s24, 0, s25
	s_mul_hi_u32 s25, s49, s22
	s_mul_i32 s24, s49, s24
	s_mul_i32 s22, s49, s22
	s_add_i32 s25, s25, s24
	s_sub_u32 s22, s44, s22
	s_cselect_b32 s24, -1, 0
	s_cmp_lg_u32 s24, 0
	s_subb_u32 s24, s23, s25
	s_sub_u32 s25, s22, s49
	s_cselect_b32 s26, -1, 0
	s_cmp_lg_u32 s26, 0
	s_subb_u32 s26, s24, 0
	;; [unrolled: 4-line block ×3, first 2 shown]
	s_cmp_ge_u32 s25, s49
	s_cselect_b32 s47, -1, 0
	s_cmp_eq_u32 s26, 0
	s_cselect_b32 s47, s47, -1
	s_cmp_lg_u32 s47, 0
	s_cselect_b32 s26, s46, s26
	s_cselect_b32 s45, s45, s25
	s_cmp_ge_u32 s22, s49
	s_cselect_b32 s25, -1, 0
	s_cmp_eq_u32 s24, 0
	s_cselect_b32 s25, s25, -1
	s_cmp_lg_u32 s25, 0
	s_cselect_b32 s25, s26, s24
	s_cselect_b32 s24, s45, s22
	s_cbranch_execnz .LBB159_280
.LBB159_279:                            ;   in Loop: Header=BB159_12 Depth=1
	v_cvt_f32_u32_e32 v3, s49
	s_sub_i32 s24, 0, s49
	v_rcp_iflag_f32_e32 v3, v3
	v_mul_f32_e32 v3, 0x4f7ffffe, v3
	v_cvt_u32_f32_e32 v3, v3
	v_readfirstlane_b32 s22, v3
	s_mul_i32 s24, s24, s22
	s_mul_hi_u32 s24, s22, s24
	s_add_i32 s22, s22, s24
	s_mul_hi_u32 s22, s44, s22
	s_mul_i32 s22, s22, s49
	s_sub_i32 s22, s44, s22
	s_sub_i32 s24, s22, s49
	s_cmp_ge_u32 s22, s49
	s_cselect_b32 s22, s24, s22
	s_sub_i32 s24, s22, s49
	s_cmp_ge_u32 s22, s49
	s_cselect_b32 s26, s24, s22
	s_mov_b64 s[24:25], s[26:27]
.LBB159_280:                            ;   in Loop: Header=BB159_12 Depth=1
	s_sub_u32 s22, s44, s24
	s_subb_u32 s23, s23, s25
	s_mov_b32 s25, 0
	s_mov_b32 s24, 0
	s_mov_b32 s26, exec_lo
                                        ; implicit-def: $vgpr6_vgpr7
	v_cmpx_gt_u64_e64 s[22:23], v[0:1]
	s_cbranch_execz .LBB159_290
; %bb.281:                              ;   in Loop: Header=BB159_12 Depth=1
	v_mov_b32_e32 v9, v1
	v_mov_b32_e32 v10, v34
	v_mov_b32_e32 v8, v0
                                        ; implicit-def: $sgpr44
	s_inst_prefetch 0x1
	s_branch .LBB159_284
	.p2align	6
.LBB159_282:                            ;   in Loop: Header=BB159_284 Depth=2
	s_or_b32 exec_lo, exec_lo, s45
	s_waitcnt lgkmcnt(0)
	s_barrier
	buffer_gl0_inv
	ds_read_b128 v[4:7], v19 offset:3072
	s_mov_b32 s45, -1
	s_mov_b32 s46, -1
	s_waitcnt lgkmcnt(0)
	s_barrier
	buffer_gl0_inv
	v_cmp_ne_u64_e32 vcc_lo, 0, v[4:5]
	s_cbranch_vccz .LBB159_287
.LBB159_283:                            ;   in Loop: Header=BB159_284 Depth=2
	s_and_b32 s45, exec_lo, s45
	s_or_b32 s24, s45, s24
	s_andn2_b32 s44, s44, exec_lo
	s_and_b32 s45, s46, exec_lo
	s_or_b32 s44, s44, s45
	s_andn2_b32 exec_lo, exec_lo, s24
	s_cbranch_execz .LBB159_289
.LBB159_284:                            ;   Parent Loop BB159_12 Depth=1
                                        ; =>  This Inner Loop Header: Depth=2
	s_mov_b32 s45, exec_lo
	v_cmpx_gt_u64_e64 s[6:7], v[8:9]
	s_cbranch_execz .LBB159_282
; %bb.285:                              ;   in Loop: Header=BB159_284 Depth=2
	ds_read_b64 v[4:5], v10
	s_waitcnt lgkmcnt(0)
	v_xor_b32_e32 v3, 0x80000000, v5
	v_and_b32_e32 v6, v4, v24
	v_and_b32_e32 v7, v3, v25
	v_cmp_eq_u64_e32 vcc_lo, v[6:7], v[22:23]
	s_and_b32 exec_lo, exec_lo, vcc_lo
	s_cbranch_execz .LBB159_282
; %bb.286:                              ;   in Loop: Header=BB159_284 Depth=2
	v_mov_b32_e32 v3, v19
	ds_write_b128 v19, v[2:5] offset:3072
	s_branch .LBB159_282
.LBB159_287:                            ;   in Loop: Header=BB159_284 Depth=2
	v_add_co_u32 v8, vcc_lo, v8, s49
	v_add_co_ci_u32_e64 v9, null, 0, v9, vcc_lo
	v_add_nc_u32_e32 v10, s86, v10
	s_mov_b32 s46, 0
	v_cmp_le_u64_e32 vcc_lo, s[22:23], v[8:9]
	s_orn2_b32 s45, vcc_lo, exec_lo
	s_branch .LBB159_283
.LBB159_288:                            ;   in Loop: Header=BB159_12 Depth=1
	v_mov_b32_e32 v23, v15
	v_mov_b32_e32 v25, v13
	;; [unrolled: 1-line block ×6, first 2 shown]
	s_mov_b32 s66, 0
	s_and_saveexec_b32 s6, s63
	s_cbranch_execnz .LBB159_465
	s_branch .LBB159_466
.LBB159_289:                            ;   in Loop: Header=BB159_12 Depth=1
	s_inst_prefetch 0x2
	s_or_b32 exec_lo, exec_lo, s24
	s_and_b32 s24, s44, exec_lo
.LBB159_290:                            ;   in Loop: Header=BB159_12 Depth=1
	s_or_b32 exec_lo, exec_lo, s26
.LBB159_291:                            ;   in Loop: Header=BB159_12 Depth=1
	s_and_b32 vcc_lo, exec_lo, s25
	s_cbranch_vccz .LBB159_305
; %bb.292:                              ;   in Loop: Header=BB159_12 Depth=1
	s_mov_b32 s58, s27
	s_cmp_lg_u64 s[58:59], 0
	s_cbranch_scc0 .LBB159_333
; %bb.293:                              ;   in Loop: Header=BB159_12 Depth=1
	v_cvt_f32_u32_e32 v3, s49
	s_sub_u32 s9, 0, s49
	s_subb_u32 s22, 0, 0
	v_fmac_f32_e64 v3, 0x4f800000, 0
	v_rcp_f32_e32 v3, v3
	v_mul_f32_e32 v3, 0x5f7ffffc, v3
	v_mul_f32_e32 v4, 0x2f800000, v3
	v_trunc_f32_e32 v4, v4
	v_fmac_f32_e32 v3, 0xcf800000, v4
	v_cvt_u32_f32_e32 v4, v4
	v_cvt_u32_f32_e32 v3, v3
	v_readfirstlane_b32 s6, v4
	v_readfirstlane_b32 s7, v3
	s_mul_i32 s23, s9, s6
	s_mul_hi_u32 s26, s9, s7
	s_mul_i32 s25, s22, s7
	s_add_i32 s23, s26, s23
	s_mul_i32 s44, s9, s7
	s_add_i32 s23, s23, s25
	s_mul_hi_u32 s26, s7, s44
	s_mul_i32 s46, s7, s23
	s_mul_hi_u32 s45, s6, s44
	s_mul_i32 s25, s6, s44
	s_mul_hi_u32 s44, s7, s23
	s_add_u32 s26, s26, s46
	s_addc_u32 s44, 0, s44
	s_mul_hi_u32 s47, s6, s23
	s_add_u32 s25, s26, s25
	s_mul_i32 s23, s6, s23
	s_addc_u32 s25, s44, s45
	s_addc_u32 s26, s47, 0
	s_add_u32 s23, s25, s23
	s_addc_u32 s25, 0, s26
	s_add_u32 s7, s7, s23
	s_cselect_b32 s23, -1, 0
	s_mul_hi_u32 s26, s9, s7
	s_cmp_lg_u32 s23, 0
	s_mul_i32 s23, s9, s7
	s_addc_u32 s6, s6, s25
	s_mul_i32 s22, s22, s7
	s_mul_i32 s9, s9, s6
	s_mul_hi_u32 s25, s7, s23
	s_add_i32 s9, s26, s9
	s_mul_hi_u32 s26, s6, s23
	s_add_i32 s9, s9, s22
	s_mul_i32 s22, s6, s23
	s_mul_i32 s45, s7, s9
	s_mul_hi_u32 s44, s7, s9
	s_add_u32 s25, s25, s45
	s_addc_u32 s44, 0, s44
	s_mul_hi_u32 s23, s6, s9
	s_add_u32 s22, s25, s22
	s_mul_i32 s9, s6, s9
	s_addc_u32 s22, s44, s26
	s_addc_u32 s23, s23, 0
	s_add_u32 s9, s22, s9
	s_addc_u32 s22, 0, s23
	s_add_u32 s7, s7, s9
	s_cselect_b32 s9, -1, 0
	s_mul_hi_u32 s23, s82, s7
	s_cmp_lg_u32 s9, 0
	s_mul_hi_u32 s9, s59, s7
	s_addc_u32 s6, s6, s22
	s_mul_i32 s7, s59, s7
	s_mul_i32 s25, s82, s6
	s_mul_hi_u32 s22, s82, s6
	s_add_u32 s23, s23, s25
	s_addc_u32 s22, 0, s22
	s_mul_hi_u32 s26, s59, s6
	s_add_u32 s7, s23, s7
	s_mul_i32 s6, s59, s6
	s_addc_u32 s7, s22, s9
	s_addc_u32 s9, s26, 0
	s_add_u32 s6, s7, s6
	s_addc_u32 s7, 0, s9
	s_mul_hi_u32 s9, s49, s6
	s_mul_i32 s7, s49, s7
	s_mul_i32 s6, s49, s6
	s_add_i32 s9, s9, s7
	s_sub_u32 s6, s82, s6
	s_cselect_b32 s7, -1, 0
	s_cmp_lg_u32 s7, 0
	s_subb_u32 s7, s59, s9
	s_sub_u32 s9, s6, s49
	s_cselect_b32 s22, -1, 0
	s_cmp_lg_u32 s22, 0
	s_subb_u32 s22, s7, 0
	;; [unrolled: 4-line block ×3, first 2 shown]
	s_cmp_ge_u32 s9, s49
	s_cselect_b32 s26, -1, 0
	s_cmp_eq_u32 s22, 0
	s_cselect_b32 s26, s26, -1
	s_cmp_lg_u32 s26, 0
	s_cselect_b32 s22, s25, s22
	s_cselect_b32 s9, s23, s9
	s_cmp_ge_u32 s6, s49
	s_cselect_b32 s23, -1, 0
	s_cmp_eq_u32 s7, 0
	s_cselect_b32 s23, s23, -1
	s_cmp_lg_u32 s23, 0
	s_cselect_b32 s7, s22, s7
	s_cselect_b32 s6, s9, s6
	s_cbranch_execnz .LBB159_295
.LBB159_294:                            ;   in Loop: Header=BB159_12 Depth=1
	v_cvt_f32_u32_e32 v3, s49
	s_sub_i32 s7, 0, s49
	v_rcp_iflag_f32_e32 v3, v3
	v_mul_f32_e32 v3, 0x4f7ffffe, v3
	v_cvt_u32_f32_e32 v3, v3
	v_readfirstlane_b32 s6, v3
	s_mul_i32 s7, s7, s6
	s_mul_hi_u32 s7, s6, s7
	s_add_i32 s6, s6, s7
	s_mul_hi_u32 s6, s82, s6
	s_mul_i32 s6, s6, s49
	s_sub_i32 s6, s82, s6
	s_sub_i32 s7, s6, s49
	s_cmp_ge_u32 s6, s49
	s_cselect_b32 s6, s7, s6
	s_sub_i32 s7, s6, s49
	s_cmp_ge_u32 s6, s49
	s_cselect_b32 s26, s7, s6
	s_mov_b64 s[6:7], s[26:27]
.LBB159_295:                            ;   in Loop: Header=BB159_12 Depth=1
	s_sub_u32 s6, s82, s6
	s_subb_u32 s7, s59, s7
	s_mov_b32 s9, exec_lo
                                        ; implicit-def: $vgpr6_vgpr7
	v_cmpx_gt_u64_e64 s[6:7], v[0:1]
	s_cbranch_execz .LBB159_304
; %bb.296:                              ;   in Loop: Header=BB159_12 Depth=1
	v_mov_b32_e32 v9, v1
	v_mov_b32_e32 v8, v0
	s_mov_b32 s23, 0
                                        ; implicit-def: $sgpr22
	s_branch .LBB159_299
.LBB159_297:                            ;   in Loop: Header=BB159_299 Depth=2
	s_or_b32 exec_lo, exec_lo, s25
	s_waitcnt lgkmcnt(0)
	s_barrier
	buffer_gl0_inv
	ds_read_b128 v[4:7], v19 offset:3072
	s_mov_b32 s26, -1
	s_mov_b32 s25, -1
	s_waitcnt lgkmcnt(0)
	s_barrier
	buffer_gl0_inv
	v_cmp_ne_u64_e32 vcc_lo, 0, v[4:5]
	s_cbranch_vccz .LBB159_302
.LBB159_298:                            ;   in Loop: Header=BB159_299 Depth=2
	s_and_b32 s26, exec_lo, s26
	s_or_b32 s23, s26, s23
	s_andn2_b32 s22, s22, exec_lo
	s_and_b32 s25, s25, exec_lo
	s_or_b32 s22, s22, s25
	s_andn2_b32 exec_lo, exec_lo, s23
	s_cbranch_execz .LBB159_303
.LBB159_299:                            ;   Parent Loop BB159_12 Depth=1
                                        ; =>  This Inner Loop Header: Depth=2
	s_mov_b32 s25, exec_lo
	v_cmpx_gt_u64_e64 s[36:37], v[8:9]
	s_cbranch_execz .LBB159_297
; %bb.300:                              ;   in Loop: Header=BB159_299 Depth=2
	v_mul_lo_u32 v5, v9, s30
	v_mul_lo_u32 v6, v8, s31
	v_mad_u64_u32 v[3:4], null, v8, s30, 0
	v_add3_u32 v4, v4, v6, v5
	v_lshlrev_b64 v[3:4], 3, v[3:4]
	v_add_co_u32 v3, vcc_lo, s33, v3
	v_add_co_ci_u32_e64 v4, null, s35, v4, vcc_lo
	global_load_dwordx2 v[4:5], v[3:4], off
	s_waitcnt vmcnt(0)
	v_xor_b32_e32 v3, 0x80000000, v5
	v_and_b32_e32 v6, v4, v24
	v_and_b32_e32 v7, v3, v25
	v_cmp_eq_u64_e32 vcc_lo, v[6:7], v[22:23]
	s_and_b32 exec_lo, exec_lo, vcc_lo
	s_cbranch_execz .LBB159_297
; %bb.301:                              ;   in Loop: Header=BB159_299 Depth=2
	v_mov_b32_e32 v3, v19
	ds_write_b128 v19, v[2:5] offset:3072
	s_branch .LBB159_297
.LBB159_302:                            ;   in Loop: Header=BB159_299 Depth=2
	v_add_co_u32 v8, vcc_lo, v8, s49
	v_add_co_ci_u32_e64 v9, null, 0, v9, vcc_lo
	s_mov_b32 s25, 0
	v_cmp_le_u64_e32 vcc_lo, s[6:7], v[8:9]
	s_orn2_b32 s26, vcc_lo, exec_lo
	s_branch .LBB159_298
.LBB159_303:                            ;   in Loop: Header=BB159_12 Depth=1
	s_or_b32 exec_lo, exec_lo, s23
	s_andn2_b32 s6, s24, exec_lo
	s_and_b32 s7, s22, exec_lo
	s_or_b32 s24, s6, s7
.LBB159_304:                            ;   in Loop: Header=BB159_12 Depth=1
	s_or_b32 exec_lo, exec_lo, s9
	s_mov_b32 s9, 0
	s_mov_b32 s66, -1
.LBB159_305:                            ;   in Loop: Header=BB159_12 Depth=1
	s_orn2_b32 s6, s24, exec_lo
.LBB159_306:                            ;   in Loop: Header=BB159_12 Depth=1
	s_or_b32 exec_lo, exec_lo, s65
                                        ; implicit-def: $vgpr28_vgpr29
                                        ; implicit-def: $vgpr39
	s_and_saveexec_b32 s24, s6
	s_cbranch_execz .LBB159_464
; %bb.307:                              ;   in Loop: Header=BB159_12 Depth=1
	v_mov_b32_e32 v28, 1
	v_mov_b32_e32 v29, 0
	;; [unrolled: 1-line block ×3, first 2 shown]
	s_xor_b32 s22, s64, -1
	s_mov_b32 s7, 0
	s_and_saveexec_b32 s6, s22
	s_cbranch_execz .LBB159_316
; %bb.308:                              ;   in Loop: Header=BB159_12 Depth=1
	s_mov_b32 s7, exec_lo
	v_cmpx_ge_u64_e64 s[20:21], v[26:27]
	s_xor_b32 s7, exec_lo, s7
	s_cbranch_execz .LBB159_313
; %bb.309:                              ;   in Loop: Header=BB159_12 Depth=1
	ds_read_b64 v[3:4], v19 offset:5120
	v_or_b32_e32 v23, s13, v23
	v_or_b32_e32 v22, s12, v22
	;; [unrolled: 1-line block ×4, first 2 shown]
	s_waitcnt lgkmcnt(0)
	v_cmp_ne_u64_e32 vcc_lo, 0, v[3:4]
	s_cbranch_vccnz .LBB159_313
; %bb.310:                              ;   in Loop: Header=BB159_12 Depth=1
	s_and_saveexec_b32 s22, s3
; %bb.311:                              ;   in Loop: Header=BB159_12 Depth=1
	v_mov_b32_e32 v3, s20
	v_mov_b32_e32 v4, s21
	ds_write_b64 v19, v[3:4] offset:5128
; %bb.312:                              ;   in Loop: Header=BB159_12 Depth=1
	s_or_b32 exec_lo, exec_lo, s22
	s_waitcnt lgkmcnt(0)
	s_barrier
	buffer_gl0_inv
.LBB159_313:                            ;   in Loop: Header=BB159_12 Depth=1
	s_or_saveexec_b32 s7, s7
	v_mov_b32_e32 v39, 5
	s_mov_b32 s22, 0
	s_xor_b32 exec_lo, exec_lo, s7
; %bb.314:                              ;   in Loop: Header=BB159_12 Depth=1
	v_sub_co_u32 v26, vcc_lo, v26, s20
	v_subrev_co_ci_u32_e64 v27, null, s21, v27, vcc_lo
	v_mov_b32_e32 v39, 0
	s_mov_b32 s22, exec_lo
; %bb.315:                              ;   in Loop: Header=BB159_12 Depth=1
	s_or_b32 exec_lo, exec_lo, s7
	v_mov_b32_e32 v29, v27
	v_mov_b32_e32 v28, v26
	s_and_b32 s7, s22, exec_lo
.LBB159_316:                            ;   in Loop: Header=BB159_12 Depth=1
	s_or_b32 exec_lo, exec_lo, s6
	s_mov_b32 s6, -1
                                        ; implicit-def: $sgpr64
                                        ; implicit-def: $sgpr65
	s_and_saveexec_b32 s20, s7
	s_xor_b32 s25, exec_lo, s20
	s_cbranch_execz .LBB159_461
; %bb.317:                              ;   in Loop: Header=BB159_12 Depth=1
	v_cmp_eq_u64_e32 vcc_lo, 1, v[28:29]
	s_cmp_eq_u64 s[18:19], 1
                                        ; implicit-def: $sgpr65
                                        ; implicit-def: $sgpr64
	s_cselect_b32 s6, -1, 0
	s_and_b32 s67, s6, vcc_lo
	s_mov_b32 s6, -1
	s_and_saveexec_b32 s68, s67
	s_cbranch_execz .LBB159_351
; %bb.318:                              ;   in Loop: Header=BB159_12 Depth=1
	ds_read_b64 v[3:4], v19 offset:5120
	s_waitcnt lgkmcnt(0)
	s_barrier
	buffer_gl0_inv
	v_readfirstlane_b32 s6, v3
	v_readfirstlane_b32 s7, v4
	s_and_saveexec_b32 s20, s8
; %bb.319:                              ;   in Loop: Header=BB159_12 Depth=1
	v_mov_b32_e32 v18, v19
	ds_write_b64 v35, v[18:19]
; %bb.320:                              ;   in Loop: Header=BB159_12 Depth=1
	s_or_b32 exec_lo, exec_lo, s20
	v_and_b32_e32 v3, s15, v23
	v_and_b32_e32 v4, s14, v22
	s_lshl_b64 s[20:21], 2, s93
	v_or_b32_e32 v25, s13, v25
	v_or_b32_e32 v24, s12, v24
	;; [unrolled: 1-line block ×4, first 2 shown]
	s_mov_b32 s64, -1
	s_mov_b32 s65, 0
	s_cmp_eq_u64 s[6:7], 0
	s_mov_b32 s22, 0
	s_mov_b32 s23, -1
	s_waitcnt lgkmcnt(0)
	s_barrier
	buffer_gl0_inv
                                        ; implicit-def: $vgpr6_vgpr7
	s_cbranch_scc1 .LBB159_336
; %bb.321:                              ;   in Loop: Header=BB159_12 Depth=1
	s_add_u32 s44, s6, s80
	s_addc_u32 s21, s7, s81
	s_mov_b32 s20, s27
	s_cmp_lg_u64 s[20:21], 0
	s_cbranch_scc0 .LBB159_377
; %bb.322:                              ;   in Loop: Header=BB159_12 Depth=1
	v_cvt_f32_u32_e32 v3, s49
	s_sub_u32 s23, 0, s49
	s_subb_u32 s26, 0, 0
	v_fmac_f32_e64 v3, 0x4f800000, 0
	v_rcp_f32_e32 v3, v3
	v_mul_f32_e32 v3, 0x5f7ffffc, v3
	v_mul_f32_e32 v4, 0x2f800000, v3
	v_trunc_f32_e32 v4, v4
	v_fmac_f32_e32 v3, 0xcf800000, v4
	v_cvt_u32_f32_e32 v4, v4
	v_cvt_u32_f32_e32 v3, v3
	v_readfirstlane_b32 s20, v4
	v_readfirstlane_b32 s22, v3
	s_mul_i32 s45, s23, s20
	s_mul_hi_u32 s47, s23, s22
	s_mul_i32 s46, s26, s22
	s_add_i32 s45, s47, s45
	s_mul_i32 s58, s23, s22
	s_add_i32 s45, s45, s46
	s_mul_hi_u32 s47, s22, s58
	s_mul_i32 s70, s22, s45
	s_mul_hi_u32 s69, s20, s58
	s_mul_i32 s46, s20, s58
	s_mul_hi_u32 s58, s22, s45
	s_add_u32 s47, s47, s70
	s_addc_u32 s58, 0, s58
	s_mul_hi_u32 s71, s20, s45
	s_add_u32 s46, s47, s46
	s_mul_i32 s45, s20, s45
	s_addc_u32 s46, s58, s69
	s_addc_u32 s47, s71, 0
	s_add_u32 s45, s46, s45
	s_addc_u32 s46, 0, s47
	s_add_u32 s22, s22, s45
	s_cselect_b32 s45, -1, 0
	s_mul_hi_u32 s47, s23, s22
	s_cmp_lg_u32 s45, 0
	s_mul_i32 s45, s23, s22
	s_addc_u32 s20, s20, s46
	s_mul_i32 s26, s26, s22
	s_mul_i32 s23, s23, s20
	s_mul_hi_u32 s46, s22, s45
	s_add_i32 s23, s47, s23
	s_mul_hi_u32 s47, s20, s45
	s_add_i32 s23, s23, s26
	s_mul_i32 s26, s20, s45
	s_mul_i32 s69, s22, s23
	s_mul_hi_u32 s58, s22, s23
	s_add_u32 s46, s46, s69
	s_addc_u32 s58, 0, s58
	s_mul_hi_u32 s45, s20, s23
	s_add_u32 s26, s46, s26
	s_mul_i32 s23, s20, s23
	s_addc_u32 s26, s58, s47
	s_addc_u32 s45, s45, 0
	s_add_u32 s23, s26, s23
	s_addc_u32 s26, 0, s45
	s_add_u32 s22, s22, s23
	s_cselect_b32 s23, -1, 0
	s_mul_hi_u32 s45, s44, s22
	s_cmp_lg_u32 s23, 0
	s_mul_hi_u32 s23, s21, s22
	s_addc_u32 s20, s20, s26
	s_mul_i32 s22, s21, s22
	s_mul_i32 s46, s44, s20
	s_mul_hi_u32 s26, s44, s20
	s_add_u32 s45, s45, s46
	s_addc_u32 s26, 0, s26
	s_mul_hi_u32 s47, s21, s20
	s_add_u32 s22, s45, s22
	s_mul_i32 s20, s21, s20
	s_addc_u32 s22, s26, s23
	s_addc_u32 s23, s47, 0
	s_add_u32 s20, s22, s20
	s_addc_u32 s22, 0, s23
	s_mul_hi_u32 s23, s49, s20
	s_mul_i32 s22, s49, s22
	s_mul_i32 s20, s49, s20
	s_add_i32 s23, s23, s22
	s_sub_u32 s20, s44, s20
	s_cselect_b32 s22, -1, 0
	s_cmp_lg_u32 s22, 0
	s_subb_u32 s22, s21, s23
	s_sub_u32 s23, s20, s49
	s_cselect_b32 s26, -1, 0
	s_cmp_lg_u32 s26, 0
	s_subb_u32 s26, s22, 0
	;; [unrolled: 4-line block ×3, first 2 shown]
	s_cmp_ge_u32 s23, s49
	s_cselect_b32 s47, -1, 0
	s_cmp_eq_u32 s26, 0
	s_cselect_b32 s47, s47, -1
	s_cmp_lg_u32 s47, 0
	s_cselect_b32 s26, s46, s26
	s_cselect_b32 s45, s45, s23
	s_cmp_ge_u32 s20, s49
	s_cselect_b32 s23, -1, 0
	s_cmp_eq_u32 s22, 0
	s_cselect_b32 s23, s23, -1
	s_cmp_lg_u32 s23, 0
	s_cselect_b32 s23, s26, s22
	s_cselect_b32 s22, s45, s20
	s_cbranch_execnz .LBB159_324
.LBB159_323:                            ;   in Loop: Header=BB159_12 Depth=1
	v_cvt_f32_u32_e32 v3, s49
	s_sub_i32 s22, 0, s49
	v_rcp_iflag_f32_e32 v3, v3
	v_mul_f32_e32 v3, 0x4f7ffffe, v3
	v_cvt_u32_f32_e32 v3, v3
	v_readfirstlane_b32 s20, v3
	s_mul_i32 s22, s22, s20
	s_mul_hi_u32 s22, s20, s22
	s_add_i32 s20, s20, s22
	s_mul_hi_u32 s20, s44, s20
	s_mul_i32 s20, s20, s49
	s_sub_i32 s20, s44, s20
	s_sub_i32 s22, s20, s49
	s_cmp_ge_u32 s20, s49
	s_cselect_b32 s20, s22, s20
	s_sub_i32 s22, s20, s49
	s_cmp_ge_u32 s20, s49
	s_cselect_b32 s26, s22, s20
	s_mov_b64 s[22:23], s[26:27]
.LBB159_324:                            ;   in Loop: Header=BB159_12 Depth=1
	s_sub_u32 s20, s44, s22
	s_subb_u32 s21, s21, s23
	s_mov_b32 s23, 0
	s_mov_b32 s22, 0
	s_mov_b32 s26, exec_lo
                                        ; implicit-def: $vgpr6_vgpr7
	v_cmpx_gt_u64_e64 s[20:21], v[0:1]
	s_cbranch_execz .LBB159_335
; %bb.325:                              ;   in Loop: Header=BB159_12 Depth=1
	v_mov_b32_e32 v9, v1
	v_mov_b32_e32 v10, v34
	;; [unrolled: 1-line block ×3, first 2 shown]
                                        ; implicit-def: $sgpr44
	s_inst_prefetch 0x1
	s_branch .LBB159_328
	.p2align	6
.LBB159_326:                            ;   in Loop: Header=BB159_328 Depth=2
	s_or_b32 exec_lo, exec_lo, s45
	s_waitcnt lgkmcnt(0)
	s_barrier
	buffer_gl0_inv
	ds_read_b128 v[4:7], v19 offset:3072
	s_mov_b32 s45, -1
	s_mov_b32 s46, -1
	s_waitcnt lgkmcnt(0)
	s_barrier
	buffer_gl0_inv
	v_cmp_ne_u64_e32 vcc_lo, 0, v[4:5]
	s_cbranch_vccz .LBB159_331
.LBB159_327:                            ;   in Loop: Header=BB159_328 Depth=2
	s_and_b32 s45, exec_lo, s45
	s_or_b32 s22, s45, s22
	s_andn2_b32 s44, s44, exec_lo
	s_and_b32 s45, s46, exec_lo
	s_or_b32 s44, s44, s45
	s_andn2_b32 exec_lo, exec_lo, s22
	s_cbranch_execz .LBB159_334
.LBB159_328:                            ;   Parent Loop BB159_12 Depth=1
                                        ; =>  This Inner Loop Header: Depth=2
	s_mov_b32 s45, exec_lo
	v_cmpx_gt_u64_e64 s[6:7], v[8:9]
	s_cbranch_execz .LBB159_326
; %bb.329:                              ;   in Loop: Header=BB159_328 Depth=2
	ds_read_b64 v[4:5], v10
	s_waitcnt lgkmcnt(0)
	v_xor_b32_e32 v3, 0x80000000, v5
	v_and_b32_e32 v6, v4, v24
	v_and_b32_e32 v7, v3, v25
	v_cmp_eq_u64_e32 vcc_lo, v[6:7], v[22:23]
	s_and_b32 exec_lo, exec_lo, vcc_lo
	s_cbranch_execz .LBB159_326
; %bb.330:                              ;   in Loop: Header=BB159_328 Depth=2
	v_mov_b32_e32 v3, v19
	ds_write_b128 v19, v[2:5] offset:3072
	s_branch .LBB159_326
.LBB159_331:                            ;   in Loop: Header=BB159_328 Depth=2
	v_add_co_u32 v8, vcc_lo, v8, s49
	v_add_co_ci_u32_e64 v9, null, 0, v9, vcc_lo
	v_add_nc_u32_e32 v10, s86, v10
	s_mov_b32 s46, 0
	v_cmp_le_u64_e32 vcc_lo, s[20:21], v[8:9]
	s_orn2_b32 s45, vcc_lo, exec_lo
	s_branch .LBB159_327
.LBB159_332:                            ;   in Loop: Header=BB159_12 Depth=1
                                        ; implicit-def: $sgpr24_sgpr25
	s_branch .LBB159_279
.LBB159_333:                            ;   in Loop: Header=BB159_12 Depth=1
                                        ; implicit-def: $sgpr6_sgpr7
	s_branch .LBB159_294
.LBB159_334:                            ;   in Loop: Header=BB159_12 Depth=1
	s_inst_prefetch 0x2
	s_or_b32 exec_lo, exec_lo, s22
	s_and_b32 s22, s44, exec_lo
.LBB159_335:                            ;   in Loop: Header=BB159_12 Depth=1
	s_or_b32 exec_lo, exec_lo, s26
.LBB159_336:                            ;   in Loop: Header=BB159_12 Depth=1
	s_and_b32 vcc_lo, exec_lo, s23
	s_cbranch_vccz .LBB159_350
; %bb.337:                              ;   in Loop: Header=BB159_12 Depth=1
	s_mov_b32 s58, s27
	s_cmp_lg_u64 s[58:59], 0
	s_cbranch_scc0 .LBB159_378
; %bb.338:                              ;   in Loop: Header=BB159_12 Depth=1
	v_cvt_f32_u32_e32 v3, s49
	s_sub_u32 s20, 0, s49
	s_subb_u32 s21, 0, 0
	v_fmac_f32_e64 v3, 0x4f800000, 0
	v_rcp_f32_e32 v3, v3
	v_mul_f32_e32 v3, 0x5f7ffffc, v3
	v_mul_f32_e32 v4, 0x2f800000, v3
	v_trunc_f32_e32 v4, v4
	v_fmac_f32_e32 v3, 0xcf800000, v4
	v_cvt_u32_f32_e32 v4, v4
	v_cvt_u32_f32_e32 v3, v3
	v_readfirstlane_b32 s6, v4
	v_readfirstlane_b32 s7, v3
	s_mul_i32 s23, s20, s6
	s_mul_hi_u32 s44, s20, s7
	s_mul_i32 s26, s21, s7
	s_add_i32 s23, s44, s23
	s_mul_i32 s45, s20, s7
	s_add_i32 s23, s23, s26
	s_mul_hi_u32 s44, s7, s45
	s_mul_i32 s47, s7, s23
	s_mul_hi_u32 s46, s6, s45
	s_mul_i32 s26, s6, s45
	s_mul_hi_u32 s45, s7, s23
	s_add_u32 s44, s44, s47
	s_addc_u32 s45, 0, s45
	s_mul_hi_u32 s58, s6, s23
	s_add_u32 s26, s44, s26
	s_mul_i32 s23, s6, s23
	s_addc_u32 s26, s45, s46
	s_addc_u32 s44, s58, 0
	s_add_u32 s23, s26, s23
	s_addc_u32 s26, 0, s44
	s_add_u32 s7, s7, s23
	s_cselect_b32 s23, -1, 0
	s_mul_hi_u32 s44, s20, s7
	s_cmp_lg_u32 s23, 0
	s_mul_i32 s23, s20, s7
	s_addc_u32 s6, s6, s26
	s_mul_i32 s21, s21, s7
	s_mul_i32 s20, s20, s6
	s_mul_hi_u32 s26, s7, s23
	s_add_i32 s20, s44, s20
	s_mul_hi_u32 s44, s6, s23
	s_add_i32 s20, s20, s21
	s_mul_i32 s21, s6, s23
	s_mul_i32 s46, s7, s20
	s_mul_hi_u32 s45, s7, s20
	s_add_u32 s26, s26, s46
	s_addc_u32 s45, 0, s45
	s_mul_hi_u32 s23, s6, s20
	s_add_u32 s21, s26, s21
	s_mul_i32 s20, s6, s20
	s_addc_u32 s21, s45, s44
	s_addc_u32 s23, s23, 0
	s_add_u32 s20, s21, s20
	s_addc_u32 s21, 0, s23
	s_add_u32 s7, s7, s20
	s_cselect_b32 s20, -1, 0
	s_mul_hi_u32 s23, s82, s7
	s_cmp_lg_u32 s20, 0
	s_mul_hi_u32 s20, s59, s7
	s_addc_u32 s6, s6, s21
	s_mul_i32 s7, s59, s7
	s_mul_i32 s26, s82, s6
	s_mul_hi_u32 s21, s82, s6
	s_add_u32 s23, s23, s26
	s_addc_u32 s21, 0, s21
	s_mul_hi_u32 s44, s59, s6
	s_add_u32 s7, s23, s7
	s_mul_i32 s6, s59, s6
	s_addc_u32 s7, s21, s20
	s_addc_u32 s20, s44, 0
	s_add_u32 s6, s7, s6
	s_addc_u32 s7, 0, s20
	s_mul_hi_u32 s20, s49, s6
	s_mul_i32 s7, s49, s7
	s_mul_i32 s6, s49, s6
	s_add_i32 s20, s20, s7
	s_sub_u32 s6, s82, s6
	s_cselect_b32 s7, -1, 0
	s_cmp_lg_u32 s7, 0
	s_subb_u32 s7, s59, s20
	s_sub_u32 s20, s6, s49
	s_cselect_b32 s21, -1, 0
	s_cmp_lg_u32 s21, 0
	s_subb_u32 s21, s7, 0
	;; [unrolled: 4-line block ×3, first 2 shown]
	s_cmp_ge_u32 s20, s49
	s_cselect_b32 s44, -1, 0
	s_cmp_eq_u32 s21, 0
	s_cselect_b32 s44, s44, -1
	s_cmp_lg_u32 s44, 0
	s_cselect_b32 s21, s26, s21
	s_cselect_b32 s20, s23, s20
	s_cmp_ge_u32 s6, s49
	s_cselect_b32 s23, -1, 0
	s_cmp_eq_u32 s7, 0
	s_cselect_b32 s23, s23, -1
	s_cmp_lg_u32 s23, 0
	s_cselect_b32 s7, s21, s7
	s_cselect_b32 s6, s20, s6
	s_cbranch_execnz .LBB159_340
.LBB159_339:                            ;   in Loop: Header=BB159_12 Depth=1
	v_cvt_f32_u32_e32 v3, s49
	s_sub_i32 s7, 0, s49
	v_rcp_iflag_f32_e32 v3, v3
	v_mul_f32_e32 v3, 0x4f7ffffe, v3
	v_cvt_u32_f32_e32 v3, v3
	v_readfirstlane_b32 s6, v3
	s_mul_i32 s7, s7, s6
	s_mul_hi_u32 s7, s6, s7
	s_add_i32 s6, s6, s7
	s_mul_hi_u32 s6, s82, s6
	s_mul_i32 s6, s6, s49
	s_sub_i32 s6, s82, s6
	s_sub_i32 s7, s6, s49
	s_cmp_ge_u32 s6, s49
	s_cselect_b32 s6, s7, s6
	s_sub_i32 s7, s6, s49
	s_cmp_ge_u32 s6, s49
	s_cselect_b32 s26, s7, s6
	s_mov_b64 s[6:7], s[26:27]
.LBB159_340:                            ;   in Loop: Header=BB159_12 Depth=1
	s_sub_u32 s6, s82, s6
	s_subb_u32 s7, s59, s7
	s_mov_b32 s20, exec_lo
                                        ; implicit-def: $vgpr6_vgpr7
	v_cmpx_gt_u64_e64 s[6:7], v[0:1]
	s_cbranch_execz .LBB159_349
; %bb.341:                              ;   in Loop: Header=BB159_12 Depth=1
	v_mov_b32_e32 v9, v1
	v_mov_b32_e32 v8, v0
	s_mov_b32 s21, 0
                                        ; implicit-def: $sgpr23
	s_branch .LBB159_344
.LBB159_342:                            ;   in Loop: Header=BB159_344 Depth=2
	s_or_b32 exec_lo, exec_lo, s26
	s_waitcnt lgkmcnt(0)
	s_barrier
	buffer_gl0_inv
	ds_read_b128 v[4:7], v19 offset:3072
	s_mov_b32 s44, -1
	s_mov_b32 s26, -1
	s_waitcnt lgkmcnt(0)
	s_barrier
	buffer_gl0_inv
	v_cmp_eq_u64_e32 vcc_lo, 0, v[4:5]
	s_cbranch_vccnz .LBB159_347
.LBB159_343:                            ;   in Loop: Header=BB159_344 Depth=2
	s_and_b32 s44, exec_lo, s44
	s_or_b32 s21, s44, s21
	s_andn2_b32 s23, s23, exec_lo
	s_and_b32 s26, s26, exec_lo
	s_or_b32 s23, s23, s26
	s_andn2_b32 exec_lo, exec_lo, s21
	s_cbranch_execz .LBB159_348
.LBB159_344:                            ;   Parent Loop BB159_12 Depth=1
                                        ; =>  This Inner Loop Header: Depth=2
	s_mov_b32 s26, exec_lo
	v_cmpx_gt_u64_e64 s[36:37], v[8:9]
	s_cbranch_execz .LBB159_342
; %bb.345:                              ;   in Loop: Header=BB159_344 Depth=2
	v_mul_lo_u32 v5, v9, s30
	v_mul_lo_u32 v6, v8, s31
	v_mad_u64_u32 v[3:4], null, v8, s30, 0
	v_add3_u32 v4, v4, v6, v5
	v_lshlrev_b64 v[3:4], 3, v[3:4]
	v_add_co_u32 v3, vcc_lo, s33, v3
	v_add_co_ci_u32_e64 v4, null, s35, v4, vcc_lo
	global_load_dwordx2 v[4:5], v[3:4], off
	s_waitcnt vmcnt(0)
	v_xor_b32_e32 v3, 0x80000000, v5
	v_and_b32_e32 v6, v4, v24
	v_and_b32_e32 v7, v3, v25
	v_cmp_eq_u64_e32 vcc_lo, v[6:7], v[22:23]
	s_and_b32 exec_lo, exec_lo, vcc_lo
	s_cbranch_execz .LBB159_342
; %bb.346:                              ;   in Loop: Header=BB159_344 Depth=2
	v_mov_b32_e32 v3, v19
	ds_write_b128 v19, v[2:5] offset:3072
	s_branch .LBB159_342
.LBB159_347:                            ;   in Loop: Header=BB159_344 Depth=2
	v_add_co_u32 v8, vcc_lo, v8, s49
	v_add_co_ci_u32_e64 v9, null, 0, v9, vcc_lo
	s_mov_b32 s26, 0
	v_cmp_le_u64_e32 vcc_lo, s[6:7], v[8:9]
	s_orn2_b32 s44, vcc_lo, exec_lo
	s_branch .LBB159_343
.LBB159_348:                            ;   in Loop: Header=BB159_12 Depth=1
	s_or_b32 exec_lo, exec_lo, s21
	s_andn2_b32 s6, s22, exec_lo
	s_and_b32 s7, s23, exec_lo
	s_or_b32 s22, s6, s7
.LBB159_349:                            ;   in Loop: Header=BB159_12 Depth=1
	s_or_b32 exec_lo, exec_lo, s20
	s_mov_b32 s64, 0
	s_mov_b32 s65, -1
.LBB159_350:                            ;   in Loop: Header=BB159_12 Depth=1
	s_orn2_b32 s6, s22, exec_lo
.LBB159_351:                            ;   in Loop: Header=BB159_12 Depth=1
	s_or_b32 exec_lo, exec_lo, s68
	s_mov_b32 s7, 0
	s_and_saveexec_b32 s22, s6
	s_cbranch_execz .LBB159_460
; %bb.352:                              ;   in Loop: Header=BB159_12 Depth=1
	v_mov_b32_e32 v8, 1
	v_mov_b32_e32 v9, 0
	;; [unrolled: 1-line block ×3, first 2 shown]
	s_xor_b32 s20, s67, -1
	s_and_saveexec_b32 s6, s20
	s_cbranch_execz .LBB159_361
; %bb.353:                              ;   in Loop: Header=BB159_12 Depth=1
	s_mov_b32 s7, exec_lo
	v_cmpx_ge_u64_e64 s[18:19], v[28:29]
	s_xor_b32 s7, exec_lo, s7
	s_cbranch_execz .LBB159_358
; %bb.354:                              ;   in Loop: Header=BB159_12 Depth=1
	ds_read_b64 v[3:4], v19 offset:5120
	v_and_b32_e32 v5, s15, v23
	v_and_b32_e32 v8, s14, v22
	s_lshl_b64 s[20:21], 2, s93
	v_or_b32_e32 v25, s13, v25
	v_or_b32_e32 v24, s12, v24
	;; [unrolled: 1-line block ×4, first 2 shown]
	s_waitcnt lgkmcnt(0)
	v_cmp_ne_u64_e32 vcc_lo, 0, v[3:4]
	s_cbranch_vccnz .LBB159_358
; %bb.355:                              ;   in Loop: Header=BB159_12 Depth=1
	s_and_saveexec_b32 s20, s3
; %bb.356:                              ;   in Loop: Header=BB159_12 Depth=1
	v_mov_b32_e32 v3, s18
	v_mov_b32_e32 v4, s19
	ds_write_b64 v19, v[3:4] offset:5128
; %bb.357:                              ;   in Loop: Header=BB159_12 Depth=1
	s_or_b32 exec_lo, exec_lo, s20
	s_waitcnt lgkmcnt(0)
	s_barrier
	buffer_gl0_inv
.LBB159_358:                            ;   in Loop: Header=BB159_12 Depth=1
	s_or_saveexec_b32 s7, s7
	v_mov_b32_e32 v39, 5
	s_mov_b32 s20, 0
	s_xor_b32 exec_lo, exec_lo, s7
; %bb.359:                              ;   in Loop: Header=BB159_12 Depth=1
	v_sub_co_u32 v28, vcc_lo, v28, s18
	v_subrev_co_ci_u32_e64 v29, null, s19, v29, vcc_lo
	v_mov_b32_e32 v39, 0
	s_mov_b32 s20, exec_lo
; %bb.360:                              ;   in Loop: Header=BB159_12 Depth=1
	s_or_b32 exec_lo, exec_lo, s7
	v_mov_b32_e32 v8, v28
	v_mov_b32_e32 v9, v29
	s_and_b32 s7, s20, exec_lo
.LBB159_361:                            ;   in Loop: Header=BB159_12 Depth=1
	s_or_b32 exec_lo, exec_lo, s6
	s_mov_b32 s6, -1
                                        ; implicit-def: $sgpr67
                                        ; implicit-def: $sgpr68
	s_and_saveexec_b32 s23, s7
	s_cbranch_execz .LBB159_459
; %bb.362:                              ;   in Loop: Header=BB159_12 Depth=1
	v_cmp_eq_u64_e32 vcc_lo, 1, v[8:9]
	s_cmp_eq_u64 s[16:17], 1
                                        ; implicit-def: $sgpr68
                                        ; implicit-def: $sgpr67
	s_cselect_b32 s6, -1, 0
	s_and_b32 s69, s6, vcc_lo
	s_mov_b32 s6, -1
	s_and_saveexec_b32 s70, s69
	s_cbranch_execz .LBB159_396
; %bb.363:                              ;   in Loop: Header=BB159_12 Depth=1
	ds_read_b64 v[3:4], v19 offset:5120
	s_waitcnt lgkmcnt(0)
	s_barrier
	buffer_gl0_inv
	v_readfirstlane_b32 s6, v3
	v_readfirstlane_b32 s7, v4
	s_and_saveexec_b32 s18, s8
; %bb.364:                              ;   in Loop: Header=BB159_12 Depth=1
	v_mov_b32_e32 v18, v19
	ds_write_b64 v35, v[18:19]
; %bb.365:                              ;   in Loop: Header=BB159_12 Depth=1
	s_or_b32 exec_lo, exec_lo, s18
	v_and_b32_e32 v3, s15, v23
	v_and_b32_e32 v4, s14, v22
	s_lshl_b64 s[18:19], 1, s93
	v_or_b32_e32 v25, s13, v25
	v_or_b32_e32 v24, s12, v24
	;; [unrolled: 1-line block ×4, first 2 shown]
	s_mov_b32 s67, -1
	s_mov_b32 s68, 0
	s_cmp_eq_u64 s[6:7], 0
	s_mov_b32 s20, 0
	s_mov_b32 s21, -1
	s_waitcnt lgkmcnt(0)
	s_barrier
	buffer_gl0_inv
                                        ; implicit-def: $vgpr6_vgpr7
	s_cbranch_scc1 .LBB159_381
; %bb.366:                              ;   in Loop: Header=BB159_12 Depth=1
	s_add_u32 s44, s6, s80
	s_addc_u32 s19, s7, s81
	s_mov_b32 s18, s27
	s_cmp_lg_u64 s[18:19], 0
	s_cbranch_scc0 .LBB159_413
; %bb.367:                              ;   in Loop: Header=BB159_12 Depth=1
	v_cvt_f32_u32_e32 v3, s49
	s_sub_u32 s21, 0, s49
	s_subb_u32 s26, 0, 0
	v_fmac_f32_e64 v3, 0x4f800000, 0
	v_rcp_f32_e32 v3, v3
	v_mul_f32_e32 v3, 0x5f7ffffc, v3
	v_mul_f32_e32 v4, 0x2f800000, v3
	v_trunc_f32_e32 v4, v4
	v_fmac_f32_e32 v3, 0xcf800000, v4
	v_cvt_u32_f32_e32 v4, v4
	v_cvt_u32_f32_e32 v3, v3
	v_readfirstlane_b32 s18, v4
	v_readfirstlane_b32 s20, v3
	s_mul_i32 s45, s21, s18
	s_mul_hi_u32 s47, s21, s20
	s_mul_i32 s46, s26, s20
	s_add_i32 s45, s47, s45
	s_mul_i32 s58, s21, s20
	s_add_i32 s45, s45, s46
	s_mul_hi_u32 s47, s20, s58
	s_mul_i32 s72, s20, s45
	s_mul_hi_u32 s71, s18, s58
	s_mul_i32 s46, s18, s58
	s_mul_hi_u32 s58, s20, s45
	s_add_u32 s47, s47, s72
	s_addc_u32 s58, 0, s58
	s_mul_hi_u32 s73, s18, s45
	s_add_u32 s46, s47, s46
	s_mul_i32 s45, s18, s45
	s_addc_u32 s46, s58, s71
	s_addc_u32 s47, s73, 0
	s_add_u32 s45, s46, s45
	s_addc_u32 s46, 0, s47
	s_add_u32 s20, s20, s45
	s_cselect_b32 s45, -1, 0
	s_mul_hi_u32 s47, s21, s20
	s_cmp_lg_u32 s45, 0
	s_mul_i32 s45, s21, s20
	s_addc_u32 s18, s18, s46
	s_mul_i32 s26, s26, s20
	s_mul_i32 s21, s21, s18
	s_mul_hi_u32 s46, s20, s45
	s_add_i32 s21, s47, s21
	s_mul_hi_u32 s47, s18, s45
	s_add_i32 s21, s21, s26
	s_mul_i32 s26, s18, s45
	s_mul_i32 s71, s20, s21
	s_mul_hi_u32 s58, s20, s21
	s_add_u32 s46, s46, s71
	s_addc_u32 s58, 0, s58
	s_mul_hi_u32 s45, s18, s21
	s_add_u32 s26, s46, s26
	s_mul_i32 s21, s18, s21
	s_addc_u32 s26, s58, s47
	s_addc_u32 s45, s45, 0
	s_add_u32 s21, s26, s21
	s_addc_u32 s26, 0, s45
	s_add_u32 s20, s20, s21
	s_cselect_b32 s21, -1, 0
	s_mul_hi_u32 s45, s44, s20
	s_cmp_lg_u32 s21, 0
	s_mul_hi_u32 s21, s19, s20
	s_addc_u32 s18, s18, s26
	s_mul_i32 s20, s19, s20
	s_mul_i32 s46, s44, s18
	s_mul_hi_u32 s26, s44, s18
	s_add_u32 s45, s45, s46
	s_addc_u32 s26, 0, s26
	s_mul_hi_u32 s47, s19, s18
	s_add_u32 s20, s45, s20
	s_mul_i32 s18, s19, s18
	s_addc_u32 s20, s26, s21
	s_addc_u32 s21, s47, 0
	s_add_u32 s18, s20, s18
	s_addc_u32 s20, 0, s21
	s_mul_hi_u32 s21, s49, s18
	s_mul_i32 s20, s49, s20
	s_mul_i32 s18, s49, s18
	s_add_i32 s21, s21, s20
	s_sub_u32 s18, s44, s18
	s_cselect_b32 s20, -1, 0
	s_cmp_lg_u32 s20, 0
	s_subb_u32 s20, s19, s21
	s_sub_u32 s21, s18, s49
	s_cselect_b32 s26, -1, 0
	s_cmp_lg_u32 s26, 0
	s_subb_u32 s26, s20, 0
	;; [unrolled: 4-line block ×3, first 2 shown]
	s_cmp_ge_u32 s21, s49
	s_cselect_b32 s47, -1, 0
	s_cmp_eq_u32 s26, 0
	s_cselect_b32 s47, s47, -1
	s_cmp_lg_u32 s47, 0
	s_cselect_b32 s26, s46, s26
	s_cselect_b32 s45, s45, s21
	s_cmp_ge_u32 s18, s49
	s_cselect_b32 s21, -1, 0
	s_cmp_eq_u32 s20, 0
	s_cselect_b32 s21, s21, -1
	s_cmp_lg_u32 s21, 0
	s_cselect_b32 s21, s26, s20
	s_cselect_b32 s20, s45, s18
	s_cbranch_execnz .LBB159_369
.LBB159_368:                            ;   in Loop: Header=BB159_12 Depth=1
	v_cvt_f32_u32_e32 v3, s49
	s_sub_i32 s20, 0, s49
	v_rcp_iflag_f32_e32 v3, v3
	v_mul_f32_e32 v3, 0x4f7ffffe, v3
	v_cvt_u32_f32_e32 v3, v3
	v_readfirstlane_b32 s18, v3
	s_mul_i32 s20, s20, s18
	s_mul_hi_u32 s20, s18, s20
	s_add_i32 s18, s18, s20
	s_mul_hi_u32 s18, s44, s18
	s_mul_i32 s18, s18, s49
	s_sub_i32 s18, s44, s18
	s_sub_i32 s20, s18, s49
	s_cmp_ge_u32 s18, s49
	s_cselect_b32 s18, s20, s18
	s_sub_i32 s20, s18, s49
	s_cmp_ge_u32 s18, s49
	s_cselect_b32 s26, s20, s18
	s_mov_b64 s[20:21], s[26:27]
.LBB159_369:                            ;   in Loop: Header=BB159_12 Depth=1
	s_sub_u32 s18, s44, s20
	s_subb_u32 s19, s19, s21
	s_mov_b32 s21, 0
	s_mov_b32 s20, 0
	s_mov_b32 s26, exec_lo
                                        ; implicit-def: $vgpr6_vgpr7
	v_cmpx_gt_u64_e64 s[18:19], v[0:1]
	s_cbranch_execz .LBB159_380
; %bb.370:                              ;   in Loop: Header=BB159_12 Depth=1
	v_mov_b32_e32 v11, v1
	v_mov_b32_e32 v12, v34
	;; [unrolled: 1-line block ×3, first 2 shown]
                                        ; implicit-def: $sgpr44
	s_inst_prefetch 0x1
	s_branch .LBB159_373
	.p2align	6
.LBB159_371:                            ;   in Loop: Header=BB159_373 Depth=2
	s_or_b32 exec_lo, exec_lo, s45
	s_waitcnt lgkmcnt(0)
	s_barrier
	buffer_gl0_inv
	ds_read_b128 v[4:7], v19 offset:3072
	s_mov_b32 s45, -1
	s_mov_b32 s46, -1
	s_waitcnt lgkmcnt(0)
	s_barrier
	buffer_gl0_inv
	v_cmp_ne_u64_e32 vcc_lo, 0, v[4:5]
	s_cbranch_vccz .LBB159_376
.LBB159_372:                            ;   in Loop: Header=BB159_373 Depth=2
	s_and_b32 s45, exec_lo, s45
	s_or_b32 s20, s45, s20
	s_andn2_b32 s44, s44, exec_lo
	s_and_b32 s45, s46, exec_lo
	s_or_b32 s44, s44, s45
	s_andn2_b32 exec_lo, exec_lo, s20
	s_cbranch_execz .LBB159_379
.LBB159_373:                            ;   Parent Loop BB159_12 Depth=1
                                        ; =>  This Inner Loop Header: Depth=2
	s_mov_b32 s45, exec_lo
	v_cmpx_gt_u64_e64 s[6:7], v[10:11]
	s_cbranch_execz .LBB159_371
; %bb.374:                              ;   in Loop: Header=BB159_373 Depth=2
	ds_read_b64 v[4:5], v12
	s_waitcnt lgkmcnt(0)
	v_xor_b32_e32 v3, 0x80000000, v5
	v_and_b32_e32 v6, v4, v24
	v_and_b32_e32 v7, v3, v25
	v_cmp_eq_u64_e32 vcc_lo, v[6:7], v[22:23]
	s_and_b32 exec_lo, exec_lo, vcc_lo
	s_cbranch_execz .LBB159_371
; %bb.375:                              ;   in Loop: Header=BB159_373 Depth=2
	v_mov_b32_e32 v3, v19
	ds_write_b128 v19, v[2:5] offset:3072
	s_branch .LBB159_371
.LBB159_376:                            ;   in Loop: Header=BB159_373 Depth=2
	v_add_co_u32 v10, vcc_lo, v10, s49
	v_add_co_ci_u32_e64 v11, null, 0, v11, vcc_lo
	v_add_nc_u32_e32 v12, s86, v12
	s_mov_b32 s46, 0
	v_cmp_le_u64_e32 vcc_lo, s[18:19], v[10:11]
	s_orn2_b32 s45, vcc_lo, exec_lo
	s_branch .LBB159_372
.LBB159_377:                            ;   in Loop: Header=BB159_12 Depth=1
                                        ; implicit-def: $sgpr22_sgpr23
	s_branch .LBB159_323
.LBB159_378:                            ;   in Loop: Header=BB159_12 Depth=1
                                        ; implicit-def: $sgpr6_sgpr7
	s_branch .LBB159_339
.LBB159_379:                            ;   in Loop: Header=BB159_12 Depth=1
	s_inst_prefetch 0x2
	s_or_b32 exec_lo, exec_lo, s20
	s_and_b32 s20, s44, exec_lo
.LBB159_380:                            ;   in Loop: Header=BB159_12 Depth=1
	s_or_b32 exec_lo, exec_lo, s26
.LBB159_381:                            ;   in Loop: Header=BB159_12 Depth=1
	s_and_b32 vcc_lo, exec_lo, s21
	s_cbranch_vccz .LBB159_395
; %bb.382:                              ;   in Loop: Header=BB159_12 Depth=1
	s_mov_b32 s58, s27
	s_cmp_lg_u64 s[58:59], 0
	s_cbranch_scc0 .LBB159_414
; %bb.383:                              ;   in Loop: Header=BB159_12 Depth=1
	v_cvt_f32_u32_e32 v3, s49
	s_sub_u32 s18, 0, s49
	s_subb_u32 s19, 0, 0
	v_fmac_f32_e64 v3, 0x4f800000, 0
	v_rcp_f32_e32 v3, v3
	v_mul_f32_e32 v3, 0x5f7ffffc, v3
	v_mul_f32_e32 v4, 0x2f800000, v3
	v_trunc_f32_e32 v4, v4
	v_fmac_f32_e32 v3, 0xcf800000, v4
	v_cvt_u32_f32_e32 v4, v4
	v_cvt_u32_f32_e32 v3, v3
	v_readfirstlane_b32 s6, v4
	v_readfirstlane_b32 s7, v3
	s_mul_i32 s21, s18, s6
	s_mul_hi_u32 s44, s18, s7
	s_mul_i32 s26, s19, s7
	s_add_i32 s21, s44, s21
	s_mul_i32 s45, s18, s7
	s_add_i32 s21, s21, s26
	s_mul_hi_u32 s44, s7, s45
	s_mul_i32 s47, s7, s21
	s_mul_hi_u32 s46, s6, s45
	s_mul_i32 s26, s6, s45
	s_mul_hi_u32 s45, s7, s21
	s_add_u32 s44, s44, s47
	s_addc_u32 s45, 0, s45
	s_mul_hi_u32 s58, s6, s21
	s_add_u32 s26, s44, s26
	s_mul_i32 s21, s6, s21
	s_addc_u32 s26, s45, s46
	s_addc_u32 s44, s58, 0
	s_add_u32 s21, s26, s21
	s_addc_u32 s26, 0, s44
	s_add_u32 s7, s7, s21
	s_cselect_b32 s21, -1, 0
	s_mul_hi_u32 s44, s18, s7
	s_cmp_lg_u32 s21, 0
	s_mul_i32 s21, s18, s7
	s_addc_u32 s6, s6, s26
	s_mul_i32 s19, s19, s7
	s_mul_i32 s18, s18, s6
	s_mul_hi_u32 s26, s7, s21
	s_add_i32 s18, s44, s18
	s_mul_hi_u32 s44, s6, s21
	s_add_i32 s18, s18, s19
	s_mul_i32 s19, s6, s21
	s_mul_i32 s46, s7, s18
	s_mul_hi_u32 s45, s7, s18
	s_add_u32 s26, s26, s46
	s_addc_u32 s45, 0, s45
	s_mul_hi_u32 s21, s6, s18
	s_add_u32 s19, s26, s19
	s_mul_i32 s18, s6, s18
	s_addc_u32 s19, s45, s44
	s_addc_u32 s21, s21, 0
	s_add_u32 s18, s19, s18
	s_addc_u32 s19, 0, s21
	s_add_u32 s7, s7, s18
	s_cselect_b32 s18, -1, 0
	s_mul_hi_u32 s21, s82, s7
	s_cmp_lg_u32 s18, 0
	s_mul_hi_u32 s18, s59, s7
	s_addc_u32 s6, s6, s19
	s_mul_i32 s7, s59, s7
	s_mul_i32 s26, s82, s6
	s_mul_hi_u32 s19, s82, s6
	s_add_u32 s21, s21, s26
	s_addc_u32 s19, 0, s19
	s_mul_hi_u32 s44, s59, s6
	s_add_u32 s7, s21, s7
	s_mul_i32 s6, s59, s6
	s_addc_u32 s7, s19, s18
	s_addc_u32 s18, s44, 0
	s_add_u32 s6, s7, s6
	s_addc_u32 s7, 0, s18
	s_mul_hi_u32 s18, s49, s6
	s_mul_i32 s7, s49, s7
	s_mul_i32 s6, s49, s6
	s_add_i32 s18, s18, s7
	s_sub_u32 s6, s82, s6
	s_cselect_b32 s7, -1, 0
	s_cmp_lg_u32 s7, 0
	s_subb_u32 s7, s59, s18
	s_sub_u32 s18, s6, s49
	s_cselect_b32 s19, -1, 0
	s_cmp_lg_u32 s19, 0
	s_subb_u32 s19, s7, 0
	;; [unrolled: 4-line block ×3, first 2 shown]
	s_cmp_ge_u32 s18, s49
	s_cselect_b32 s44, -1, 0
	s_cmp_eq_u32 s19, 0
	s_cselect_b32 s44, s44, -1
	s_cmp_lg_u32 s44, 0
	s_cselect_b32 s19, s26, s19
	s_cselect_b32 s18, s21, s18
	s_cmp_ge_u32 s6, s49
	s_cselect_b32 s21, -1, 0
	s_cmp_eq_u32 s7, 0
	s_cselect_b32 s21, s21, -1
	s_cmp_lg_u32 s21, 0
	s_cselect_b32 s7, s19, s7
	s_cselect_b32 s6, s18, s6
	s_cbranch_execnz .LBB159_385
.LBB159_384:                            ;   in Loop: Header=BB159_12 Depth=1
	v_cvt_f32_u32_e32 v3, s49
	s_sub_i32 s7, 0, s49
	v_rcp_iflag_f32_e32 v3, v3
	v_mul_f32_e32 v3, 0x4f7ffffe, v3
	v_cvt_u32_f32_e32 v3, v3
	v_readfirstlane_b32 s6, v3
	s_mul_i32 s7, s7, s6
	s_mul_hi_u32 s7, s6, s7
	s_add_i32 s6, s6, s7
	s_mul_hi_u32 s6, s82, s6
	s_mul_i32 s6, s6, s49
	s_sub_i32 s6, s82, s6
	s_sub_i32 s7, s6, s49
	s_cmp_ge_u32 s6, s49
	s_cselect_b32 s6, s7, s6
	s_sub_i32 s7, s6, s49
	s_cmp_ge_u32 s6, s49
	s_cselect_b32 s26, s7, s6
	s_mov_b64 s[6:7], s[26:27]
.LBB159_385:                            ;   in Loop: Header=BB159_12 Depth=1
	s_sub_u32 s6, s82, s6
	s_subb_u32 s7, s59, s7
	s_mov_b32 s18, exec_lo
                                        ; implicit-def: $vgpr6_vgpr7
	v_cmpx_gt_u64_e64 s[6:7], v[0:1]
	s_cbranch_execz .LBB159_394
; %bb.386:                              ;   in Loop: Header=BB159_12 Depth=1
	v_mov_b32_e32 v11, v1
	v_mov_b32_e32 v10, v0
	s_mov_b32 s19, 0
                                        ; implicit-def: $sgpr21
	s_branch .LBB159_389
.LBB159_387:                            ;   in Loop: Header=BB159_389 Depth=2
	s_or_b32 exec_lo, exec_lo, s26
	s_waitcnt lgkmcnt(0)
	s_barrier
	buffer_gl0_inv
	ds_read_b128 v[4:7], v19 offset:3072
	s_mov_b32 s44, -1
	s_mov_b32 s26, -1
	s_waitcnt lgkmcnt(0)
	s_barrier
	buffer_gl0_inv
	v_cmp_eq_u64_e32 vcc_lo, 0, v[4:5]
	s_cbranch_vccnz .LBB159_392
.LBB159_388:                            ;   in Loop: Header=BB159_389 Depth=2
	s_and_b32 s44, exec_lo, s44
	s_or_b32 s19, s44, s19
	s_andn2_b32 s21, s21, exec_lo
	s_and_b32 s26, s26, exec_lo
	s_or_b32 s21, s21, s26
	s_andn2_b32 exec_lo, exec_lo, s19
	s_cbranch_execz .LBB159_393
.LBB159_389:                            ;   Parent Loop BB159_12 Depth=1
                                        ; =>  This Inner Loop Header: Depth=2
	s_mov_b32 s26, exec_lo
	v_cmpx_gt_u64_e64 s[36:37], v[10:11]
	s_cbranch_execz .LBB159_387
; %bb.390:                              ;   in Loop: Header=BB159_389 Depth=2
	v_mul_lo_u32 v5, v11, s30
	v_mul_lo_u32 v6, v10, s31
	v_mad_u64_u32 v[3:4], null, v10, s30, 0
	v_add3_u32 v4, v4, v6, v5
	v_lshlrev_b64 v[3:4], 3, v[3:4]
	v_add_co_u32 v3, vcc_lo, s33, v3
	v_add_co_ci_u32_e64 v4, null, s35, v4, vcc_lo
	global_load_dwordx2 v[4:5], v[3:4], off
	s_waitcnt vmcnt(0)
	v_xor_b32_e32 v3, 0x80000000, v5
	v_and_b32_e32 v6, v4, v24
	v_and_b32_e32 v7, v3, v25
	v_cmp_eq_u64_e32 vcc_lo, v[6:7], v[22:23]
	s_and_b32 exec_lo, exec_lo, vcc_lo
	s_cbranch_execz .LBB159_387
; %bb.391:                              ;   in Loop: Header=BB159_389 Depth=2
	v_mov_b32_e32 v3, v19
	ds_write_b128 v19, v[2:5] offset:3072
	s_branch .LBB159_387
.LBB159_392:                            ;   in Loop: Header=BB159_389 Depth=2
	v_add_co_u32 v10, vcc_lo, v10, s49
	v_add_co_ci_u32_e64 v11, null, 0, v11, vcc_lo
	s_mov_b32 s26, 0
	v_cmp_le_u64_e32 vcc_lo, s[6:7], v[10:11]
	s_orn2_b32 s44, vcc_lo, exec_lo
	s_branch .LBB159_388
.LBB159_393:                            ;   in Loop: Header=BB159_12 Depth=1
	s_or_b32 exec_lo, exec_lo, s19
	s_andn2_b32 s6, s20, exec_lo
	s_and_b32 s7, s21, exec_lo
	s_or_b32 s20, s6, s7
.LBB159_394:                            ;   in Loop: Header=BB159_12 Depth=1
	s_or_b32 exec_lo, exec_lo, s18
	s_mov_b32 s67, 0
	s_mov_b32 s68, -1
.LBB159_395:                            ;   in Loop: Header=BB159_12 Depth=1
	s_orn2_b32 s6, s20, exec_lo
.LBB159_396:                            ;   in Loop: Header=BB159_12 Depth=1
	s_or_b32 exec_lo, exec_lo, s70
	s_mov_b32 s7, 0
	s_and_saveexec_b32 s20, s6
	s_cbranch_execz .LBB159_458
; %bb.397:                              ;   in Loop: Header=BB159_12 Depth=1
	v_mov_b32_e32 v10, 1
	v_mov_b32_e32 v11, 0
	;; [unrolled: 1-line block ×3, first 2 shown]
	s_xor_b32 s18, s69, -1
	s_and_saveexec_b32 s6, s18
	s_cbranch_execz .LBB159_406
; %bb.398:                              ;   in Loop: Header=BB159_12 Depth=1
	s_mov_b32 s7, exec_lo
	v_cmpx_ge_u64_e64 s[16:17], v[8:9]
	s_xor_b32 s7, exec_lo, s7
	s_cbranch_execz .LBB159_403
; %bb.399:                              ;   in Loop: Header=BB159_12 Depth=1
	ds_read_b64 v[3:4], v19 offset:5120
	v_and_b32_e32 v5, s15, v23
	v_and_b32_e32 v10, s14, v22
	s_lshl_b64 s[18:19], 1, s93
	v_or_b32_e32 v25, s13, v25
	v_or_b32_e32 v24, s12, v24
	;; [unrolled: 1-line block ×4, first 2 shown]
	s_waitcnt lgkmcnt(0)
	v_cmp_ne_u64_e32 vcc_lo, 0, v[3:4]
	s_cbranch_vccnz .LBB159_403
; %bb.400:                              ;   in Loop: Header=BB159_12 Depth=1
	s_and_saveexec_b32 s18, s3
; %bb.401:                              ;   in Loop: Header=BB159_12 Depth=1
	v_mov_b32_e32 v3, s16
	v_mov_b32_e32 v4, s17
	ds_write_b64 v19, v[3:4] offset:5128
; %bb.402:                              ;   in Loop: Header=BB159_12 Depth=1
	s_or_b32 exec_lo, exec_lo, s18
	s_waitcnt lgkmcnt(0)
	s_barrier
	buffer_gl0_inv
.LBB159_403:                            ;   in Loop: Header=BB159_12 Depth=1
	s_or_saveexec_b32 s7, s7
	v_mov_b32_e32 v39, 5
	s_mov_b32 s18, 0
	s_xor_b32 exec_lo, exec_lo, s7
; %bb.404:                              ;   in Loop: Header=BB159_12 Depth=1
	v_sub_co_u32 v8, vcc_lo, v8, s16
	v_subrev_co_ci_u32_e64 v9, null, s17, v9, vcc_lo
	v_mov_b32_e32 v39, 0
	s_mov_b32 s18, exec_lo
; %bb.405:                              ;   in Loop: Header=BB159_12 Depth=1
	s_or_b32 exec_lo, exec_lo, s7
	v_mov_b32_e32 v11, v9
	v_mov_b32_e32 v10, v8
	s_and_b32 s7, s18, exec_lo
.LBB159_406:                            ;   in Loop: Header=BB159_12 Depth=1
	s_or_b32 exec_lo, exec_lo, s6
	s_mov_b32 s6, -1
                                        ; implicit-def: $sgpr71
                                        ; implicit-def: $sgpr58
	s_and_saveexec_b32 s21, s7
	s_cbranch_execz .LBB159_457
; %bb.407:                              ;   in Loop: Header=BB159_12 Depth=1
	v_cmp_eq_u64_e32 vcc_lo, 1, v[10:11]
	s_cmp_eq_u64 s[10:11], 1
	s_mov_b32 s7, -1
	s_cselect_b32 s6, -1, 0
                                        ; implicit-def: $sgpr71
                                        ; implicit-def: $sgpr58
	s_and_b32 s69, s6, vcc_lo
	s_and_saveexec_b32 s70, s69
	s_cbranch_execz .LBB159_445
; %bb.408:                              ;   in Loop: Header=BB159_12 Depth=1
	ds_read_b64 v[3:4], v19 offset:5120
	s_waitcnt lgkmcnt(0)
	s_barrier
	buffer_gl0_inv
	v_readfirstlane_b32 s6, v3
	v_readfirstlane_b32 s7, v4
	s_and_saveexec_b32 s16, s8
; %bb.409:                              ;   in Loop: Header=BB159_12 Depth=1
	v_mov_b32_e32 v18, v19
	ds_write_b64 v35, v[18:19]
; %bb.410:                              ;   in Loop: Header=BB159_12 Depth=1
	s_or_b32 exec_lo, exec_lo, s16
	v_and_b32_e32 v23, s15, v23
	v_and_b32_e32 v22, s14, v22
	v_or_b32_e32 v25, s13, v25
	v_or_b32_e32 v24, s12, v24
	s_mov_b32 s58, -1
	s_mov_b32 s71, 0
	s_cmp_eq_u64 s[6:7], 0
	s_mov_b32 s18, 0
	s_mov_b32 s19, -1
	s_waitcnt lgkmcnt(0)
	s_barrier
	buffer_gl0_inv
                                        ; implicit-def: $vgpr6_vgpr7
	s_cbranch_scc1 .LBB159_428
; %bb.411:                              ;   in Loop: Header=BB159_12 Depth=1
	s_add_u32 s44, s6, s80
	s_addc_u32 s17, s7, s81
	s_mov_b32 s16, s27
	s_cmp_lg_u64 s[16:17], 0
	s_cbranch_scc0 .LBB159_415
; %bb.412:                              ;   in Loop: Header=BB159_12 Depth=1
	v_cvt_f32_u32_e32 v3, s49
	s_sub_u32 s19, 0, s49
	s_subb_u32 s26, 0, 0
	v_fmac_f32_e64 v3, 0x4f800000, 0
	v_rcp_f32_e32 v3, v3
	v_mul_f32_e32 v3, 0x5f7ffffc, v3
	v_mul_f32_e32 v4, 0x2f800000, v3
	v_trunc_f32_e32 v4, v4
	v_fmac_f32_e32 v3, 0xcf800000, v4
	v_cvt_u32_f32_e32 v4, v4
	v_cvt_u32_f32_e32 v3, v3
	v_readfirstlane_b32 s16, v4
	v_readfirstlane_b32 s18, v3
	s_mul_i32 s45, s19, s16
	s_mul_hi_u32 s47, s19, s18
	s_mul_i32 s46, s26, s18
	s_add_i32 s45, s47, s45
	s_mul_i32 s72, s19, s18
	s_add_i32 s45, s45, s46
	s_mul_hi_u32 s47, s18, s72
	s_mul_i32 s74, s18, s45
	s_mul_hi_u32 s73, s16, s72
	s_mul_i32 s46, s16, s72
	s_mul_hi_u32 s72, s18, s45
	s_add_u32 s47, s47, s74
	s_addc_u32 s72, 0, s72
	s_mul_hi_u32 s75, s16, s45
	s_add_u32 s46, s47, s46
	s_mul_i32 s45, s16, s45
	s_addc_u32 s46, s72, s73
	s_addc_u32 s47, s75, 0
	s_add_u32 s45, s46, s45
	s_addc_u32 s46, 0, s47
	s_add_u32 s18, s18, s45
	s_cselect_b32 s45, -1, 0
	s_mul_hi_u32 s47, s19, s18
	s_cmp_lg_u32 s45, 0
	s_mul_i32 s45, s19, s18
	s_addc_u32 s16, s16, s46
	s_mul_i32 s26, s26, s18
	s_mul_i32 s19, s19, s16
	s_mul_hi_u32 s46, s18, s45
	s_add_i32 s19, s47, s19
	s_mul_hi_u32 s47, s16, s45
	s_add_i32 s19, s19, s26
	s_mul_i32 s26, s16, s45
	s_mul_i32 s73, s18, s19
	s_mul_hi_u32 s72, s18, s19
	s_add_u32 s46, s46, s73
	s_addc_u32 s72, 0, s72
	s_mul_hi_u32 s45, s16, s19
	s_add_u32 s26, s46, s26
	s_mul_i32 s19, s16, s19
	s_addc_u32 s26, s72, s47
	s_addc_u32 s45, s45, 0
	s_add_u32 s19, s26, s19
	s_addc_u32 s26, 0, s45
	s_add_u32 s18, s18, s19
	s_cselect_b32 s19, -1, 0
	s_mul_hi_u32 s45, s44, s18
	s_cmp_lg_u32 s19, 0
	s_mul_hi_u32 s19, s17, s18
	s_addc_u32 s16, s16, s26
	s_mul_i32 s18, s17, s18
	s_mul_i32 s46, s44, s16
	s_mul_hi_u32 s26, s44, s16
	s_add_u32 s45, s45, s46
	s_addc_u32 s26, 0, s26
	s_mul_hi_u32 s47, s17, s16
	s_add_u32 s18, s45, s18
	s_mul_i32 s16, s17, s16
	s_addc_u32 s18, s26, s19
	s_addc_u32 s19, s47, 0
	s_add_u32 s16, s18, s16
	s_addc_u32 s18, 0, s19
	s_mul_hi_u32 s19, s49, s16
	s_mul_i32 s18, s49, s18
	s_mul_i32 s16, s49, s16
	s_add_i32 s19, s19, s18
	s_sub_u32 s16, s44, s16
	s_cselect_b32 s18, -1, 0
	s_cmp_lg_u32 s18, 0
	s_subb_u32 s18, s17, s19
	s_sub_u32 s19, s16, s49
	s_cselect_b32 s26, -1, 0
	s_cmp_lg_u32 s26, 0
	s_subb_u32 s26, s18, 0
	;; [unrolled: 4-line block ×3, first 2 shown]
	s_cmp_ge_u32 s19, s49
	s_cselect_b32 s47, -1, 0
	s_cmp_eq_u32 s26, 0
	s_cselect_b32 s47, s47, -1
	s_cmp_lg_u32 s47, 0
	s_cselect_b32 s26, s46, s26
	s_cselect_b32 s45, s45, s19
	s_cmp_ge_u32 s16, s49
	s_cselect_b32 s19, -1, 0
	s_cmp_eq_u32 s18, 0
	s_cselect_b32 s19, s19, -1
	s_cmp_lg_u32 s19, 0
	s_cselect_b32 s19, s26, s18
	s_cselect_b32 s18, s45, s16
	s_mov_b32 s16, 0
	s_branch .LBB159_416
.LBB159_413:                            ;   in Loop: Header=BB159_12 Depth=1
                                        ; implicit-def: $sgpr20_sgpr21
	s_branch .LBB159_368
.LBB159_414:                            ;   in Loop: Header=BB159_12 Depth=1
                                        ; implicit-def: $sgpr6_sgpr7
	s_branch .LBB159_384
.LBB159_415:                            ;   in Loop: Header=BB159_12 Depth=1
	s_mov_b32 s16, -1
                                        ; implicit-def: $sgpr18_sgpr19
.LBB159_416:                            ;   in Loop: Header=BB159_12 Depth=1
	s_andn2_b32 vcc_lo, exec_lo, s16
	s_cbranch_vccnz .LBB159_418
; %bb.417:                              ;   in Loop: Header=BB159_12 Depth=1
	v_cvt_f32_u32_e32 v3, s49
	s_sub_i32 s18, 0, s49
	v_rcp_iflag_f32_e32 v3, v3
	v_mul_f32_e32 v3, 0x4f7ffffe, v3
	v_cvt_u32_f32_e32 v3, v3
	v_readfirstlane_b32 s16, v3
	s_mul_i32 s18, s18, s16
	s_mul_hi_u32 s18, s16, s18
	s_add_i32 s16, s16, s18
	s_mul_hi_u32 s16, s44, s16
	s_mul_i32 s16, s16, s49
	s_sub_i32 s16, s44, s16
	s_sub_i32 s18, s16, s49
	s_cmp_ge_u32 s16, s49
	s_cselect_b32 s16, s18, s16
	s_sub_i32 s18, s16, s49
	s_cmp_ge_u32 s16, s49
	s_cselect_b32 s26, s18, s16
	s_mov_b64 s[18:19], s[26:27]
.LBB159_418:                            ;   in Loop: Header=BB159_12 Depth=1
	s_sub_u32 s16, s44, s18
	s_subb_u32 s17, s17, s19
	s_mov_b32 s19, 0
	s_mov_b32 s18, 0
	s_mov_b32 s26, exec_lo
                                        ; implicit-def: $vgpr6_vgpr7
	v_cmpx_gt_u64_e64 s[16:17], v[0:1]
	s_cbranch_execz .LBB159_427
; %bb.419:                              ;   in Loop: Header=BB159_12 Depth=1
	v_mov_b32_e32 v9, v1
	v_mov_b32_e32 v12, v34
	;; [unrolled: 1-line block ×3, first 2 shown]
                                        ; implicit-def: $sgpr44
	s_inst_prefetch 0x1
	s_branch .LBB159_422
	.p2align	6
.LBB159_420:                            ;   in Loop: Header=BB159_422 Depth=2
	s_or_b32 exec_lo, exec_lo, s45
	s_waitcnt lgkmcnt(0)
	s_barrier
	buffer_gl0_inv
	ds_read_b128 v[4:7], v19 offset:3072
	s_mov_b32 s45, -1
	s_mov_b32 s46, -1
	s_waitcnt lgkmcnt(0)
	s_barrier
	buffer_gl0_inv
	v_cmp_ne_u64_e32 vcc_lo, 0, v[4:5]
	s_cbranch_vccz .LBB159_425
.LBB159_421:                            ;   in Loop: Header=BB159_422 Depth=2
	s_and_b32 s45, exec_lo, s45
	s_or_b32 s18, s45, s18
	s_andn2_b32 s44, s44, exec_lo
	s_and_b32 s45, s46, exec_lo
	s_or_b32 s44, s44, s45
	s_andn2_b32 exec_lo, exec_lo, s18
	s_cbranch_execz .LBB159_426
.LBB159_422:                            ;   Parent Loop BB159_12 Depth=1
                                        ; =>  This Inner Loop Header: Depth=2
	s_mov_b32 s45, exec_lo
	v_cmpx_gt_u64_e64 s[6:7], v[8:9]
	s_cbranch_execz .LBB159_420
; %bb.423:                              ;   in Loop: Header=BB159_422 Depth=2
	ds_read_b64 v[4:5], v12
	s_waitcnt lgkmcnt(0)
	v_xor_b32_e32 v3, 0x80000000, v5
	v_and_b32_e32 v6, v4, v24
	v_and_b32_e32 v7, v3, v25
	v_cmp_eq_u64_e32 vcc_lo, v[6:7], v[22:23]
	s_and_b32 exec_lo, exec_lo, vcc_lo
	s_cbranch_execz .LBB159_420
; %bb.424:                              ;   in Loop: Header=BB159_422 Depth=2
	v_mov_b32_e32 v3, v19
	ds_write_b128 v19, v[2:5] offset:3072
	s_branch .LBB159_420
.LBB159_425:                            ;   in Loop: Header=BB159_422 Depth=2
	v_add_co_u32 v8, vcc_lo, v8, s49
	v_add_co_ci_u32_e64 v9, null, 0, v9, vcc_lo
	v_add_nc_u32_e32 v12, s86, v12
	s_mov_b32 s46, 0
	v_cmp_le_u64_e32 vcc_lo, s[16:17], v[8:9]
	s_orn2_b32 s45, vcc_lo, exec_lo
	s_branch .LBB159_421
.LBB159_426:                            ;   in Loop: Header=BB159_12 Depth=1
	s_inst_prefetch 0x2
	s_or_b32 exec_lo, exec_lo, s18
	s_and_b32 s18, s44, exec_lo
.LBB159_427:                            ;   in Loop: Header=BB159_12 Depth=1
	s_or_b32 exec_lo, exec_lo, s26
.LBB159_428:                            ;   in Loop: Header=BB159_12 Depth=1
	s_and_b32 vcc_lo, exec_lo, s19
	s_cbranch_vccz .LBB159_444
; %bb.429:                              ;   in Loop: Header=BB159_12 Depth=1
	s_mov_b32 s58, s27
	s_cmp_lg_u64 s[58:59], 0
	s_cbranch_scc0 .LBB159_431
; %bb.430:                              ;   in Loop: Header=BB159_12 Depth=1
	v_cvt_f32_u32_e32 v3, s49
	s_sub_u32 s16, 0, s49
	s_subb_u32 s17, 0, 0
	v_fmac_f32_e64 v3, 0x4f800000, 0
	v_rcp_f32_e32 v3, v3
	v_mul_f32_e32 v3, 0x5f7ffffc, v3
	v_mul_f32_e32 v4, 0x2f800000, v3
	v_trunc_f32_e32 v4, v4
	v_fmac_f32_e32 v3, 0xcf800000, v4
	v_cvt_u32_f32_e32 v4, v4
	v_cvt_u32_f32_e32 v3, v3
	v_readfirstlane_b32 s6, v4
	v_readfirstlane_b32 s7, v3
	s_mul_i32 s19, s16, s6
	s_mul_hi_u32 s44, s16, s7
	s_mul_i32 s26, s17, s7
	s_add_i32 s19, s44, s19
	s_mul_i32 s45, s16, s7
	s_add_i32 s19, s19, s26
	s_mul_hi_u32 s44, s7, s45
	s_mul_i32 s47, s7, s19
	s_mul_hi_u32 s46, s6, s45
	s_mul_i32 s26, s6, s45
	s_mul_hi_u32 s45, s7, s19
	s_add_u32 s44, s44, s47
	s_addc_u32 s45, 0, s45
	s_mul_hi_u32 s58, s6, s19
	s_add_u32 s26, s44, s26
	s_mul_i32 s19, s6, s19
	s_addc_u32 s26, s45, s46
	s_addc_u32 s44, s58, 0
	s_add_u32 s19, s26, s19
	s_addc_u32 s26, 0, s44
	s_add_u32 s7, s7, s19
	s_cselect_b32 s19, -1, 0
	s_mul_hi_u32 s44, s16, s7
	s_cmp_lg_u32 s19, 0
	s_mul_i32 s19, s16, s7
	s_addc_u32 s6, s6, s26
	s_mul_i32 s17, s17, s7
	s_mul_i32 s16, s16, s6
	s_mul_hi_u32 s26, s7, s19
	s_add_i32 s16, s44, s16
	s_mul_hi_u32 s44, s6, s19
	s_add_i32 s16, s16, s17
	s_mul_i32 s17, s6, s19
	s_mul_i32 s46, s7, s16
	s_mul_hi_u32 s45, s7, s16
	s_add_u32 s26, s26, s46
	s_addc_u32 s45, 0, s45
	s_mul_hi_u32 s19, s6, s16
	s_add_u32 s17, s26, s17
	s_mul_i32 s16, s6, s16
	s_addc_u32 s17, s45, s44
	s_addc_u32 s19, s19, 0
	s_add_u32 s16, s17, s16
	s_addc_u32 s17, 0, s19
	s_add_u32 s7, s7, s16
	s_cselect_b32 s16, -1, 0
	s_mul_hi_u32 s19, s82, s7
	s_cmp_lg_u32 s16, 0
	s_mul_hi_u32 s16, s59, s7
	s_addc_u32 s6, s6, s17
	s_mul_i32 s7, s59, s7
	s_mul_i32 s26, s82, s6
	s_mul_hi_u32 s17, s82, s6
	s_add_u32 s19, s19, s26
	s_addc_u32 s17, 0, s17
	s_mul_hi_u32 s44, s59, s6
	s_add_u32 s7, s19, s7
	s_mul_i32 s6, s59, s6
	s_addc_u32 s7, s17, s16
	s_addc_u32 s16, s44, 0
	s_add_u32 s6, s7, s6
	s_addc_u32 s7, 0, s16
	s_mul_hi_u32 s16, s49, s6
	s_mul_i32 s7, s49, s7
	s_mul_i32 s6, s49, s6
	s_add_i32 s16, s16, s7
	s_sub_u32 s6, s82, s6
	s_cselect_b32 s7, -1, 0
	s_cmp_lg_u32 s7, 0
	s_subb_u32 s7, s59, s16
	s_sub_u32 s16, s6, s49
	s_cselect_b32 s17, -1, 0
	s_cmp_lg_u32 s17, 0
	s_subb_u32 s17, s7, 0
	;; [unrolled: 4-line block ×3, first 2 shown]
	s_cmp_ge_u32 s16, s49
	s_cselect_b32 s44, -1, 0
	s_cmp_eq_u32 s17, 0
	s_cselect_b32 s44, s44, -1
	s_cmp_lg_u32 s44, 0
	s_cselect_b32 s17, s26, s17
	s_cselect_b32 s16, s19, s16
	s_cmp_ge_u32 s6, s49
	s_cselect_b32 s19, -1, 0
	s_cmp_eq_u32 s7, 0
	s_cselect_b32 s19, s19, -1
	s_cmp_lg_u32 s19, 0
	s_cselect_b32 s7, s17, s7
	s_cselect_b32 s6, s16, s6
	s_mov_b32 s16, 0
	s_branch .LBB159_432
.LBB159_431:                            ;   in Loop: Header=BB159_12 Depth=1
	s_mov_b32 s16, -1
                                        ; implicit-def: $sgpr6_sgpr7
.LBB159_432:                            ;   in Loop: Header=BB159_12 Depth=1
	s_andn2_b32 vcc_lo, exec_lo, s16
	s_cbranch_vccnz .LBB159_434
; %bb.433:                              ;   in Loop: Header=BB159_12 Depth=1
	v_cvt_f32_u32_e32 v3, s49
	s_sub_i32 s7, 0, s49
	v_rcp_iflag_f32_e32 v3, v3
	v_mul_f32_e32 v3, 0x4f7ffffe, v3
	v_cvt_u32_f32_e32 v3, v3
	v_readfirstlane_b32 s6, v3
	s_mul_i32 s7, s7, s6
	s_mul_hi_u32 s7, s6, s7
	s_add_i32 s6, s6, s7
	s_mul_hi_u32 s6, s82, s6
	s_mul_i32 s6, s6, s49
	s_sub_i32 s6, s82, s6
	s_sub_i32 s7, s6, s49
	s_cmp_ge_u32 s6, s49
	s_cselect_b32 s6, s7, s6
	s_sub_i32 s7, s6, s49
	s_cmp_ge_u32 s6, s49
	s_cselect_b32 s26, s7, s6
	s_mov_b64 s[6:7], s[26:27]
.LBB159_434:                            ;   in Loop: Header=BB159_12 Depth=1
	s_sub_u32 s6, s82, s6
	s_subb_u32 s7, s59, s7
	s_mov_b32 s16, exec_lo
                                        ; implicit-def: $vgpr6_vgpr7
	v_cmpx_gt_u64_e64 s[6:7], v[0:1]
	s_cbranch_execz .LBB159_443
; %bb.435:                              ;   in Loop: Header=BB159_12 Depth=1
	v_mov_b32_e32 v9, v1
	v_mov_b32_e32 v8, v0
	s_mov_b32 s17, 0
                                        ; implicit-def: $sgpr19
	s_branch .LBB159_438
.LBB159_436:                            ;   in Loop: Header=BB159_438 Depth=2
	s_or_b32 exec_lo, exec_lo, s26
	s_waitcnt lgkmcnt(0)
	s_barrier
	buffer_gl0_inv
	ds_read_b128 v[4:7], v19 offset:3072
	s_mov_b32 s44, -1
	s_mov_b32 s26, -1
	s_waitcnt lgkmcnt(0)
	s_barrier
	buffer_gl0_inv
	v_cmp_eq_u64_e32 vcc_lo, 0, v[4:5]
	s_cbranch_vccnz .LBB159_441
.LBB159_437:                            ;   in Loop: Header=BB159_438 Depth=2
	s_and_b32 s44, exec_lo, s44
	s_or_b32 s17, s44, s17
	s_andn2_b32 s19, s19, exec_lo
	s_and_b32 s26, s26, exec_lo
	s_or_b32 s19, s19, s26
	s_andn2_b32 exec_lo, exec_lo, s17
	s_cbranch_execz .LBB159_442
.LBB159_438:                            ;   Parent Loop BB159_12 Depth=1
                                        ; =>  This Inner Loop Header: Depth=2
	s_mov_b32 s26, exec_lo
	v_cmpx_gt_u64_e64 s[36:37], v[8:9]
	s_cbranch_execz .LBB159_436
; %bb.439:                              ;   in Loop: Header=BB159_438 Depth=2
	v_mul_lo_u32 v5, v9, s30
	v_mul_lo_u32 v6, v8, s31
	v_mad_u64_u32 v[3:4], null, v8, s30, 0
	v_add3_u32 v4, v4, v6, v5
	v_lshlrev_b64 v[3:4], 3, v[3:4]
	v_add_co_u32 v3, vcc_lo, s33, v3
	v_add_co_ci_u32_e64 v4, null, s35, v4, vcc_lo
	global_load_dwordx2 v[4:5], v[3:4], off
	s_waitcnt vmcnt(0)
	v_xor_b32_e32 v3, 0x80000000, v5
	v_and_b32_e32 v6, v4, v24
	v_and_b32_e32 v7, v3, v25
	v_cmp_eq_u64_e32 vcc_lo, v[6:7], v[22:23]
	s_and_b32 exec_lo, exec_lo, vcc_lo
	s_cbranch_execz .LBB159_436
; %bb.440:                              ;   in Loop: Header=BB159_438 Depth=2
	v_mov_b32_e32 v3, v19
	ds_write_b128 v19, v[2:5] offset:3072
	s_branch .LBB159_436
.LBB159_441:                            ;   in Loop: Header=BB159_438 Depth=2
	v_add_co_u32 v8, vcc_lo, v8, s49
	v_add_co_ci_u32_e64 v9, null, 0, v9, vcc_lo
	s_mov_b32 s26, 0
	v_cmp_le_u64_e32 vcc_lo, s[6:7], v[8:9]
	s_orn2_b32 s44, vcc_lo, exec_lo
	s_branch .LBB159_437
.LBB159_442:                            ;   in Loop: Header=BB159_12 Depth=1
	s_or_b32 exec_lo, exec_lo, s17
	s_andn2_b32 s6, s18, exec_lo
	s_and_b32 s7, s19, exec_lo
	s_or_b32 s18, s6, s7
.LBB159_443:                            ;   in Loop: Header=BB159_12 Depth=1
	s_or_b32 exec_lo, exec_lo, s16
	s_mov_b32 s58, 0
	s_mov_b32 s71, -1
.LBB159_444:                            ;   in Loop: Header=BB159_12 Depth=1
	s_orn2_b32 s7, s18, exec_lo
.LBB159_445:                            ;   in Loop: Header=BB159_12 Depth=1
	s_or_b32 exec_lo, exec_lo, s70
	s_mov_b32 s16, 0
	s_and_saveexec_b32 s6, s7
	s_cbranch_execz .LBB159_456
; %bb.446:                              ;   in Loop: Header=BB159_12 Depth=1
	v_mov_b32_e32 v3, 1
	v_mov_b32_e32 v4, 0
	;; [unrolled: 1-line block ×3, first 2 shown]
	s_xor_b32 s16, s69, -1
	s_and_saveexec_b32 s7, s16
	s_cbranch_execz .LBB159_455
; %bb.447:                              ;   in Loop: Header=BB159_12 Depth=1
	s_mov_b32 s16, exec_lo
	v_cmpx_ge_u64_e64 s[10:11], v[10:11]
	s_xor_b32 s16, exec_lo, s16
	s_cbranch_execz .LBB159_452
; %bb.448:                              ;   in Loop: Header=BB159_12 Depth=1
	ds_read_b64 v[3:4], v19 offset:5120
	v_and_b32_e32 v23, s15, v23
	v_and_b32_e32 v22, s14, v22
	v_or_b32_e32 v25, s13, v25
	v_or_b32_e32 v24, s12, v24
	s_waitcnt lgkmcnt(0)
	v_cmp_ne_u64_e32 vcc_lo, 0, v[3:4]
	s_cbranch_vccnz .LBB159_452
; %bb.449:                              ;   in Loop: Header=BB159_12 Depth=1
	s_and_saveexec_b32 s12, s3
; %bb.450:                              ;   in Loop: Header=BB159_12 Depth=1
	v_mov_b32_e32 v3, s10
	v_mov_b32_e32 v4, s11
	ds_write_b64 v19, v[3:4] offset:5128
; %bb.451:                              ;   in Loop: Header=BB159_12 Depth=1
	s_or_b32 exec_lo, exec_lo, s12
	s_waitcnt lgkmcnt(0)
	s_barrier
	buffer_gl0_inv
.LBB159_452:                            ;   in Loop: Header=BB159_12 Depth=1
	s_andn2_saveexec_b32 s12, s16
; %bb.453:                              ;   in Loop: Header=BB159_12 Depth=1
	v_sub_co_u32 v10, vcc_lo, v10, s10
	v_subrev_co_ci_u32_e64 v11, null, s11, v11, vcc_lo
; %bb.454:                              ;   in Loop: Header=BB159_12 Depth=1
	s_or_b32 exec_lo, exec_lo, s12
	v_mov_b32_e32 v3, v10
	v_mov_b32_e32 v39, 5
	;; [unrolled: 1-line block ×3, first 2 shown]
.LBB159_455:                            ;   in Loop: Header=BB159_12 Depth=1
	s_or_b32 exec_lo, exec_lo, s7
	v_mov_b32_e32 v11, v4
	v_mov_b32_e32 v10, v3
	s_mov_b32 s16, exec_lo
.LBB159_456:                            ;   in Loop: Header=BB159_12 Depth=1
	s_or_b32 exec_lo, exec_lo, s6
	s_orn2_b32 s6, s16, exec_lo
.LBB159_457:                            ;   in Loop: Header=BB159_12 Depth=1
	s_or_b32 exec_lo, exec_lo, s21
	v_mov_b32_e32 v8, v10
	v_mov_b32_e32 v9, v11
	s_andn2_b32 s7, s68, exec_lo
	s_and_b32 s10, s71, exec_lo
	s_andn2_b32 s11, s67, exec_lo
	s_and_b32 s12, s58, exec_lo
	s_or_b32 s68, s7, s10
	s_or_b32 s67, s11, s12
	s_and_b32 s7, s6, exec_lo
.LBB159_458:                            ;   in Loop: Header=BB159_12 Depth=1
	s_or_b32 exec_lo, exec_lo, s20
	s_orn2_b32 s6, s7, exec_lo
.LBB159_459:                            ;   in Loop: Header=BB159_12 Depth=1
	s_or_b32 exec_lo, exec_lo, s23
	v_mov_b32_e32 v29, v9
	v_mov_b32_e32 v28, v8
	s_andn2_b32 s7, s65, exec_lo
	s_and_b32 s10, s68, exec_lo
	s_andn2_b32 s11, s64, exec_lo
	s_and_b32 s12, s67, exec_lo
	s_or_b32 s65, s7, s10
	s_or_b32 s64, s11, s12
	s_and_b32 s7, s6, exec_lo
.LBB159_460:                            ;   in Loop: Header=BB159_12 Depth=1
	s_or_b32 exec_lo, exec_lo, s22
	s_orn2_b32 s6, s7, exec_lo
.LBB159_461:                            ;   in Loop: Header=BB159_12 Depth=1
	s_or_b32 exec_lo, exec_lo, s25
	s_mov_b32 s7, s63
	s_mov_b32 s10, s62
	s_and_saveexec_b32 s11, s6
; %bb.462:                              ;   in Loop: Header=BB159_12 Depth=1
	v_cmp_ne_u32_e32 vcc_lo, 5, v39
	v_cmp_eq_u32_e64 s6, 5, v39
	s_andn2_b32 s7, s62, exec_lo
	s_andn2_b32 s12, s63, exec_lo
	s_and_b32 s10, vcc_lo, exec_lo
	s_and_b32 s6, s6, exec_lo
	s_or_b32 s10, s7, s10
	s_or_b32 s7, s12, s6
; %bb.463:                              ;   in Loop: Header=BB159_12 Depth=1
	s_or_b32 exec_lo, exec_lo, s11
	s_andn2_b32 s6, s66, exec_lo
	s_and_b32 s11, s65, exec_lo
	s_andn2_b32 s9, s9, exec_lo
	s_and_b32 s12, s64, exec_lo
	s_or_b32 s66, s6, s11
	s_andn2_b32 s6, s62, exec_lo
	s_and_b32 s10, s10, exec_lo
	s_andn2_b32 s11, s63, exec_lo
	s_and_b32 s7, s7, exec_lo
	s_or_b32 s9, s9, s12
	s_or_b32 s62, s6, s10
	;; [unrolled: 1-line block ×3, first 2 shown]
.LBB159_464:                            ;   in Loop: Header=BB159_12 Depth=1
	s_or_b32 exec_lo, exec_lo, s24
	s_mov_b32 s64, 0
	s_mov_b32 s65, 0
	s_and_saveexec_b32 s6, s63
.LBB159_465:                            ;   in Loop: Header=BB159_12 Depth=1
	v_mov_b32_e32 v39, 0
	s_or_b32 s62, s62, exec_lo
.LBB159_466:                            ;   in Loop: Header=BB159_12 Depth=1
	s_or_b32 exec_lo, exec_lo, s6
	s_andn2_b32 s6, s97, exec_lo
	s_and_b32 s10, s66, exec_lo
	s_andn2_b32 s11, s95, exec_lo
	s_and_b32 s9, s9, exec_lo
	v_mov_b32_e32 v26, v28
	v_mov_b32_e32 v27, v29
	s_or_b32 s97, s6, s10
	s_or_b32 s95, s11, s9
	s_andn2_b32 s6, s99, exec_lo
	s_and_b32 s9, s65, exec_lo
	s_andn2_b32 s10, s98, exec_lo
	s_and_b32 s11, s64, exec_lo
	s_mov_b32 s7, -1
	s_andn2_b32 s96, s96, exec_lo
	s_or_b32 s99, s6, s9
	s_or_b32 s98, s10, s11
	s_and_saveexec_b32 s6, s62
	s_xor_b32 s6, exec_lo, s6
	s_cbranch_execz .LBB159_11
; %bb.467:                              ;   in Loop: Header=BB159_12 Depth=1
	s_mov_b32 s9, -1
	s_mov_b32 s10, exec_lo
	v_cmpx_eq_u32_e32 0, v39
	s_cbranch_execz .LBB159_10
; %bb.468:                              ;   in Loop: Header=BB159_12 Depth=1
	s_xor_b32 s89, s89, 1
	s_add_i32 s11, s93, -2
	s_cmp_eq_u32 s93, 0
	s_mov_b32 s93, s11
	s_cselect_b32 s7, -1, 0
	s_xor_b32 s9, exec_lo, -1
	s_orn2_b32 s7, s7, exec_lo
	s_branch .LBB159_10
.LBB159_469:
	s_or_b32 exec_lo, exec_lo, s87
	s_xor_b32 s7, s94, -1
	s_xor_b32 s9, s91, -1
	;; [unrolled: 1-line block ×5, first 2 shown]
	s_mov_b32 s8, 0
	s_and_saveexec_b32 s12, s11
	s_xor_b32 s12, exec_lo, s12
	s_cbranch_execnz .LBB159_474
; %bb.470:
	s_andn2_saveexec_b32 s0, s12
	s_cbranch_execnz .LBB159_493
.LBB159_471:
	s_or_b32 exec_lo, exec_lo, s0
	s_and_saveexec_b32 s0, s8
.LBB159_472:
	; divergent unreachable
.LBB159_473:
	s_endpgm
.LBB159_474:
	s_and_saveexec_b32 s11, s10
	s_xor_b32 s13, exec_lo, s11
	s_cbranch_execz .LBB159_491
; %bb.475:
	s_and_saveexec_b32 s10, s9
	s_xor_b32 s14, exec_lo, s10
	s_cbranch_execz .LBB159_489
; %bb.476:
	;; [unrolled: 4-line block ×3, first 2 shown]
	s_and_saveexec_b32 s7, s6
	s_xor_b32 s6, exec_lo, s7
; %bb.478:
	v_xor_b32_e32 v23, 0x80000000, v23
	v_mov_b32_e32 v6, v22
	v_mov_b32_e32 v7, v23
; %bb.479:
	s_or_b32 exec_lo, exec_lo, s6
	s_and_saveexec_b32 s6, s3
; %bb.480:
	v_mov_b32_e32 v2, 0
	v_mov_b32_e32 v3, v2
	ds_write_b64 v2, v[2:3] offset:5136
; %bb.481:
	s_or_b32 exec_lo, exec_lo, s6
	v_mov_b32_e32 v2, 0
	v_mov_b32_e32 v3, 0
	s_waitcnt lgkmcnt(0)
	s_barrier
	buffer_gl0_inv
	s_and_saveexec_b32 s3, s1
	s_cbranch_execz .LBB159_483
; %bb.482:
	global_load_dwordx2 v[2:3], v[16:17], off
.LBB159_483:
	s_or_b32 exec_lo, exec_lo, s3
	s_load_dwordx4 s[20:23], s[4:5], 0x298
	s_add_u32 s3, s36, 31
	s_addc_u32 s7, s37, 0
	s_and_b32 s6, s3, 0xffffffe0
	s_mul_i32 s3, s48, s51
	s_mul_hi_u32 s8, s48, s50
	s_mul_i32 s9, s48, s50
	s_add_i32 s8, s8, s3
	s_sub_u32 s3, s34, s9
	s_subb_u32 s8, 0, s8
	v_cmp_gt_u64_e32 vcc_lo, s[6:7], v[0:1]
	s_waitcnt lgkmcnt(0)
	s_mul_i32 s9, s3, s23
	s_mul_hi_u32 s10, s3, s22
	s_mul_i32 s8, s8, s22
	s_add_i32 s9, s10, s9
	s_mul_i32 s16, s3, s22
	s_add_i32 s17, s9, s8
	s_mul_i32 s8, s48, s21
	s_mul_hi_u32 s9, s48, s20
	s_mul_i32 s3, s52, s29
	s_add_i32 s9, s9, s8
	s_mul_hi_u32 s8, s52, s28
	s_mul_i32 s10, s52, s28
	s_add_i32 s3, s8, s3
	s_sub_u32 s18, s34, s10
	s_subb_u32 s3, 0, s3
	s_mul_i32 s10, s18, s43
	s_mul_hi_u32 s11, s18, s42
	s_mul_i32 s8, s48, s20
	s_add_i32 s10, s11, s10
	s_mul_i32 s3, s3, s42
	s_mul_i32 s11, s52, s41
	s_mul_hi_u32 s20, s52, s40
	s_add_i32 s19, s10, s3
	s_add_i32 s21, s20, s11
	s_lshl_b64 s[22:23], s[8:9], 3
	s_clause 0x1
	s_load_dwordx2 s[8:9], s[4:5], 0x368
	s_load_dwordx2 s[10:11], s[4:5], 0x510
	v_readlane_b32 s4, v51, 2
	v_readlane_b32 s5, v51, 3
	s_mul_i32 s20, s52, s40
	s_mul_i32 s18, s18, s42
	s_add_u32 s3, s4, s22
	s_addc_u32 s4, s5, s23
	s_lshl_b64 s[16:17], s[16:17], 3
	v_readlane_b32 s22, v51, 0
	v_readlane_b32 s23, v51, 1
	s_add_u32 s5, s3, s16
	s_addc_u32 s16, s4, s17
	s_lshl_b64 s[20:21], s[20:21], 3
	s_add_u32 s3, s22, s20
	s_addc_u32 s4, s23, s21
	s_lshl_b64 s[18:19], s[18:19], 3
	s_add_u32 s17, s3, s18
	s_addc_u32 s18, s4, s19
	s_mov_b32 s4, -1
	s_mov_b32 s19, 0
	s_mov_b32 s3, 0
	s_and_saveexec_b32 s20, vcc_lo
	s_cbranch_execnz .LBB159_494
; %bb.484:
	s_or_b32 exec_lo, exec_lo, s20
	s_and_saveexec_b32 s2, s4
	s_cbranch_execnz .LBB159_509
.LBB159_485:
	s_or_b32 exec_lo, exec_lo, s2
	s_and_saveexec_b32 s0, s3
	s_xor_b32 s0, exec_lo, s0
	s_cbranch_execnz .LBB159_532
.LBB159_486:
	s_or_b32 exec_lo, exec_lo, s0
	s_waitcnt lgkmcnt(0)
	s_and_b32 s8, s19, exec_lo
.LBB159_487:
	s_andn2_saveexec_b32 s0, s15
	s_cbranch_execnz .LBB159_534
.LBB159_488:
	s_or_b32 exec_lo, exec_lo, s0
	s_and_b32 s8, s8, exec_lo
.LBB159_489:
	s_andn2_saveexec_b32 s0, s14
	s_cbranch_execnz .LBB159_533
.LBB159_490:
	s_or_b32 exec_lo, exec_lo, s0
	s_and_b32 s8, s8, exec_lo
.LBB159_491:
	s_andn2_saveexec_b32 s0, s13
	s_cbranch_execnz .LBB159_528
.LBB159_492:
	s_or_b32 exec_lo, exec_lo, s0
	s_and_b32 s8, s8, exec_lo
	s_andn2_saveexec_b32 s0, s12
	s_cbranch_execz .LBB159_471
.LBB159_493:
	s_or_b32 s8, s8, exec_lo
	s_trap 2
	s_or_b32 exec_lo, exec_lo, s0
	s_and_saveexec_b32 s0, s8
	s_cbranch_execnz .LBB159_472
	s_branch .LBB159_473
.LBB159_494:
	v_mov_b32_e32 v19, v1
	v_xor_b32_e32 v5, 0x80000000, v7
	v_mov_b32_e32 v4, v6
	v_mov_b32_e32 v9, 0
	;; [unrolled: 1-line block ×3, first 2 shown]
	s_mov_b32 s21, 0
                                        ; implicit-def: $sgpr22
                                        ; implicit-def: $vgpr12_vgpr13
	s_branch .LBB159_496
.LBB159_495:                            ;   in Loop: Header=BB159_496 Depth=1
	s_or_b32 exec_lo, exec_lo, s24
	s_xor_b32 s3, s23, -1
	s_and_b32 s4, exec_lo, s4
	v_mov_b32_e32 v2, v14
	v_mov_b32_e32 v19, v11
	;; [unrolled: 1-line block ×3, first 2 shown]
	s_or_b32 s21, s4, s21
	v_mov_b32_e32 v18, v10
	s_andn2_b32 s4, s22, exec_lo
	s_and_b32 s3, s3, exec_lo
	s_or_b32 s22, s4, s3
	s_andn2_b32 exec_lo, exec_lo, s21
	s_cbranch_execz .LBB159_508
.LBB159_496:                            ; =>This Inner Loop Header: Depth=1
	v_add_co_u32 v10, s3, v18, s49
	v_mov_b32_e32 v14, 0
	v_add_co_ci_u32_e64 v11, null, 0, v19, s3
	v_mov_b32_e32 v15, 0
	s_mov_b32 s4, exec_lo
	v_cmpx_gt_u64_e64 s[36:37], v[10:11]
	s_cbranch_execz .LBB159_498
; %bb.497:                              ;   in Loop: Header=BB159_496 Depth=1
	v_mul_lo_u32 v8, v11, s30
	v_mul_lo_u32 v20, v10, s31
	v_mad_u64_u32 v[14:15], null, v10, s30, 0
	v_add3_u32 v15, v15, v20, v8
	v_lshlrev_b64 v[14:15], 3, v[14:15]
	v_add_co_u32 v14, s3, s33, v14
	v_add_co_ci_u32_e64 v15, null, s35, v15, s3
	global_load_dwordx2 v[14:15], v[14:15], off
.LBB159_498:                            ;   in Loop: Header=BB159_496 Depth=1
	s_or_b32 exec_lo, exec_lo, s4
	s_waitcnt vmcnt(0)
	v_xor_b32_e32 v21, 0x80000000, v3
	v_mov_b32_e32 v20, v2
	v_cmp_gt_u64_e64 s3, v[20:21], v[4:5]
	v_cndmask_b32_e64 v8, 0, 1, s3
	v_cmp_lt_u64_e64 s3, v[20:21], v[4:5]
	v_cndmask_b32_e64 v20, 0, 1, s3
	v_cmp_gt_u64_e64 s3, s[36:37], v[18:19]
	v_cndmask_b32_e64 v8, v20, v8, s2
	v_and_b32_e32 v8, 1, v8
	v_cmp_eq_u32_e64 s4, 1, v8
	s_and_b32 s24, s3, s4
	v_cndmask_b32_e64 v8, 0, 1, s24
	v_cmp_ne_u32_e64 s3, 0, v8
	s_cmp_lg_u32 s3, 0
	s_cselect_b32 s4, -1, 0
	s_and_b32 s4, s0, s4
	s_and_saveexec_b32 s23, s4
	s_cbranch_execz .LBB159_502
; %bb.499:                              ;   in Loop: Header=BB159_496 Depth=1
	s_mov_b32 s27, exec_lo
	s_bcnt1_i32_b32 s25, s3
	v_mbcnt_lo_u32_b32 v20, s27, 0
	s_mov_b32 s26, exec_lo
                                        ; implicit-def: $vgpr12_vgpr13
	v_cmpx_eq_u32_e32 0, v20
	s_cbranch_execz .LBB159_501
; %bb.500:                              ;   in Loop: Header=BB159_496 Depth=1
	s_bcnt1_i32_b32 s4, s27
	s_mul_i32 s4, s25, s4
	v_mov_b32_e32 v8, s4
	s_waitcnt lgkmcnt(0)
	ds_add_rtn_u64 v[12:13], v9, v[8:9] offset:5136
.LBB159_501:                            ;   in Loop: Header=BB159_496 Depth=1
	s_or_b32 exec_lo, exec_lo, s26
	s_waitcnt lgkmcnt(0)
	v_readfirstlane_b32 s27, v13
	v_readfirstlane_b32 s26, v12
	v_mad_u64_u32 v[12:13], null, s25, v20, s[26:27]
.LBB159_502:                            ;   in Loop: Header=BB159_496 Depth=1
	s_or_b32 exec_lo, exec_lo, s23
	s_waitcnt lgkmcnt(0)
	ds_bpermute_b32 v12, v9, v12
	ds_bpermute_b32 v13, v9, v13
	s_mov_b32 s4, -1
	s_mov_b32 s25, -1
	s_and_saveexec_b32 s23, s24
	s_cbranch_execz .LBB159_506
; %bb.503:                              ;   in Loop: Header=BB159_496 Depth=1
	v_and_b32_e32 v8, s3, v32
	s_mov_b32 s24, 0
	s_mov_b32 s25, exec_lo
	v_bcnt_u32_b32 v8, v8, 0
	s_waitcnt lgkmcnt(0)
	v_add_co_u32 v20, s3, v12, v8
	v_add_co_ci_u32_e64 v21, null, 0, v13, s3
	v_cmpx_gt_u64_e64 s[38:39], v[20:21]
; %bb.504:                              ;   in Loop: Header=BB159_496 Depth=1
	v_mul_lo_u32 v8, v21, s8
	v_mul_lo_u32 v24, v20, s9
	v_mad_u64_u32 v[22:23], null, v20, s8, 0
	v_mul_lo_u32 v25, v21, s10
	v_mul_lo_u32 v26, v20, s11
	v_mad_u64_u32 v[20:21], null, v20, s10, 0
	s_mov_b32 s24, exec_lo
	v_add3_u32 v23, v23, v24, v8
	v_add3_u32 v21, v21, v26, v25
	v_lshlrev_b64 v[22:23], 3, v[22:23]
	v_lshlrev_b64 v[20:21], 3, v[20:21]
	v_add_co_u32 v22, s3, s5, v22
	v_add_co_ci_u32_e64 v23, null, s16, v23, s3
	v_add_co_u32 v20, s3, s17, v20
	v_add_co_ci_u32_e64 v21, null, s18, v21, s3
	global_store_dwordx2 v[22:23], v[2:3], off
	global_store_dwordx2 v[20:21], v[18:19], off
; %bb.505:                              ;   in Loop: Header=BB159_496 Depth=1
	s_or_b32 exec_lo, exec_lo, s25
	s_orn2_b32 s25, s24, exec_lo
.LBB159_506:                            ;   in Loop: Header=BB159_496 Depth=1
	s_or_b32 exec_lo, exec_lo, s23
	s_mov_b32 s23, -1
	s_and_saveexec_b32 s24, s25
	s_cbranch_execz .LBB159_495
; %bb.507:                              ;   in Loop: Header=BB159_496 Depth=1
	v_cmp_le_u64_e64 s3, s[6:7], v[10:11]
	s_xor_b32 s23, exec_lo, -1
	s_orn2_b32 s4, s3, exec_lo
	s_branch .LBB159_495
.LBB159_508:
	s_or_b32 exec_lo, exec_lo, s21
	s_mov_b32 s3, exec_lo
	s_orn2_b32 s4, s22, exec_lo
	s_or_b32 exec_lo, exec_lo, s20
	s_and_saveexec_b32 s2, s4
	s_cbranch_execz .LBB159_485
.LBB159_509:
	s_waitcnt lgkmcnt(0)
	v_mov_b32_e32 v12, 0
	v_mov_b32_e32 v13, 0
	s_waitcnt vmcnt(0)
	s_waitcnt_vscnt null, 0x0
	s_barrier
	buffer_gl0_inv
	s_and_saveexec_b32 s4, s1
	s_cbranch_execz .LBB159_511
; %bb.510:
	global_load_dwordx2 v[12:13], v[16:17], off
.LBB159_511:
	s_or_b32 exec_lo, exec_lo, s4
	s_mov_b32 s1, 0
	s_and_saveexec_b32 s4, vcc_lo
	s_cbranch_execz .LBB159_531
; %bb.512:
	v_mov_b32_e32 v3, 0
	s_mov_b32 s19, 0
                                        ; implicit-def: $sgpr20
                                        ; implicit-def: $vgpr8_vgpr9
	s_branch .LBB159_515
.LBB159_513:                            ;   in Loop: Header=BB159_515 Depth=1
	s_or_b32 exec_lo, exec_lo, s21
	s_orn2_b32 s23, s24, exec_lo
	s_orn2_b32 s22, s22, exec_lo
.LBB159_514:                            ;   in Loop: Header=BB159_515 Depth=1
	s_or_b32 exec_lo, exec_lo, s1
	s_xor_b32 s1, s23, -1
	s_and_b32 s21, exec_lo, s22
	v_mov_b32_e32 v0, v4
	v_mov_b32_e32 v13, v11
	;; [unrolled: 1-line block ×3, first 2 shown]
	s_or_b32 s19, s21, s19
	v_mov_b32_e32 v12, v10
	s_andn2_b32 s20, s20, exec_lo
	s_and_b32 s1, s1, exec_lo
	s_or_b32 s20, s20, s1
	s_andn2_b32 exec_lo, exec_lo, s19
	s_cbranch_execz .LBB159_529
.LBB159_515:                            ; =>This Inner Loop Header: Depth=1
	v_add_co_u32 v4, vcc_lo, v0, s49
	v_mov_b32_e32 v10, 0
	v_add_co_ci_u32_e64 v5, null, 0, v1, vcc_lo
	v_mov_b32_e32 v11, 0
	s_mov_b32 s1, exec_lo
	v_cmpx_gt_u64_e64 s[36:37], v[4:5]
	s_cbranch_execz .LBB159_517
; %bb.516:                              ;   in Loop: Header=BB159_515 Depth=1
	v_mul_lo_u32 v2, v5, s30
	v_mul_lo_u32 v14, v4, s31
	v_mad_u64_u32 v[10:11], null, v4, s30, 0
	v_add3_u32 v11, v11, v14, v2
	v_lshlrev_b64 v[10:11], 3, v[10:11]
	v_add_co_u32 v10, vcc_lo, s33, v10
	v_add_co_ci_u32_e64 v11, null, s35, v11, vcc_lo
	global_load_dwordx2 v[10:11], v[10:11], off
.LBB159_517:                            ;   in Loop: Header=BB159_515 Depth=1
	s_or_b32 exec_lo, exec_lo, s1
	v_cmp_gt_u64_e32 vcc_lo, s[36:37], v[0:1]
	s_waitcnt vmcnt(0)
	v_cmp_eq_u64_e64 s1, v[12:13], v[6:7]
	s_and_b32 s21, vcc_lo, s1
	v_cndmask_b32_e64 v2, 0, 1, s21
	v_cmp_ne_u32_e32 vcc_lo, 0, v2
	s_cmp_lg_u32 vcc_lo, 0
	s_cselect_b32 s1, -1, 0
	s_and_b32 s1, s0, s1
	s_and_saveexec_b32 s22, s1
	s_cbranch_execz .LBB159_521
; %bb.518:                              ;   in Loop: Header=BB159_515 Depth=1
	s_mov_b32 s25, exec_lo
	s_bcnt1_i32_b32 s23, vcc_lo
	v_mbcnt_lo_u32_b32 v12, s25, 0
	s_mov_b32 s24, exec_lo
                                        ; implicit-def: $vgpr8_vgpr9
	v_cmpx_eq_u32_e32 0, v12
; %bb.519:                              ;   in Loop: Header=BB159_515 Depth=1
	s_bcnt1_i32_b32 s1, s25
	s_mul_i32 s1, s23, s1
	v_mov_b32_e32 v2, s1
	ds_add_rtn_u64 v[8:9], v3, v[2:3] offset:5136
; %bb.520:                              ;   in Loop: Header=BB159_515 Depth=1
	s_or_b32 exec_lo, exec_lo, s24
	s_waitcnt lgkmcnt(0)
	v_readfirstlane_b32 s25, v9
	v_readfirstlane_b32 s24, v8
	v_mad_u64_u32 v[8:9], null, s23, v12, s[24:25]
.LBB159_521:                            ;   in Loop: Header=BB159_515 Depth=1
	s_or_b32 exec_lo, exec_lo, s22
	ds_bpermute_b32 v8, v3, v8
	ds_bpermute_b32 v9, v3, v9
	s_cmp_eq_u32 vcc_lo, 0
	s_mov_b32 s22, -1
	s_cselect_b32 s23, -1, 0
	s_waitcnt lgkmcnt(0)
	v_cmp_gt_u64_e64 s1, s[38:39], v[8:9]
	s_or_b32 s24, s23, s1
	s_mov_b32 s23, -1
	s_and_saveexec_b32 s1, s24
	s_cbranch_execz .LBB159_514
; %bb.522:                              ;   in Loop: Header=BB159_515 Depth=1
	v_and_b32_e32 v2, vcc_lo, v32
	v_sub_co_u32 v12, vcc_lo, s38, v8
	v_sub_co_ci_u32_e64 v13, null, s39, v9, vcc_lo
	v_bcnt_u32_b32 v2, v2, 0
	s_mov_b32 s24, -1
	v_bcnt_u32_b32 v2, 0, v2
	v_cmp_gt_u64_e32 vcc_lo, v[12:13], v[2:3]
	s_and_b32 s25, s21, vcc_lo
	s_and_saveexec_b32 s21, s25
	s_cbranch_execz .LBB159_526
; %bb.523:                              ;   in Loop: Header=BB159_515 Depth=1
	v_add_co_u32 v12, vcc_lo, v8, v2
	v_add_co_ci_u32_e64 v13, null, 0, v9, vcc_lo
	s_mov_b32 s23, 0
	s_mov_b32 s24, exec_lo
	v_cmpx_gt_u64_e64 s[38:39], v[12:13]
; %bb.524:                              ;   in Loop: Header=BB159_515 Depth=1
	v_mul_lo_u32 v2, v13, s8
	v_mul_lo_u32 v16, v12, s9
	v_mad_u64_u32 v[14:15], null, v12, s8, 0
	v_mul_lo_u32 v17, v13, s10
	v_mul_lo_u32 v18, v12, s11
	v_mad_u64_u32 v[12:13], null, v12, s10, 0
	s_mov_b32 s23, exec_lo
	v_add3_u32 v15, v15, v16, v2
	v_add3_u32 v13, v13, v18, v17
	v_lshlrev_b64 v[14:15], 3, v[14:15]
	v_lshlrev_b64 v[12:13], 3, v[12:13]
	v_add_co_u32 v14, vcc_lo, s5, v14
	v_add_co_ci_u32_e64 v15, null, s16, v15, vcc_lo
	v_add_co_u32 v12, vcc_lo, s17, v12
	v_add_co_ci_u32_e64 v13, null, s18, v13, vcc_lo
	global_store_dwordx2 v[14:15], v[6:7], off
	global_store_dwordx2 v[12:13], v[0:1], off
; %bb.525:                              ;   in Loop: Header=BB159_515 Depth=1
	s_or_b32 exec_lo, exec_lo, s24
	s_xor_b32 s24, exec_lo, -1
	s_orn2_b32 s23, s23, exec_lo
.LBB159_526:                            ;   in Loop: Header=BB159_515 Depth=1
	s_or_b32 exec_lo, exec_lo, s21
	s_and_saveexec_b32 s21, s23
	s_cbranch_execz .LBB159_513
; %bb.527:                              ;   in Loop: Header=BB159_515 Depth=1
	v_cmp_le_u64_e32 vcc_lo, s[6:7], v[4:5]
	s_or_b32 s24, s24, exec_lo
	s_orn2_b32 s22, vcc_lo, exec_lo
	s_branch .LBB159_513
.LBB159_528:
	s_or_b32 s8, s8, exec_lo
	s_trap 2
	s_branch .LBB159_492
.LBB159_529:
	s_or_b32 exec_lo, exec_lo, s19
	s_mov_b32 s0, 0
	s_and_saveexec_b32 s1, s20
	s_xor_b32 s1, exec_lo, s1
	s_cbranch_execnz .LBB159_535
.LBB159_530:
	s_or_b32 exec_lo, exec_lo, s1
	s_and_b32 s1, s0, exec_lo
.LBB159_531:
	s_or_b32 exec_lo, exec_lo, s4
	s_and_b32 s19, s1, exec_lo
	s_andn2_b32 s3, s3, exec_lo
	s_or_b32 exec_lo, exec_lo, s2
	s_and_saveexec_b32 s0, s3
	s_xor_b32 s0, exec_lo, s0
	s_cbranch_execz .LBB159_486
.LBB159_532:
	s_or_b32 s19, s19, exec_lo
	s_trap 2
	s_branch .LBB159_486
.LBB159_533:
	s_or_b32 s8, s8, exec_lo
	s_trap 2
	s_branch .LBB159_490
.LBB159_534:
	s_or_b32 s8, s8, exec_lo
	s_trap 2
	s_branch .LBB159_488
.LBB159_535:
	s_mov_b32 s0, exec_lo
	s_trap 2
	s_branch .LBB159_530
	.section	.rodata,"a",@progbits
	.p2align	6, 0x0
	.amdhsa_kernel _ZN2at6native6sbtopk10gatherTopKIlmLi2ELb0EEEvNS_4cuda6detail10TensorInfoIKT_T0_EES8_S8_bS8_S8_NS5_IS6_S8_EES8_NS5_IlS8_EES8_PS6_
		.amdhsa_group_segment_fixed_size 5152
		.amdhsa_private_segment_fixed_size 0
		.amdhsa_kernarg_size 1568
		.amdhsa_user_sgpr_count 6
		.amdhsa_user_sgpr_private_segment_buffer 1
		.amdhsa_user_sgpr_dispatch_ptr 0
		.amdhsa_user_sgpr_queue_ptr 0
		.amdhsa_user_sgpr_kernarg_segment_ptr 1
		.amdhsa_user_sgpr_dispatch_id 0
		.amdhsa_user_sgpr_flat_scratch_init 0
		.amdhsa_user_sgpr_private_segment_size 0
		.amdhsa_wavefront_size32 1
		.amdhsa_uses_dynamic_stack 0
		.amdhsa_system_sgpr_private_segment_wavefront_offset 0
		.amdhsa_system_sgpr_workgroup_id_x 1
		.amdhsa_system_sgpr_workgroup_id_y 1
		.amdhsa_system_sgpr_workgroup_id_z 1
		.amdhsa_system_sgpr_workgroup_info 0
		.amdhsa_system_vgpr_workitem_id 0
		.amdhsa_next_free_vgpr 52
		.amdhsa_next_free_sgpr 105
		.amdhsa_reserve_vcc 1
		.amdhsa_reserve_flat_scratch 0
		.amdhsa_float_round_mode_32 0
		.amdhsa_float_round_mode_16_64 0
		.amdhsa_float_denorm_mode_32 3
		.amdhsa_float_denorm_mode_16_64 3
		.amdhsa_dx10_clamp 1
		.amdhsa_ieee_mode 1
		.amdhsa_fp16_overflow 0
		.amdhsa_workgroup_processor_mode 1
		.amdhsa_memory_ordered 1
		.amdhsa_forward_progress 1
		.amdhsa_shared_vgpr_count 0
		.amdhsa_exception_fp_ieee_invalid_op 0
		.amdhsa_exception_fp_denorm_src 0
		.amdhsa_exception_fp_ieee_div_zero 0
		.amdhsa_exception_fp_ieee_overflow 0
		.amdhsa_exception_fp_ieee_underflow 0
		.amdhsa_exception_fp_ieee_inexact 0
		.amdhsa_exception_int_div_zero 0
	.end_amdhsa_kernel
	.section	.text._ZN2at6native6sbtopk10gatherTopKIlmLi2ELb0EEEvNS_4cuda6detail10TensorInfoIKT_T0_EES8_S8_bS8_S8_NS5_IS6_S8_EES8_NS5_IlS8_EES8_PS6_,"axG",@progbits,_ZN2at6native6sbtopk10gatherTopKIlmLi2ELb0EEEvNS_4cuda6detail10TensorInfoIKT_T0_EES8_S8_bS8_S8_NS5_IS6_S8_EES8_NS5_IlS8_EES8_PS6_,comdat
.Lfunc_end159:
	.size	_ZN2at6native6sbtopk10gatherTopKIlmLi2ELb0EEEvNS_4cuda6detail10TensorInfoIKT_T0_EES8_S8_bS8_S8_NS5_IS6_S8_EES8_NS5_IlS8_EES8_PS6_, .Lfunc_end159-_ZN2at6native6sbtopk10gatherTopKIlmLi2ELb0EEEvNS_4cuda6detail10TensorInfoIKT_T0_EES8_S8_bS8_S8_NS5_IS6_S8_EES8_NS5_IlS8_EES8_PS6_
                                        ; -- End function
	.set _ZN2at6native6sbtopk10gatherTopKIlmLi2ELb0EEEvNS_4cuda6detail10TensorInfoIKT_T0_EES8_S8_bS8_S8_NS5_IS6_S8_EES8_NS5_IlS8_EES8_PS6_.num_vgpr, 52
	.set _ZN2at6native6sbtopk10gatherTopKIlmLi2ELb0EEEvNS_4cuda6detail10TensorInfoIKT_T0_EES8_S8_bS8_S8_NS5_IS6_S8_EES8_NS5_IlS8_EES8_PS6_.num_agpr, 0
	.set _ZN2at6native6sbtopk10gatherTopKIlmLi2ELb0EEEvNS_4cuda6detail10TensorInfoIKT_T0_EES8_S8_bS8_S8_NS5_IS6_S8_EES8_NS5_IlS8_EES8_PS6_.numbered_sgpr, 105
	.set _ZN2at6native6sbtopk10gatherTopKIlmLi2ELb0EEEvNS_4cuda6detail10TensorInfoIKT_T0_EES8_S8_bS8_S8_NS5_IS6_S8_EES8_NS5_IlS8_EES8_PS6_.num_named_barrier, 0
	.set _ZN2at6native6sbtopk10gatherTopKIlmLi2ELb0EEEvNS_4cuda6detail10TensorInfoIKT_T0_EES8_S8_bS8_S8_NS5_IS6_S8_EES8_NS5_IlS8_EES8_PS6_.private_seg_size, 0
	.set _ZN2at6native6sbtopk10gatherTopKIlmLi2ELb0EEEvNS_4cuda6detail10TensorInfoIKT_T0_EES8_S8_bS8_S8_NS5_IS6_S8_EES8_NS5_IlS8_EES8_PS6_.uses_vcc, 1
	.set _ZN2at6native6sbtopk10gatherTopKIlmLi2ELb0EEEvNS_4cuda6detail10TensorInfoIKT_T0_EES8_S8_bS8_S8_NS5_IS6_S8_EES8_NS5_IlS8_EES8_PS6_.uses_flat_scratch, 0
	.set _ZN2at6native6sbtopk10gatherTopKIlmLi2ELb0EEEvNS_4cuda6detail10TensorInfoIKT_T0_EES8_S8_bS8_S8_NS5_IS6_S8_EES8_NS5_IlS8_EES8_PS6_.has_dyn_sized_stack, 0
	.set _ZN2at6native6sbtopk10gatherTopKIlmLi2ELb0EEEvNS_4cuda6detail10TensorInfoIKT_T0_EES8_S8_bS8_S8_NS5_IS6_S8_EES8_NS5_IlS8_EES8_PS6_.has_recursion, 0
	.set _ZN2at6native6sbtopk10gatherTopKIlmLi2ELb0EEEvNS_4cuda6detail10TensorInfoIKT_T0_EES8_S8_bS8_S8_NS5_IS6_S8_EES8_NS5_IlS8_EES8_PS6_.has_indirect_call, 0
	.section	.AMDGPU.csdata,"",@progbits
; Kernel info:
; codeLenInByte = 25468
; TotalNumSgprs: 107
; NumVgprs: 52
; ScratchSize: 0
; MemoryBound: 0
; FloatMode: 240
; IeeeMode: 1
; LDSByteSize: 5152 bytes/workgroup (compile time only)
; SGPRBlocks: 0
; VGPRBlocks: 6
; NumSGPRsForWavesPerEU: 107
; NumVGPRsForWavesPerEU: 52
; Occupancy: 16
; WaveLimiterHint : 1
; COMPUTE_PGM_RSRC2:SCRATCH_EN: 0
; COMPUTE_PGM_RSRC2:USER_SGPR: 6
; COMPUTE_PGM_RSRC2:TRAP_HANDLER: 0
; COMPUTE_PGM_RSRC2:TGID_X_EN: 1
; COMPUTE_PGM_RSRC2:TGID_Y_EN: 1
; COMPUTE_PGM_RSRC2:TGID_Z_EN: 1
; COMPUTE_PGM_RSRC2:TIDIG_COMP_CNT: 0
	.section	.text._ZN2at6native6mbtopk23computeBlockDigitCountsIlmmLi3EEEvNS_4cuda6detail10TensorInfoIKT_T0_EEjPjjS8_iijT1_PSB_Ps,"axG",@progbits,_ZN2at6native6mbtopk23computeBlockDigitCountsIlmmLi3EEEvNS_4cuda6detail10TensorInfoIKT_T0_EEjPjjS8_iijT1_PSB_Ps,comdat
	.protected	_ZN2at6native6mbtopk23computeBlockDigitCountsIlmmLi3EEEvNS_4cuda6detail10TensorInfoIKT_T0_EEjPjjS8_iijT1_PSB_Ps ; -- Begin function _ZN2at6native6mbtopk23computeBlockDigitCountsIlmmLi3EEEvNS_4cuda6detail10TensorInfoIKT_T0_EEjPjjS8_iijT1_PSB_Ps
	.globl	_ZN2at6native6mbtopk23computeBlockDigitCountsIlmmLi3EEEvNS_4cuda6detail10TensorInfoIKT_T0_EEjPjjS8_iijT1_PSB_Ps
	.p2align	8
	.type	_ZN2at6native6mbtopk23computeBlockDigitCountsIlmmLi3EEEvNS_4cuda6detail10TensorInfoIKT_T0_EEjPjjS8_iijT1_PSB_Ps,@function
_ZN2at6native6mbtopk23computeBlockDigitCountsIlmmLi3EEEvNS_4cuda6detail10TensorInfoIKT_T0_EEjPjjS8_iijT1_PSB_Ps: ; @_ZN2at6native6mbtopk23computeBlockDigitCountsIlmmLi3EEEvNS_4cuda6detail10TensorInfoIKT_T0_EEjPjjS8_iijT1_PSB_Ps
; %bb.0:
	s_clause 0x2
	s_load_dwordx4 s[0:3], s[4:5], 0x1c0
	s_load_dword s9, s[4:5], 0x1b0
	s_load_dwordx2 s[10:11], s[4:5], 0x1e8
	s_mov_b32 s21, 0
	s_waitcnt lgkmcnt(0)
	v_cvt_f32_u32_e32 v1, s2
	s_mul_i32 s8, s11, s8
	s_sub_i32 s11, 0, s2
	s_add_i32 s7, s8, s7
	v_rcp_iflag_f32_e32 v1, v1
	s_mul_i32 s26, s7, s10
	s_add_i32 s26, s26, s6
	v_mul_f32_e32 v1, 0x4f7ffffe, v1
	v_cvt_u32_f32_e32 v1, v1
	v_readfirstlane_b32 s3, v1
	s_mul_i32 s11, s11, s3
	s_mul_hi_u32 s7, s3, s11
	s_add_i32 s3, s3, s7
	s_mul_hi_u32 s3, s26, s3
	s_mul_i32 s6, s3, s2
	s_add_i32 s7, s3, 1
	s_sub_i32 s6, s26, s6
	s_sub_i32 s8, s6, s2
	s_cmp_ge_u32 s6, s2
	s_cselect_b32 s3, s7, s3
	s_cselect_b32 s6, s8, s6
	s_add_i32 s7, s3, 1
	s_cmp_ge_u32 s6, s2
	s_cselect_b32 s20, s7, s3
	s_cmp_ge_u32 s20, s9
	s_cbranch_scc1 .LBB160_25
; %bb.1:
	s_clause 0x1
	s_load_dwordx4 s[12:15], s[4:5], 0x10
	s_load_dwordx4 s[8:11], s[4:5], 0x1d0
	s_lshl_b64 s[6:7], s[20:21], 3
	s_mov_b64 s[22:23], 0
	s_waitcnt lgkmcnt(0)
	v_cmp_lt_u64_e64 s3, s[20:21], s[14:15]
	s_add_u32 s24, s10, s6
	s_addc_u32 s25, s11, s7
	s_mov_b64 s[10:11], 0
	s_and_b32 vcc_lo, exec_lo, s3
	s_cbranch_vccz .LBB160_15
; %bb.2:
	s_load_dwordx2 s[6:7], s[4:5], 0x1e0
	v_cmp_lt_u64_e64 s3, s[22:23], s[12:13]
	s_and_b32 vcc_lo, exec_lo, s3
	s_cbranch_vccz .LBB160_16
.LBB160_3:
	v_cmp_gt_u32_e32 vcc_lo, 0x100, v0
	v_lshlrev_b32_e32 v3, 2, v0
	s_and_saveexec_b32 s3, vcc_lo
.LBB160_4:
	v_mov_b32_e32 v1, 0
	ds_write_b32 v3, v1
.LBB160_5:
	s_or_b32 exec_lo, exec_lo, s3
	s_load_dword s11, s[4:5], 0x1a0
	s_mul_i32 s3, s20, s2
	s_waitcnt lgkmcnt(0)
	s_sub_i32 s3, s26, s3
	s_barrier
	s_mul_i32 s16, s1, s3
	s_add_i32 s3, s3, 1
	s_lshl_b32 s27, s16, 8
	buffer_gl0_inv
	s_sub_i32 s16, s11, s27
	s_add_u32 s16, s16, 0xff
	s_addc_u32 s17, 0, 0
	s_lshr_b64 s[16:17], s[16:17], 8
	s_cmp_lt_u32 s3, s2
	s_cselect_b32 s1, s1, s16
	s_cmp_lt_i32 s1, 1
	s_cbranch_scc1 .LBB160_23
; %bb.6:
	s_clause 0x2
	s_load_dwordx2 s[28:29], s[4:5], 0xe0
	s_load_dwordx4 s[16:19], s[4:5], 0xd0
	s_load_dwordx2 s[30:31], s[4:5], 0x0
	s_load_dwordx2 s[2:3], s[24:25], 0x0
	s_mul_i32 s15, s22, s15
	s_mul_hi_u32 s24, s22, s14
	s_mul_i32 s14, s22, s14
	s_add_i32 s24, s24, s15
	s_mul_i32 s13, s10, s13
	s_mul_hi_u32 s25, s10, s12
	s_sub_u32 s14, s20, s14
	s_mul_i32 s33, s10, s12
	s_subb_u32 s12, 0, s24
	s_add_i32 s25, s25, s13
	s_load_dwordx2 s[4:5], s[4:5], 0x1b8
	v_add_nc_u32_e32 v4, s27, v0
	s_waitcnt lgkmcnt(0)
	s_mul_i32 s13, s14, s29
	s_mul_hi_u32 s15, s14, s28
	s_mul_i32 s20, s12, s28
	s_add_i32 s13, s15, s13
	s_mul_i32 s17, s10, s17
	s_add_i32 s15, s13, s20
	s_mul_hi_u32 s24, s10, s16
	s_mul_i32 s12, s10, s16
	s_sub_u32 s10, s22, s33
	s_subb_u32 s16, s23, s25
	s_add_i32 s13, s24, s17
	s_mul_i32 s17, s10, s19
	s_mul_hi_u32 s19, s10, s18
	s_mul_i32 s16, s16, s18
	s_add_i32 s17, s19, s17
	s_lshl_b64 s[12:13], s[12:13], 3
	s_add_i32 s17, s17, s16
	s_mul_i32 s16, s10, s18
	s_add_u32 s10, s30, s12
	s_addc_u32 s18, s31, s13
	s_lshl_b64 s[12:13], s[16:17], 3
	s_mul_i32 s14, s14, s28
	s_add_u32 s10, s10, s12
	s_addc_u32 s16, s18, s13
	s_lshl_b64 s[12:13], s[14:15], 3
	s_add_u32 s12, s10, s12
	s_addc_u32 s13, s16, s13
	s_and_b32 s10, s0, 0xff
	s_cmp_eq_u32 s1, 1
	s_cbranch_scc1 .LBB160_18
; %bb.7:
	v_mov_b32_e32 v5, 1
	v_mov_b32_e32 v6, 2
	;; [unrolled: 1-line block ×3, first 2 shown]
	s_and_b32 s14, s1, 0x7ffffffe
	s_mov_b32 s15, 0
	s_branch .LBB160_9
.LBB160_8:                              ;   in Loop: Header=BB160_9 Depth=1
	s_or_b32 exec_lo, exec_lo, s16
	v_add_nc_u32_e32 v7, 0x200, v7
	s_add_i32 s15, s15, 2
	s_cmp_eq_u32 s14, s15
	s_cbranch_scc1 .LBB160_17
.LBB160_9:                              ; =>This Inner Loop Header: Depth=1
	s_mov_b32 s16, exec_lo
	v_cmpx_gt_u32_e64 s11, v7
	s_cbranch_execz .LBB160_12
; %bb.10:                               ;   in Loop: Header=BB160_9 Depth=1
	v_mad_u64_u32 v[1:2], null, s4, v7, 0
	v_mad_u64_u32 v[8:9], null, s5, v7, v[2:3]
	v_mov_b32_e32 v2, v8
	v_lshlrev_b64 v[1:2], 3, v[1:2]
	v_add_co_u32 v1, s0, s12, v1
	v_add_co_ci_u32_e64 v2, null, s13, v2, s0
	global_load_dwordx2 v[1:2], v[1:2], off
	s_waitcnt vmcnt(0)
	v_xor_b32_e32 v2, 0x80000000, v2
	v_xor_b32_e32 v10, s2, v1
	;; [unrolled: 1-line block ×3, first 2 shown]
	v_and_b32_e32 v9, s9, v8
	v_and_b32_e32 v8, s8, v10
	v_cmp_eq_u64_e64 s0, 0, v[8:9]
	s_and_b32 exec_lo, exec_lo, s0
; %bb.11:                               ;   in Loop: Header=BB160_9 Depth=1
	v_lshrrev_b64 v[1:2], s10, v[1:2]
	v_lshlrev_b32_sdwa v1, v6, v1 dst_sel:DWORD dst_unused:UNUSED_PAD src0_sel:DWORD src1_sel:BYTE_0
	ds_add_u32 v1, v5
.LBB160_12:                             ;   in Loop: Header=BB160_9 Depth=1
	s_or_b32 exec_lo, exec_lo, s16
	v_add_nc_u32_e32 v1, 0x100, v7
	s_mov_b32 s16, exec_lo
	v_cmpx_gt_u32_e64 s11, v1
	s_cbranch_execz .LBB160_8
; %bb.13:                               ;   in Loop: Header=BB160_9 Depth=1
	v_mad_u64_u32 v[8:9], null, s4, v1, 0
	v_mov_b32_e32 v2, v9
	v_mad_u64_u32 v[1:2], null, s5, v1, v[2:3]
	v_mov_b32_e32 v9, v1
	v_lshlrev_b64 v[1:2], 3, v[8:9]
	v_add_co_u32 v1, s0, s12, v1
	v_add_co_ci_u32_e64 v2, null, s13, v2, s0
	global_load_dwordx2 v[1:2], v[1:2], off
	s_waitcnt vmcnt(0)
	v_xor_b32_e32 v2, 0x80000000, v2
	v_xor_b32_e32 v10, s2, v1
	;; [unrolled: 1-line block ×3, first 2 shown]
	v_and_b32_e32 v9, s9, v8
	v_and_b32_e32 v8, s8, v10
	v_cmp_eq_u64_e64 s0, 0, v[8:9]
	s_and_b32 exec_lo, exec_lo, s0
	s_cbranch_execz .LBB160_8
; %bb.14:                               ;   in Loop: Header=BB160_9 Depth=1
	v_lshrrev_b64 v[1:2], s10, v[1:2]
	v_lshlrev_b32_sdwa v1, v6, v1 dst_sel:DWORD dst_unused:UNUSED_PAD src0_sel:DWORD src1_sel:BYTE_0
	ds_add_u32 v1, v5
	s_branch .LBB160_8
.LBB160_15:
	v_cvt_f32_u32_e32 v1, s14
	s_sub_i32 s6, 0, s14
	s_mov_b32 s23, 0
	v_rcp_iflag_f32_e32 v1, v1
	v_mul_f32_e32 v1, 0x4f7ffffe, v1
	v_cvt_u32_f32_e32 v1, v1
	v_readfirstlane_b32 s3, v1
	s_mul_i32 s6, s6, s3
	s_mul_hi_u32 s6, s3, s6
	s_add_i32 s3, s3, s6
	s_mul_hi_u32 s3, s20, s3
	s_mul_i32 s6, s3, s14
	s_add_i32 s7, s3, 1
	s_sub_i32 s6, s20, s6
	s_sub_i32 s11, s6, s14
	s_cmp_ge_u32 s6, s14
	s_cselect_b32 s3, s7, s3
	s_cselect_b32 s6, s11, s6
	s_add_i32 s7, s3, 1
	s_cmp_ge_u32 s6, s14
	s_cselect_b32 s22, s7, s3
	s_load_dwordx2 s[6:7], s[4:5], 0x1e0
	v_cmp_lt_u64_e64 s3, s[22:23], s[12:13]
	s_and_b32 vcc_lo, exec_lo, s3
	s_cbranch_vccnz .LBB160_3
.LBB160_16:
	v_cvt_f32_u32_e32 v1, s12
	s_sub_i32 s10, 0, s12
	v_rcp_iflag_f32_e32 v1, v1
	v_mul_f32_e32 v1, 0x4f7ffffe, v1
	v_cvt_u32_f32_e32 v1, v1
	v_readfirstlane_b32 s3, v1
	s_mul_i32 s10, s10, s3
	s_mul_hi_u32 s10, s3, s10
	s_add_i32 s3, s3, s10
	s_mul_hi_u32 s3, s22, s3
	s_mul_i32 s10, s3, s12
	s_add_i32 s11, s3, 1
	s_sub_i32 s10, s22, s10
	s_sub_i32 s16, s10, s12
	s_cmp_ge_u32 s10, s12
	s_cselect_b32 s3, s11, s3
	s_cselect_b32 s10, s16, s10
	s_add_i32 s11, s3, 1
	s_cmp_ge_u32 s10, s12
	s_cselect_b32 s10, s11, s3
	v_cmp_gt_u32_e32 vcc_lo, 0x100, v0
	v_lshlrev_b32_e32 v3, 2, v0
	s_and_saveexec_b32 s3, vcc_lo
	s_cbranch_execnz .LBB160_4
	s_branch .LBB160_5
.LBB160_17:
	s_lshl_b32 s21, s14, 8
.LBB160_18:
	s_bitcmp0_b32 s1, 0
	s_cbranch_scc1 .LBB160_23
; %bb.19:
	v_add_nc_u32_e32 v1, s21, v4
	s_mov_b32 s1, exec_lo
	v_cmpx_gt_u32_e64 s11, v1
	s_cbranch_execz .LBB160_22
; %bb.20:
	v_mad_u64_u32 v[4:5], null, s4, v1, 0
	v_mov_b32_e32 v2, v5
	v_mad_u64_u32 v[1:2], null, s5, v1, v[2:3]
	v_mov_b32_e32 v5, v1
	v_lshlrev_b64 v[1:2], 3, v[4:5]
	v_add_co_u32 v1, s0, s12, v1
	v_add_co_ci_u32_e64 v2, null, s13, v2, s0
	global_load_dwordx2 v[1:2], v[1:2], off
	s_waitcnt vmcnt(0)
	v_xor_b32_e32 v2, 0x80000000, v2
	v_xor_b32_e32 v6, s2, v1
	;; [unrolled: 1-line block ×3, first 2 shown]
	v_and_b32_e32 v5, s9, v4
	v_and_b32_e32 v4, s8, v6
	v_cmp_eq_u64_e64 s0, 0, v[4:5]
	s_and_b32 exec_lo, exec_lo, s0
	s_cbranch_execz .LBB160_22
; %bb.21:
	v_lshrrev_b64 v[1:2], s10, v[1:2]
	v_mov_b32_e32 v2, 2
	v_lshlrev_b32_sdwa v1, v2, v1 dst_sel:DWORD dst_unused:UNUSED_PAD src0_sel:DWORD src1_sel:BYTE_0
	v_mov_b32_e32 v2, 1
	ds_add_u32 v1, v2
.LBB160_22:
	s_or_b32 exec_lo, exec_lo, s1
.LBB160_23:
	s_waitcnt lgkmcnt(0)
	s_barrier
	buffer_gl0_inv
	s_and_saveexec_b32 s0, vcc_lo
	s_cbranch_execz .LBB160_25
; %bb.24:
	ds_read_b32 v2, v3
	v_lshl_or_b32 v0, s26, 8, v0
	v_mov_b32_e32 v1, 0
	v_lshlrev_b64 v[0:1], 1, v[0:1]
	v_add_co_u32 v0, vcc_lo, s6, v0
	v_add_co_ci_u32_e64 v1, null, s7, v1, vcc_lo
	s_waitcnt lgkmcnt(0)
	global_store_short v[0:1], v2, off
.LBB160_25:
	s_endpgm
	.section	.rodata,"a",@progbits
	.p2align	6, 0x0
	.amdhsa_kernel _ZN2at6native6mbtopk23computeBlockDigitCountsIlmmLi3EEEvNS_4cuda6detail10TensorInfoIKT_T0_EEjPjjS8_iijT1_PSB_Ps
		.amdhsa_group_segment_fixed_size 1024
		.amdhsa_private_segment_fixed_size 0
		.amdhsa_kernarg_size 744
		.amdhsa_user_sgpr_count 6
		.amdhsa_user_sgpr_private_segment_buffer 1
		.amdhsa_user_sgpr_dispatch_ptr 0
		.amdhsa_user_sgpr_queue_ptr 0
		.amdhsa_user_sgpr_kernarg_segment_ptr 1
		.amdhsa_user_sgpr_dispatch_id 0
		.amdhsa_user_sgpr_flat_scratch_init 0
		.amdhsa_user_sgpr_private_segment_size 0
		.amdhsa_wavefront_size32 1
		.amdhsa_uses_dynamic_stack 0
		.amdhsa_system_sgpr_private_segment_wavefront_offset 0
		.amdhsa_system_sgpr_workgroup_id_x 1
		.amdhsa_system_sgpr_workgroup_id_y 1
		.amdhsa_system_sgpr_workgroup_id_z 1
		.amdhsa_system_sgpr_workgroup_info 0
		.amdhsa_system_vgpr_workitem_id 0
		.amdhsa_next_free_vgpr 11
		.amdhsa_next_free_sgpr 34
		.amdhsa_reserve_vcc 1
		.amdhsa_reserve_flat_scratch 0
		.amdhsa_float_round_mode_32 0
		.amdhsa_float_round_mode_16_64 0
		.amdhsa_float_denorm_mode_32 3
		.amdhsa_float_denorm_mode_16_64 3
		.amdhsa_dx10_clamp 1
		.amdhsa_ieee_mode 1
		.amdhsa_fp16_overflow 0
		.amdhsa_workgroup_processor_mode 1
		.amdhsa_memory_ordered 1
		.amdhsa_forward_progress 1
		.amdhsa_shared_vgpr_count 0
		.amdhsa_exception_fp_ieee_invalid_op 0
		.amdhsa_exception_fp_denorm_src 0
		.amdhsa_exception_fp_ieee_div_zero 0
		.amdhsa_exception_fp_ieee_overflow 0
		.amdhsa_exception_fp_ieee_underflow 0
		.amdhsa_exception_fp_ieee_inexact 0
		.amdhsa_exception_int_div_zero 0
	.end_amdhsa_kernel
	.section	.text._ZN2at6native6mbtopk23computeBlockDigitCountsIlmmLi3EEEvNS_4cuda6detail10TensorInfoIKT_T0_EEjPjjS8_iijT1_PSB_Ps,"axG",@progbits,_ZN2at6native6mbtopk23computeBlockDigitCountsIlmmLi3EEEvNS_4cuda6detail10TensorInfoIKT_T0_EEjPjjS8_iijT1_PSB_Ps,comdat
.Lfunc_end160:
	.size	_ZN2at6native6mbtopk23computeBlockDigitCountsIlmmLi3EEEvNS_4cuda6detail10TensorInfoIKT_T0_EEjPjjS8_iijT1_PSB_Ps, .Lfunc_end160-_ZN2at6native6mbtopk23computeBlockDigitCountsIlmmLi3EEEvNS_4cuda6detail10TensorInfoIKT_T0_EEjPjjS8_iijT1_PSB_Ps
                                        ; -- End function
	.set _ZN2at6native6mbtopk23computeBlockDigitCountsIlmmLi3EEEvNS_4cuda6detail10TensorInfoIKT_T0_EEjPjjS8_iijT1_PSB_Ps.num_vgpr, 11
	.set _ZN2at6native6mbtopk23computeBlockDigitCountsIlmmLi3EEEvNS_4cuda6detail10TensorInfoIKT_T0_EEjPjjS8_iijT1_PSB_Ps.num_agpr, 0
	.set _ZN2at6native6mbtopk23computeBlockDigitCountsIlmmLi3EEEvNS_4cuda6detail10TensorInfoIKT_T0_EEjPjjS8_iijT1_PSB_Ps.numbered_sgpr, 34
	.set _ZN2at6native6mbtopk23computeBlockDigitCountsIlmmLi3EEEvNS_4cuda6detail10TensorInfoIKT_T0_EEjPjjS8_iijT1_PSB_Ps.num_named_barrier, 0
	.set _ZN2at6native6mbtopk23computeBlockDigitCountsIlmmLi3EEEvNS_4cuda6detail10TensorInfoIKT_T0_EEjPjjS8_iijT1_PSB_Ps.private_seg_size, 0
	.set _ZN2at6native6mbtopk23computeBlockDigitCountsIlmmLi3EEEvNS_4cuda6detail10TensorInfoIKT_T0_EEjPjjS8_iijT1_PSB_Ps.uses_vcc, 1
	.set _ZN2at6native6mbtopk23computeBlockDigitCountsIlmmLi3EEEvNS_4cuda6detail10TensorInfoIKT_T0_EEjPjjS8_iijT1_PSB_Ps.uses_flat_scratch, 0
	.set _ZN2at6native6mbtopk23computeBlockDigitCountsIlmmLi3EEEvNS_4cuda6detail10TensorInfoIKT_T0_EEjPjjS8_iijT1_PSB_Ps.has_dyn_sized_stack, 0
	.set _ZN2at6native6mbtopk23computeBlockDigitCountsIlmmLi3EEEvNS_4cuda6detail10TensorInfoIKT_T0_EEjPjjS8_iijT1_PSB_Ps.has_recursion, 0
	.set _ZN2at6native6mbtopk23computeBlockDigitCountsIlmmLi3EEEvNS_4cuda6detail10TensorInfoIKT_T0_EEjPjjS8_iijT1_PSB_Ps.has_indirect_call, 0
	.section	.AMDGPU.csdata,"",@progbits
; Kernel info:
; codeLenInByte = 1368
; TotalNumSgprs: 36
; NumVgprs: 11
; ScratchSize: 0
; MemoryBound: 0
; FloatMode: 240
; IeeeMode: 1
; LDSByteSize: 1024 bytes/workgroup (compile time only)
; SGPRBlocks: 0
; VGPRBlocks: 1
; NumSGPRsForWavesPerEU: 36
; NumVGPRsForWavesPerEU: 11
; Occupancy: 16
; WaveLimiterHint : 1
; COMPUTE_PGM_RSRC2:SCRATCH_EN: 0
; COMPUTE_PGM_RSRC2:USER_SGPR: 6
; COMPUTE_PGM_RSRC2:TRAP_HANDLER: 0
; COMPUTE_PGM_RSRC2:TGID_X_EN: 1
; COMPUTE_PGM_RSRC2:TGID_Y_EN: 1
; COMPUTE_PGM_RSRC2:TGID_Z_EN: 1
; COMPUTE_PGM_RSRC2:TIDIG_COMP_CNT: 0
	.section	.text._ZN2at6native6mbtopk10gatherTopKIlmLi3EEEvNS_4cuda6detail10TensorInfoIKT_T0_EES8_S8_bjS8_NS5_IS6_S8_EES8_NS5_IlS8_EES8_jjPS6_PjSD_j,"axG",@progbits,_ZN2at6native6mbtopk10gatherTopKIlmLi3EEEvNS_4cuda6detail10TensorInfoIKT_T0_EES8_S8_bjS8_NS5_IS6_S8_EES8_NS5_IlS8_EES8_jjPS6_PjSD_j,comdat
	.protected	_ZN2at6native6mbtopk10gatherTopKIlmLi3EEEvNS_4cuda6detail10TensorInfoIKT_T0_EES8_S8_bjS8_NS5_IS6_S8_EES8_NS5_IlS8_EES8_jjPS6_PjSD_j ; -- Begin function _ZN2at6native6mbtopk10gatherTopKIlmLi3EEEvNS_4cuda6detail10TensorInfoIKT_T0_EES8_S8_bjS8_NS5_IS6_S8_EES8_NS5_IlS8_EES8_jjPS6_PjSD_j
	.globl	_ZN2at6native6mbtopk10gatherTopKIlmLi3EEEvNS_4cuda6detail10TensorInfoIKT_T0_EES8_S8_bjS8_NS5_IS6_S8_EES8_NS5_IlS8_EES8_jjPS6_PjSD_j
	.p2align	8
	.type	_ZN2at6native6mbtopk10gatherTopKIlmLi3EEEvNS_4cuda6detail10TensorInfoIKT_T0_EES8_S8_bjS8_NS5_IS6_S8_EES8_NS5_IlS8_EES8_jjPS6_PjSD_j,@function
_ZN2at6native6mbtopk10gatherTopKIlmLi3EEEvNS_4cuda6detail10TensorInfoIKT_T0_EES8_S8_bjS8_NS5_IS6_S8_EES8_NS5_IlS8_EES8_jjPS6_PjSD_j: ; @_ZN2at6native6mbtopk10gatherTopKIlmLi3EEEvNS_4cuda6detail10TensorInfoIKT_T0_EES8_S8_bjS8_NS5_IS6_S8_EES8_NS5_IlS8_EES8_jjPS6_PjSD_j
; %bb.0:
	s_clause 0x1
	s_load_dwordx2 s[0:1], s[4:5], 0x538
	s_load_dword s2, s[4:5], 0x530
	s_waitcnt lgkmcnt(0)
	s_mul_i32 s1, s1, s8
	s_add_i32 s1, s1, s7
	s_mul_i32 s0, s1, s0
	s_add_i32 s0, s0, s6
	s_cmp_ge_u32 s0, s2
	s_cbranch_scc1 .LBB161_54
; %bb.1:
	s_clause 0x2
	s_load_dwordx2 s[6:7], s[4:5], 0x510
	s_load_dwordx4 s[8:11], s[4:5], 0x1a0
	s_load_dwordx4 s[12:15], s[4:5], 0x10
	s_mov_b32 s49, 0
	s_waitcnt lgkmcnt(0)
	v_cvt_f32_u32_e32 v1, s7
	s_sub_i32 s2, 0, s7
	s_lshl_b32 s33, s6, 8
	v_rcp_iflag_f32_e32 v1, v1
	v_mul_f32_e32 v1, 0x4f7ffffe, v1
	v_cvt_u32_f32_e32 v1, v1
	v_readfirstlane_b32 s1, v1
	s_mul_i32 s2, s2, s1
	s_mul_hi_u32 s2, s1, s2
	s_add_i32 s1, s1, s2
	s_mul_hi_u32 s1, s0, s1
	s_mul_i32 s2, s1, s7
	s_add_i32 s3, s1, 1
	s_sub_i32 s2, s0, s2
	s_sub_i32 s16, s2, s7
	s_cmp_ge_u32 s2, s7
	s_cselect_b32 s1, s3, s1
	s_cselect_b32 s2, s16, s2
	s_add_i32 s3, s1, 1
	s_cmp_ge_u32 s2, s7
	s_cselect_b32 s48, s3, s1
	s_mul_i32 s20, s48, s7
	s_sub_i32 s74, s0, s20
	s_add_i32 s0, s74, 1
	s_cmp_lt_u32 s0, s7
	s_cbranch_scc1 .LBB161_3
; %bb.2:
	s_mul_i32 s0, s74, s33
	s_sub_u32 s0, s8, s0
	s_subb_u32 s1, s9, 0
	s_add_u32 s0, s0, 0xff
	s_addc_u32 s1, s1, 0
	s_ashr_i32 s2, s1, 31
	s_lshr_b32 s2, s2, 24
	s_add_u32 s0, s0, s2
	s_addc_u32 s1, s1, 0
	s_lshr_b64 s[0:1], s[0:1], 8
	s_mov_b32 s6, s0
.LBB161_3:
	v_cmp_lt_u64_e64 s0, s[48:49], s[14:15]
	s_mov_b64 s[50:51], 0
	s_mov_b64 s[52:53], 0
	s_and_b32 vcc_lo, exec_lo, s0
	s_cbranch_vccnz .LBB161_5
; %bb.4:
	v_cvt_f32_u32_e32 v1, s14
	s_sub_i32 s1, 0, s14
	s_mov_b32 s53, 0
	v_rcp_iflag_f32_e32 v1, v1
	v_mul_f32_e32 v1, 0x4f7ffffe, v1
	v_cvt_u32_f32_e32 v1, v1
	v_readfirstlane_b32 s0, v1
	s_mul_i32 s1, s1, s0
	s_mul_hi_u32 s1, s0, s1
	s_add_i32 s0, s0, s1
	s_mul_hi_u32 s0, s48, s0
	s_mul_i32 s1, s0, s14
	s_add_i32 s2, s0, 1
	s_sub_i32 s1, s48, s1
	s_sub_i32 s3, s1, s14
	s_cmp_ge_u32 s1, s14
	s_cselect_b32 s0, s2, s0
	s_cselect_b32 s1, s3, s1
	s_add_i32 s2, s0, 1
	s_cmp_ge_u32 s1, s14
	s_cselect_b32 s52, s2, s0
.LBB161_5:
	s_load_dwordx4 s[24:27], s[4:5], 0x1d0
	v_cmp_lt_u64_e64 s0, s[52:53], s[12:13]
	s_and_b32 vcc_lo, exec_lo, s0
	s_cbranch_vccnz .LBB161_7
; %bb.6:
	v_cvt_f32_u32_e32 v1, s12
	s_sub_i32 s1, 0, s12
	v_rcp_iflag_f32_e32 v1, v1
	v_mul_f32_e32 v1, 0x4f7ffffe, v1
	v_cvt_u32_f32_e32 v1, v1
	v_readfirstlane_b32 s0, v1
	s_mul_i32 s1, s1, s0
	s_mul_hi_u32 s1, s0, s1
	s_add_i32 s0, s0, s1
	s_mul_hi_u32 s0, s52, s0
	s_mul_i32 s1, s0, s12
	s_add_i32 s2, s0, 1
	s_sub_i32 s1, s52, s1
	s_sub_i32 s3, s1, s12
	s_cmp_ge_u32 s1, s12
	s_cselect_b32 s0, s2, s0
	s_cselect_b32 s1, s3, s1
	s_add_i32 s2, s0, 1
	s_cmp_ge_u32 s1, s12
	s_cselect_b32 s50, s2, s0
.LBB161_7:
	s_waitcnt lgkmcnt(0)
	v_cmp_lt_u64_e64 s0, s[48:49], s[26:27]
	s_mov_b64 s[54:55], 0
	s_mov_b64 s[62:63], 0
	s_and_b32 vcc_lo, exec_lo, s0
	s_cbranch_vccnz .LBB161_9
; %bb.8:
	v_cvt_f32_u32_e32 v1, s26
	s_sub_i32 s1, 0, s26
	s_mov_b32 s63, 0
	v_rcp_iflag_f32_e32 v1, v1
	v_mul_f32_e32 v1, 0x4f7ffffe, v1
	v_cvt_u32_f32_e32 v1, v1
	v_readfirstlane_b32 s0, v1
	s_mul_i32 s1, s1, s0
	s_mul_hi_u32 s1, s0, s1
	s_add_i32 s0, s0, s1
	s_mul_hi_u32 s0, s48, s0
	s_mul_i32 s1, s0, s26
	s_add_i32 s2, s0, 1
	s_sub_i32 s1, s48, s1
	s_sub_i32 s3, s1, s26
	s_cmp_ge_u32 s1, s26
	s_cselect_b32 s0, s2, s0
	s_cselect_b32 s1, s3, s1
	s_add_i32 s2, s0, 1
	s_cmp_ge_u32 s1, s26
	s_cselect_b32 s62, s2, s0
.LBB161_9:
	s_load_dwordx4 s[28:31], s[4:5], 0x378
	v_cmp_lt_u64_e64 s0, s[62:63], s[24:25]
	s_and_b32 vcc_lo, exec_lo, s0
	s_cbranch_vccnz .LBB161_11
; %bb.10:
	v_cvt_f32_u32_e32 v1, s24
	s_sub_i32 s1, 0, s24
	v_rcp_iflag_f32_e32 v1, v1
	v_mul_f32_e32 v1, 0x4f7ffffe, v1
	v_cvt_u32_f32_e32 v1, v1
	v_readfirstlane_b32 s0, v1
	s_mul_i32 s1, s1, s0
	s_mul_hi_u32 s1, s0, s1
	s_add_i32 s0, s0, s1
	s_mul_hi_u32 s0, s62, s0
	s_mul_i32 s1, s0, s24
	s_add_i32 s2, s0, 1
	s_sub_i32 s1, s62, s1
	s_sub_i32 s3, s1, s24
	s_cmp_ge_u32 s1, s24
	s_cselect_b32 s0, s2, s0
	s_cselect_b32 s1, s3, s1
	s_add_i32 s2, s0, 1
	s_cmp_ge_u32 s1, s24
	s_cselect_b32 s54, s2, s0
.LBB161_11:
	s_waitcnt lgkmcnt(0)
	v_cmp_lt_u64_e64 s0, s[48:49], s[30:31]
	s_mov_b64 s[56:57], 0
	s_mov_b64 s[66:67], 0
	s_and_b32 vcc_lo, exec_lo, s0
	s_cbranch_vccnz .LBB161_13
; %bb.12:
	v_cvt_f32_u32_e32 v1, s30
	s_sub_i32 s1, 0, s30
	s_mov_b32 s67, 0
	v_rcp_iflag_f32_e32 v1, v1
	v_mul_f32_e32 v1, 0x4f7ffffe, v1
	v_cvt_u32_f32_e32 v1, v1
	v_readfirstlane_b32 s0, v1
	s_mul_i32 s1, s1, s0
	s_mul_hi_u32 s1, s0, s1
	s_add_i32 s0, s0, s1
	s_mul_hi_u32 s0, s48, s0
	s_mul_i32 s1, s0, s30
	s_add_i32 s2, s0, 1
	s_sub_i32 s1, s48, s1
	s_sub_i32 s3, s1, s30
	s_cmp_ge_u32 s1, s30
	s_cselect_b32 s0, s2, s0
	s_cselect_b32 s1, s3, s1
	s_add_i32 s2, s0, 1
	s_cmp_ge_u32 s1, s30
	s_cselect_b32 s66, s2, s0
.LBB161_13:
	s_clause 0x5
	s_load_dwordx2 s[64:65], s[4:5], 0xe0
	s_load_dwordx4 s[44:47], s[4:5], 0xd0
	s_load_dwordx2 s[60:61], s[4:5], 0x2a0
	s_load_dwordx4 s[40:43], s[4:5], 0x290
	;; [unrolled: 2-line block ×3, first 2 shown]
	v_cmp_lt_u64_e64 s0, s[66:67], s[28:29]
	s_and_b32 vcc_lo, exec_lo, s0
	s_cbranch_vccnz .LBB161_15
; %bb.14:
	v_cvt_f32_u32_e32 v1, s28
	s_sub_i32 s1, 0, s28
	v_rcp_iflag_f32_e32 v1, v1
	v_mul_f32_e32 v1, 0x4f7ffffe, v1
	v_cvt_u32_f32_e32 v1, v1
	v_readfirstlane_b32 s0, v1
	s_mul_i32 s1, s1, s0
	s_mul_hi_u32 s1, s0, s1
	s_add_i32 s0, s0, s1
	s_mul_hi_u32 s0, s66, s0
	s_mul_i32 s1, s0, s28
	s_add_i32 s2, s0, 1
	s_sub_i32 s1, s66, s1
	s_sub_i32 s3, s1, s28
	s_cmp_ge_u32 s1, s28
	s_cselect_b32 s0, s2, s0
	s_cselect_b32 s1, s3, s1
	s_add_i32 s2, s0, 1
	s_cmp_ge_u32 s1, s28
	s_cselect_b32 s56, s2, s0
.LBB161_15:
	s_load_dwordx4 s[0:3], s[4:5], 0x518
	s_lshl_b64 s[16:17], s[48:49], 3
	s_mov_b32 s21, 0
	s_waitcnt lgkmcnt(0)
	s_add_u32 s0, s0, s16
	s_addc_u32 s1, s1, s17
	s_load_dwordx2 s[68:69], s[4:5], 0x0
	s_load_dwordx2 s[34:35], s[0:1], 0x0
	v_cmp_ne_u32_e64 s0, 0, v0
	v_cmp_eq_u32_e64 s1, 0, v0
	s_and_saveexec_b32 s49, s1
	s_cbranch_execz .LBB161_31
; %bb.16:
	s_load_dwordx2 s[22:23], s[4:5], 0x528
	s_lshl_b64 s[70:71], s[20:21], 2
	s_mov_b32 s20, 0
	s_add_u32 s16, s2, s70
	s_addc_u32 s17, s3, s71
	s_mov_b32 s51, 0
	s_waitcnt lgkmcnt(0)
	s_add_u32 s18, s22, s70
	s_addc_u32 s19, s23, s71
	s_cmp_lt_u32 s7, 4
	s_cbranch_scc1 .LBB161_28
; %bb.17:
	s_mov_b32 s55, 0
.LBB161_18:                             ; =>This Inner Loop Header: Depth=1
	s_add_u32 s16, s2, s70
	s_addc_u32 s17, s3, s71
	s_add_u32 s72, s22, s70
	s_load_dwordx4 s[16:19], s[16:17], 0x0
	s_addc_u32 s73, s23, s71
	s_cmp_ge_u32 s55, s74
	s_cbranch_scc0 .LBB161_25
; %bb.19:                               ;   in Loop: Header=BB161_18 Depth=1
	s_add_i32 s57, s55, 1
	s_cmp_ge_u32 s57, s74
	s_cbranch_scc0 .LBB161_26
.LBB161_20:                             ;   in Loop: Header=BB161_18 Depth=1
	s_add_i32 s57, s57, 1
	s_cmp_ge_u32 s57, s74
	s_cbranch_scc0 .LBB161_27
.LBB161_21:                             ;   in Loop: Header=BB161_18 Depth=1
	s_add_i32 s57, s57, 1
	s_cmp_ge_u32 s57, s74
	s_cbranch_scc1 .LBB161_23
.LBB161_22:                             ;   in Loop: Header=BB161_18 Depth=1
	s_load_dword s72, s[72:73], 0xc
	s_waitcnt lgkmcnt(0)
	s_add_i32 s21, s21, s19
	s_add_i32 s20, s72, s20
.LBB161_23:                             ;   in Loop: Header=BB161_18 Depth=1
	s_waitcnt lgkmcnt(0)
	s_add_i32 s16, s16, s51
	s_add_i32 s16, s16, s17
	s_add_i32 s16, s16, s18
	s_add_i32 s51, s16, s19
	s_add_u32 s2, s2, 16
	s_addc_u32 s3, s3, 0
	s_add_u32 s22, s22, 16
	s_addc_u32 s23, s23, 0
	s_add_i32 s72, s57, 4
	s_add_u32 s18, s22, s70
	s_addc_u32 s19, s23, s71
	s_add_u32 s16, s2, s70
	s_addc_u32 s17, s3, s71
	s_add_i32 s57, s57, 1
	s_cmp_ge_u32 s72, s7
	s_cbranch_scc1 .LBB161_29
; %bb.24:                               ;   in Loop: Header=BB161_18 Depth=1
	s_mov_b32 s55, s57
	s_branch .LBB161_18
.LBB161_25:                             ;   in Loop: Header=BB161_18 Depth=1
	s_load_dword s57, s[72:73], 0x0
	s_waitcnt lgkmcnt(0)
	s_add_i32 s21, s16, s21
	s_add_i32 s20, s57, s20
	;; [unrolled: 1-line block ×3, first 2 shown]
	s_cmp_ge_u32 s57, s74
	s_cbranch_scc1 .LBB161_20
.LBB161_26:                             ;   in Loop: Header=BB161_18 Depth=1
	s_load_dword s75, s[72:73], 0x4
	s_waitcnt lgkmcnt(0)
	s_add_i32 s21, s21, s17
	s_add_i32 s20, s75, s20
	;; [unrolled: 1-line block ×3, first 2 shown]
	s_cmp_ge_u32 s57, s74
	s_cbranch_scc1 .LBB161_21
.LBB161_27:                             ;   in Loop: Header=BB161_18 Depth=1
	s_load_dword s75, s[72:73], 0x8
	s_waitcnt lgkmcnt(0)
	s_add_i32 s21, s21, s18
	s_add_i32 s20, s75, s20
	;; [unrolled: 1-line block ×3, first 2 shown]
	s_cmp_ge_u32 s57, s74
	s_cbranch_scc0 .LBB161_22
	s_branch .LBB161_23
.LBB161_28:
	s_mov_b32 s2, 0
	s_cmp_ge_u32 s2, s7
	s_cbranch_scc0 .LBB161_52
	s_branch .LBB161_30
.LBB161_29:
	s_add_i32 s2, s55, 4
	s_cmp_ge_u32 s2, s7
	s_cbranch_scc0 .LBB161_52
.LBB161_30:
	v_mov_b32_e32 v1, s20
	v_mov_b32_e32 v2, s51
	;; [unrolled: 1-line block ×4, first 2 shown]
	ds_write_b96 v4, v[1:3] offset:1056
.LBB161_31:
	s_or_b32 exec_lo, exec_lo, s49
	s_clause 0x1
	s_load_dwordx4 s[16:19], s[4:5], 0x1b8
	s_load_dwordx4 s[20:23], s[4:5], 0x360
	s_cmp_eq_u32 s6, 0
	s_waitcnt lgkmcnt(0)
	s_barrier
	buffer_gl0_inv
	s_cbranch_scc1 .LBB161_54
; %bb.32:
	s_mul_i32 s2, s66, s31
	s_mul_hi_u32 s3, s66, s30
	s_mul_i32 s7, s66, s30
	s_add_i32 s3, s3, s2
	s_sub_u32 s2, s48, s7
	s_subb_u32 s3, 0, s3
	s_mul_i32 s7, s2, s59
	s_mul_hi_u32 s30, s2, s58
	s_mul_i32 s3, s3, s58
	s_add_i32 s7, s30, s7
	v_mov_b32_e32 v5, 0
	s_add_i32 s3, s7, s3
	s_mul_i32 s7, s54, s25
	s_mul_hi_u32 s25, s54, s24
	s_mul_i32 s24, s54, s24
	s_add_i32 s25, s25, s7
	s_sub_u32 s24, s62, s24
	s_subb_u32 s25, s63, s25
	s_mul_i32 s7, s24, s43
	s_mul_hi_u32 s30, s24, s42
	s_mul_i32 s25, s25, s42
	s_add_i32 s7, s30, s7
	s_mul_i32 s30, s54, s41
	s_mul_hi_u32 s41, s54, s40
	s_add_i32 s31, s7, s25
	s_mul_i32 s7, s62, s27
	s_mul_hi_u32 s25, s62, s26
	s_mul_i32 s26, s62, s26
	s_add_i32 s41, s41, s30
	s_add_i32 s25, s25, s7
	s_sub_u32 s43, s48, s26
	s_subb_u32 s25, 0, s25
	s_mul_i32 s7, s43, s61
	s_mul_hi_u32 s26, s43, s60
	s_mul_i32 s25, s25, s60
	s_add_i32 s7, s26, s7
	s_mul_hi_u32 s27, s50, s44
	s_add_i32 s25, s7, s25
	s_mul_i32 s7, s50, s13
	s_mul_hi_u32 s13, s50, s12
	s_mul_i32 s12, s50, s12
	s_add_i32 s13, s13, s7
	s_sub_u32 s7, s52, s12
	s_subb_u32 s13, s53, s13
	s_mul_i32 s12, s7, s47
	s_mul_hi_u32 s26, s7, s46
	s_mul_i32 s13, s13, s46
	s_add_i32 s12, s26, s12
	s_mul_i32 s26, s50, s45
	s_add_i32 s13, s12, s13
	s_mul_i32 s12, s52, s15
	s_mul_hi_u32 s15, s52, s14
	s_mul_i32 s14, s52, s14
	s_add_i32 s27, s27, s26
	s_add_i32 s15, s15, s12
	s_sub_u32 s14, s48, s14
	s_subb_u32 s15, 0, s15
	s_mul_i32 s12, s14, s65
	s_mul_hi_u32 s26, s14, s64
	s_mul_i32 s15, s15, s64
	s_add_i32 s12, s26, s12
	s_mul_hi_u32 s26, s56, s28
	s_add_i32 s15, s12, s15
	s_mul_i32 s12, s56, s29
	s_mul_i32 s28, s56, s28
	s_add_i32 s26, s26, s12
	s_sub_u32 s28, s66, s28
	s_mul_i32 s12, s7, s46
	s_mul_i32 s7, s28, s39
	s_mul_hi_u32 s29, s28, s38
	s_subb_u32 s26, s67, s26
	s_add_i32 s7, s29, s7
	s_mul_i32 s29, s26, s38
	s_mul_i32 s26, s50, s44
	s_add_i32 s29, s7, s29
	s_mul_i32 s7, s56, s37
	s_mul_hi_u32 s30, s56, s36
	s_lshl_b64 s[26:27], s[26:27], 3
	s_add_i32 s37, s30, s7
	s_add_u32 s7, s68, s26
	s_addc_u32 s26, s69, s27
	s_lshl_b64 s[12:13], s[12:13], 3
	s_mul_i32 s14, s14, s64
	s_add_u32 s7, s7, s12
	s_addc_u32 s26, s26, s13
	s_lshl_b64 s[12:13], s[14:15], 3
	s_mul_i32 s40, s54, s40
	;; [unrolled: 4-line block ×4, first 2 shown]
	ds_read_b96 v[1:3], v5 offset:1056
	s_add_u32 s15, s15, s12
	s_addc_u32 s18, s18, s13
	s_lshl_b64 s[12:13], s[24:25], 3
	s_mul_i32 s36, s56, s36
	s_add_u32 s15, s15, s12
	s_addc_u32 s18, s18, s13
	s_lshl_b64 s[12:13], s[36:37], 3
	s_mul_i32 s28, s28, s38
	;; [unrolled: 4-line block ×3, first 2 shown]
	s_add_u32 s12, s19, s12
	s_addc_u32 s13, s22, s13
	s_lshl_b64 s[2:3], s[2:3], 3
	v_add_nc_u32_e32 v4, -1, v0
	s_add_u32 s19, s12, s2
	s_addc_u32 s22, s13, s3
	s_clause 0x1
	s_load_dword s3, s[4:5], 0x1b0
	s_load_dwordx2 s[4:5], s[4:5], 0x508
	v_lshrrev_b32_e32 v6, 3, v0
	v_lshrrev_b32_e32 v7, 3, v4
	s_waitcnt lgkmcnt(0)
	v_add_nc_u32_e32 v1, v1, v2
	v_and_b32_e32 v8, 0xfc, v0
	v_lshlrev_b32_e32 v9, 5, v0
	v_and_b32_e32 v2, 28, v6
	v_and_b32_e32 v12, 0x1ffffffc, v7
	v_mad_u64_u32 v[6:7], null, s74, s33, v[0:1]
	v_mbcnt_lo_u32_b32 v10, -1, 0
	s_xor_b32 s13, s35, 0x80000000
	v_lshl_add_u32 v11, v0, 2, v2
	v_cmp_gt_u32_e64 s2, 32, v0
	v_lshl_add_u32 v0, v4, 2, v12
	v_add_nc_u32_e32 v12, v8, v9
	v_and_b32_e32 v13, 15, v10
	v_bfe_i32 v14, v10, 4, 1
	v_add_nc_u32_e32 v15, -1, v10
	v_mov_b32_e32 v4, v6
	s_bitcmp1_b32 s3, 0
	s_mov_b32 s12, s34
	s_cselect_b32 s3, -1, 0
                                        ; implicit-def: $vgpr6_vgpr7
	s_branch .LBB161_35
.LBB161_33:                             ;   in Loop: Header=BB161_35 Depth=1
	s_or_b32 exec_lo, exec_lo, s23
	v_add_nc_u32_e32 v1, v2, v1
.LBB161_34:                             ;   in Loop: Header=BB161_35 Depth=1
	v_add_nc_u32_e32 v3, v16, v3
	v_add_nc_u32_e32 v4, 0x100, v4
	s_add_i32 s6, s6, -1
	s_cmp_lg_u32 s6, 0
	s_cbranch_scc0 .LBB161_54
.LBB161_35:                             ; =>This Inner Loop Header: Depth=1
	v_mov_b32_e32 v2, v5
	v_mov_b32_e32 v8, v5
	s_mov_b32 s23, exec_lo
	v_cmpx_gt_u64_e64 s[8:9], v[4:5]
	s_cbranch_execz .LBB161_37
; %bb.36:                               ;   in Loop: Header=BB161_35 Depth=1
	v_mad_u64_u32 v[6:7], null, s16, v4, 0
	v_mov_b32_e32 v2, v7
	v_mad_u64_u32 v[7:8], null, s17, v4, v[2:3]
	v_lshlrev_b64 v[6:7], 3, v[6:7]
	v_add_co_u32 v6, vcc_lo, s7, v6
	v_add_co_ci_u32_e64 v7, null, s14, v7, vcc_lo
	global_load_dwordx2 v[6:7], v[6:7], off
	s_waitcnt vmcnt(0)
	v_xor_b32_e32 v9, 0x80000000, v7
	v_mov_b32_e32 v8, v6
	v_cmp_lt_u64_e32 vcc_lo, s[12:13], v[8:9]
	v_cndmask_b32_e64 v2, 0, 1, vcc_lo
	v_cmp_gt_u64_e32 vcc_lo, s[12:13], v[8:9]
	v_cndmask_b32_e64 v8, 0, 1, vcc_lo
	v_cmp_eq_u64_e32 vcc_lo, s[34:35], v[6:7]
	v_cndmask_b32_e64 v2, v8, v2, s3
	v_cndmask_b32_e64 v8, 0, 1, vcc_lo
	v_and_b32_e32 v2, 1, v2
.LBB161_37:                             ;   in Loop: Header=BB161_35 Depth=1
	s_or_b32 exec_lo, exec_lo, s23
	ds_write_b32 v11, v2
	s_waitcnt lgkmcnt(0)
	s_barrier
	buffer_gl0_inv
	s_and_saveexec_b32 s23, s2
	s_cbranch_execz .LBB161_39
; %bb.38:                               ;   in Loop: Header=BB161_35 Depth=1
	ds_read2_b32 v[16:17], v12 offset1:1
	ds_read2_b32 v[18:19], v12 offset0:2 offset1:3
	ds_read2_b32 v[20:21], v12 offset0:4 offset1:5
	;; [unrolled: 1-line block ×3, first 2 shown]
	v_cmp_ne_u32_e32 vcc_lo, 0, v13
	; wave barrier
	s_waitcnt lgkmcnt(3)
	v_add_nc_u32_e32 v9, v17, v16
	s_waitcnt lgkmcnt(2)
	v_add3_u32 v9, v9, v18, v19
	s_waitcnt lgkmcnt(1)
	v_add3_u32 v9, v9, v20, v21
	;; [unrolled: 2-line block ×3, first 2 shown]
	v_mov_b32_dpp v17, v9 row_shr:1 row_mask:0xf bank_mask:0xf
	v_cndmask_b32_e32 v17, 0, v17, vcc_lo
	v_cmp_lt_u32_e32 vcc_lo, 1, v13
	v_add_nc_u32_e32 v9, v17, v9
	v_mov_b32_dpp v17, v9 row_shr:2 row_mask:0xf bank_mask:0xf
	v_cndmask_b32_e32 v17, 0, v17, vcc_lo
	v_cmp_lt_u32_e32 vcc_lo, 3, v13
	v_add_nc_u32_e32 v9, v9, v17
	;; [unrolled: 4-line block ×3, first 2 shown]
	v_mov_b32_dpp v17, v9 row_shr:8 row_mask:0xf bank_mask:0xf
	v_cndmask_b32_e32 v17, 0, v17, vcc_lo
	v_cmp_gt_i32_e32 vcc_lo, 0, v15
	v_add_nc_u32_e32 v9, v9, v17
	v_cndmask_b32_e32 v18, v15, v10, vcc_lo
	ds_swizzle_b32 v17, v9 offset:swizzle(BROADCAST,32,15)
	v_lshlrev_b32_e32 v18, 2, v18
	s_waitcnt lgkmcnt(0)
	v_and_b32_e32 v17, v14, v17
	v_add_nc_u32_e32 v9, v9, v17
	ds_bpermute_b32 v9, v18, v9
	s_waitcnt lgkmcnt(0)
	v_add_nc_u32_e32 v9, v9, v16
	v_cndmask_b32_e64 v9, v9, v2, s1
	ds_write_b32 v12, v9
	; wave barrier
	ds_read2_b32 v[16:17], v12 offset0:1 offset1:2
	ds_read2_b32 v[18:19], v12 offset0:3 offset1:4
	;; [unrolled: 1-line block ×3, first 2 shown]
	ds_read_b32 v22, v12 offset:28
	s_waitcnt lgkmcnt(3)
	v_add_nc_u32_e32 v9, v16, v9
	v_add_nc_u32_e32 v16, v17, v9
	s_waitcnt lgkmcnt(2)
	v_add_nc_u32_e32 v17, v18, v16
	v_add_nc_u32_e32 v18, v19, v17
	;; [unrolled: 3-line block ×3, first 2 shown]
	s_waitcnt lgkmcnt(0)
	v_add_nc_u32_e32 v21, v22, v20
	ds_write2_b32 v12, v9, v16 offset0:1 offset1:2
	ds_write2_b32 v12, v17, v18 offset0:3 offset1:4
	;; [unrolled: 1-line block ×3, first 2 shown]
	ds_write_b32 v12, v21 offset:28
.LBB161_39:                             ;   in Loop: Header=BB161_35 Depth=1
	s_or_b32 exec_lo, exec_lo, s23
	v_mov_b32_e32 v9, 0
	s_waitcnt lgkmcnt(0)
	s_barrier
	buffer_gl0_inv
	s_and_saveexec_b32 s23, s0
; %bb.40:                               ;   in Loop: Header=BB161_35 Depth=1
	ds_read_b32 v9, v0
; %bb.41:                               ;   in Loop: Header=BB161_35 Depth=1
	s_or_b32 exec_lo, exec_lo, s23
	ds_read_b32 v16, v5 offset:1048
	s_mov_b32 s23, exec_lo
	s_waitcnt lgkmcnt(0)
	s_barrier
	buffer_gl0_inv
	v_cmpx_ne_u32_e32 0, v2
	s_cbranch_execz .LBB161_43
; %bb.42:                               ;   in Loop: Header=BB161_35 Depth=1
	v_add_nc_u32_e32 v22, v9, v3
	v_mad_u64_u32 v[17:18], null, s20, v22, 0
	v_mad_u64_u32 v[19:20], null, s4, v22, 0
	v_mov_b32_e32 v2, v18
	v_mov_b32_e32 v9, v20
	v_mad_u64_u32 v[20:21], null, s21, v22, v[2:3]
	v_mad_u64_u32 v[21:22], null, s5, v22, v[9:10]
	v_mov_b32_e32 v18, v20
	v_mov_b32_e32 v20, v21
	v_lshlrev_b64 v[17:18], 3, v[17:18]
	v_lshlrev_b64 v[19:20], 3, v[19:20]
	v_add_co_u32 v17, vcc_lo, s15, v17
	v_add_co_ci_u32_e64 v18, null, s18, v18, vcc_lo
	v_add_co_u32 v19, vcc_lo, s19, v19
	v_add_co_ci_u32_e64 v20, null, s22, v20, vcc_lo
	global_store_dwordx2 v[17:18], v[6:7], off
	global_store_dwordx2 v[19:20], v[4:5], off
.LBB161_43:                             ;   in Loop: Header=BB161_35 Depth=1
	s_or_b32 exec_lo, exec_lo, s23
	v_mov_b32_e32 v2, v5
	v_cmp_le_u64_e32 vcc_lo, s[10:11], v[1:2]
	s_cbranch_vccnz .LBB161_34
; %bb.44:                               ;   in Loop: Header=BB161_35 Depth=1
	ds_write_b32 v11, v8
	s_waitcnt lgkmcnt(0)
	s_waitcnt_vscnt null, 0x0
	s_barrier
	buffer_gl0_inv
	s_and_saveexec_b32 s23, s2
	s_cbranch_execz .LBB161_46
; %bb.45:                               ;   in Loop: Header=BB161_35 Depth=1
	ds_read2_b32 v[17:18], v12 offset1:1
	ds_read2_b32 v[19:20], v12 offset0:2 offset1:3
	ds_read2_b32 v[21:22], v12 offset0:4 offset1:5
	;; [unrolled: 1-line block ×3, first 2 shown]
	v_cmp_ne_u32_e32 vcc_lo, 0, v13
	; wave barrier
	s_waitcnt lgkmcnt(3)
	v_add_nc_u32_e32 v2, v18, v17
	s_waitcnt lgkmcnt(2)
	v_add3_u32 v2, v2, v19, v20
	s_waitcnt lgkmcnt(1)
	v_add3_u32 v2, v2, v21, v22
	;; [unrolled: 2-line block ×3, first 2 shown]
	v_mov_b32_dpp v9, v2 row_shr:1 row_mask:0xf bank_mask:0xf
	v_cndmask_b32_e32 v9, 0, v9, vcc_lo
	v_cmp_lt_u32_e32 vcc_lo, 1, v13
	v_add_nc_u32_e32 v2, v9, v2
	v_mov_b32_dpp v9, v2 row_shr:2 row_mask:0xf bank_mask:0xf
	v_cndmask_b32_e32 v9, 0, v9, vcc_lo
	v_cmp_lt_u32_e32 vcc_lo, 3, v13
	v_add_nc_u32_e32 v2, v2, v9
	;; [unrolled: 4-line block ×3, first 2 shown]
	v_mov_b32_dpp v9, v2 row_shr:8 row_mask:0xf bank_mask:0xf
	v_cndmask_b32_e32 v9, 0, v9, vcc_lo
	v_cmp_gt_i32_e32 vcc_lo, 0, v15
	v_add_nc_u32_e32 v2, v2, v9
	v_cndmask_b32_e32 v18, v15, v10, vcc_lo
	ds_swizzle_b32 v9, v2 offset:swizzle(BROADCAST,32,15)
	v_lshlrev_b32_e32 v18, 2, v18
	s_waitcnt lgkmcnt(0)
	v_and_b32_e32 v9, v14, v9
	v_add_nc_u32_e32 v2, v2, v9
	ds_bpermute_b32 v2, v18, v2
	s_waitcnt lgkmcnt(0)
	v_add_nc_u32_e32 v2, v2, v17
	v_cndmask_b32_e64 v2, v2, v8, s1
	ds_write_b32 v12, v2
	; wave barrier
	ds_read2_b32 v[17:18], v12 offset0:1 offset1:2
	ds_read2_b32 v[19:20], v12 offset0:3 offset1:4
	;; [unrolled: 1-line block ×3, first 2 shown]
	ds_read_b32 v9, v12 offset:28
	s_waitcnt lgkmcnt(3)
	v_add_nc_u32_e32 v2, v17, v2
	v_add_nc_u32_e32 v17, v18, v2
	s_waitcnt lgkmcnt(2)
	v_add_nc_u32_e32 v18, v19, v17
	v_add_nc_u32_e32 v19, v20, v18
	;; [unrolled: 3-line block ×3, first 2 shown]
	s_waitcnt lgkmcnt(0)
	v_add_nc_u32_e32 v9, v9, v21
	ds_write2_b32 v12, v2, v17 offset0:1 offset1:2
	ds_write2_b32 v12, v18, v19 offset0:3 offset1:4
	;; [unrolled: 1-line block ×3, first 2 shown]
	ds_write_b32 v12, v9 offset:28
.LBB161_46:                             ;   in Loop: Header=BB161_35 Depth=1
	s_or_b32 exec_lo, exec_lo, s23
	v_mov_b32_e32 v9, 0
	s_waitcnt lgkmcnt(0)
	s_barrier
	buffer_gl0_inv
	s_and_saveexec_b32 s23, s0
; %bb.47:                               ;   in Loop: Header=BB161_35 Depth=1
	ds_read_b32 v9, v0
; %bb.48:                               ;   in Loop: Header=BB161_35 Depth=1
	s_or_b32 exec_lo, exec_lo, s23
	ds_read_b32 v2, v5 offset:1048
	s_mov_b32 s23, exec_lo
	s_waitcnt lgkmcnt(0)
	s_barrier
	buffer_gl0_inv
	v_cmpx_ne_u32_e32 0, v8
	s_cbranch_execz .LBB161_33
; %bb.49:                               ;   in Loop: Header=BB161_35 Depth=1
	v_add_nc_u32_e32 v8, v9, v1
	v_mov_b32_e32 v9, v5
	v_cmp_gt_u64_e32 vcc_lo, s[10:11], v[8:9]
	s_and_b32 exec_lo, exec_lo, vcc_lo
	s_cbranch_execz .LBB161_33
; %bb.50:                               ;   in Loop: Header=BB161_35 Depth=1
	v_mad_u64_u32 v[17:18], null, s20, v8, 0
	v_mad_u64_u32 v[19:20], null, s4, v8, 0
	v_mov_b32_e32 v9, v18
	v_mov_b32_e32 v18, v20
	v_mad_u64_u32 v[20:21], null, s21, v8, v[9:10]
	v_mad_u64_u32 v[8:9], null, s5, v8, v[18:19]
	v_mov_b32_e32 v18, v20
	v_mov_b32_e32 v20, v8
	v_lshlrev_b64 v[8:9], 3, v[17:18]
	v_lshlrev_b64 v[17:18], 3, v[19:20]
	v_add_co_u32 v8, vcc_lo, s15, v8
	v_add_co_ci_u32_e64 v9, null, s18, v9, vcc_lo
	v_add_co_u32 v17, vcc_lo, s19, v17
	v_add_co_ci_u32_e64 v18, null, s22, v18, vcc_lo
	global_store_dwordx2 v[8:9], v[6:7], off
	global_store_dwordx2 v[17:18], v[4:5], off
	s_branch .LBB161_33
	.p2align	6
.LBB161_51:                             ;   in Loop: Header=BB161_52 Depth=1
	s_add_u32 s16, s16, 4
	s_addc_u32 s17, s17, 0
	s_waitcnt lgkmcnt(0)
	s_add_i32 s51, s3, s51
	s_add_u32 s18, s18, 4
	s_addc_u32 s19, s19, 0
	s_add_i32 s2, s2, 1
	s_cmp_lt_u32 s2, s7
	s_cbranch_scc0 .LBB161_30
.LBB161_52:                             ; =>This Inner Loop Header: Depth=1
	s_load_dword s3, s[16:17], 0x0
	s_cmp_ge_u32 s2, s74
	s_cbranch_scc1 .LBB161_51
; %bb.53:                               ;   in Loop: Header=BB161_52 Depth=1
	s_load_dword s22, s[18:19], 0x0
	s_waitcnt lgkmcnt(0)
	s_add_i32 s21, s3, s21
	s_add_i32 s20, s22, s20
	s_branch .LBB161_51
.LBB161_54:
	s_endpgm
	.section	.rodata,"a",@progbits
	.p2align	6, 0x0
	.amdhsa_kernel _ZN2at6native6mbtopk10gatherTopKIlmLi3EEEvNS_4cuda6detail10TensorInfoIKT_T0_EES8_S8_bjS8_NS5_IS6_S8_EES8_NS5_IlS8_EES8_jjPS6_PjSD_j
		.amdhsa_group_segment_fixed_size 1068
		.amdhsa_private_segment_fixed_size 0
		.amdhsa_kernarg_size 1592
		.amdhsa_user_sgpr_count 6
		.amdhsa_user_sgpr_private_segment_buffer 1
		.amdhsa_user_sgpr_dispatch_ptr 0
		.amdhsa_user_sgpr_queue_ptr 0
		.amdhsa_user_sgpr_kernarg_segment_ptr 1
		.amdhsa_user_sgpr_dispatch_id 0
		.amdhsa_user_sgpr_flat_scratch_init 0
		.amdhsa_user_sgpr_private_segment_size 0
		.amdhsa_wavefront_size32 1
		.amdhsa_uses_dynamic_stack 0
		.amdhsa_system_sgpr_private_segment_wavefront_offset 0
		.amdhsa_system_sgpr_workgroup_id_x 1
		.amdhsa_system_sgpr_workgroup_id_y 1
		.amdhsa_system_sgpr_workgroup_id_z 1
		.amdhsa_system_sgpr_workgroup_info 0
		.amdhsa_system_vgpr_workitem_id 0
		.amdhsa_next_free_vgpr 25
		.amdhsa_next_free_sgpr 76
		.amdhsa_reserve_vcc 1
		.amdhsa_reserve_flat_scratch 0
		.amdhsa_float_round_mode_32 0
		.amdhsa_float_round_mode_16_64 0
		.amdhsa_float_denorm_mode_32 3
		.amdhsa_float_denorm_mode_16_64 3
		.amdhsa_dx10_clamp 1
		.amdhsa_ieee_mode 1
		.amdhsa_fp16_overflow 0
		.amdhsa_workgroup_processor_mode 1
		.amdhsa_memory_ordered 1
		.amdhsa_forward_progress 1
		.amdhsa_shared_vgpr_count 0
		.amdhsa_exception_fp_ieee_invalid_op 0
		.amdhsa_exception_fp_denorm_src 0
		.amdhsa_exception_fp_ieee_div_zero 0
		.amdhsa_exception_fp_ieee_overflow 0
		.amdhsa_exception_fp_ieee_underflow 0
		.amdhsa_exception_fp_ieee_inexact 0
		.amdhsa_exception_int_div_zero 0
	.end_amdhsa_kernel
	.section	.text._ZN2at6native6mbtopk10gatherTopKIlmLi3EEEvNS_4cuda6detail10TensorInfoIKT_T0_EES8_S8_bjS8_NS5_IS6_S8_EES8_NS5_IlS8_EES8_jjPS6_PjSD_j,"axG",@progbits,_ZN2at6native6mbtopk10gatherTopKIlmLi3EEEvNS_4cuda6detail10TensorInfoIKT_T0_EES8_S8_bjS8_NS5_IS6_S8_EES8_NS5_IlS8_EES8_jjPS6_PjSD_j,comdat
.Lfunc_end161:
	.size	_ZN2at6native6mbtopk10gatherTopKIlmLi3EEEvNS_4cuda6detail10TensorInfoIKT_T0_EES8_S8_bjS8_NS5_IS6_S8_EES8_NS5_IlS8_EES8_jjPS6_PjSD_j, .Lfunc_end161-_ZN2at6native6mbtopk10gatherTopKIlmLi3EEEvNS_4cuda6detail10TensorInfoIKT_T0_EES8_S8_bjS8_NS5_IS6_S8_EES8_NS5_IlS8_EES8_jjPS6_PjSD_j
                                        ; -- End function
	.set _ZN2at6native6mbtopk10gatherTopKIlmLi3EEEvNS_4cuda6detail10TensorInfoIKT_T0_EES8_S8_bjS8_NS5_IS6_S8_EES8_NS5_IlS8_EES8_jjPS6_PjSD_j.num_vgpr, 25
	.set _ZN2at6native6mbtopk10gatherTopKIlmLi3EEEvNS_4cuda6detail10TensorInfoIKT_T0_EES8_S8_bjS8_NS5_IS6_S8_EES8_NS5_IlS8_EES8_jjPS6_PjSD_j.num_agpr, 0
	.set _ZN2at6native6mbtopk10gatherTopKIlmLi3EEEvNS_4cuda6detail10TensorInfoIKT_T0_EES8_S8_bjS8_NS5_IS6_S8_EES8_NS5_IlS8_EES8_jjPS6_PjSD_j.numbered_sgpr, 76
	.set _ZN2at6native6mbtopk10gatherTopKIlmLi3EEEvNS_4cuda6detail10TensorInfoIKT_T0_EES8_S8_bjS8_NS5_IS6_S8_EES8_NS5_IlS8_EES8_jjPS6_PjSD_j.num_named_barrier, 0
	.set _ZN2at6native6mbtopk10gatherTopKIlmLi3EEEvNS_4cuda6detail10TensorInfoIKT_T0_EES8_S8_bjS8_NS5_IS6_S8_EES8_NS5_IlS8_EES8_jjPS6_PjSD_j.private_seg_size, 0
	.set _ZN2at6native6mbtopk10gatherTopKIlmLi3EEEvNS_4cuda6detail10TensorInfoIKT_T0_EES8_S8_bjS8_NS5_IS6_S8_EES8_NS5_IlS8_EES8_jjPS6_PjSD_j.uses_vcc, 1
	.set _ZN2at6native6mbtopk10gatherTopKIlmLi3EEEvNS_4cuda6detail10TensorInfoIKT_T0_EES8_S8_bjS8_NS5_IS6_S8_EES8_NS5_IlS8_EES8_jjPS6_PjSD_j.uses_flat_scratch, 0
	.set _ZN2at6native6mbtopk10gatherTopKIlmLi3EEEvNS_4cuda6detail10TensorInfoIKT_T0_EES8_S8_bjS8_NS5_IS6_S8_EES8_NS5_IlS8_EES8_jjPS6_PjSD_j.has_dyn_sized_stack, 0
	.set _ZN2at6native6mbtopk10gatherTopKIlmLi3EEEvNS_4cuda6detail10TensorInfoIKT_T0_EES8_S8_bjS8_NS5_IS6_S8_EES8_NS5_IlS8_EES8_jjPS6_PjSD_j.has_recursion, 0
	.set _ZN2at6native6mbtopk10gatherTopKIlmLi3EEEvNS_4cuda6detail10TensorInfoIKT_T0_EES8_S8_bjS8_NS5_IS6_S8_EES8_NS5_IlS8_EES8_jjPS6_PjSD_j.has_indirect_call, 0
	.section	.AMDGPU.csdata,"",@progbits
; Kernel info:
; codeLenInByte = 3472
; TotalNumSgprs: 78
; NumVgprs: 25
; ScratchSize: 0
; MemoryBound: 0
; FloatMode: 240
; IeeeMode: 1
; LDSByteSize: 1068 bytes/workgroup (compile time only)
; SGPRBlocks: 0
; VGPRBlocks: 3
; NumSGPRsForWavesPerEU: 78
; NumVGPRsForWavesPerEU: 25
; Occupancy: 16
; WaveLimiterHint : 1
; COMPUTE_PGM_RSRC2:SCRATCH_EN: 0
; COMPUTE_PGM_RSRC2:USER_SGPR: 6
; COMPUTE_PGM_RSRC2:TRAP_HANDLER: 0
; COMPUTE_PGM_RSRC2:TGID_X_EN: 1
; COMPUTE_PGM_RSRC2:TGID_Y_EN: 1
; COMPUTE_PGM_RSRC2:TGID_Z_EN: 1
; COMPUTE_PGM_RSRC2:TIDIG_COMP_CNT: 0
	.section	.text._ZN2at6native6sbtopk10gatherTopKIlmLi3ELb0EEEvNS_4cuda6detail10TensorInfoIKT_T0_EES8_S8_bS8_S8_NS5_IS6_S8_EES8_NS5_IlS8_EES8_PS6_,"axG",@progbits,_ZN2at6native6sbtopk10gatherTopKIlmLi3ELb0EEEvNS_4cuda6detail10TensorInfoIKT_T0_EES8_S8_bS8_S8_NS5_IS6_S8_EES8_NS5_IlS8_EES8_PS6_,comdat
	.protected	_ZN2at6native6sbtopk10gatherTopKIlmLi3ELb0EEEvNS_4cuda6detail10TensorInfoIKT_T0_EES8_S8_bS8_S8_NS5_IS6_S8_EES8_NS5_IlS8_EES8_PS6_ ; -- Begin function _ZN2at6native6sbtopk10gatherTopKIlmLi3ELb0EEEvNS_4cuda6detail10TensorInfoIKT_T0_EES8_S8_bS8_S8_NS5_IS6_S8_EES8_NS5_IlS8_EES8_PS6_
	.globl	_ZN2at6native6sbtopk10gatherTopKIlmLi3ELb0EEEvNS_4cuda6detail10TensorInfoIKT_T0_EES8_S8_bS8_S8_NS5_IS6_S8_EES8_NS5_IlS8_EES8_PS6_
	.p2align	8
	.type	_ZN2at6native6sbtopk10gatherTopKIlmLi3ELb0EEEvNS_4cuda6detail10TensorInfoIKT_T0_EES8_S8_bS8_S8_NS5_IS6_S8_EES8_NS5_IlS8_EES8_PS6_,@function
_ZN2at6native6sbtopk10gatherTopKIlmLi3ELb0EEEvNS_4cuda6detail10TensorInfoIKT_T0_EES8_S8_bS8_S8_NS5_IS6_S8_EES8_NS5_IlS8_EES8_PS6_: ; @_ZN2at6native6sbtopk10gatherTopKIlmLi3ELb0EEEvNS_4cuda6detail10TensorInfoIKT_T0_EES8_S8_bS8_S8_NS5_IS6_S8_EES8_NS5_IlS8_EES8_PS6_
; %bb.0:
	s_clause 0x1
	s_load_dwordx2 s[18:19], s[4:5], 0x520
	s_load_dwordx4 s[24:27], s[4:5], 0x1b8
	s_add_u32 s16, s4, 0x520
	s_addc_u32 s17, s5, 0
	s_mov_b32 s35, 0
	s_waitcnt lgkmcnt(0)
	s_mul_i32 s0, s19, s8
	s_add_i32 s0, s0, s7
	s_mul_i32 s0, s0, s18
	s_add_i32 s34, s0, s6
	v_cmp_le_u64_e64 s0, s[24:25], s[34:35]
	s_and_b32 vcc_lo, exec_lo, s0
	s_cbranch_vccnz .LBB162_479
; %bb.1:
	s_load_dwordx4 s[8:11], s[4:5], 0x10
	s_mov_b64 s[0:1], 0
	s_mov_b64 s[20:21], 0
	s_waitcnt lgkmcnt(0)
	v_cmp_lt_u64_e64 s2, s[34:35], s[10:11]
	s_and_b32 vcc_lo, exec_lo, s2
	s_cbranch_vccnz .LBB162_3
; %bb.2:
	v_cvt_f32_u32_e32 v1, s10
	s_sub_i32 s2, 0, s10
	s_mov_b32 s21, 0
	v_rcp_iflag_f32_e32 v1, v1
	v_mul_f32_e32 v1, 0x4f7ffffe, v1
	v_cvt_u32_f32_e32 v1, v1
	v_readfirstlane_b32 s1, v1
	s_mul_i32 s2, s2, s1
	s_mul_hi_u32 s2, s1, s2
	s_add_i32 s1, s1, s2
	s_mul_hi_u32 s1, s34, s1
	s_mul_i32 s2, s1, s10
	s_add_i32 s3, s1, 1
	s_sub_i32 s2, s34, s2
	s_sub_i32 s7, s2, s10
	s_cmp_ge_u32 s2, s10
	s_cselect_b32 s1, s3, s1
	s_cselect_b32 s2, s7, s2
	s_add_i32 s3, s1, 1
	s_cmp_ge_u32 s2, s10
	s_cselect_b32 s20, s3, s1
.LBB162_3:
	s_load_dwordx4 s[12:15], s[4:5], 0x1d8
	v_cmp_lt_u64_e64 s1, s[20:21], s[8:9]
	s_and_b32 vcc_lo, exec_lo, s1
	s_cbranch_vccnz .LBB162_5
; %bb.4:
	v_cvt_f32_u32_e32 v1, s8
	s_sub_i32 s1, 0, s8
	v_rcp_iflag_f32_e32 v1, v1
	v_mul_f32_e32 v1, 0x4f7ffffe, v1
	v_cvt_u32_f32_e32 v1, v1
	v_readfirstlane_b32 s0, v1
	s_mul_i32 s1, s1, s0
	s_mul_hi_u32 s1, s0, s1
	s_add_i32 s0, s0, s1
	s_mul_hi_u32 s0, s20, s0
	s_mul_i32 s1, s0, s8
	s_add_i32 s2, s0, 1
	s_sub_i32 s1, s20, s1
	s_sub_i32 s3, s1, s8
	s_cmp_ge_u32 s1, s8
	s_cselect_b32 s0, s2, s0
	s_cselect_b32 s1, s3, s1
	s_add_i32 s2, s0, 1
	s_cmp_ge_u32 s1, s8
	s_cselect_b32 s0, s2, s0
.LBB162_5:
	s_waitcnt lgkmcnt(0)
	v_cmp_lt_u64_e64 s1, s[34:35], s[14:15]
	s_mov_b64 s[22:23], 0
	s_mov_b64 s[52:53], 0
	s_and_b32 vcc_lo, exec_lo, s1
	s_cbranch_vccnz .LBB162_7
; %bb.6:
	v_cvt_f32_u32_e32 v1, s14
	s_sub_i32 s2, 0, s14
	s_mov_b32 s53, 0
	v_rcp_iflag_f32_e32 v1, v1
	v_mul_f32_e32 v1, 0x4f7ffffe, v1
	v_cvt_u32_f32_e32 v1, v1
	v_readfirstlane_b32 s1, v1
	s_mul_i32 s2, s2, s1
	s_mul_hi_u32 s2, s1, s2
	s_add_i32 s1, s1, s2
	s_mul_hi_u32 s1, s34, s1
	s_mul_i32 s2, s1, s14
	s_add_i32 s3, s1, 1
	s_sub_i32 s2, s34, s2
	s_sub_i32 s7, s2, s14
	s_cmp_ge_u32 s2, s14
	s_cselect_b32 s1, s3, s1
	s_cselect_b32 s2, s7, s2
	s_add_i32 s3, s1, 1
	s_cmp_ge_u32 s2, s14
	s_cselect_b32 s52, s3, s1
.LBB162_7:
	s_load_dwordx4 s[40:43], s[4:5], 0x380
	v_cmp_lt_u64_e64 s1, s[52:53], s[12:13]
	s_and_b32 vcc_lo, exec_lo, s1
	s_cbranch_vccnz .LBB162_9
; %bb.8:
	v_cvt_f32_u32_e32 v1, s12
	s_sub_i32 s2, 0, s12
	v_rcp_iflag_f32_e32 v1, v1
	v_mul_f32_e32 v1, 0x4f7ffffe, v1
	v_cvt_u32_f32_e32 v1, v1
	v_readfirstlane_b32 s1, v1
	s_mul_i32 s2, s2, s1
	s_mul_hi_u32 s2, s1, s2
	s_add_i32 s1, s1, s2
	s_mul_hi_u32 s1, s52, s1
	s_mul_i32 s2, s1, s12
	s_add_i32 s3, s1, 1
	s_sub_i32 s2, s52, s2
	s_sub_i32 s7, s2, s12
	s_cmp_ge_u32 s2, s12
	s_cselect_b32 s1, s3, s1
	s_cselect_b32 s2, s7, s2
	s_add_i32 s3, s1, 1
	s_cmp_ge_u32 s2, s12
	s_cselect_b32 s22, s3, s1
.LBB162_9:
                                        ; implicit-def: $vgpr43 : SGPR spill to VGPR lane
	s_waitcnt lgkmcnt(0)
	v_cmp_lt_u64_e64 s1, s[34:35], s[42:43]
	v_writelane_b32 v43, s22, 0
	s_mov_b64 s[24:25], 0
	s_mov_b64 s[58:59], 0
	v_writelane_b32 v43, s23, 1
	s_clause 0x1
	s_load_dwordx2 s[22:23], s[4:5], 0xe0
	s_load_dwordx4 s[12:15], s[4:5], 0xd0
	s_and_b32 vcc_lo, exec_lo, s1
	s_cbranch_vccnz .LBB162_11
; %bb.10:
	v_cvt_f32_u32_e32 v1, s42
	s_sub_i32 s2, 0, s42
	s_mov_b32 s59, 0
	v_rcp_iflag_f32_e32 v1, v1
	v_mul_f32_e32 v1, 0x4f7ffffe, v1
	v_cvt_u32_f32_e32 v1, v1
	v_readfirstlane_b32 s1, v1
	s_mul_i32 s2, s2, s1
	s_mul_hi_u32 s2, s1, s2
	s_add_i32 s1, s1, s2
	s_mul_hi_u32 s1, s34, s1
	s_mul_i32 s2, s1, s42
	s_add_i32 s3, s1, 1
	s_sub_i32 s2, s34, s2
	s_sub_i32 s7, s2, s42
	s_cmp_ge_u32 s2, s42
	s_cselect_b32 s1, s3, s1
	s_cselect_b32 s2, s7, s2
	s_add_i32 s3, s1, 1
	s_cmp_ge_u32 s2, s42
	s_cselect_b32 s58, s3, s1
.LBB162_11:
	s_load_dwordx2 s[68:69], s[4:5], 0x0
	v_cmp_lt_u64_e64 s1, s[58:59], s[40:41]
	s_and_b32 vcc_lo, exec_lo, s1
	s_cbranch_vccnz .LBB162_13
; %bb.12:
	v_cvt_f32_u32_e32 v1, s40
	s_sub_i32 s2, 0, s40
	v_rcp_iflag_f32_e32 v1, v1
	v_mul_f32_e32 v1, 0x4f7ffffe, v1
	v_cvt_u32_f32_e32 v1, v1
	v_readfirstlane_b32 s1, v1
	s_mul_i32 s2, s2, s1
	s_mul_hi_u32 s2, s1, s2
	s_add_i32 s1, s1, s2
	s_mul_hi_u32 s1, s58, s1
	s_mul_i32 s2, s1, s40
	s_add_i32 s3, s1, 1
	s_sub_i32 s2, s58, s2
	s_sub_i32 s7, s2, s40
	s_cmp_ge_u32 s2, s40
	s_cselect_b32 s1, s3, s1
	s_cselect_b32 s2, s7, s2
	s_add_i32 s3, s1, 1
	s_cmp_ge_u32 s2, s40
	s_cselect_b32 s24, s3, s1
.LBB162_13:
	s_clause 0x1
	s_load_dwordx2 s[2:3], s[4:5], 0x370
	s_load_dwordx4 s[28:31], s[4:5], 0x1a0
	v_writelane_b32 v43, s24, 2
	s_mov_b32 s67, 0
	v_writelane_b32 v43, s25, 3
	s_waitcnt lgkmcnt(0)
	v_writelane_b32 v43, s2, 4
	v_writelane_b32 v43, s3, 5
	v_cmp_eq_u32_e64 s3, 0, v0
	s_and_saveexec_b32 s1, s3
	s_cbranch_execz .LBB162_15
; %bb.14:
	v_mov_b32_e32 v1, 0
	v_mov_b32_e32 v3, s28
	v_mov_b32_e32 v4, s29
	v_mov_b32_e32 v2, v1
	ds_write_b32 v1, v1 offset:5144
	ds_write_b128 v1, v[1:4] offset:5120
.LBB162_15:
	s_or_b32 exec_lo, exec_lo, s1
	s_mul_i32 s1, s0, s9
	s_mul_hi_u32 s2, s0, s8
	s_mul_i32 s7, s0, s8
	s_add_i32 s2, s2, s1
	s_sub_u32 s7, s20, s7
	s_subb_u32 s2, s21, s2
	s_mul_i32 s1, s7, s15
	s_mul_hi_u32 s8, s7, s14
	s_mul_i32 s2, s2, s14
	s_add_i32 s1, s8, s1
	s_mul_i32 s8, s0, s13
	s_mul_hi_u32 s13, s0, s12
	s_add_i32 s9, s1, s2
	s_add_i32 s1, s13, s8
	s_mul_i32 s2, s20, s11
	s_mul_hi_u32 s8, s20, s10
	s_mul_i32 s10, s20, s10
	s_add_i32 s2, s8, s2
	s_sub_u32 s10, s34, s10
	s_mul_i32 s8, s7, s14
	s_mul_i32 s7, s10, s23
	s_mul_hi_u32 s11, s10, s22
	s_subb_u32 s2, 0, s2
	s_mul_i32 s0, s0, s12
	s_add_i32 s7, s11, s7
	s_mul_i32 s2, s2, s22
	s_lshl_b64 s[0:1], s[0:1], 3
	s_add_i32 s11, s7, s2
	s_add_u32 s7, s68, s0
	s_addc_u32 s12, s69, s1
	s_lshl_b64 s[0:1], s[8:9], 3
	s_mul_i32 s10, s10, s22
	s_add_u32 s7, s7, s0
	s_load_dword s2, s[4:5], 0x1b0
	s_addc_u32 s8, s12, s1
	s_lshl_b64 s[0:1], s[10:11], 3
	s_waitcnt lgkmcnt(0)
	s_add_u32 s25, s7, s0
	s_barrier
	buffer_gl0_inv
	s_load_dword s7, s[16:17], 0xc
	v_mad_u64_u32 v[2:3], null, s26, v0, 0
	v_mbcnt_lo_u32_b32 v33, -1, 0
	s_addc_u32 s33, s8, s1
	v_cmp_gt_u32_e32 vcc_lo, 32, v0
	v_mov_b32_e32 v19, 0
	v_lshlrev_b32_e32 v34, 3, v0
	v_cmp_gt_i32_e64 s1, 4, v33
	v_mov_b32_e32 v1, v3
	v_cmp_lt_u64_e64 s87, 0x180, s[28:29]
	v_mov_b32_e32 v6, 0
	v_mov_b32_e32 v26, s30
	s_bitcmp1_b32 s2, 0
	v_mad_u64_u32 v[3:4], null, s27, v0, v[1:2]
	s_cselect_b32 s0, -1, 0
	s_and_b32 s86, vcc_lo, s1
	s_xor_b32 s57, s0, -1
	v_mov_b32_e32 v1, v19
	s_waitcnt lgkmcnt(0)
	s_and_b32 s35, s7, 0xffff
	s_bfe_u32 s7, s7, 0xb0005
	s_bfe_u32 s9, s35, 0x80008
	v_lshlrev_b64 v[2:3], 3, v[2:3]
	s_lshl_b32 s88, s9, 3
	s_cmp_gt_u32 s35, 31
	v_cmp_gt_u64_e64 s1, s[28:29], v[0:1]
	s_cselect_b32 s89, -1, 0
	s_add_u32 s90, s35, -1
	s_addc_u32 s91, 0, -1
	s_add_u32 s92, s90, s28
	s_addc_u32 s69, s91, s29
	s_cmp_lt_u32 s6, s18
	v_add_co_u32 v16, vcc_lo, s25, v2
	s_cselect_b32 s6, 12, 18
	v_add_co_ci_u32_e64 v17, null, s33, v3, vcc_lo
	s_add_u32 s70, s16, s6
	v_lshlrev_b64 v[2:3], v33, -1
	s_addc_u32 s71, s17, 0
	s_add_i32 s7, s7, -1
	s_bfe_u32 s93, s35, 0x30005
	s_and_b32 s6, s7, 0xffff
	v_mov_b32_e32 v22, 0
	s_cmp_gt_u32 s6, 6
	s_movk_i32 s6, 0x3e0
	v_mov_b32_e32 v24, 0
	v_writelane_b32 v43, s0, 6
	v_cmp_eq_u32_e64 s0, 0, v33
	v_lshlrev_b32_e32 v20, 2, v0
	v_mov_b32_e32 v21, v19
	v_cmp_gt_u32_e64 s8, 2, v0
	v_add_nc_u32_e32 v35, 0xc00, v34
	v_not_b32_e32 v32, v2
	v_and_or_b32 v36, v0, s6, 0xc00
	v_lshlrev_b32_e32 v37, 5, v0
	v_lshl_or_b32 v38, v33, 3, 0xc00
	v_mov_b32_e32 v7, 0
	v_mov_b32_e32 v27, s31
	;; [unrolled: 1-line block ×5, first 2 shown]
	s_cselect_b32 s94, -1, 0
	s_cmp_lg_u32 s93, 0
	s_mov_b32 s65, 62
	s_cselect_b32 s95, -1, 0
	s_lshl_b32 s96, s35, 3
	s_mov_b32 s97, 0
	s_mov_b32 s99, 0
                                        ; implicit-def: $sgpr98
                                        ; implicit-def: $sgpr64
                                        ; implicit-def: $vcc_hi
                                        ; implicit-def: $sgpr60
                                        ; implicit-def: $sgpr104
                                        ; implicit-def: $sgpr50
                                        ; implicit-def: $sgpr51
                                        ; implicit-def: $sgpr61
                                        ; implicit-def: $sgpr49
                                        ; implicit-def: $sgpr48
	s_branch .LBB162_18
.LBB162_16:                             ;   in Loop: Header=BB162_18 Depth=1
	s_or_b32 exec_lo, exec_lo, s10
	v_mov_b32_e32 v26, v28
	v_mov_b32_e32 v27, v29
	s_andn2_b32 s2, s48, exec_lo
	s_and_b32 s9, s9, exec_lo
	s_andn2_b32 s49, s49, exec_lo
	s_or_b32 s48, s2, s9
	s_andn2_b32 s61, s61, exec_lo
	s_andn2_b32 s51, s51, exec_lo
	;; [unrolled: 1-line block ×3, first 2 shown]
	s_orn2_b32 s7, s7, exec_lo
.LBB162_17:                             ;   in Loop: Header=BB162_18 Depth=1
	s_or_b32 exec_lo, exec_lo, s6
	s_and_b32 s6, exec_lo, s7
	s_or_b32 s97, s6, s97
	s_andn2_b32 s6, s104, exec_lo
	s_and_b32 s7, s48, exec_lo
	s_andn2_b32 s9, s60, exec_lo
	s_or_b32 s104, s6, s7
	s_and_b32 s6, s49, exec_lo
	s_andn2_b32 s7, vcc_hi, exec_lo
	s_and_b32 s10, s61, exec_lo
	s_or_b32 s60, s9, s6
	s_or_b32 vcc_hi, s7, s10
	s_andn2_b32 s6, s64, exec_lo
	s_and_b32 s7, s51, exec_lo
	s_andn2_b32 s9, s98, exec_lo
	s_and_b32 s10, s50, exec_lo
	s_or_b32 s64, s6, s7
	s_or_b32 s98, s9, s10
	s_andn2_b32 exec_lo, exec_lo, s97
	s_cbranch_execz .LBB162_475
.LBB162_18:                             ; =>This Loop Header: Depth=1
                                        ;     Child Loop BB162_24 Depth 2
                                        ;     Child Loop BB162_37 Depth 2
	;; [unrolled: 1-line block ×24, first 2 shown]
	ds_read_b128 v[8:11], v19 offset:5120
	s_waitcnt lgkmcnt(0)
	v_readfirstlane_b32 s73, v9
	v_readfirstlane_b32 s72, v8
	s_cmp_lg_u64 s[72:73], 0
	s_cbranch_scc1 .LBB162_45
; %bb.19:                               ;   in Loop: Header=BB162_18 Depth=1
	s_and_b32 vcc_lo, exec_lo, s87
	s_cbranch_vccz .LBB162_32
; %bb.20:                               ;   in Loop: Header=BB162_18 Depth=1
	v_cmp_gt_u64_e32 vcc_lo, 0x181, v[10:11]
	s_mov_b32 s9, 0
	s_mov_b32 s6, 0
	s_cbranch_vccz .LBB162_33
; %bb.21:                               ;   in Loop: Header=BB162_18 Depth=1
	s_and_saveexec_b32 s10, s1
	s_cbranch_execz .LBB162_99
; %bb.22:                               ;   in Loop: Header=BB162_18 Depth=1
	global_load_ushort v5, v19, s[70:71]
	global_load_dwordx2 v[3:4], v[16:17], off
	v_mov_b32_e32 v9, v1
	v_mov_b32_e32 v8, v0
	s_mov_b32 s11, 0
	s_waitcnt vmcnt(1)
	v_and_b32_e32 v5, 0xffff, v5
	s_branch .LBB162_24
.LBB162_23:                             ;   in Loop: Header=BB162_24 Depth=2
	s_or_b32 exec_lo, exec_lo, s7
	v_mov_b32_e32 v3, v10
	v_mov_b32_e32 v4, v11
	s_andn2_b32 exec_lo, exec_lo, s11
	s_cbranch_execz .LBB162_99
.LBB162_24:                             ;   Parent Loop BB162_18 Depth=1
                                        ; =>  This Inner Loop Header: Depth=2
	v_add_co_u32 v8, vcc_lo, v8, v5
	v_mov_b32_e32 v10, 0
	v_add_co_ci_u32_e64 v9, null, 0, v9, vcc_lo
	v_mov_b32_e32 v11, 0
	s_mov_b32 s7, exec_lo
	v_cmp_le_u64_e32 vcc_lo, s[28:29], v[8:9]
	v_cmpx_gt_u64_e64 s[28:29], v[8:9]
	s_cbranch_execz .LBB162_26
; %bb.25:                               ;   in Loop: Header=BB162_24 Depth=2
	s_waitcnt lgkmcnt(0)
	v_mul_lo_u32 v12, v9, s26
	v_mul_lo_u32 v13, v8, s27
	v_mad_u64_u32 v[10:11], null, v8, s26, 0
	v_add3_u32 v11, v11, v13, v12
	v_lshlrev_b64 v[10:11], 3, v[10:11]
	v_add_co_u32 v10, s6, s25, v10
	v_add_co_ci_u32_e64 v11, null, s33, v11, s6
	global_load_dwordx2 v[10:11], v[10:11], off
.LBB162_26:                             ;   in Loop: Header=BB162_24 Depth=2
	s_or_b32 exec_lo, exec_lo, s7
	s_waitcnt vmcnt(0) lgkmcnt(0)
	v_xor_b32_e32 v12, 0x80000000, v4
	v_and_b32_e32 v13, v12, v25
	v_and_b32_e32 v12, v3, v24
	v_cmp_eq_u64_e64 s6, v[12:13], v[22:23]
	v_mov_b32_e32 v12, 0
	s_cmp_lg_u32 s6, 0
	s_cselect_b32 s7, -1, 0
	s_and_b32 s7, s0, s7
	s_and_saveexec_b32 s12, s7
	s_cbranch_execz .LBB162_30
; %bb.27:                               ;   in Loop: Header=BB162_24 Depth=2
	s_mov_b32 s15, exec_lo
	s_bcnt1_i32_b32 s13, s6
	v_mbcnt_lo_u32_b32 v12, s15, 0
	s_mov_b32 s14, exec_lo
                                        ; implicit-def: $vgpr13
	v_cmpx_eq_u32_e32 0, v12
; %bb.28:                               ;   in Loop: Header=BB162_24 Depth=2
	s_bcnt1_i32_b32 s7, s15
	s_mul_i32 s7, s13, s7
	v_mov_b32_e32 v13, s7
	ds_add_rtn_u32 v13, v19, v13 offset:5144
; %bb.29:                               ;   in Loop: Header=BB162_24 Depth=2
	s_or_b32 exec_lo, exec_lo, s14
	s_waitcnt lgkmcnt(0)
	v_readfirstlane_b32 s7, v13
	v_mad_u32_u24 v12, s13, v12, s7
.LBB162_30:                             ;   in Loop: Header=BB162_24 Depth=2
	s_or_b32 exec_lo, exec_lo, s12
	ds_bpermute_b32 v12, v19, v12
	s_and_b32 s7, exec_lo, vcc_lo
	s_or_b32 s11, s7, s11
	s_and_saveexec_b32 s7, s6
	s_cbranch_execz .LBB162_23
; %bb.31:                               ;   in Loop: Header=BB162_24 Depth=2
	v_and_b32_e32 v13, s6, v32
	v_bcnt_u32_b32 v13, v13, 0
	v_lshlrev_b32_e32 v13, 3, v13
	s_waitcnt lgkmcnt(0)
	v_lshl_add_u32 v12, v12, 3, v13
	ds_write_b64 v12, v[3:4]
	s_branch .LBB162_23
.LBB162_32:                             ;   in Loop: Header=BB162_18 Depth=1
	s_mov_b32 s9, -1
	s_mov_b32 s6, 0
.LBB162_33:                             ;   in Loop: Header=BB162_18 Depth=1
	s_and_b32 vcc_lo, exec_lo, s9
	s_cbranch_vccz .LBB162_43
.LBB162_34:                             ;   in Loop: Header=BB162_18 Depth=1
	s_and_saveexec_b32 s6, s1
	s_cbranch_execz .LBB162_40
; %bb.35:                               ;   in Loop: Header=BB162_18 Depth=1
	global_load_ushort v5, v19, s[70:71]
	global_load_dwordx2 v[3:4], v[16:17], off
	v_mov_b32_e32 v8, v0
	s_mov_b32 s7, exec_lo
	s_waitcnt vmcnt(1)
	v_and_b32_e32 v5, 0xffff, v5
	v_add_nc_u32_e32 v18, v5, v0
	v_cmpx_gt_u64_e64 s[28:29], v[18:19]
	s_cbranch_execz .LBB162_39
; %bb.36:                               ;   in Loop: Header=BB162_18 Depth=1
	v_mov_b32_e32 v10, v18
	v_mov_b32_e32 v9, v1
	;; [unrolled: 1-line block ×4, first 2 shown]
	s_mov_b32 s9, 0
	s_inst_prefetch 0x1
	.p2align	6
.LBB162_37:                             ;   Parent Loop BB162_18 Depth=1
                                        ; =>  This Inner Loop Header: Depth=2
	v_mov_b32_e32 v15, v11
	v_mov_b32_e32 v14, v10
	v_lshlrev_b32_e32 v8, 3, v8
	v_mul_lo_u32 v11, v15, s26
	v_mul_lo_u32 v12, v14, s27
	v_mad_u64_u32 v[9:10], null, v14, s26, 0
	s_waitcnt vmcnt(0)
	ds_write_b64 v8, v[3:4]
	v_add3_u32 v10, v10, v12, v11
	v_lshlrev_b64 v[9:10], 3, v[9:10]
	v_add_co_u32 v9, vcc_lo, s25, v9
	v_add_co_ci_u32_e64 v10, null, s33, v10, vcc_lo
	global_load_dwordx2 v[12:13], v[9:10], off
	v_add_co_u32 v10, vcc_lo, v14, v5
	v_add_co_ci_u32_e64 v11, null, 0, v15, vcc_lo
	v_mov_b32_e32 v8, v14
	v_mov_b32_e32 v9, v15
	v_cmp_le_u64_e32 vcc_lo, s[28:29], v[10:11]
	s_or_b32 s9, vcc_lo, s9
	s_waitcnt vmcnt(0)
	v_mov_b32_e32 v3, v12
	v_mov_b32_e32 v4, v13
	s_andn2_b32 exec_lo, exec_lo, s9
	s_cbranch_execnz .LBB162_37
; %bb.38:                               ;   in Loop: Header=BB162_18 Depth=1
	s_inst_prefetch 0x2
	s_or_b32 exec_lo, exec_lo, s9
	v_mov_b32_e32 v3, v12
	v_sub_nc_u32_e32 v8, v10, v5
	v_mov_b32_e32 v4, v13
.LBB162_39:                             ;   in Loop: Header=BB162_18 Depth=1
	s_or_b32 exec_lo, exec_lo, s7
	v_lshlrev_b32_e32 v5, 3, v8
	s_waitcnt vmcnt(0)
	ds_write_b64 v5, v[3:4]
.LBB162_40:                             ;   in Loop: Header=BB162_18 Depth=1
	s_or_b32 exec_lo, exec_lo, s6
	s_waitcnt lgkmcnt(0)
	s_barrier
	buffer_gl0_inv
	s_and_saveexec_b32 s6, s3
; %bb.41:                               ;   in Loop: Header=BB162_18 Depth=1
	v_mov_b32_e32 v3, s28
	v_mov_b32_e32 v4, s29
	ds_write_b64 v19, v[3:4] offset:5120
; %bb.42:                               ;   in Loop: Header=BB162_18 Depth=1
	s_or_b32 exec_lo, exec_lo, s6
	s_mov_b32 s6, -1
	s_waitcnt lgkmcnt(0)
	s_barrier
.LBB162_43:                             ;   in Loop: Header=BB162_18 Depth=1
	s_and_b32 vcc_lo, exec_lo, s6
	s_mov_b64 s[72:73], 0
	s_cbranch_vccz .LBB162_45
; %bb.44:                               ;   in Loop: Header=BB162_18 Depth=1
	buffer_gl0_inv
	ds_read_b64 v[3:4], v19 offset:5120
	s_waitcnt lgkmcnt(0)
	v_readfirstlane_b32 s72, v3
.LBB162_45:                             ;   in Loop: Header=BB162_18 Depth=1
	s_cmp_lt_i32 s72, 1
	s_mov_b32 s6, -1
                                        ; implicit-def: $vgpr14_vgpr15
                                        ; implicit-def: $vgpr10_vgpr11
	s_cbranch_scc1 .LBB162_55
; %bb.46:                               ;   in Loop: Header=BB162_18 Depth=1
	s_and_b32 vcc_lo, exec_lo, s6
	s_cbranch_vccnz .LBB162_69
.LBB162_47:                             ;   in Loop: Header=BB162_18 Depth=1
	s_lshl_b32 s6, s99, 7
	s_and_saveexec_b32 s7, s0
	s_cbranch_execz .LBB162_49
.LBB162_48:                             ;   in Loop: Header=BB162_18 Depth=1
	v_lshl_add_u32 v3, s6, 3, v36
	ds_write_b128 v3, v[8:11]
	ds_write_b128 v3, v[12:15] offset:16
.LBB162_49:                             ;   in Loop: Header=BB162_18 Depth=1
	s_or_b32 exec_lo, exec_lo, s7
	s_waitcnt lgkmcnt(0)
	s_barrier
	buffer_gl0_inv
	s_and_saveexec_b32 s7, s86
	s_cbranch_execz .LBB162_83
; %bb.50:                               ;   in Loop: Header=BB162_18 Depth=1
	v_mov_b32_e32 v3, 0
	v_mov_b32_e32 v4, 0
	s_andn2_b32 vcc_lo, exec_lo, s89
	s_cbranch_vccnz .LBB162_82
; %bb.51:                               ;   in Loop: Header=BB162_18 Depth=1
	v_mov_b32_e32 v3, 0
	v_mov_b32_e32 v4, 0
	s_andn2_b32 vcc_lo, exec_lo, s94
	s_cbranch_vccnz .LBB162_79
; %bb.52:                               ;   in Loop: Header=BB162_18 Depth=1
	v_lshl_add_u32 v5, s99, 10, v38
	s_mov_b32 s9, 0
	s_inst_prefetch 0x1
	.p2align	6
.LBB162_53:                             ;   Parent Loop BB162_18 Depth=1
                                        ; =>  This Inner Loop Header: Depth=2
	ds_read2_b64 v[8:11], v5 offset1:4
	ds_read2_b64 v[12:15], v5 offset0:8 offset1:12
	ds_read2_b64 v[28:31], v5 offset0:16 offset1:20
	s_add_i32 s9, s9, 8
	s_cmp_eq_u32 s88, s9
	s_waitcnt lgkmcnt(2)
	v_add_co_u32 v3, vcc_lo, v8, v3
	v_add_co_ci_u32_e64 v4, null, v9, v4, vcc_lo
	v_add_co_u32 v3, vcc_lo, v10, v3
	v_add_co_ci_u32_e64 v4, null, v11, v4, vcc_lo
	ds_read2_b64 v[8:11], v5 offset0:24 offset1:28
	s_waitcnt lgkmcnt(2)
	v_add_co_u32 v3, vcc_lo, v12, v3
	v_add_co_ci_u32_e64 v4, null, v13, v4, vcc_lo
	v_add_nc_u32_e32 v5, 0x100, v5
	v_add_co_u32 v3, vcc_lo, v14, v3
	v_add_co_ci_u32_e64 v4, null, v15, v4, vcc_lo
	s_waitcnt lgkmcnt(1)
	v_add_co_u32 v3, vcc_lo, v28, v3
	v_add_co_ci_u32_e64 v4, null, v29, v4, vcc_lo
	v_add_co_u32 v3, vcc_lo, v30, v3
	v_add_co_ci_u32_e64 v4, null, v31, v4, vcc_lo
	s_waitcnt lgkmcnt(0)
	v_add_co_u32 v3, vcc_lo, v8, v3
	v_add_co_ci_u32_e64 v4, null, v9, v4, vcc_lo
	v_add_co_u32 v3, vcc_lo, v10, v3
	v_add_co_ci_u32_e64 v4, null, v11, v4, vcc_lo
	s_cbranch_scc0 .LBB162_53
; %bb.54:                               ;   in Loop: Header=BB162_18 Depth=1
	s_inst_prefetch 0x2
	s_mov_b32 s9, s88
	s_andn2_b32 vcc_lo, exec_lo, s95
	s_cbranch_vccz .LBB162_80
	s_branch .LBB162_82
.LBB162_55:                             ;   in Loop: Header=BB162_18 Depth=1
	global_load_ushort v5, v19, s[70:71]
	s_mov_b32 s7, s29
	s_waitcnt vmcnt(0)
	v_readfirstlane_b32 s6, v5
	s_and_b32 s9, 0xffff, s6
	s_mov_b32 s6, s67
	s_lshl_b32 s54, s9, 2
	s_cmp_lg_u64 s[6:7], 0
	s_cbranch_scc0 .LBB162_78
; %bb.56:                               ;   in Loop: Header=BB162_18 Depth=1
	v_cvt_f32_u32_e32 v3, s54
	s_sub_u32 s9, 0, s54
	s_subb_u32 s10, 0, 0
	v_fmac_f32_e64 v3, 0x4f800000, 0
	v_rcp_f32_e32 v3, v3
	v_mul_f32_e32 v3, 0x5f7ffffc, v3
	v_mul_f32_e32 v4, 0x2f800000, v3
	v_trunc_f32_e32 v4, v4
	v_fmac_f32_e32 v3, 0xcf800000, v4
	v_cvt_u32_f32_e32 v4, v4
	v_cvt_u32_f32_e32 v3, v3
	v_readfirstlane_b32 s6, v4
	v_readfirstlane_b32 s7, v3
	s_mul_i32 s11, s9, s6
	s_mul_hi_u32 s13, s9, s7
	s_mul_i32 s12, s10, s7
	s_add_i32 s11, s13, s11
	s_mul_i32 s14, s9, s7
	s_add_i32 s11, s11, s12
	s_mul_hi_u32 s13, s7, s14
	s_mul_i32 s16, s7, s11
	s_mul_hi_u32 s15, s6, s14
	s_mul_i32 s12, s6, s14
	s_mul_hi_u32 s14, s7, s11
	s_add_u32 s13, s13, s16
	s_addc_u32 s14, 0, s14
	s_mul_hi_u32 s17, s6, s11
	s_add_u32 s12, s13, s12
	s_mul_i32 s11, s6, s11
	s_addc_u32 s12, s14, s15
	s_addc_u32 s13, s17, 0
	s_add_u32 s11, s12, s11
	s_addc_u32 s12, 0, s13
	s_add_u32 s7, s7, s11
	s_cselect_b32 s11, -1, 0
	s_mul_hi_u32 s13, s9, s7
	s_cmp_lg_u32 s11, 0
	s_mul_i32 s11, s9, s7
	s_addc_u32 s6, s6, s12
	s_mul_i32 s10, s10, s7
	s_mul_i32 s9, s9, s6
	s_mul_hi_u32 s12, s7, s11
	s_add_i32 s9, s13, s9
	s_mul_hi_u32 s13, s6, s11
	s_add_i32 s9, s9, s10
	s_mul_i32 s10, s6, s11
	s_mul_i32 s15, s7, s9
	s_mul_hi_u32 s14, s7, s9
	s_add_u32 s12, s12, s15
	s_addc_u32 s14, 0, s14
	s_mul_hi_u32 s11, s6, s9
	s_add_u32 s10, s12, s10
	s_mul_i32 s9, s6, s9
	s_addc_u32 s10, s14, s13
	s_addc_u32 s11, s11, 0
	s_add_u32 s9, s10, s9
	s_addc_u32 s10, 0, s11
	s_add_u32 s7, s7, s9
	s_cselect_b32 s9, -1, 0
	s_mul_hi_u32 s11, s28, s7
	s_cmp_lg_u32 s9, 0
	s_mul_hi_u32 s9, s29, s7
	s_addc_u32 s6, s6, s10
	s_mul_i32 s7, s29, s7
	s_mul_i32 s12, s28, s6
	s_mul_hi_u32 s10, s28, s6
	s_add_u32 s11, s11, s12
	s_addc_u32 s10, 0, s10
	s_mul_hi_u32 s13, s29, s6
	s_add_u32 s7, s11, s7
	s_mul_i32 s6, s29, s6
	s_addc_u32 s7, s10, s9
	s_addc_u32 s9, s13, 0
	s_add_u32 s6, s7, s6
	s_addc_u32 s7, 0, s9
	s_mul_hi_u32 s9, s54, s6
	s_mul_i32 s7, s54, s7
	s_mul_i32 s6, s54, s6
	s_add_i32 s9, s9, s7
	s_sub_u32 s6, s28, s6
	s_cselect_b32 s7, -1, 0
	s_cmp_lg_u32 s7, 0
	s_subb_u32 s7, s29, s9
	s_sub_u32 s9, s6, s54
	s_cselect_b32 s10, -1, 0
	s_cmp_lg_u32 s10, 0
	s_subb_u32 s10, s7, 0
	;; [unrolled: 4-line block ×3, first 2 shown]
	s_cmp_ge_u32 s9, s54
	s_cselect_b32 s13, -1, 0
	s_cmp_eq_u32 s10, 0
	s_cselect_b32 s13, s13, -1
	s_cmp_lg_u32 s13, 0
	s_cselect_b32 s10, s12, s10
	s_cselect_b32 s9, s11, s9
	s_cmp_ge_u32 s6, s54
	s_cselect_b32 s11, -1, 0
	s_cmp_eq_u32 s7, 0
	s_cselect_b32 s11, s11, -1
	s_cmp_lg_u32 s11, 0
	s_cselect_b32 s7, s10, s7
	s_cselect_b32 s6, s9, s6
	s_cbranch_execnz .LBB162_58
.LBB162_57:                             ;   in Loop: Header=BB162_18 Depth=1
	v_cvt_f32_u32_e32 v3, s54
	s_sub_i32 s7, 0, s54
	v_rcp_iflag_f32_e32 v3, v3
	v_mul_f32_e32 v3, 0x4f7ffffe, v3
	v_cvt_u32_f32_e32 v3, v3
	v_readfirstlane_b32 s6, v3
	s_mul_i32 s7, s7, s6
	s_mul_hi_u32 s7, s6, s7
	s_add_i32 s6, s6, s7
	s_mul_hi_u32 s6, s28, s6
	s_mul_i32 s6, s6, s54
	s_sub_i32 s6, s28, s6
	s_sub_i32 s7, s6, s54
	s_cmp_ge_u32 s6, s54
	s_cselect_b32 s6, s7, s6
	s_sub_i32 s7, s6, s54
	s_cmp_ge_u32 s6, s54
	s_cselect_b32 s66, s7, s6
	s_mov_b64 s[6:7], s[66:67]
.LBB162_58:                             ;   in Loop: Header=BB162_18 Depth=1
	v_mov_b32_e32 v8, 0
	v_mov_b32_e32 v10, 0
	;; [unrolled: 1-line block ×8, first 2 shown]
	s_sub_u32 s74, s28, s6
	s_subb_u32 s75, s29, s7
	s_mov_b32 s44, exec_lo
	v_cmpx_gt_u64_e64 s[74:75], v[20:21]
	s_cbranch_execz .LBB162_62
; %bb.59:                               ;   in Loop: Header=BB162_18 Depth=1
	v_mov_b32_e32 v3, v20
	v_mov_b32_e32 v4, v21
	s_mov_b64 s[76:77], 0
	s_mov_b32 s45, 0
	s_mov_b64 s[78:79], 0
	s_mov_b64 s[80:81], 0
	;; [unrolled: 1-line block ×3, first 2 shown]
.LBB162_60:                             ;   Parent Loop BB162_18 Depth=1
                                        ; =>  This Inner Loop Header: Depth=2
	v_mul_lo_u32 v10, v4, s26
	v_mul_lo_u32 v11, v3, s27
	v_mad_u64_u32 v[8:9], null, v3, s26, 0
	s_lshl_b64 s[10:11], s[26:27], 3
	v_add3_u32 v9, v9, v11, v10
	v_lshlrev_b64 v[8:9], 3, v[8:9]
	v_add_co_u32 v8, vcc_lo, s25, v8
	v_add_co_ci_u32_e64 v9, null, s33, v9, vcc_lo
	v_add_co_u32 v10, vcc_lo, v8, s10
	v_add_co_ci_u32_e64 v11, null, s11, v9, vcc_lo
	global_load_dwordx2 v[8:9], v[8:9], off
	s_waitcnt vmcnt(0)
	v_xor_b32_e32 v9, 0x80000000, v9
	v_and_b32_e32 v12, v8, v24
	v_and_b32_e32 v13, v9, v25
	v_lshrrev_b64 v[8:9], s65, v[8:9]
	v_cmp_eq_u64_e32 vcc_lo, v[12:13], v[22:23]
	v_and_b32_e32 v18, 3, v8
	v_add_co_u32 v8, s6, v10, s10
	v_add_co_ci_u32_e64 v9, null, s11, v11, s6
	global_load_dwordx2 v[10:11], v[10:11], off
	v_cmp_eq_u64_e64 s22, 0, v[18:19]
	v_cmp_eq_u64_e64 s23, 1, v[18:19]
	s_and_b32 s22, vcc_lo, s22
	s_waitcnt vmcnt(0)
	v_xor_b32_e32 v11, 0x80000000, v11
	v_and_b32_e32 v12, v10, v24
	v_and_b32_e32 v13, v11, v25
	v_lshrrev_b64 v[10:11], s65, v[10:11]
	v_mov_b32_e32 v11, v19
	v_cmp_eq_u64_e64 s6, v[12:13], v[22:23]
	v_add_co_u32 v12, s7, v8, s10
	v_add_co_ci_u32_e64 v13, null, s11, v9, s7
	global_load_dwordx2 v[8:9], v[8:9], off
	v_and_b32_e32 v10, 3, v10
	v_cmp_eq_u64_e64 s9, 0, v[10:11]
	v_cmp_eq_u64_e64 s10, 1, v[10:11]
	;; [unrolled: 1-line block ×4, first 2 shown]
	global_load_dwordx2 v[10:11], v[12:13], off
	s_and_b32 s9, s6, s9
	s_waitcnt vmcnt(1)
	v_xor_b32_e32 v9, 0x80000000, v9
	v_and_b32_e32 v14, v8, v24
	v_and_b32_e32 v15, v9, v25
	v_lshrrev_b64 v[8:9], s65, v[8:9]
	v_mov_b32_e32 v9, v19
	s_waitcnt vmcnt(0)
	v_xor_b32_e32 v11, 0x80000000, v11
	v_cmp_eq_u64_e64 s7, v[14:15], v[22:23]
	v_and_b32_e32 v8, 3, v8
	v_and_b32_e32 v12, v10, v24
	;; [unrolled: 1-line block ×3, first 2 shown]
	v_cmp_eq_u64_e64 s14, 0, v[8:9]
	v_cmp_eq_u64_e64 s15, 1, v[8:9]
	;; [unrolled: 1-line block ×4, first 2 shown]
	v_lshrrev_b64 v[8:9], s65, v[10:11]
	v_mov_b32_e32 v9, v19
	v_cmp_eq_u64_e64 s13, v[12:13], v[22:23]
	s_and_b32 s14, s7, s14
	v_and_b32_e32 v8, 3, v8
	v_cmp_eq_u64_e64 s18, 0, v[8:9]
	v_cmp_eq_u64_e64 s19, 1, v[8:9]
	;; [unrolled: 1-line block ×4, first 2 shown]
	v_cndmask_b32_e64 v8, 0, 1, s22
	s_and_b32 s18, s13, s18
	v_cmp_ne_u32_e64 s22, 0, v8
	v_cndmask_b32_e64 v8, 0, 1, s9
	s_bcnt1_i32_b32 s22, s22
	v_cmp_ne_u32_e64 s9, 0, v8
	v_cndmask_b32_e64 v8, 0, 1, s14
	s_bcnt1_i32_b32 s9, s9
	v_cmp_ne_u32_e64 s14, 0, v8
	v_cndmask_b32_e64 v8, 0, 1, s18
	s_add_i32 s9, s9, s22
	s_bcnt1_i32_b32 s14, s14
	v_cmp_ne_u32_e64 s18, 0, v8
	s_add_i32 s9, s9, s14
	s_bcnt1_i32_b32 s14, s18
	v_cmp_eq_u64_e64 s18, 2, v[18:19]
	s_add_i32 s9, s9, s14
	s_add_u32 s82, s82, s9
	s_addc_u32 s83, s83, 0
	s_and_b32 s9, vcc_lo, s23
	s_and_b32 s10, s6, s10
	v_cndmask_b32_e64 v8, 0, 1, s9
	s_and_b32 s14, s7, s15
	s_and_b32 s15, s13, s19
	v_cmp_ne_u32_e64 s9, 0, v8
	v_cndmask_b32_e64 v8, 0, 1, s10
	s_bcnt1_i32_b32 s9, s9
	v_cmp_ne_u32_e64 s10, 0, v8
	v_cndmask_b32_e64 v8, 0, 1, s14
	s_bcnt1_i32_b32 s10, s10
	v_cmp_ne_u32_e64 s14, 0, v8
	v_cndmask_b32_e64 v8, 0, 1, s15
	s_add_i32 s9, s10, s9
	s_bcnt1_i32_b32 s14, s14
	v_cmp_ne_u32_e64 s15, 0, v8
	s_add_i32 s9, s9, s14
	s_bcnt1_i32_b32 s15, s15
	s_add_i32 s9, s9, s15
	v_cmp_eq_u64_e64 s15, 3, v[18:19]
	s_add_u32 s80, s80, s9
	s_addc_u32 s81, s81, 0
	s_and_b32 s9, vcc_lo, s18
	s_and_b32 s10, s6, s11
	v_cndmask_b32_e64 v8, 0, 1, s9
	s_and_b32 s11, s7, s16
	s_and_b32 s14, s13, s20
	v_mov_b32_e32 v10, s80
	v_mov_b32_e32 v11, s81
	v_cmp_ne_u32_e64 s9, 0, v8
	v_cndmask_b32_e64 v8, 0, 1, s10
	s_bcnt1_i32_b32 s9, s9
	v_cmp_ne_u32_e64 s10, 0, v8
	v_cndmask_b32_e64 v8, 0, 1, s11
	s_bcnt1_i32_b32 s10, s10
	v_cmp_ne_u32_e64 s11, 0, v8
	v_cndmask_b32_e64 v8, 0, 1, s14
	s_add_i32 s9, s10, s9
	v_add_co_u32 v3, s10, v3, s54
	s_bcnt1_i32_b32 s11, s11
	v_cmp_ne_u32_e64 s14, 0, v8
	s_add_i32 s9, s9, s11
	v_add_co_ci_u32_e64 v4, null, 0, v4, s10
	s_bcnt1_i32_b32 s14, s14
	s_add_i32 s9, s9, s14
	v_cmp_le_u64_e64 s10, s[74:75], v[3:4]
	s_add_u32 s78, s78, s9
	s_addc_u32 s79, s79, 0
	s_and_b32 s9, vcc_lo, s15
	s_and_b32 s6, s6, s12
	v_cndmask_b32_e64 v8, 0, 1, s9
	s_and_b32 s7, s7, s17
	s_and_b32 s9, s13, s21
	v_mov_b32_e32 v12, s78
	v_mov_b32_e32 v13, s79
	v_cmp_ne_u32_e32 vcc_lo, 0, v8
	v_cndmask_b32_e64 v8, 0, 1, s6
	s_bcnt1_i32_b32 s11, vcc_lo
	v_cmp_ne_u32_e64 s6, 0, v8
	v_cndmask_b32_e64 v8, 0, 1, s7
	s_bcnt1_i32_b32 s6, s6
	v_cmp_ne_u32_e64 s7, 0, v8
	v_cndmask_b32_e64 v8, 0, 1, s9
	s_add_i32 s6, s6, s11
	s_bcnt1_i32_b32 s7, s7
	v_cmp_ne_u32_e64 s9, 0, v8
	s_add_i32 s6, s6, s7
	v_mov_b32_e32 v8, s82
	v_mov_b32_e32 v9, s83
	s_bcnt1_i32_b32 s9, s9
	s_add_i32 s6, s6, s9
	s_add_u32 s76, s76, s6
	s_addc_u32 s77, s77, 0
	v_mov_b32_e32 v14, s76
	v_mov_b32_e32 v15, s77
	s_or_b32 s45, s10, s45
	s_andn2_b32 exec_lo, exec_lo, s45
	s_cbranch_execnz .LBB162_60
; %bb.61:                               ;   in Loop: Header=BB162_18 Depth=1
	s_or_b32 exec_lo, exec_lo, s45
.LBB162_62:                             ;   in Loop: Header=BB162_18 Depth=1
	s_or_b32 exec_lo, exec_lo, s44
	v_add_co_u32 v3, s6, s74, v0
	v_and_b32_e32 v5, 0xffff, v5
	v_add_co_ci_u32_e64 v4, null, s75, 0, s6
	s_mov_b32 s11, exec_lo
	v_cmpx_gt_u64_e64 s[28:29], v[3:4]
	s_cbranch_execz .LBB162_68
; %bb.63:                               ;   in Loop: Header=BB162_18 Depth=1
	v_mul_lo_u32 v18, v4, s26
	v_mul_lo_u32 v30, v3, s27
	v_mad_u64_u32 v[28:29], null, v3, s26, 0
	s_mov_b32 s12, 0
	v_add3_u32 v29, v29, v30, v18
	v_lshlrev_b64 v[28:29], 3, v[28:29]
	v_add_co_u32 v28, vcc_lo, s25, v28
	v_add_co_ci_u32_e64 v29, null, s33, v29, vcc_lo
	global_load_dwordx2 v[30:31], v[28:29], off
	s_branch .LBB162_65
.LBB162_64:                             ;   in Loop: Header=BB162_65 Depth=2
	s_or_b32 exec_lo, exec_lo, s7
	s_waitcnt vmcnt(0)
	v_xor_b32_e32 v31, 0x80000000, v31
	s_and_b32 s9, exec_lo, vcc_lo
	s_or_b32 s12, s9, s12
	v_lshrrev_b64 v[39:40], s65, v[30:31]
	v_and_b32_e32 v30, v30, v24
	v_and_b32_e32 v31, v31, v25
	;; [unrolled: 1-line block ×3, first 2 shown]
	v_cmp_eq_u64_e64 s6, v[30:31], v[22:23]
	v_cmp_eq_u64_e64 s7, 0, v[18:19]
	v_cmp_eq_u64_e32 vcc_lo, 1, v[18:19]
	v_cmp_eq_u64_e64 s9, 2, v[18:19]
	v_cmp_eq_u64_e64 s10, 3, v[18:19]
	s_and_b32 s7, s6, s7
	v_cndmask_b32_e64 v18, 0, 1, s7
	s_and_b32 s7, s6, vcc_lo
	v_cndmask_b32_e64 v30, 0, 1, s7
	s_and_b32 s7, s6, s9
	s_and_b32 s6, s6, s10
	v_cndmask_b32_e64 v31, 0, 1, s7
	v_cmp_ne_u32_e32 vcc_lo, 0, v18
	v_cndmask_b32_e64 v39, 0, 1, s6
	v_cmp_ne_u32_e64 s6, 0, v30
	v_cmp_ne_u32_e64 s7, 0, v31
	s_bcnt1_i32_b32 s10, vcc_lo
	v_cmp_ne_u32_e64 s9, 0, v39
	s_bcnt1_i32_b32 s6, s6
	v_add_co_u32 v8, vcc_lo, v8, s10
	s_bcnt1_i32_b32 s7, s7
	v_add_co_ci_u32_e64 v9, null, 0, v9, vcc_lo
	v_add_co_u32 v10, vcc_lo, v10, s6
	v_add_co_ci_u32_e64 v11, null, 0, v11, vcc_lo
	v_add_co_u32 v12, vcc_lo, v12, s7
	s_bcnt1_i32_b32 s6, s9
	v_add_co_ci_u32_e64 v13, null, 0, v13, vcc_lo
	v_add_co_u32 v14, vcc_lo, v14, s6
	v_mov_b32_e32 v31, v29
	v_add_co_ci_u32_e64 v15, null, 0, v15, vcc_lo
	v_mov_b32_e32 v30, v28
	s_andn2_b32 exec_lo, exec_lo, s12
	s_cbranch_execz .LBB162_67
.LBB162_65:                             ;   Parent Loop BB162_18 Depth=1
                                        ; =>  This Inner Loop Header: Depth=2
	v_add_co_u32 v3, vcc_lo, v3, v5
	v_mov_b32_e32 v28, 0
	v_add_co_ci_u32_e64 v4, null, 0, v4, vcc_lo
	v_mov_b32_e32 v29, 0
	s_mov_b32 s7, exec_lo
	v_cmp_le_u64_e32 vcc_lo, s[28:29], v[3:4]
	v_cmpx_gt_u64_e64 s[28:29], v[3:4]
	s_cbranch_execz .LBB162_64
; %bb.66:                               ;   in Loop: Header=BB162_65 Depth=2
	v_mul_lo_u32 v18, v4, s26
	v_mul_lo_u32 v39, v3, s27
	v_mad_u64_u32 v[28:29], null, v3, s26, 0
	v_add3_u32 v29, v29, v39, v18
	v_lshlrev_b64 v[28:29], 3, v[28:29]
	v_add_co_u32 v28, s6, s25, v28
	v_add_co_ci_u32_e64 v29, null, s33, v29, s6
	global_load_dwordx2 v[28:29], v[28:29], off
	s_branch .LBB162_64
.LBB162_67:                             ;   in Loop: Header=BB162_18 Depth=1
	s_or_b32 exec_lo, exec_lo, s12
.LBB162_68:                             ;   in Loop: Header=BB162_18 Depth=1
	s_or_b32 exec_lo, exec_lo, s11
	s_branch .LBB162_47
.LBB162_69:                             ;   in Loop: Header=BB162_18 Depth=1
	global_load_ushort v5, v19, s[70:71]
	v_mov_b32_e32 v8, 0
	v_mov_b32_e32 v10, 0
	;; [unrolled: 1-line block ×8, first 2 shown]
	s_mov_b32 s46, exec_lo
	s_waitcnt vmcnt(0)
	v_readfirstlane_b32 s6, v5
	s_and_b32 s44, 0xffff, s6
	s_lshl_b32 s45, s44, 2
	v_cvt_f32_u32_e32 v3, s45
	s_sub_i32 s7, 0, s45
	v_rcp_iflag_f32_e32 v3, v3
	v_mul_f32_e32 v3, 0x4f7ffffe, v3
	v_cvt_u32_f32_e32 v3, v3
	v_readfirstlane_b32 s6, v3
	s_mul_i32 s7, s7, s6
	s_mul_hi_u32 s7, s6, s7
	s_add_i32 s6, s6, s7
	s_mul_hi_u32 s6, s72, s6
	s_mul_i32 s7, s6, s45
	s_add_i32 s9, s6, 1
	s_sub_i32 s7, s72, s7
	s_sub_i32 s10, s7, s45
	s_cmp_ge_u32 s7, s45
	s_cselect_b32 s6, s9, s6
	s_cselect_b32 s7, s10, s7
	s_add_i32 s9, s6, 1
	s_cmp_ge_u32 s7, s45
	s_cselect_b32 s6, s9, s6
	s_mul_hi_u32 s75, s44, s6
	s_mul_i32 s74, s44, s6
	s_lshl_b64 s[76:77], s[74:75], 2
	v_cmpx_gt_u64_e64 s[76:77], v[20:21]
	s_cbranch_execz .LBB162_73
; %bb.70:                               ;   in Loop: Header=BB162_18 Depth=1
	v_mov_b32_e32 v3, v20
	v_mov_b32_e32 v28, v37
	;; [unrolled: 1-line block ×3, first 2 shown]
	s_lshl_b32 s47, s44, 5
	s_mov_b64 s[78:79], 0
	s_mov_b32 s54, 0
	s_mov_b64 s[80:81], 0
	s_mov_b64 s[82:83], 0
	;; [unrolled: 1-line block ×3, first 2 shown]
.LBB162_71:                             ;   Parent Loop BB162_18 Depth=1
                                        ; =>  This Inner Loop Header: Depth=2
	ds_read_b128 v[8:11], v28
	s_waitcnt lgkmcnt(0)
	v_xor_b32_e32 v9, 0x80000000, v9
	v_xor_b32_e32 v11, 0x80000000, v11
	v_and_b32_e32 v12, v8, v24
	v_and_b32_e32 v14, v10, v24
	v_lshrrev_b64 v[29:30], s65, v[8:9]
	v_and_b32_e32 v13, v9, v25
	v_and_b32_e32 v15, v11, v25
	v_lshrrev_b64 v[30:31], s65, v[10:11]
	ds_read_b128 v[8:11], v28 offset:16
	v_add_nc_u32_e32 v28, s47, v28
	v_and_b32_e32 v18, 3, v29
	v_cmp_eq_u64_e32 vcc_lo, v[12:13], v[22:23]
	v_cmp_eq_u64_e64 s6, v[14:15], v[22:23]
	v_cmp_eq_u64_e64 s22, 0, v[18:19]
	;; [unrolled: 1-line block ×3, first 2 shown]
	s_and_b32 s22, vcc_lo, s22
	s_waitcnt lgkmcnt(0)
	v_xor_b32_e32 v9, 0x80000000, v9
	v_xor_b32_e32 v11, 0x80000000, v11
	v_and_b32_e32 v39, v8, v24
	v_and_b32_e32 v41, v10, v24
	;; [unrolled: 1-line block ×3, first 2 shown]
	v_lshrrev_b64 v[8:9], s65, v[8:9]
	v_lshrrev_b64 v[9:10], s65, v[10:11]
	v_and_b32_e32 v42, v11, v25
	v_and_b32_e32 v10, 3, v30
	v_mov_b32_e32 v11, v19
	v_cmp_eq_u64_e64 s7, v[39:40], v[22:23]
	v_cmp_eq_u64_e64 s9, v[41:42], v[22:23]
	;; [unrolled: 1-line block ×6, first 2 shown]
	v_and_b32_e32 v10, 3, v8
	v_and_b32_e32 v8, 3, v9
	v_mov_b32_e32 v9, v19
	s_and_b32 s10, s6, s10
	v_cmp_eq_u64_e64 s14, 0, v[10:11]
	v_cmp_eq_u64_e64 s15, 1, v[10:11]
	;; [unrolled: 1-line block ×6, first 2 shown]
	v_cndmask_b32_e64 v8, 0, 1, s22
	s_and_b32 s14, s7, s14
	s_and_b32 s18, s9, s18
	v_cmp_eq_u64_e64 s16, 2, v[10:11]
	v_cmp_eq_u64_e64 s17, 3, v[10:11]
	v_cmp_ne_u32_e64 s22, 0, v8
	v_cndmask_b32_e64 v8, 0, 1, s10
	s_bcnt1_i32_b32 s22, s22
	v_cmp_ne_u32_e64 s10, 0, v8
	v_cndmask_b32_e64 v8, 0, 1, s14
	s_bcnt1_i32_b32 s10, s10
	v_cmp_ne_u32_e64 s14, 0, v8
	v_cndmask_b32_e64 v8, 0, 1, s18
	s_add_i32 s10, s10, s22
	s_bcnt1_i32_b32 s14, s14
	v_cmp_ne_u32_e64 s18, 0, v8
	s_add_i32 s10, s10, s14
	s_bcnt1_i32_b32 s18, s18
	s_add_i32 s10, s10, s18
	v_cmp_eq_u64_e64 s18, 2, v[18:19]
	s_add_u32 s84, s84, s10
	s_addc_u32 s85, s85, 0
	s_and_b32 s10, vcc_lo, s23
	s_and_b32 s11, s6, s11
	v_cndmask_b32_e64 v8, 0, 1, s10
	s_and_b32 s14, s7, s15
	s_and_b32 s15, s9, s19
	v_cmp_ne_u32_e64 s10, 0, v8
	v_cndmask_b32_e64 v8, 0, 1, s11
	s_bcnt1_i32_b32 s10, s10
	v_cmp_ne_u32_e64 s11, 0, v8
	v_cndmask_b32_e64 v8, 0, 1, s14
	s_bcnt1_i32_b32 s11, s11
	v_cmp_ne_u32_e64 s14, 0, v8
	v_cndmask_b32_e64 v8, 0, 1, s15
	s_add_i32 s10, s11, s10
	s_bcnt1_i32_b32 s14, s14
	v_cmp_ne_u32_e64 s15, 0, v8
	s_add_i32 s10, s10, s14
	s_bcnt1_i32_b32 s15, s15
	s_add_i32 s10, s10, s15
	v_cmp_eq_u64_e64 s15, 3, v[18:19]
	s_add_u32 s82, s82, s10
	s_addc_u32 s83, s83, 0
	s_and_b32 s10, vcc_lo, s18
	s_and_b32 s11, s6, s12
	v_cndmask_b32_e64 v8, 0, 1, s10
	s_and_b32 s12, s7, s16
	s_and_b32 s14, s9, s20
	v_mov_b32_e32 v10, s82
	v_mov_b32_e32 v11, s83
	v_cmp_ne_u32_e64 s10, 0, v8
	v_cndmask_b32_e64 v8, 0, 1, s11
	s_bcnt1_i32_b32 s10, s10
	v_cmp_ne_u32_e64 s11, 0, v8
	v_cndmask_b32_e64 v8, 0, 1, s12
	s_bcnt1_i32_b32 s11, s11
	v_cmp_ne_u32_e64 s12, 0, v8
	v_cndmask_b32_e64 v8, 0, 1, s14
	s_add_i32 s10, s11, s10
	s_bcnt1_i32_b32 s12, s12
	v_cmp_ne_u32_e64 s14, 0, v8
	s_add_i32 s10, s10, s12
	s_bcnt1_i32_b32 s14, s14
	s_add_i32 s10, s10, s14
	s_add_u32 s80, s80, s10
	s_addc_u32 s81, s81, 0
	s_and_b32 s10, vcc_lo, s15
	s_and_b32 s6, s6, s13
	v_cndmask_b32_e64 v8, 0, 1, s10
	s_and_b32 s7, s7, s17
	s_and_b32 s9, s9, s21
	v_add_co_u32 v3, s10, v3, s45
	v_cmp_ne_u32_e32 vcc_lo, 0, v8
	v_cndmask_b32_e64 v8, 0, 1, s6
	v_add_co_ci_u32_e64 v4, null, 0, v4, s10
	v_mov_b32_e32 v12, s80
	s_bcnt1_i32_b32 s11, vcc_lo
	v_cmp_ne_u32_e64 s6, 0, v8
	v_cndmask_b32_e64 v8, 0, 1, s7
	v_cmp_le_u64_e64 s10, s[76:77], v[3:4]
	v_mov_b32_e32 v13, s81
	s_bcnt1_i32_b32 s6, s6
	v_cmp_ne_u32_e64 s7, 0, v8
	v_cndmask_b32_e64 v8, 0, 1, s9
	s_add_i32 s6, s6, s11
	s_bcnt1_i32_b32 s7, s7
	v_cmp_ne_u32_e64 s9, 0, v8
	s_add_i32 s6, s6, s7
	v_mov_b32_e32 v8, s84
	v_mov_b32_e32 v9, s85
	s_bcnt1_i32_b32 s9, s9
	s_add_i32 s6, s6, s9
	s_add_u32 s78, s78, s6
	s_addc_u32 s79, s79, 0
	v_mov_b32_e32 v14, s78
	v_mov_b32_e32 v15, s79
	s_or_b32 s54, s10, s54
	s_andn2_b32 exec_lo, exec_lo, s54
	s_cbranch_execnz .LBB162_71
; %bb.72:                               ;   in Loop: Header=BB162_18 Depth=1
	s_or_b32 exec_lo, exec_lo, s54
.LBB162_73:                             ;   in Loop: Header=BB162_18 Depth=1
	s_or_b32 exec_lo, exec_lo, s46
	v_add_co_u32 v3, s6, s76, v0
	v_and_b32_e32 v5, 0xffff, v5
	v_add_co_ci_u32_e64 v4, null, s77, 0, s6
	s_and_b32 s66, s72, 0x7fffffff
	s_mov_b32 s12, exec_lo
	v_cmpx_gt_u64_e64 s[66:67], v[3:4]
	s_cbranch_execz .LBB162_77
; %bb.74:                               ;   in Loop: Header=BB162_18 Depth=1
	v_lshl_add_u32 v28, s74, 5, v34
	s_lshl_b32 s14, s44, 3
	s_mov_b32 s13, 0
.LBB162_75:                             ;   Parent Loop BB162_18 Depth=1
                                        ; =>  This Inner Loop Header: Depth=2
	ds_read_b64 v[29:30], v28
	v_add_co_u32 v3, vcc_lo, v3, v5
	v_add_co_ci_u32_e64 v4, null, 0, v4, vcc_lo
	v_add_nc_u32_e32 v28, s14, v28
	v_cmp_le_u64_e32 vcc_lo, s[66:67], v[3:4]
	s_waitcnt lgkmcnt(0)
	v_xor_b32_e32 v30, 0x80000000, v30
	v_and_b32_e32 v39, v29, v24
	v_and_b32_e32 v40, v30, v25
	v_lshrrev_b64 v[29:30], s65, v[29:30]
	v_cmp_eq_u64_e64 s6, v[39:40], v[22:23]
	v_and_b32_e32 v18, 3, v29
	v_cmp_eq_u64_e64 s7, 0, v[18:19]
	v_cmp_eq_u64_e64 s9, 1, v[18:19]
	;; [unrolled: 1-line block ×4, first 2 shown]
	s_and_b32 s7, s6, s7
	v_cndmask_b32_e64 v18, 0, 1, s7
	s_and_b32 s7, s6, s9
	v_cndmask_b32_e64 v29, 0, 1, s7
	s_and_b32 s7, s6, s10
	s_and_b32 s6, s6, s11
	v_cndmask_b32_e64 v30, 0, 1, s7
	v_cndmask_b32_e64 v31, 0, 1, s6
	v_cmp_ne_u32_e64 s6, 0, v18
	v_cmp_ne_u32_e64 s7, 0, v29
	;; [unrolled: 1-line block ×4, first 2 shown]
	s_bcnt1_i32_b32 s6, s6
	s_bcnt1_i32_b32 s7, s7
	v_add_co_u32 v8, s6, v8, s6
	s_bcnt1_i32_b32 s9, s9
	v_add_co_ci_u32_e64 v9, null, 0, v9, s6
	v_add_co_u32 v10, s6, v10, s7
	s_bcnt1_i32_b32 s10, s10
	v_add_co_ci_u32_e64 v11, null, 0, v11, s6
	v_add_co_u32 v12, s6, v12, s9
	v_add_co_ci_u32_e64 v13, null, 0, v13, s6
	v_add_co_u32 v14, s6, v14, s10
	v_add_co_ci_u32_e64 v15, null, 0, v15, s6
	s_or_b32 s13, vcc_lo, s13
	s_andn2_b32 exec_lo, exec_lo, s13
	s_cbranch_execnz .LBB162_75
; %bb.76:                               ;   in Loop: Header=BB162_18 Depth=1
	s_or_b32 exec_lo, exec_lo, s13
.LBB162_77:                             ;   in Loop: Header=BB162_18 Depth=1
	s_or_b32 exec_lo, exec_lo, s12
	s_lshl_b32 s6, s99, 7
	s_and_saveexec_b32 s7, s0
	s_cbranch_execnz .LBB162_48
	s_branch .LBB162_49
.LBB162_78:                             ;   in Loop: Header=BB162_18 Depth=1
                                        ; implicit-def: $sgpr6_sgpr7
	s_branch .LBB162_57
.LBB162_79:                             ;   in Loop: Header=BB162_18 Depth=1
	s_mov_b32 s9, 0
	s_andn2_b32 vcc_lo, exec_lo, s95
	s_cbranch_vccnz .LBB162_82
.LBB162_80:                             ;   in Loop: Header=BB162_18 Depth=1
	s_lshl_b32 s10, s99, 10
	s_lshl_b32 s9, s9, 5
	v_add3_u32 v5, s10, s9, v38
	s_mov_b32 s9, s93
.LBB162_81:                             ;   Parent Loop BB162_18 Depth=1
                                        ; =>  This Inner Loop Header: Depth=2
	ds_read_b64 v[8:9], v5
	v_add_nc_u32_e32 v5, 32, v5
	s_add_i32 s9, s9, -1
	s_cmp_lg_u32 s9, 0
	s_waitcnt lgkmcnt(0)
	v_add_co_u32 v3, vcc_lo, v8, v3
	v_add_co_ci_u32_e64 v4, null, v9, v4, vcc_lo
	s_cbranch_scc1 .LBB162_81
.LBB162_82:                             ;   in Loop: Header=BB162_18 Depth=1
	v_add_lshl_u32 v5, s6, v33, 3
	ds_write_b64 v5, v[3:4] offset:3072
.LBB162_83:                             ;   in Loop: Header=BB162_18 Depth=1
	s_or_b32 exec_lo, exec_lo, s7
	s_lshl_b32 s6, s6, 3
	s_waitcnt lgkmcnt(0)
	v_mov_b32_e32 v3, s6
	s_barrier
	buffer_gl0_inv
	v_cmp_eq_u64_e64 s7, 1, v[26:27]
	s_lshl_b64 s[12:13], 3, s65
	ds_read_b128 v[8:11], v3 offset:3072
	ds_read_b128 v[12:15], v3 offset:3088
	s_mov_b32 s78, -1
	s_not_b64 s[14:15], s[12:13]
	s_mov_b32 s9, 0
	s_andn2_b32 vcc_lo, exec_lo, s57
	s_mov_b32 s75, 0
	s_mov_b32 s74, 0
                                        ; implicit-def: $sgpr76
                                        ; implicit-def: $sgpr77
                                        ; implicit-def: $vgpr28_vgpr29
                                        ; implicit-def: $vgpr39
	s_waitcnt lgkmcnt(1)
	v_readfirstlane_b32 s11, v9
	v_readfirstlane_b32 s10, v8
	;; [unrolled: 1-line block ×4, first 2 shown]
	s_waitcnt lgkmcnt(0)
	v_readfirstlane_b32 s19, v13
	v_readfirstlane_b32 s18, v12
	;; [unrolled: 1-line block ×4, first 2 shown]
                                        ; implicit-def: $vgpr14_vgpr15
                                        ; implicit-def: $vgpr12_vgpr13
                                        ; implicit-def: $vgpr10_vgpr11
	s_cbranch_vccnz .LBB162_278
; %bb.84:                               ;   in Loop: Header=BB162_18 Depth=1
	s_cmp_eq_u64 s[10:11], 1
	v_mov_b32_e32 v14, v22
	v_mov_b32_e32 v12, v24
	;; [unrolled: 1-line block ×6, first 2 shown]
	s_cselect_b32 s6, -1, 0
	s_mov_b32 s22, -1
	s_and_b32 s6, s6, s7
                                        ; implicit-def: $sgpr77
                                        ; implicit-def: $sgpr76
	s_and_saveexec_b32 s54, s6
	s_cbranch_execz .LBB162_119
; %bb.85:                               ;   in Loop: Header=BB162_18 Depth=1
	ds_read_b64 v[3:4], v19 offset:5120
	s_waitcnt lgkmcnt(0)
	s_barrier
	buffer_gl0_inv
	v_readfirstlane_b32 s22, v3
	v_readfirstlane_b32 s23, v4
	s_and_saveexec_b32 s44, s8
; %bb.86:                               ;   in Loop: Header=BB162_18 Depth=1
	v_mov_b32_e32 v18, v19
	ds_write_b64 v35, v[18:19]
; %bb.87:                               ;   in Loop: Header=BB162_18 Depth=1
	s_or_b32 exec_lo, exec_lo, s44
	v_and_b32_e32 v15, s15, v23
	v_and_b32_e32 v14, s14, v22
	v_or_b32_e32 v13, s13, v25
	v_or_b32_e32 v12, s12, v24
	s_mov_b32 s76, -1
	s_mov_b32 s77, 0
	s_cmp_eq_u64 s[22:23], 0
	s_mov_b32 s44, 0
	s_mov_b32 s45, -1
	s_waitcnt lgkmcnt(0)
	s_barrier
	buffer_gl0_inv
                                        ; implicit-def: $vgpr10_vgpr11
	s_cbranch_scc1 .LBB162_104
; %bb.88:                               ;   in Loop: Header=BB162_18 Depth=1
	s_add_u32 s44, s22, s90
	s_addc_u32 s73, s23, s91
	s_mov_b32 s72, s67
	s_cmp_lg_u64 s[72:73], 0
	s_cbranch_scc0 .LBB162_145
; %bb.89:                               ;   in Loop: Header=BB162_18 Depth=1
	v_cvt_f32_u32_e32 v3, s35
	s_sub_u32 s36, 0, s35
	s_subb_u32 s37, 0, 0
	v_fmac_f32_e64 v3, 0x4f800000, 0
	v_rcp_f32_e32 v3, v3
	v_mul_f32_e32 v3, 0x5f7ffffc, v3
	v_mul_f32_e32 v4, 0x2f800000, v3
	v_trunc_f32_e32 v4, v4
	v_fmac_f32_e32 v3, 0xcf800000, v4
	v_cvt_u32_f32_e32 v4, v4
	v_cvt_u32_f32_e32 v3, v3
	v_readfirstlane_b32 s2, v4
	v_readfirstlane_b32 s24, v3
	s_mul_i32 s38, s36, s2
	s_mul_hi_u32 s45, s36, s24
	s_mul_i32 s39, s37, s24
	s_add_i32 s38, s45, s38
	s_mul_i32 s46, s36, s24
	s_add_i32 s38, s38, s39
	s_mul_hi_u32 s45, s24, s46
	s_mul_i32 s55, s24, s38
	s_mul_hi_u32 s47, s2, s46
	s_mul_i32 s39, s2, s46
	s_mul_hi_u32 s46, s24, s38
	s_add_u32 s45, s45, s55
	s_addc_u32 s46, 0, s46
	s_mul_hi_u32 s56, s2, s38
	s_add_u32 s39, s45, s39
	s_mul_i32 s38, s2, s38
	s_addc_u32 s39, s46, s47
	s_addc_u32 s45, s56, 0
	s_add_u32 s38, s39, s38
	s_addc_u32 s39, 0, s45
	s_add_u32 s24, s24, s38
	s_cselect_b32 s38, -1, 0
	s_mul_hi_u32 s45, s36, s24
	s_cmp_lg_u32 s38, 0
	s_mul_i32 s38, s36, s24
	s_addc_u32 s2, s2, s39
	s_mul_i32 s37, s37, s24
	s_mul_i32 s36, s36, s2
	s_mul_hi_u32 s39, s24, s38
	s_add_i32 s36, s45, s36
	s_mul_hi_u32 s45, s2, s38
	s_add_i32 s36, s36, s37
	s_mul_i32 s37, s2, s38
	s_mul_i32 s47, s24, s36
	s_mul_hi_u32 s46, s24, s36
	s_add_u32 s39, s39, s47
	s_addc_u32 s46, 0, s46
	s_mul_hi_u32 s38, s2, s36
	s_add_u32 s37, s39, s37
	s_mul_i32 s36, s2, s36
	s_addc_u32 s37, s46, s45
	s_addc_u32 s38, s38, 0
	s_add_u32 s36, s37, s36
	s_addc_u32 s37, 0, s38
	s_add_u32 s24, s24, s36
	s_cselect_b32 s36, -1, 0
	s_mul_hi_u32 s38, s44, s24
	s_cmp_lg_u32 s36, 0
	s_mul_hi_u32 s36, s73, s24
	s_addc_u32 s2, s2, s37
	s_mul_i32 s24, s73, s24
	s_mul_i32 s39, s44, s2
	s_mul_hi_u32 s37, s44, s2
	s_add_u32 s38, s38, s39
	s_addc_u32 s37, 0, s37
	s_mul_hi_u32 s45, s73, s2
	s_add_u32 s24, s38, s24
	s_mul_i32 s2, s73, s2
	s_addc_u32 s24, s37, s36
	s_addc_u32 s36, s45, 0
	s_add_u32 s2, s24, s2
	s_addc_u32 s24, 0, s36
	s_mul_hi_u32 s36, s35, s2
	s_mul_i32 s24, s35, s24
	s_mul_i32 s2, s35, s2
	s_add_i32 s36, s36, s24
	s_sub_u32 s2, s44, s2
	s_cselect_b32 s24, -1, 0
	s_cmp_lg_u32 s24, 0
	s_subb_u32 s24, s73, s36
	s_sub_u32 s36, s2, s35
	s_cselect_b32 s37, -1, 0
	s_cmp_lg_u32 s37, 0
	s_subb_u32 s37, s24, 0
	s_sub_u32 s38, s36, s35
	s_cselect_b32 s39, -1, 0
	s_cmp_lg_u32 s39, 0
	s_subb_u32 s39, s37, 0
	s_cmp_ge_u32 s36, s35
	s_cselect_b32 s45, -1, 0
	s_cmp_eq_u32 s37, 0
	s_cselect_b32 s45, s45, -1
	s_cmp_lg_u32 s45, 0
	s_cselect_b32 s37, s39, s37
	s_cselect_b32 s36, s38, s36
	s_cmp_ge_u32 s2, s35
	s_cselect_b32 s38, -1, 0
	s_cmp_eq_u32 s24, 0
	s_cselect_b32 s38, s38, -1
	s_cmp_lg_u32 s38, 0
	s_cselect_b32 s75, s37, s24
	s_cselect_b32 s74, s36, s2
	s_cbranch_execnz .LBB162_91
.LBB162_90:                             ;   in Loop: Header=BB162_18 Depth=1
	v_cvt_f32_u32_e32 v3, s35
	s_sub_i32 s24, 0, s35
	v_rcp_iflag_f32_e32 v3, v3
	v_mul_f32_e32 v3, 0x4f7ffffe, v3
	v_cvt_u32_f32_e32 v3, v3
	v_readfirstlane_b32 s2, v3
	s_mul_i32 s24, s24, s2
	s_mul_hi_u32 s24, s2, s24
	s_add_i32 s2, s2, s24
	s_mul_hi_u32 s2, s44, s2
	s_mul_i32 s2, s2, s35
	s_sub_i32 s2, s44, s2
	s_sub_i32 s24, s2, s35
	s_cmp_ge_u32 s2, s35
	s_cselect_b32 s2, s24, s2
	s_sub_i32 s24, s2, s35
	s_cmp_ge_u32 s2, s35
	s_cselect_b32 s66, s24, s2
	s_mov_b64 s[74:75], s[66:67]
.LBB162_91:                             ;   in Loop: Header=BB162_18 Depth=1
	s_sub_u32 s72, s44, s74
	s_subb_u32 s73, s73, s75
	s_mov_b32 s45, 0
	s_mov_b32 s44, 0
	s_mov_b32 s46, exec_lo
                                        ; implicit-def: $vgpr10_vgpr11
	v_cmpx_gt_u64_e64 s[72:73], v[0:1]
	s_cbranch_execz .LBB162_103
; %bb.92:                               ;   in Loop: Header=BB162_18 Depth=1
	v_mov_b32_e32 v29, v1
	v_mov_b32_e32 v18, v34
	;; [unrolled: 1-line block ×3, first 2 shown]
                                        ; implicit-def: $sgpr47
	s_inst_prefetch 0x1
	s_branch .LBB162_95
	.p2align	6
.LBB162_93:                             ;   in Loop: Header=BB162_95 Depth=2
	s_or_b32 exec_lo, exec_lo, s55
	s_waitcnt lgkmcnt(0)
	s_barrier
	buffer_gl0_inv
	ds_read_b128 v[8:11], v19 offset:3072
	s_mov_b32 s55, -1
	s_mov_b32 s62, -1
	s_waitcnt lgkmcnt(0)
	s_barrier
	buffer_gl0_inv
	v_cmp_ne_u64_e32 vcc_lo, 0, v[8:9]
	s_cbranch_vccz .LBB162_98
.LBB162_94:                             ;   in Loop: Header=BB162_95 Depth=2
	s_and_b32 s2, exec_lo, s55
	s_or_b32 s44, s2, s44
	s_andn2_b32 s2, s47, exec_lo
	s_and_b32 s24, s62, exec_lo
	s_or_b32 s47, s2, s24
	s_andn2_b32 exec_lo, exec_lo, s44
	s_cbranch_execz .LBB162_102
.LBB162_95:                             ;   Parent Loop BB162_18 Depth=1
                                        ; =>  This Inner Loop Header: Depth=2
	s_mov_b32 s55, exec_lo
	v_cmpx_gt_u64_e64 s[22:23], v[28:29]
	s_cbranch_execz .LBB162_93
; %bb.96:                               ;   in Loop: Header=BB162_95 Depth=2
	ds_read_b64 v[4:5], v18
	s_waitcnt lgkmcnt(0)
	v_xor_b32_e32 v3, 0x80000000, v5
	v_and_b32_e32 v8, v4, v12
	v_and_b32_e32 v9, v3, v13
	v_cmp_eq_u64_e32 vcc_lo, v[8:9], v[14:15]
	s_and_b32 exec_lo, exec_lo, vcc_lo
	s_cbranch_execz .LBB162_93
; %bb.97:                               ;   in Loop: Header=BB162_95 Depth=2
	v_mov_b32_e32 v3, v19
	ds_write_b128 v19, v[2:5] offset:3072
	s_branch .LBB162_93
.LBB162_98:                             ;   in Loop: Header=BB162_95 Depth=2
	v_add_co_u32 v28, vcc_lo, v28, s35
	v_add_co_ci_u32_e64 v29, null, 0, v29, vcc_lo
	v_add_nc_u32_e32 v18, s96, v18
	s_mov_b32 s62, 0
	v_cmp_le_u64_e32 vcc_lo, s[72:73], v[28:29]
	s_orn2_b32 s55, vcc_lo, exec_lo
	s_branch .LBB162_94
.LBB162_99:                             ;   in Loop: Header=BB162_18 Depth=1
	s_or_b32 exec_lo, exec_lo, s10
	s_waitcnt lgkmcnt(0)
	s_barrier
	buffer_gl0_inv
	s_and_saveexec_b32 s6, s3
	s_cbranch_execz .LBB162_101
; %bb.100:                              ;   in Loop: Header=BB162_18 Depth=1
	ds_read_b32 v3, v19 offset:5144
	s_waitcnt lgkmcnt(0)
	v_ashrrev_i32_e32 v4, 31, v3
	ds_write_b64 v19, v[3:4] offset:5120
.LBB162_101:                            ;   in Loop: Header=BB162_18 Depth=1
	s_or_b32 exec_lo, exec_lo, s6
	s_waitcnt lgkmcnt(0)
	s_mov_b32 s6, -1
	s_barrier
	s_and_b32 vcc_lo, exec_lo, s9
	s_cbranch_vccnz .LBB162_34
	s_branch .LBB162_43
.LBB162_102:                            ;   in Loop: Header=BB162_18 Depth=1
	s_inst_prefetch 0x2
	s_or_b32 exec_lo, exec_lo, s44
	s_and_b32 s44, s47, exec_lo
.LBB162_103:                            ;   in Loop: Header=BB162_18 Depth=1
	s_or_b32 exec_lo, exec_lo, s46
.LBB162_104:                            ;   in Loop: Header=BB162_18 Depth=1
	s_and_b32 vcc_lo, exec_lo, s45
	s_cbranch_vccz .LBB162_118
; %bb.105:                              ;   in Loop: Header=BB162_18 Depth=1
	s_mov_b32 s68, s67
	s_cmp_lg_u64 s[68:69], 0
	s_cbranch_scc0 .LBB162_146
; %bb.106:                              ;   in Loop: Header=BB162_18 Depth=1
	v_cvt_f32_u32_e32 v3, s35
	s_sub_u32 s23, 0, s35
	s_subb_u32 s24, 0, 0
	v_fmac_f32_e64 v3, 0x4f800000, 0
	v_rcp_f32_e32 v3, v3
	v_mul_f32_e32 v3, 0x5f7ffffc, v3
	v_mul_f32_e32 v4, 0x2f800000, v3
	v_trunc_f32_e32 v4, v4
	v_fmac_f32_e32 v3, 0xcf800000, v4
	v_cvt_u32_f32_e32 v4, v4
	v_cvt_u32_f32_e32 v3, v3
	v_readfirstlane_b32 s2, v4
	v_readfirstlane_b32 s22, v3
	s_mul_i32 s36, s23, s2
	s_mul_hi_u32 s38, s23, s22
	s_mul_i32 s37, s24, s22
	s_add_i32 s36, s38, s36
	s_mul_i32 s39, s23, s22
	s_add_i32 s36, s36, s37
	s_mul_hi_u32 s38, s22, s39
	s_mul_i32 s46, s22, s36
	s_mul_hi_u32 s45, s2, s39
	s_mul_i32 s37, s2, s39
	s_mul_hi_u32 s39, s22, s36
	s_add_u32 s38, s38, s46
	s_addc_u32 s39, 0, s39
	s_mul_hi_u32 s47, s2, s36
	s_add_u32 s37, s38, s37
	s_mul_i32 s36, s2, s36
	s_addc_u32 s37, s39, s45
	s_addc_u32 s38, s47, 0
	s_add_u32 s36, s37, s36
	s_addc_u32 s37, 0, s38
	s_add_u32 s22, s22, s36
	s_cselect_b32 s36, -1, 0
	s_mul_hi_u32 s38, s23, s22
	s_cmp_lg_u32 s36, 0
	s_mul_i32 s36, s23, s22
	s_addc_u32 s2, s2, s37
	s_mul_i32 s24, s24, s22
	s_mul_i32 s23, s23, s2
	s_mul_hi_u32 s37, s22, s36
	s_add_i32 s23, s38, s23
	s_mul_hi_u32 s38, s2, s36
	s_add_i32 s23, s23, s24
	s_mul_i32 s24, s2, s36
	s_mul_i32 s45, s22, s23
	s_mul_hi_u32 s39, s22, s23
	s_add_u32 s37, s37, s45
	s_addc_u32 s39, 0, s39
	s_mul_hi_u32 s36, s2, s23
	s_add_u32 s24, s37, s24
	s_mul_i32 s23, s2, s23
	s_addc_u32 s24, s39, s38
	s_addc_u32 s36, s36, 0
	s_add_u32 s23, s24, s23
	s_addc_u32 s24, 0, s36
	s_add_u32 s22, s22, s23
	s_cselect_b32 s23, -1, 0
	s_mul_hi_u32 s36, s92, s22
	s_cmp_lg_u32 s23, 0
	s_mul_hi_u32 s23, s69, s22
	s_addc_u32 s2, s2, s24
	s_mul_i32 s22, s69, s22
	s_mul_i32 s37, s92, s2
	s_mul_hi_u32 s24, s92, s2
	s_add_u32 s36, s36, s37
	s_addc_u32 s24, 0, s24
	s_mul_hi_u32 s38, s69, s2
	s_add_u32 s22, s36, s22
	s_mul_i32 s2, s69, s2
	s_addc_u32 s22, s24, s23
	s_addc_u32 s23, s38, 0
	s_add_u32 s2, s22, s2
	s_addc_u32 s22, 0, s23
	s_mul_hi_u32 s23, s35, s2
	s_mul_i32 s22, s35, s22
	s_mul_i32 s2, s35, s2
	s_add_i32 s23, s23, s22
	s_sub_u32 s2, s92, s2
	s_cselect_b32 s22, -1, 0
	s_cmp_lg_u32 s22, 0
	s_subb_u32 s22, s69, s23
	s_sub_u32 s23, s2, s35
	s_cselect_b32 s24, -1, 0
	s_cmp_lg_u32 s24, 0
	s_subb_u32 s24, s22, 0
	;; [unrolled: 4-line block ×3, first 2 shown]
	s_cmp_ge_u32 s23, s35
	s_cselect_b32 s38, -1, 0
	s_cmp_eq_u32 s24, 0
	s_cselect_b32 s38, s38, -1
	s_cmp_lg_u32 s38, 0
	s_cselect_b32 s24, s37, s24
	s_cselect_b32 s36, s36, s23
	s_cmp_ge_u32 s2, s35
	s_cselect_b32 s23, -1, 0
	s_cmp_eq_u32 s22, 0
	s_cselect_b32 s23, s23, -1
	s_cmp_lg_u32 s23, 0
	s_cselect_b32 s23, s24, s22
	s_cselect_b32 s22, s36, s2
	s_cbranch_execnz .LBB162_108
.LBB162_107:                            ;   in Loop: Header=BB162_18 Depth=1
	v_cvt_f32_u32_e32 v3, s35
	s_sub_i32 s22, 0, s35
	v_rcp_iflag_f32_e32 v3, v3
	v_mul_f32_e32 v3, 0x4f7ffffe, v3
	v_cvt_u32_f32_e32 v3, v3
	v_readfirstlane_b32 s2, v3
	s_mul_i32 s22, s22, s2
	s_mul_hi_u32 s22, s2, s22
	s_add_i32 s2, s2, s22
	s_mul_hi_u32 s2, s92, s2
	s_mul_i32 s2, s2, s35
	s_sub_i32 s2, s92, s2
	s_sub_i32 s22, s2, s35
	s_cmp_ge_u32 s2, s35
	s_cselect_b32 s2, s22, s2
	s_sub_i32 s22, s2, s35
	s_cmp_ge_u32 s2, s35
	s_cselect_b32 s66, s22, s2
	s_mov_b64 s[22:23], s[66:67]
.LBB162_108:                            ;   in Loop: Header=BB162_18 Depth=1
	s_sub_u32 s22, s92, s22
	s_subb_u32 s23, s69, s23
	s_mov_b32 s45, exec_lo
                                        ; implicit-def: $vgpr10_vgpr11
	v_cmpx_gt_u64_e64 s[22:23], v[0:1]
	s_cbranch_execz .LBB162_117
; %bb.109:                              ;   in Loop: Header=BB162_18 Depth=1
	v_mov_b32_e32 v29, v1
	v_mov_b32_e32 v28, v0
	s_mov_b32 s47, 0
                                        ; implicit-def: $sgpr46
	s_branch .LBB162_112
.LBB162_110:                            ;   in Loop: Header=BB162_112 Depth=2
	s_or_b32 exec_lo, exec_lo, s55
	s_waitcnt lgkmcnt(0)
	s_barrier
	buffer_gl0_inv
	ds_read_b128 v[8:11], v19 offset:3072
	s_mov_b32 s62, -1
	s_mov_b32 s55, -1
	s_waitcnt lgkmcnt(0)
	s_barrier
	buffer_gl0_inv
	v_cmp_ne_u64_e32 vcc_lo, 0, v[8:9]
	s_cbranch_vccz .LBB162_115
.LBB162_111:                            ;   in Loop: Header=BB162_112 Depth=2
	s_and_b32 s2, exec_lo, s62
	s_or_b32 s47, s2, s47
	s_andn2_b32 s2, s46, exec_lo
	s_and_b32 s24, s55, exec_lo
	s_or_b32 s46, s2, s24
	s_andn2_b32 exec_lo, exec_lo, s47
	s_cbranch_execz .LBB162_116
.LBB162_112:                            ;   Parent Loop BB162_18 Depth=1
                                        ; =>  This Inner Loop Header: Depth=2
	s_mov_b32 s55, exec_lo
	v_cmpx_gt_u64_e64 s[28:29], v[28:29]
	s_cbranch_execz .LBB162_110
; %bb.113:                              ;   in Loop: Header=BB162_112 Depth=2
	v_mul_lo_u32 v5, v29, s26
	v_mul_lo_u32 v8, v28, s27
	v_mad_u64_u32 v[3:4], null, v28, s26, 0
	v_add3_u32 v4, v4, v8, v5
	v_lshlrev_b64 v[3:4], 3, v[3:4]
	v_add_co_u32 v3, vcc_lo, s25, v3
	v_add_co_ci_u32_e64 v4, null, s33, v4, vcc_lo
	global_load_dwordx2 v[4:5], v[3:4], off
	s_waitcnt vmcnt(0)
	v_xor_b32_e32 v3, 0x80000000, v5
	v_and_b32_e32 v8, v4, v12
	v_and_b32_e32 v9, v3, v13
	v_cmp_eq_u64_e32 vcc_lo, v[8:9], v[14:15]
	s_and_b32 exec_lo, exec_lo, vcc_lo
	s_cbranch_execz .LBB162_110
; %bb.114:                              ;   in Loop: Header=BB162_112 Depth=2
	v_mov_b32_e32 v3, v19
	ds_write_b128 v19, v[2:5] offset:3072
	s_branch .LBB162_110
.LBB162_115:                            ;   in Loop: Header=BB162_112 Depth=2
	v_add_co_u32 v28, vcc_lo, v28, s35
	v_add_co_ci_u32_e64 v29, null, 0, v29, vcc_lo
	s_mov_b32 s55, 0
	v_cmp_le_u64_e32 vcc_lo, s[22:23], v[28:29]
	s_orn2_b32 s62, vcc_lo, exec_lo
	s_branch .LBB162_111
.LBB162_116:                            ;   in Loop: Header=BB162_18 Depth=1
	s_or_b32 exec_lo, exec_lo, s47
	s_andn2_b32 s2, s44, exec_lo
	s_and_b32 s22, s46, exec_lo
	s_or_b32 s44, s2, s22
.LBB162_117:                            ;   in Loop: Header=BB162_18 Depth=1
	s_or_b32 exec_lo, exec_lo, s45
	s_mov_b32 s76, 0
	s_mov_b32 s77, -1
.LBB162_118:                            ;   in Loop: Header=BB162_18 Depth=1
	s_orn2_b32 s22, s44, exec_lo
.LBB162_119:                            ;   in Loop: Header=BB162_18 Depth=1
	s_or_b32 exec_lo, exec_lo, s54
	s_mov_b32 s78, 0
	s_mov_b32 s75, 0
	;; [unrolled: 1-line block ×3, first 2 shown]
                                        ; implicit-def: $vgpr28_vgpr29
                                        ; implicit-def: $vgpr39
	s_and_saveexec_b32 s79, s22
	s_cbranch_execz .LBB162_277
; %bb.120:                              ;   in Loop: Header=BB162_18 Depth=1
	v_mov_b32_e32 v28, 1
	v_mov_b32_e32 v29, 0
	v_mov_b32_e32 v39, 1
	s_xor_b32 s2, s6, -1
	s_mov_b32 s23, 0
	s_and_saveexec_b32 s6, s2
	s_cbranch_execz .LBB162_129
; %bb.121:                              ;   in Loop: Header=BB162_18 Depth=1
	s_mov_b32 s2, exec_lo
	v_cmpx_ge_u64_e64 s[10:11], v[26:27]
	s_xor_b32 s22, exec_lo, s2
	s_cbranch_execz .LBB162_126
; %bb.122:                              ;   in Loop: Header=BB162_18 Depth=1
	ds_read_b64 v[3:4], v19 offset:5120
	v_and_b32_e32 v15, s15, v15
	v_and_b32_e32 v14, s14, v14
	v_or_b32_e32 v13, s13, v13
	v_or_b32_e32 v12, s12, v12
	s_waitcnt lgkmcnt(0)
	v_cmp_ne_u64_e32 vcc_lo, 0, v[3:4]
	s_cbranch_vccnz .LBB162_126
; %bb.123:                              ;   in Loop: Header=BB162_18 Depth=1
	s_and_saveexec_b32 s23, s3
; %bb.124:                              ;   in Loop: Header=BB162_18 Depth=1
	v_mov_b32_e32 v3, s10
	v_mov_b32_e32 v4, s11
	ds_write_b64 v19, v[3:4] offset:5128
; %bb.125:                              ;   in Loop: Header=BB162_18 Depth=1
	s_or_b32 exec_lo, exec_lo, s23
	s_waitcnt lgkmcnt(0)
	s_barrier
	buffer_gl0_inv
.LBB162_126:                            ;   in Loop: Header=BB162_18 Depth=1
	s_or_saveexec_b32 s22, s22
	v_mov_b32_e32 v29, v27
	v_mov_b32_e32 v39, 8
	;; [unrolled: 1-line block ×3, first 2 shown]
	s_mov_b32 s23, 0
	s_xor_b32 exec_lo, exec_lo, s22
; %bb.127:                              ;   in Loop: Header=BB162_18 Depth=1
	v_sub_co_u32 v28, vcc_lo, v26, s10
	v_subrev_co_ci_u32_e64 v29, null, s11, v27, vcc_lo
	v_mov_b32_e32 v39, 0
	s_mov_b32 s23, exec_lo
; %bb.128:                              ;   in Loop: Header=BB162_18 Depth=1
	s_or_b32 exec_lo, exec_lo, s22
	s_and_b32 s23, s23, exec_lo
.LBB162_129:                            ;   in Loop: Header=BB162_18 Depth=1
	s_or_b32 exec_lo, exec_lo, s6
	s_mov_b32 s22, -1
                                        ; implicit-def: $sgpr80
                                        ; implicit-def: $sgpr81
	s_and_saveexec_b32 s2, s23
	s_xor_b32 s6, exec_lo, s2
	s_cbranch_execz .LBB162_274
; %bb.130:                              ;   in Loop: Header=BB162_18 Depth=1
	v_cmp_eq_u64_e32 vcc_lo, 1, v[28:29]
	s_cmp_eq_u64 s[16:17], 1
                                        ; implicit-def: $sgpr81
                                        ; implicit-def: $sgpr80
	s_cselect_b32 s22, -1, 0
	s_and_b32 s62, s22, vcc_lo
	s_mov_b32 s22, -1
	s_and_saveexec_b32 s54, s62
	s_cbranch_execz .LBB162_164
; %bb.131:                              ;   in Loop: Header=BB162_18 Depth=1
	ds_read_b64 v[3:4], v19 offset:5120
	s_waitcnt lgkmcnt(0)
	s_barrier
	buffer_gl0_inv
	v_readfirstlane_b32 s22, v3
	v_readfirstlane_b32 s23, v4
	s_and_saveexec_b32 s44, s8
; %bb.132:                              ;   in Loop: Header=BB162_18 Depth=1
	v_mov_b32_e32 v18, v19
	ds_write_b64 v35, v[18:19]
; %bb.133:                              ;   in Loop: Header=BB162_18 Depth=1
	s_or_b32 exec_lo, exec_lo, s44
	v_and_b32_e32 v3, s15, v15
	v_and_b32_e32 v4, s14, v14
	s_lshl_b64 s[44:45], 1, s65
	v_or_b32_e32 v13, s13, v13
	v_or_b32_e32 v12, s12, v12
	;; [unrolled: 1-line block ×4, first 2 shown]
	s_mov_b32 s80, -1
	s_mov_b32 s81, 0
	s_cmp_eq_u64 s[22:23], 0
	s_mov_b32 s44, 0
	s_mov_b32 s45, -1
	s_waitcnt lgkmcnt(0)
	s_barrier
	buffer_gl0_inv
                                        ; implicit-def: $vgpr10_vgpr11
	s_cbranch_scc1 .LBB162_149
; %bb.134:                              ;   in Loop: Header=BB162_18 Depth=1
	s_add_u32 s44, s22, s90
	s_addc_u32 s73, s23, s91
	s_mov_b32 s72, s67
	s_cmp_lg_u64 s[72:73], 0
	s_cbranch_scc0 .LBB162_190
; %bb.135:                              ;   in Loop: Header=BB162_18 Depth=1
	v_cvt_f32_u32_e32 v3, s35
	s_sub_u32 s47, 0, s35
	s_subb_u32 s55, 0, 0
	v_fmac_f32_e64 v3, 0x4f800000, 0
	v_rcp_f32_e32 v3, v3
	v_mul_f32_e32 v3, 0x5f7ffffc, v3
	v_mul_f32_e32 v4, 0x2f800000, v3
	v_trunc_f32_e32 v4, v4
	v_fmac_f32_e32 v3, 0xcf800000, v4
	v_cvt_u32_f32_e32 v4, v4
	v_cvt_u32_f32_e32 v3, v3
	v_readfirstlane_b32 s45, v4
	v_readfirstlane_b32 s46, v3
	s_mul_i32 s63, s47, s45
	s_mul_hi_u32 s68, s47, s46
	s_mul_i32 s66, s55, s46
	s_add_i32 s63, s68, s63
	s_mul_i32 s72, s47, s46
	s_add_i32 s63, s63, s66
	s_mul_hi_u32 s68, s46, s72
	s_mul_i32 s75, s46, s63
	s_mul_hi_u32 s74, s45, s72
	s_mul_i32 s66, s45, s72
	s_mul_hi_u32 s72, s46, s63
	s_add_u32 s68, s68, s75
	s_addc_u32 s72, 0, s72
	s_mul_hi_u32 s82, s45, s63
	s_add_u32 s66, s68, s66
	s_mul_i32 s63, s45, s63
	s_addc_u32 s66, s72, s74
	s_addc_u32 s68, s82, 0
	s_add_u32 s63, s66, s63
	s_addc_u32 s66, 0, s68
	s_add_u32 s46, s46, s63
	s_cselect_b32 s63, -1, 0
	s_mul_hi_u32 s68, s47, s46
	s_cmp_lg_u32 s63, 0
	s_mul_i32 s63, s47, s46
	s_addc_u32 s45, s45, s66
	s_mul_i32 s55, s55, s46
	s_mul_i32 s47, s47, s45
	s_mul_hi_u32 s66, s46, s63
	s_add_i32 s47, s68, s47
	s_mul_hi_u32 s68, s45, s63
	s_add_i32 s47, s47, s55
	s_mul_i32 s55, s45, s63
	s_mul_i32 s74, s46, s47
	s_mul_hi_u32 s72, s46, s47
	s_add_u32 s66, s66, s74
	s_addc_u32 s72, 0, s72
	s_mul_hi_u32 s63, s45, s47
	s_add_u32 s55, s66, s55
	s_mul_i32 s47, s45, s47
	s_addc_u32 s55, s72, s68
	s_addc_u32 s63, s63, 0
	s_add_u32 s47, s55, s47
	s_addc_u32 s55, 0, s63
	s_add_u32 s46, s46, s47
	s_cselect_b32 s47, -1, 0
	s_mul_hi_u32 s63, s44, s46
	s_cmp_lg_u32 s47, 0
	s_mul_hi_u32 s47, s73, s46
	s_addc_u32 s45, s45, s55
	s_mul_i32 s46, s73, s46
	s_mul_i32 s66, s44, s45
	s_mul_hi_u32 s55, s44, s45
	s_add_u32 s63, s63, s66
	s_addc_u32 s55, 0, s55
	s_mul_hi_u32 s68, s73, s45
	s_add_u32 s46, s63, s46
	s_mul_i32 s45, s73, s45
	s_addc_u32 s46, s55, s47
	s_addc_u32 s47, s68, 0
	s_add_u32 s45, s46, s45
	s_addc_u32 s46, 0, s47
	s_mul_hi_u32 s47, s35, s45
	s_mul_i32 s46, s35, s46
	s_mul_i32 s45, s35, s45
	s_add_i32 s47, s47, s46
	s_sub_u32 s45, s44, s45
	s_cselect_b32 s46, -1, 0
	s_cmp_lg_u32 s46, 0
	s_subb_u32 s46, s73, s47
	s_sub_u32 s47, s45, s35
	s_cselect_b32 s55, -1, 0
	s_cmp_lg_u32 s55, 0
	s_subb_u32 s55, s46, 0
	;; [unrolled: 4-line block ×3, first 2 shown]
	s_cmp_ge_u32 s47, s35
	s_cselect_b32 s68, -1, 0
	s_cmp_eq_u32 s55, 0
	s_cselect_b32 s68, s68, -1
	s_cmp_lg_u32 s68, 0
	s_cselect_b32 s55, s66, s55
	s_cselect_b32 s47, s63, s47
	s_cmp_ge_u32 s45, s35
	s_cselect_b32 s63, -1, 0
	s_cmp_eq_u32 s46, 0
	s_cselect_b32 s63, s63, -1
	s_cmp_lg_u32 s63, 0
	s_cselect_b32 s75, s55, s46
	s_cselect_b32 s74, s47, s45
	s_cbranch_execnz .LBB162_137
.LBB162_136:                            ;   in Loop: Header=BB162_18 Depth=1
	v_cvt_f32_u32_e32 v3, s35
	s_sub_i32 s46, 0, s35
	v_rcp_iflag_f32_e32 v3, v3
	v_mul_f32_e32 v3, 0x4f7ffffe, v3
	v_cvt_u32_f32_e32 v3, v3
	v_readfirstlane_b32 s45, v3
	s_mul_i32 s46, s46, s45
	s_mul_hi_u32 s46, s45, s46
	s_add_i32 s45, s45, s46
	s_mul_hi_u32 s45, s44, s45
	s_mul_i32 s45, s45, s35
	s_sub_i32 s45, s44, s45
	s_sub_i32 s46, s45, s35
	s_cmp_ge_u32 s45, s35
	s_cselect_b32 s45, s46, s45
	s_sub_i32 s46, s45, s35
	s_cmp_ge_u32 s45, s35
	s_cselect_b32 s66, s46, s45
	s_mov_b64 s[74:75], s[66:67]
.LBB162_137:                            ;   in Loop: Header=BB162_18 Depth=1
	s_sub_u32 s72, s44, s74
	s_subb_u32 s73, s73, s75
	s_mov_b32 s45, 0
	s_mov_b32 s44, 0
	s_mov_b32 s46, exec_lo
                                        ; implicit-def: $vgpr10_vgpr11
	v_cmpx_gt_u64_e64 s[72:73], v[0:1]
	s_cbranch_execz .LBB162_148
; %bb.138:                              ;   in Loop: Header=BB162_18 Depth=1
	v_mov_b32_e32 v31, v1
	v_mov_b32_e32 v18, v34
	;; [unrolled: 1-line block ×3, first 2 shown]
                                        ; implicit-def: $sgpr47
	s_inst_prefetch 0x1
	s_branch .LBB162_141
	.p2align	6
.LBB162_139:                            ;   in Loop: Header=BB162_141 Depth=2
	s_or_b32 exec_lo, exec_lo, s55
	s_waitcnt lgkmcnt(0)
	s_barrier
	buffer_gl0_inv
	ds_read_b128 v[8:11], v19 offset:3072
	s_mov_b32 s55, -1
	s_mov_b32 s63, -1
	s_waitcnt lgkmcnt(0)
	s_barrier
	buffer_gl0_inv
	v_cmp_ne_u64_e32 vcc_lo, 0, v[8:9]
	s_cbranch_vccz .LBB162_144
.LBB162_140:                            ;   in Loop: Header=BB162_141 Depth=2
	s_and_b32 s2, exec_lo, s55
	s_or_b32 s44, s2, s44
	s_andn2_b32 s2, s47, exec_lo
	s_and_b32 s24, s63, exec_lo
	s_or_b32 s47, s2, s24
	s_andn2_b32 exec_lo, exec_lo, s44
	s_cbranch_execz .LBB162_147
.LBB162_141:                            ;   Parent Loop BB162_18 Depth=1
                                        ; =>  This Inner Loop Header: Depth=2
	s_mov_b32 s55, exec_lo
	v_cmpx_gt_u64_e64 s[22:23], v[30:31]
	s_cbranch_execz .LBB162_139
; %bb.142:                              ;   in Loop: Header=BB162_141 Depth=2
	ds_read_b64 v[4:5], v18
	s_waitcnt lgkmcnt(0)
	v_xor_b32_e32 v3, 0x80000000, v5
	v_and_b32_e32 v8, v4, v12
	v_and_b32_e32 v9, v3, v13
	v_cmp_eq_u64_e32 vcc_lo, v[8:9], v[14:15]
	s_and_b32 exec_lo, exec_lo, vcc_lo
	s_cbranch_execz .LBB162_139
; %bb.143:                              ;   in Loop: Header=BB162_141 Depth=2
	v_mov_b32_e32 v3, v19
	ds_write_b128 v19, v[2:5] offset:3072
	s_branch .LBB162_139
.LBB162_144:                            ;   in Loop: Header=BB162_141 Depth=2
	v_add_co_u32 v30, vcc_lo, v30, s35
	v_add_co_ci_u32_e64 v31, null, 0, v31, vcc_lo
	v_add_nc_u32_e32 v18, s96, v18
	s_mov_b32 s63, 0
	v_cmp_le_u64_e32 vcc_lo, s[72:73], v[30:31]
	s_orn2_b32 s55, vcc_lo, exec_lo
	s_branch .LBB162_140
.LBB162_145:                            ;   in Loop: Header=BB162_18 Depth=1
                                        ; implicit-def: $sgpr74_sgpr75
	s_andn2_b32 vcc_lo, exec_lo, s45
	s_cbranch_vccz .LBB162_90
	s_branch .LBB162_91
.LBB162_146:                            ;   in Loop: Header=BB162_18 Depth=1
                                        ; implicit-def: $sgpr22_sgpr23
	s_branch .LBB162_107
.LBB162_147:                            ;   in Loop: Header=BB162_18 Depth=1
	s_inst_prefetch 0x2
	s_or_b32 exec_lo, exec_lo, s44
	s_and_b32 s44, s47, exec_lo
.LBB162_148:                            ;   in Loop: Header=BB162_18 Depth=1
	s_or_b32 exec_lo, exec_lo, s46
.LBB162_149:                            ;   in Loop: Header=BB162_18 Depth=1
	s_and_b32 vcc_lo, exec_lo, s45
	s_cbranch_vccz .LBB162_163
; %bb.150:                              ;   in Loop: Header=BB162_18 Depth=1
	s_mov_b32 s68, s67
	s_cmp_lg_u64 s[68:69], 0
	s_cbranch_scc0 .LBB162_191
; %bb.151:                              ;   in Loop: Header=BB162_18 Depth=1
	v_cvt_f32_u32_e32 v3, s35
	s_sub_u32 s45, 0, s35
	s_subb_u32 s46, 0, 0
	v_fmac_f32_e64 v3, 0x4f800000, 0
	v_rcp_f32_e32 v3, v3
	v_mul_f32_e32 v3, 0x5f7ffffc, v3
	v_mul_f32_e32 v4, 0x2f800000, v3
	v_trunc_f32_e32 v4, v4
	v_fmac_f32_e32 v3, 0xcf800000, v4
	v_cvt_u32_f32_e32 v4, v4
	v_cvt_u32_f32_e32 v3, v3
	v_readfirstlane_b32 s22, v4
	v_readfirstlane_b32 s23, v3
	s_mul_i32 s47, s45, s22
	s_mul_hi_u32 s63, s45, s23
	s_mul_i32 s55, s46, s23
	s_add_i32 s47, s63, s47
	s_mul_i32 s66, s45, s23
	s_add_i32 s47, s47, s55
	s_mul_hi_u32 s63, s23, s66
	s_mul_i32 s72, s23, s47
	s_mul_hi_u32 s68, s22, s66
	s_mul_i32 s55, s22, s66
	s_mul_hi_u32 s66, s23, s47
	s_add_u32 s63, s63, s72
	s_addc_u32 s66, 0, s66
	s_mul_hi_u32 s73, s22, s47
	s_add_u32 s55, s63, s55
	s_mul_i32 s47, s22, s47
	s_addc_u32 s55, s66, s68
	s_addc_u32 s63, s73, 0
	s_add_u32 s47, s55, s47
	s_addc_u32 s55, 0, s63
	s_add_u32 s23, s23, s47
	s_cselect_b32 s47, -1, 0
	s_mul_hi_u32 s63, s45, s23
	s_cmp_lg_u32 s47, 0
	s_mul_i32 s47, s45, s23
	s_addc_u32 s22, s22, s55
	s_mul_i32 s46, s46, s23
	s_mul_i32 s45, s45, s22
	s_mul_hi_u32 s55, s23, s47
	s_add_i32 s45, s63, s45
	s_mul_hi_u32 s63, s22, s47
	s_add_i32 s45, s45, s46
	s_mul_i32 s46, s22, s47
	s_mul_i32 s68, s23, s45
	s_mul_hi_u32 s66, s23, s45
	s_add_u32 s55, s55, s68
	s_addc_u32 s66, 0, s66
	s_mul_hi_u32 s47, s22, s45
	s_add_u32 s46, s55, s46
	s_mul_i32 s45, s22, s45
	s_addc_u32 s46, s66, s63
	s_addc_u32 s47, s47, 0
	s_add_u32 s45, s46, s45
	s_addc_u32 s46, 0, s47
	s_add_u32 s23, s23, s45
	s_cselect_b32 s45, -1, 0
	s_mul_hi_u32 s47, s92, s23
	s_cmp_lg_u32 s45, 0
	s_mul_hi_u32 s45, s69, s23
	s_addc_u32 s22, s22, s46
	s_mul_i32 s23, s69, s23
	s_mul_i32 s55, s92, s22
	s_mul_hi_u32 s46, s92, s22
	s_add_u32 s47, s47, s55
	s_addc_u32 s46, 0, s46
	s_mul_hi_u32 s63, s69, s22
	s_add_u32 s23, s47, s23
	s_mul_i32 s22, s69, s22
	s_addc_u32 s23, s46, s45
	s_addc_u32 s45, s63, 0
	s_add_u32 s22, s23, s22
	s_addc_u32 s23, 0, s45
	s_mul_hi_u32 s45, s35, s22
	s_mul_i32 s23, s35, s23
	s_mul_i32 s22, s35, s22
	s_add_i32 s45, s45, s23
	s_sub_u32 s22, s92, s22
	s_cselect_b32 s23, -1, 0
	s_cmp_lg_u32 s23, 0
	s_subb_u32 s23, s69, s45
	s_sub_u32 s45, s22, s35
	s_cselect_b32 s46, -1, 0
	s_cmp_lg_u32 s46, 0
	s_subb_u32 s46, s23, 0
	;; [unrolled: 4-line block ×3, first 2 shown]
	s_cmp_ge_u32 s45, s35
	s_cselect_b32 s63, -1, 0
	s_cmp_eq_u32 s46, 0
	s_cselect_b32 s63, s63, -1
	s_cmp_lg_u32 s63, 0
	s_cselect_b32 s46, s55, s46
	s_cselect_b32 s45, s47, s45
	s_cmp_ge_u32 s22, s35
	s_cselect_b32 s47, -1, 0
	s_cmp_eq_u32 s23, 0
	s_cselect_b32 s47, s47, -1
	s_cmp_lg_u32 s47, 0
	s_cselect_b32 s23, s46, s23
	s_cselect_b32 s22, s45, s22
	s_cbranch_execnz .LBB162_153
.LBB162_152:                            ;   in Loop: Header=BB162_18 Depth=1
	v_cvt_f32_u32_e32 v3, s35
	s_sub_i32 s23, 0, s35
	v_rcp_iflag_f32_e32 v3, v3
	v_mul_f32_e32 v3, 0x4f7ffffe, v3
	v_cvt_u32_f32_e32 v3, v3
	v_readfirstlane_b32 s22, v3
	s_mul_i32 s23, s23, s22
	s_mul_hi_u32 s23, s22, s23
	s_add_i32 s22, s22, s23
	s_mul_hi_u32 s22, s92, s22
	s_mul_i32 s22, s22, s35
	s_sub_i32 s22, s92, s22
	s_sub_i32 s23, s22, s35
	s_cmp_ge_u32 s22, s35
	s_cselect_b32 s22, s23, s22
	s_sub_i32 s23, s22, s35
	s_cmp_ge_u32 s22, s35
	s_cselect_b32 s66, s23, s22
	s_mov_b64 s[22:23], s[66:67]
.LBB162_153:                            ;   in Loop: Header=BB162_18 Depth=1
	s_sub_u32 s22, s92, s22
	s_subb_u32 s23, s69, s23
	s_mov_b32 s45, exec_lo
                                        ; implicit-def: $vgpr10_vgpr11
	v_cmpx_gt_u64_e64 s[22:23], v[0:1]
	s_cbranch_execz .LBB162_162
; %bb.154:                              ;   in Loop: Header=BB162_18 Depth=1
	v_mov_b32_e32 v31, v1
	v_mov_b32_e32 v30, v0
	s_mov_b32 s46, 0
                                        ; implicit-def: $sgpr47
	s_branch .LBB162_157
.LBB162_155:                            ;   in Loop: Header=BB162_157 Depth=2
	s_or_b32 exec_lo, exec_lo, s55
	s_waitcnt lgkmcnt(0)
	s_barrier
	buffer_gl0_inv
	ds_read_b128 v[8:11], v19 offset:3072
	s_mov_b32 s63, -1
	s_mov_b32 s55, -1
	s_waitcnt lgkmcnt(0)
	s_barrier
	buffer_gl0_inv
	v_cmp_eq_u64_e32 vcc_lo, 0, v[8:9]
	s_cbranch_vccnz .LBB162_160
.LBB162_156:                            ;   in Loop: Header=BB162_157 Depth=2
	s_and_b32 s2, exec_lo, s63
	s_or_b32 s46, s2, s46
	s_andn2_b32 s2, s47, exec_lo
	s_and_b32 s24, s55, exec_lo
	s_or_b32 s47, s2, s24
	s_andn2_b32 exec_lo, exec_lo, s46
	s_cbranch_execz .LBB162_161
.LBB162_157:                            ;   Parent Loop BB162_18 Depth=1
                                        ; =>  This Inner Loop Header: Depth=2
	s_mov_b32 s55, exec_lo
	v_cmpx_gt_u64_e64 s[28:29], v[30:31]
	s_cbranch_execz .LBB162_155
; %bb.158:                              ;   in Loop: Header=BB162_157 Depth=2
	v_mul_lo_u32 v5, v31, s26
	v_mul_lo_u32 v8, v30, s27
	v_mad_u64_u32 v[3:4], null, v30, s26, 0
	v_add3_u32 v4, v4, v8, v5
	v_lshlrev_b64 v[3:4], 3, v[3:4]
	v_add_co_u32 v3, vcc_lo, s25, v3
	v_add_co_ci_u32_e64 v4, null, s33, v4, vcc_lo
	global_load_dwordx2 v[4:5], v[3:4], off
	s_waitcnt vmcnt(0)
	v_xor_b32_e32 v3, 0x80000000, v5
	v_and_b32_e32 v8, v4, v12
	v_and_b32_e32 v9, v3, v13
	v_cmp_eq_u64_e32 vcc_lo, v[8:9], v[14:15]
	s_and_b32 exec_lo, exec_lo, vcc_lo
	s_cbranch_execz .LBB162_155
; %bb.159:                              ;   in Loop: Header=BB162_157 Depth=2
	v_mov_b32_e32 v3, v19
	ds_write_b128 v19, v[2:5] offset:3072
	s_branch .LBB162_155
.LBB162_160:                            ;   in Loop: Header=BB162_157 Depth=2
	v_add_co_u32 v30, vcc_lo, v30, s35
	v_add_co_ci_u32_e64 v31, null, 0, v31, vcc_lo
	s_mov_b32 s55, 0
	v_cmp_le_u64_e32 vcc_lo, s[22:23], v[30:31]
	s_orn2_b32 s63, vcc_lo, exec_lo
	s_branch .LBB162_156
.LBB162_161:                            ;   in Loop: Header=BB162_18 Depth=1
	s_or_b32 exec_lo, exec_lo, s46
	s_andn2_b32 s2, s44, exec_lo
	s_and_b32 s22, s47, exec_lo
	s_or_b32 s44, s2, s22
.LBB162_162:                            ;   in Loop: Header=BB162_18 Depth=1
	s_or_b32 exec_lo, exec_lo, s45
	s_mov_b32 s80, 0
	s_mov_b32 s81, -1
.LBB162_163:                            ;   in Loop: Header=BB162_18 Depth=1
	s_orn2_b32 s22, s44, exec_lo
.LBB162_164:                            ;   in Loop: Header=BB162_18 Depth=1
	s_or_b32 exec_lo, exec_lo, s54
	s_mov_b32 s23, 0
	s_and_saveexec_b32 s82, s22
	s_cbranch_execz .LBB162_273
; %bb.165:                              ;   in Loop: Header=BB162_18 Depth=1
	v_mov_b32_e32 v30, 1
	v_mov_b32_e32 v31, 0
	;; [unrolled: 1-line block ×3, first 2 shown]
	s_xor_b32 s44, s62, -1
	s_and_saveexec_b32 s22, s44
	s_cbranch_execz .LBB162_174
; %bb.166:                              ;   in Loop: Header=BB162_18 Depth=1
	s_mov_b32 s23, exec_lo
	v_cmpx_ge_u64_e64 s[16:17], v[28:29]
	s_xor_b32 s23, exec_lo, s23
	s_cbranch_execz .LBB162_171
; %bb.167:                              ;   in Loop: Header=BB162_18 Depth=1
	ds_read_b64 v[3:4], v19 offset:5120
	v_and_b32_e32 v5, s15, v15
	v_and_b32_e32 v8, s14, v14
	s_lshl_b64 s[44:45], 1, s65
	v_or_b32_e32 v13, s13, v13
	v_or_b32_e32 v12, s12, v12
	;; [unrolled: 1-line block ×4, first 2 shown]
	s_waitcnt lgkmcnt(0)
	v_cmp_ne_u64_e32 vcc_lo, 0, v[3:4]
	s_cbranch_vccnz .LBB162_171
; %bb.168:                              ;   in Loop: Header=BB162_18 Depth=1
	s_and_saveexec_b32 s44, s3
; %bb.169:                              ;   in Loop: Header=BB162_18 Depth=1
	v_mov_b32_e32 v3, s16
	v_mov_b32_e32 v4, s17
	ds_write_b64 v19, v[3:4] offset:5128
; %bb.170:                              ;   in Loop: Header=BB162_18 Depth=1
	s_or_b32 exec_lo, exec_lo, s44
	s_waitcnt lgkmcnt(0)
	s_barrier
	buffer_gl0_inv
.LBB162_171:                            ;   in Loop: Header=BB162_18 Depth=1
	s_or_saveexec_b32 s23, s23
	v_mov_b32_e32 v39, 8
	s_mov_b32 s44, 0
	s_xor_b32 exec_lo, exec_lo, s23
; %bb.172:                              ;   in Loop: Header=BB162_18 Depth=1
	v_sub_co_u32 v28, vcc_lo, v28, s16
	v_subrev_co_ci_u32_e64 v29, null, s17, v29, vcc_lo
	v_mov_b32_e32 v39, 0
	s_mov_b32 s44, exec_lo
; %bb.173:                              ;   in Loop: Header=BB162_18 Depth=1
	s_or_b32 exec_lo, exec_lo, s23
	v_mov_b32_e32 v31, v29
	v_mov_b32_e32 v30, v28
	s_and_b32 s23, s44, exec_lo
.LBB162_174:                            ;   in Loop: Header=BB162_18 Depth=1
	s_or_b32 exec_lo, exec_lo, s22
	s_mov_b32 s22, -1
                                        ; implicit-def: $sgpr84
                                        ; implicit-def: $sgpr85
	s_and_saveexec_b32 s83, s23
	s_cbranch_execz .LBB162_272
; %bb.175:                              ;   in Loop: Header=BB162_18 Depth=1
	v_cmp_eq_u64_e32 vcc_lo, 1, v[30:31]
	s_cmp_eq_u64 s[18:19], 1
                                        ; implicit-def: $sgpr85
                                        ; implicit-def: $sgpr84
	s_cselect_b32 s22, -1, 0
	s_and_b32 s63, s22, vcc_lo
	s_mov_b32 s22, -1
	s_and_saveexec_b32 s54, s63
	s_cbranch_execz .LBB162_209
; %bb.176:                              ;   in Loop: Header=BB162_18 Depth=1
	ds_read_b64 v[3:4], v19 offset:5120
	s_waitcnt lgkmcnt(0)
	s_barrier
	buffer_gl0_inv
	v_readfirstlane_b32 s22, v3
	v_readfirstlane_b32 s23, v4
	s_and_saveexec_b32 s44, s8
; %bb.177:                              ;   in Loop: Header=BB162_18 Depth=1
	v_mov_b32_e32 v18, v19
	ds_write_b64 v35, v[18:19]
; %bb.178:                              ;   in Loop: Header=BB162_18 Depth=1
	s_or_b32 exec_lo, exec_lo, s44
	v_and_b32_e32 v3, s15, v15
	v_and_b32_e32 v4, s14, v14
	s_lshl_b64 s[44:45], 2, s65
	v_or_b32_e32 v13, s13, v13
	v_or_b32_e32 v12, s12, v12
	;; [unrolled: 1-line block ×4, first 2 shown]
	s_mov_b32 s84, -1
	s_mov_b32 s85, 0
	s_cmp_eq_u64 s[22:23], 0
	s_mov_b32 s44, 0
	s_mov_b32 s45, -1
	s_waitcnt lgkmcnt(0)
	s_barrier
	buffer_gl0_inv
                                        ; implicit-def: $vgpr10_vgpr11
	s_cbranch_scc1 .LBB162_194
; %bb.179:                              ;   in Loop: Header=BB162_18 Depth=1
	s_add_u32 s44, s22, s90
	s_addc_u32 s73, s23, s91
	s_mov_b32 s72, s67
	s_cmp_lg_u64 s[72:73], 0
	s_cbranch_scc0 .LBB162_226
; %bb.180:                              ;   in Loop: Header=BB162_18 Depth=1
	v_cvt_f32_u32_e32 v3, s35
	s_sub_u32 s47, 0, s35
	s_subb_u32 s55, 0, 0
	v_fmac_f32_e64 v3, 0x4f800000, 0
	v_rcp_f32_e32 v3, v3
	v_mul_f32_e32 v3, 0x5f7ffffc, v3
	v_mul_f32_e32 v4, 0x2f800000, v3
	v_trunc_f32_e32 v4, v4
	v_fmac_f32_e32 v3, 0xcf800000, v4
	v_cvt_u32_f32_e32 v4, v4
	v_cvt_u32_f32_e32 v3, v3
	v_readfirstlane_b32 s45, v4
	v_readfirstlane_b32 s46, v3
	s_mul_i32 s62, s47, s45
	s_mul_hi_u32 s68, s47, s46
	s_mul_i32 s66, s55, s46
	s_add_i32 s62, s68, s62
	s_mul_i32 s72, s47, s46
	s_add_i32 s62, s62, s66
	s_mul_hi_u32 s68, s46, s72
	s_mul_i32 s75, s46, s62
	s_mul_hi_u32 s74, s45, s72
	s_mul_i32 s66, s45, s72
	s_mul_hi_u32 s72, s46, s62
	s_add_u32 s68, s68, s75
	s_addc_u32 s72, 0, s72
	s_mul_hi_u32 vcc_lo, s45, s62
	s_add_u32 s66, s68, s66
	s_mul_i32 s62, s45, s62
	s_addc_u32 s66, s72, s74
	s_addc_u32 s68, vcc_lo, 0
	s_add_u32 s62, s66, s62
	s_addc_u32 s66, 0, s68
	s_add_u32 s46, s46, s62
	s_cselect_b32 s62, -1, 0
	s_mul_hi_u32 s68, s47, s46
	s_cmp_lg_u32 s62, 0
	s_mul_i32 s62, s47, s46
	s_addc_u32 s45, s45, s66
	s_mul_i32 s55, s55, s46
	s_mul_i32 s47, s47, s45
	s_mul_hi_u32 s66, s46, s62
	s_add_i32 s47, s68, s47
	s_mul_hi_u32 s68, s45, s62
	s_add_i32 s47, s47, s55
	s_mul_i32 s55, s45, s62
	s_mul_i32 s74, s46, s47
	s_mul_hi_u32 s72, s46, s47
	s_add_u32 s66, s66, s74
	s_addc_u32 s72, 0, s72
	s_mul_hi_u32 s62, s45, s47
	s_add_u32 s55, s66, s55
	s_mul_i32 s47, s45, s47
	s_addc_u32 s55, s72, s68
	s_addc_u32 s62, s62, 0
	s_add_u32 s47, s55, s47
	s_addc_u32 s55, 0, s62
	s_add_u32 s46, s46, s47
	s_cselect_b32 s47, -1, 0
	s_mul_hi_u32 s62, s44, s46
	s_cmp_lg_u32 s47, 0
	s_mul_hi_u32 s47, s73, s46
	s_addc_u32 s45, s45, s55
	s_mul_i32 s46, s73, s46
	s_mul_i32 s66, s44, s45
	s_mul_hi_u32 s55, s44, s45
	s_add_u32 s62, s62, s66
	s_addc_u32 s55, 0, s55
	s_mul_hi_u32 s68, s73, s45
	s_add_u32 s46, s62, s46
	s_mul_i32 s45, s73, s45
	s_addc_u32 s46, s55, s47
	s_addc_u32 s47, s68, 0
	s_add_u32 s45, s46, s45
	s_addc_u32 s46, 0, s47
	s_mul_hi_u32 s47, s35, s45
	s_mul_i32 s46, s35, s46
	s_mul_i32 s45, s35, s45
	s_add_i32 s47, s47, s46
	s_sub_u32 s45, s44, s45
	s_cselect_b32 s46, -1, 0
	s_cmp_lg_u32 s46, 0
	s_subb_u32 s46, s73, s47
	s_sub_u32 s47, s45, s35
	s_cselect_b32 s55, -1, 0
	s_cmp_lg_u32 s55, 0
	s_subb_u32 s55, s46, 0
	;; [unrolled: 4-line block ×3, first 2 shown]
	s_cmp_ge_u32 s47, s35
	s_cselect_b32 s68, -1, 0
	s_cmp_eq_u32 s55, 0
	s_cselect_b32 s68, s68, -1
	s_cmp_lg_u32 s68, 0
	s_cselect_b32 s55, s66, s55
	s_cselect_b32 s47, s62, s47
	s_cmp_ge_u32 s45, s35
	s_cselect_b32 s62, -1, 0
	s_cmp_eq_u32 s46, 0
	s_cselect_b32 s62, s62, -1
	s_cmp_lg_u32 s62, 0
	s_cselect_b32 s75, s55, s46
	s_cselect_b32 s74, s47, s45
	s_cbranch_execnz .LBB162_182
.LBB162_181:                            ;   in Loop: Header=BB162_18 Depth=1
	v_cvt_f32_u32_e32 v3, s35
	s_sub_i32 s46, 0, s35
	v_rcp_iflag_f32_e32 v3, v3
	v_mul_f32_e32 v3, 0x4f7ffffe, v3
	v_cvt_u32_f32_e32 v3, v3
	v_readfirstlane_b32 s45, v3
	s_mul_i32 s46, s46, s45
	s_mul_hi_u32 s46, s45, s46
	s_add_i32 s45, s45, s46
	s_mul_hi_u32 s45, s44, s45
	s_mul_i32 s45, s45, s35
	s_sub_i32 s45, s44, s45
	s_sub_i32 s46, s45, s35
	s_cmp_ge_u32 s45, s35
	s_cselect_b32 s45, s46, s45
	s_sub_i32 s46, s45, s35
	s_cmp_ge_u32 s45, s35
	s_cselect_b32 s66, s46, s45
	s_mov_b64 s[74:75], s[66:67]
.LBB162_182:                            ;   in Loop: Header=BB162_18 Depth=1
	s_sub_u32 s72, s44, s74
	s_subb_u32 s73, s73, s75
	s_mov_b32 s45, 0
	s_mov_b32 s44, 0
	s_mov_b32 s46, exec_lo
                                        ; implicit-def: $vgpr10_vgpr11
	v_cmpx_gt_u64_e64 s[72:73], v[0:1]
	s_cbranch_execz .LBB162_193
; %bb.183:                              ;   in Loop: Header=BB162_18 Depth=1
	v_mov_b32_e32 v29, v1
	v_mov_b32_e32 v18, v34
	;; [unrolled: 1-line block ×3, first 2 shown]
                                        ; implicit-def: $sgpr47
	s_inst_prefetch 0x1
	s_branch .LBB162_186
	.p2align	6
.LBB162_184:                            ;   in Loop: Header=BB162_186 Depth=2
	s_or_b32 exec_lo, exec_lo, s55
	s_waitcnt lgkmcnt(0)
	s_barrier
	buffer_gl0_inv
	ds_read_b128 v[8:11], v19 offset:3072
	s_mov_b32 s55, -1
	s_mov_b32 s62, -1
	s_waitcnt lgkmcnt(0)
	s_barrier
	buffer_gl0_inv
	v_cmp_ne_u64_e32 vcc_lo, 0, v[8:9]
	s_cbranch_vccz .LBB162_189
.LBB162_185:                            ;   in Loop: Header=BB162_186 Depth=2
	s_and_b32 s2, exec_lo, s55
	s_or_b32 s44, s2, s44
	s_andn2_b32 s2, s47, exec_lo
	s_and_b32 s24, s62, exec_lo
	s_or_b32 s47, s2, s24
	s_andn2_b32 exec_lo, exec_lo, s44
	s_cbranch_execz .LBB162_192
.LBB162_186:                            ;   Parent Loop BB162_18 Depth=1
                                        ; =>  This Inner Loop Header: Depth=2
	s_mov_b32 s55, exec_lo
	v_cmpx_gt_u64_e64 s[22:23], v[28:29]
	s_cbranch_execz .LBB162_184
; %bb.187:                              ;   in Loop: Header=BB162_186 Depth=2
	ds_read_b64 v[4:5], v18
	s_waitcnt lgkmcnt(0)
	v_xor_b32_e32 v3, 0x80000000, v5
	v_and_b32_e32 v8, v4, v12
	v_and_b32_e32 v9, v3, v13
	v_cmp_eq_u64_e32 vcc_lo, v[8:9], v[14:15]
	s_and_b32 exec_lo, exec_lo, vcc_lo
	s_cbranch_execz .LBB162_184
; %bb.188:                              ;   in Loop: Header=BB162_186 Depth=2
	v_mov_b32_e32 v3, v19
	ds_write_b128 v19, v[2:5] offset:3072
	s_branch .LBB162_184
.LBB162_189:                            ;   in Loop: Header=BB162_186 Depth=2
	v_add_co_u32 v28, vcc_lo, v28, s35
	v_add_co_ci_u32_e64 v29, null, 0, v29, vcc_lo
	v_add_nc_u32_e32 v18, s96, v18
	s_mov_b32 s62, 0
	v_cmp_le_u64_e32 vcc_lo, s[72:73], v[28:29]
	s_orn2_b32 s55, vcc_lo, exec_lo
	s_branch .LBB162_185
.LBB162_190:                            ;   in Loop: Header=BB162_18 Depth=1
                                        ; implicit-def: $sgpr74_sgpr75
	s_andn2_b32 vcc_lo, exec_lo, s45
	s_cbranch_vccz .LBB162_136
	s_branch .LBB162_137
.LBB162_191:                            ;   in Loop: Header=BB162_18 Depth=1
                                        ; implicit-def: $sgpr22_sgpr23
	s_branch .LBB162_152
.LBB162_192:                            ;   in Loop: Header=BB162_18 Depth=1
	s_inst_prefetch 0x2
	s_or_b32 exec_lo, exec_lo, s44
	s_and_b32 s44, s47, exec_lo
.LBB162_193:                            ;   in Loop: Header=BB162_18 Depth=1
	s_or_b32 exec_lo, exec_lo, s46
.LBB162_194:                            ;   in Loop: Header=BB162_18 Depth=1
	s_and_b32 vcc_lo, exec_lo, s45
	s_cbranch_vccz .LBB162_208
; %bb.195:                              ;   in Loop: Header=BB162_18 Depth=1
	s_mov_b32 s68, s67
	s_cmp_lg_u64 s[68:69], 0
	s_cbranch_scc0 .LBB162_227
; %bb.196:                              ;   in Loop: Header=BB162_18 Depth=1
	v_cvt_f32_u32_e32 v3, s35
	s_sub_u32 s45, 0, s35
	s_subb_u32 s46, 0, 0
	v_fmac_f32_e64 v3, 0x4f800000, 0
	v_rcp_f32_e32 v3, v3
	v_mul_f32_e32 v3, 0x5f7ffffc, v3
	v_mul_f32_e32 v4, 0x2f800000, v3
	v_trunc_f32_e32 v4, v4
	v_fmac_f32_e32 v3, 0xcf800000, v4
	v_cvt_u32_f32_e32 v4, v4
	v_cvt_u32_f32_e32 v3, v3
	v_readfirstlane_b32 s22, v4
	v_readfirstlane_b32 s23, v3
	s_mul_i32 s47, s45, s22
	s_mul_hi_u32 s62, s45, s23
	s_mul_i32 s55, s46, s23
	s_add_i32 s47, s62, s47
	s_mul_i32 s66, s45, s23
	s_add_i32 s47, s47, s55
	s_mul_hi_u32 s62, s23, s66
	s_mul_i32 s72, s23, s47
	s_mul_hi_u32 s68, s22, s66
	s_mul_i32 s55, s22, s66
	s_mul_hi_u32 s66, s23, s47
	s_add_u32 s62, s62, s72
	s_addc_u32 s66, 0, s66
	s_mul_hi_u32 s73, s22, s47
	s_add_u32 s55, s62, s55
	s_mul_i32 s47, s22, s47
	s_addc_u32 s55, s66, s68
	s_addc_u32 s62, s73, 0
	s_add_u32 s47, s55, s47
	s_addc_u32 s55, 0, s62
	s_add_u32 s23, s23, s47
	s_cselect_b32 s47, -1, 0
	s_mul_hi_u32 s62, s45, s23
	s_cmp_lg_u32 s47, 0
	s_mul_i32 s47, s45, s23
	s_addc_u32 s22, s22, s55
	s_mul_i32 s46, s46, s23
	s_mul_i32 s45, s45, s22
	s_mul_hi_u32 s55, s23, s47
	s_add_i32 s45, s62, s45
	s_mul_hi_u32 s62, s22, s47
	s_add_i32 s45, s45, s46
	s_mul_i32 s46, s22, s47
	s_mul_i32 s68, s23, s45
	s_mul_hi_u32 s66, s23, s45
	s_add_u32 s55, s55, s68
	s_addc_u32 s66, 0, s66
	s_mul_hi_u32 s47, s22, s45
	s_add_u32 s46, s55, s46
	s_mul_i32 s45, s22, s45
	s_addc_u32 s46, s66, s62
	s_addc_u32 s47, s47, 0
	s_add_u32 s45, s46, s45
	s_addc_u32 s46, 0, s47
	s_add_u32 s23, s23, s45
	s_cselect_b32 s45, -1, 0
	s_mul_hi_u32 s47, s92, s23
	s_cmp_lg_u32 s45, 0
	s_mul_hi_u32 s45, s69, s23
	s_addc_u32 s22, s22, s46
	s_mul_i32 s23, s69, s23
	s_mul_i32 s55, s92, s22
	s_mul_hi_u32 s46, s92, s22
	s_add_u32 s47, s47, s55
	s_addc_u32 s46, 0, s46
	s_mul_hi_u32 s62, s69, s22
	s_add_u32 s23, s47, s23
	s_mul_i32 s22, s69, s22
	s_addc_u32 s23, s46, s45
	s_addc_u32 s45, s62, 0
	s_add_u32 s22, s23, s22
	s_addc_u32 s23, 0, s45
	s_mul_hi_u32 s45, s35, s22
	s_mul_i32 s23, s35, s23
	s_mul_i32 s22, s35, s22
	s_add_i32 s45, s45, s23
	s_sub_u32 s22, s92, s22
	s_cselect_b32 s23, -1, 0
	s_cmp_lg_u32 s23, 0
	s_subb_u32 s23, s69, s45
	s_sub_u32 s45, s22, s35
	s_cselect_b32 s46, -1, 0
	s_cmp_lg_u32 s46, 0
	s_subb_u32 s46, s23, 0
	;; [unrolled: 4-line block ×3, first 2 shown]
	s_cmp_ge_u32 s45, s35
	s_cselect_b32 s62, -1, 0
	s_cmp_eq_u32 s46, 0
	s_cselect_b32 s62, s62, -1
	s_cmp_lg_u32 s62, 0
	s_cselect_b32 s46, s55, s46
	s_cselect_b32 s45, s47, s45
	s_cmp_ge_u32 s22, s35
	s_cselect_b32 s47, -1, 0
	s_cmp_eq_u32 s23, 0
	s_cselect_b32 s47, s47, -1
	s_cmp_lg_u32 s47, 0
	s_cselect_b32 s23, s46, s23
	s_cselect_b32 s22, s45, s22
	s_cbranch_execnz .LBB162_198
.LBB162_197:                            ;   in Loop: Header=BB162_18 Depth=1
	v_cvt_f32_u32_e32 v3, s35
	s_sub_i32 s23, 0, s35
	v_rcp_iflag_f32_e32 v3, v3
	v_mul_f32_e32 v3, 0x4f7ffffe, v3
	v_cvt_u32_f32_e32 v3, v3
	v_readfirstlane_b32 s22, v3
	s_mul_i32 s23, s23, s22
	s_mul_hi_u32 s23, s22, s23
	s_add_i32 s22, s22, s23
	s_mul_hi_u32 s22, s92, s22
	s_mul_i32 s22, s22, s35
	s_sub_i32 s22, s92, s22
	s_sub_i32 s23, s22, s35
	s_cmp_ge_u32 s22, s35
	s_cselect_b32 s22, s23, s22
	s_sub_i32 s23, s22, s35
	s_cmp_ge_u32 s22, s35
	s_cselect_b32 s66, s23, s22
	s_mov_b64 s[22:23], s[66:67]
.LBB162_198:                            ;   in Loop: Header=BB162_18 Depth=1
	s_sub_u32 s22, s92, s22
	s_subb_u32 s23, s69, s23
	s_mov_b32 s45, exec_lo
                                        ; implicit-def: $vgpr10_vgpr11
	v_cmpx_gt_u64_e64 s[22:23], v[0:1]
	s_cbranch_execz .LBB162_207
; %bb.199:                              ;   in Loop: Header=BB162_18 Depth=1
	v_mov_b32_e32 v29, v1
	v_mov_b32_e32 v28, v0
	s_mov_b32 s46, 0
                                        ; implicit-def: $sgpr47
	s_branch .LBB162_202
.LBB162_200:                            ;   in Loop: Header=BB162_202 Depth=2
	s_or_b32 exec_lo, exec_lo, s55
	s_waitcnt lgkmcnt(0)
	s_barrier
	buffer_gl0_inv
	ds_read_b128 v[8:11], v19 offset:3072
	s_mov_b32 s62, -1
	s_mov_b32 s55, -1
	s_waitcnt lgkmcnt(0)
	s_barrier
	buffer_gl0_inv
	v_cmp_eq_u64_e32 vcc_lo, 0, v[8:9]
	s_cbranch_vccnz .LBB162_205
.LBB162_201:                            ;   in Loop: Header=BB162_202 Depth=2
	s_and_b32 s2, exec_lo, s62
	s_or_b32 s46, s2, s46
	s_andn2_b32 s2, s47, exec_lo
	s_and_b32 s24, s55, exec_lo
	s_or_b32 s47, s2, s24
	s_andn2_b32 exec_lo, exec_lo, s46
	s_cbranch_execz .LBB162_206
.LBB162_202:                            ;   Parent Loop BB162_18 Depth=1
                                        ; =>  This Inner Loop Header: Depth=2
	s_mov_b32 s55, exec_lo
	v_cmpx_gt_u64_e64 s[28:29], v[28:29]
	s_cbranch_execz .LBB162_200
; %bb.203:                              ;   in Loop: Header=BB162_202 Depth=2
	v_mul_lo_u32 v5, v29, s26
	v_mul_lo_u32 v8, v28, s27
	v_mad_u64_u32 v[3:4], null, v28, s26, 0
	v_add3_u32 v4, v4, v8, v5
	v_lshlrev_b64 v[3:4], 3, v[3:4]
	v_add_co_u32 v3, vcc_lo, s25, v3
	v_add_co_ci_u32_e64 v4, null, s33, v4, vcc_lo
	global_load_dwordx2 v[4:5], v[3:4], off
	s_waitcnt vmcnt(0)
	v_xor_b32_e32 v3, 0x80000000, v5
	v_and_b32_e32 v8, v4, v12
	v_and_b32_e32 v9, v3, v13
	v_cmp_eq_u64_e32 vcc_lo, v[8:9], v[14:15]
	s_and_b32 exec_lo, exec_lo, vcc_lo
	s_cbranch_execz .LBB162_200
; %bb.204:                              ;   in Loop: Header=BB162_202 Depth=2
	v_mov_b32_e32 v3, v19
	ds_write_b128 v19, v[2:5] offset:3072
	s_branch .LBB162_200
.LBB162_205:                            ;   in Loop: Header=BB162_202 Depth=2
	v_add_co_u32 v28, vcc_lo, v28, s35
	v_add_co_ci_u32_e64 v29, null, 0, v29, vcc_lo
	s_mov_b32 s55, 0
	v_cmp_le_u64_e32 vcc_lo, s[22:23], v[28:29]
	s_orn2_b32 s62, vcc_lo, exec_lo
	s_branch .LBB162_201
.LBB162_206:                            ;   in Loop: Header=BB162_18 Depth=1
	s_or_b32 exec_lo, exec_lo, s46
	s_andn2_b32 s2, s44, exec_lo
	s_and_b32 s22, s47, exec_lo
	s_or_b32 s44, s2, s22
.LBB162_207:                            ;   in Loop: Header=BB162_18 Depth=1
	s_or_b32 exec_lo, exec_lo, s45
	s_mov_b32 s84, 0
	s_mov_b32 s85, -1
.LBB162_208:                            ;   in Loop: Header=BB162_18 Depth=1
	s_orn2_b32 s22, s44, exec_lo
.LBB162_209:                            ;   in Loop: Header=BB162_18 Depth=1
	s_or_b32 exec_lo, exec_lo, s54
	s_mov_b32 s23, 0
	s_and_saveexec_b32 s62, s22
	s_cbranch_execz .LBB162_271
; %bb.210:                              ;   in Loop: Header=BB162_18 Depth=1
	v_mov_b32_e32 v28, 1
	v_mov_b32_e32 v29, 0
	;; [unrolled: 1-line block ×3, first 2 shown]
	s_xor_b32 s44, s63, -1
	s_and_saveexec_b32 s22, s44
	s_cbranch_execz .LBB162_219
; %bb.211:                              ;   in Loop: Header=BB162_18 Depth=1
	s_mov_b32 s23, exec_lo
	v_cmpx_ge_u64_e64 s[18:19], v[30:31]
	s_xor_b32 s23, exec_lo, s23
	s_cbranch_execz .LBB162_216
; %bb.212:                              ;   in Loop: Header=BB162_18 Depth=1
	ds_read_b64 v[3:4], v19 offset:5120
	s_lshl_b64 s[44:45], 2, s65
	v_or_b32_e32 v13, s13, v13
	v_or_b32_e32 v12, s12, v12
	s_waitcnt lgkmcnt(0)
	v_cmp_ne_u64_e32 vcc_lo, 0, v[3:4]
	v_and_b32_e32 v3, s15, v15
	v_and_b32_e32 v4, s14, v14
	v_or_b32_e32 v15, s45, v3
	v_or_b32_e32 v14, s44, v4
	s_cbranch_vccnz .LBB162_216
; %bb.213:                              ;   in Loop: Header=BB162_18 Depth=1
	s_and_saveexec_b32 s44, s3
; %bb.214:                              ;   in Loop: Header=BB162_18 Depth=1
	v_mov_b32_e32 v3, s18
	v_mov_b32_e32 v4, s19
	ds_write_b64 v19, v[3:4] offset:5128
; %bb.215:                              ;   in Loop: Header=BB162_18 Depth=1
	s_or_b32 exec_lo, exec_lo, s44
	s_waitcnt lgkmcnt(0)
	s_barrier
	buffer_gl0_inv
.LBB162_216:                            ;   in Loop: Header=BB162_18 Depth=1
	s_or_saveexec_b32 s23, s23
	v_mov_b32_e32 v39, 8
	s_mov_b32 s44, 0
	s_xor_b32 exec_lo, exec_lo, s23
; %bb.217:                              ;   in Loop: Header=BB162_18 Depth=1
	v_sub_co_u32 v30, vcc_lo, v30, s18
	v_subrev_co_ci_u32_e64 v31, null, s19, v31, vcc_lo
	v_mov_b32_e32 v39, 0
	s_mov_b32 s44, exec_lo
; %bb.218:                              ;   in Loop: Header=BB162_18 Depth=1
	s_or_b32 exec_lo, exec_lo, s23
	v_mov_b32_e32 v28, v30
	v_mov_b32_e32 v29, v31
	s_and_b32 s23, s44, exec_lo
.LBB162_219:                            ;   in Loop: Header=BB162_18 Depth=1
	s_or_b32 exec_lo, exec_lo, s22
	s_mov_b32 s22, -1
                                        ; implicit-def: $sgpr44
                                        ; implicit-def: $sgpr68
	s_and_saveexec_b32 s63, s23
	s_cbranch_execz .LBB162_270
; %bb.220:                              ;   in Loop: Header=BB162_18 Depth=1
	v_cmp_eq_u64_e32 vcc_lo, 1, v[28:29]
	s_cmp_eq_u64 s[20:21], 1
	s_mov_b32 s23, -1
	s_cselect_b32 s22, -1, 0
                                        ; implicit-def: $sgpr44
                                        ; implicit-def: $sgpr68
	s_and_b32 s54, s22, vcc_lo
	s_and_saveexec_b32 s55, s54
	s_cbranch_execz .LBB162_258
; %bb.221:                              ;   in Loop: Header=BB162_18 Depth=1
	ds_read_b64 v[3:4], v19 offset:5120
	s_waitcnt lgkmcnt(0)
	s_barrier
	buffer_gl0_inv
	v_readfirstlane_b32 s22, v3
	v_readfirstlane_b32 s23, v4
	s_and_saveexec_b32 s44, s8
; %bb.222:                              ;   in Loop: Header=BB162_18 Depth=1
	v_mov_b32_e32 v18, v19
	ds_write_b64 v35, v[18:19]
; %bb.223:                              ;   in Loop: Header=BB162_18 Depth=1
	s_or_b32 exec_lo, exec_lo, s44
	v_or_b32_e32 v15, s13, v15
	v_or_b32_e32 v14, s12, v14
	;; [unrolled: 1-line block ×4, first 2 shown]
	s_mov_b32 s68, -1
	s_mov_b32 s44, 0
	s_cmp_eq_u64 s[22:23], 0
	s_mov_b32 s45, 0
	s_mov_b32 s46, -1
	s_waitcnt lgkmcnt(0)
	s_barrier
	buffer_gl0_inv
                                        ; implicit-def: $vgpr10_vgpr11
	s_cbranch_scc1 .LBB162_241
; %bb.224:                              ;   in Loop: Header=BB162_18 Depth=1
	s_add_u32 s45, s22, s90
	s_addc_u32 s73, s23, s91
	s_mov_b32 s72, s67
	s_cmp_lg_u64 s[72:73], 0
	s_cbranch_scc0 .LBB162_228
; %bb.225:                              ;   in Loop: Header=BB162_18 Depth=1
	v_cvt_f32_u32_e32 v3, s35
	s_sub_u32 s66, 0, s35
	s_subb_u32 s72, 0, 0
	v_fmac_f32_e64 v3, 0x4f800000, 0
	v_rcp_f32_e32 v3, v3
	v_mul_f32_e32 v3, 0x5f7ffffc, v3
	v_mul_f32_e32 v4, 0x2f800000, v3
	v_trunc_f32_e32 v4, v4
	v_fmac_f32_e32 v3, 0xcf800000, v4
	v_cvt_u32_f32_e32 v4, v4
	v_cvt_u32_f32_e32 v3, v3
	v_readfirstlane_b32 s46, v4
	v_readfirstlane_b32 s47, v3
	s_mul_i32 s74, s66, s46
	s_mul_hi_u32 vcc_lo, s66, s47
	s_mul_i32 s75, s72, s47
	s_add_i32 s74, vcc_lo, s74
	s_mul_i32 s24, s66, s47
	s_add_i32 s74, s74, s75
	s_mul_hi_u32 vcc_lo, s47, s24
	s_mul_i32 s2, s47, s74
	s_mul_hi_u32 s75, s47, s74
	s_mul_hi_u32 s56, s46, s24
	s_mul_i32 s24, s46, s24
	s_add_u32 s2, vcc_lo, s2
	s_addc_u32 s38, 0, s75
	s_mul_hi_u32 s36, s46, s74
	s_add_u32 s2, s2, s24
	s_mul_i32 s37, s46, s74
	s_addc_u32 s2, s38, s56
	s_addc_u32 s24, s36, 0
	s_add_u32 s2, s2, s37
	s_addc_u32 s24, 0, s24
	s_add_u32 s2, s47, s2
	s_cselect_b32 s36, -1, 0
	s_mul_hi_u32 s37, s66, s2
	s_cmp_lg_u32 s36, 0
	s_mul_i32 s36, s66, s2
	s_addc_u32 s24, s46, s24
	s_mul_i32 s72, s72, s2
	s_mul_i32 s66, s66, s24
	s_mul_hi_u32 s38, s2, s36
	s_add_i32 s37, s37, s66
	s_mul_hi_u32 s39, s24, s36
	s_add_i32 s37, s37, s72
	s_mul_i32 s36, s24, s36
	s_mul_i32 s56, s2, s37
	s_mul_hi_u32 s47, s2, s37
	s_add_u32 s38, s38, s56
	s_addc_u32 s47, 0, s47
	s_mul_hi_u32 s46, s24, s37
	s_add_u32 s36, s38, s36
	s_mul_i32 s37, s24, s37
	s_addc_u32 s36, s47, s39
	s_addc_u32 s38, s46, 0
	s_add_u32 s36, s36, s37
	s_addc_u32 s37, 0, s38
	s_add_u32 s2, s2, s36
	s_cselect_b32 s36, -1, 0
	s_mul_hi_u32 s38, s45, s2
	s_cmp_lg_u32 s36, 0
	s_mul_hi_u32 s36, s73, s2
	s_addc_u32 s24, s24, s37
	s_mul_i32 s2, s73, s2
	s_mul_i32 s39, s45, s24
	s_mul_hi_u32 s37, s45, s24
	s_add_u32 s38, s38, s39
	s_addc_u32 s37, 0, s37
	s_mul_hi_u32 s46, s73, s24
	s_add_u32 s2, s38, s2
	s_mul_i32 s24, s73, s24
	s_addc_u32 s2, s37, s36
	s_addc_u32 s36, s46, 0
	s_add_u32 s2, s2, s24
	s_addc_u32 s24, 0, s36
	s_mul_hi_u32 s36, s35, s2
	s_mul_i32 s24, s35, s24
	s_mul_i32 s2, s35, s2
	s_add_i32 s36, s36, s24
	s_sub_u32 s2, s45, s2
	s_cselect_b32 s24, -1, 0
	s_cmp_lg_u32 s24, 0
	s_subb_u32 s24, s73, s36
	s_sub_u32 s36, s2, s35
	s_cselect_b32 s37, -1, 0
	s_cmp_lg_u32 s37, 0
	s_subb_u32 s37, s24, 0
	;; [unrolled: 4-line block ×3, first 2 shown]
	s_cmp_ge_u32 s36, s35
	s_cselect_b32 s46, -1, 0
	s_cmp_eq_u32 s37, 0
	s_cselect_b32 s46, s46, -1
	s_cmp_lg_u32 s46, 0
	s_mov_b32 s46, 0
	s_cselect_b32 s37, s39, s37
	s_cselect_b32 s36, s38, s36
	s_cmp_ge_u32 s2, s35
	s_cselect_b32 s38, -1, 0
	s_cmp_eq_u32 s24, 0
	s_cselect_b32 s38, s38, -1
	s_cmp_lg_u32 s38, 0
	s_cselect_b32 s75, s37, s24
	s_cselect_b32 s74, s36, s2
	s_branch .LBB162_229
.LBB162_226:                            ;   in Loop: Header=BB162_18 Depth=1
                                        ; implicit-def: $sgpr74_sgpr75
	s_andn2_b32 vcc_lo, exec_lo, s45
	s_cbranch_vccz .LBB162_181
	s_branch .LBB162_182
.LBB162_227:                            ;   in Loop: Header=BB162_18 Depth=1
                                        ; implicit-def: $sgpr22_sgpr23
	s_branch .LBB162_197
.LBB162_228:                            ;   in Loop: Header=BB162_18 Depth=1
                                        ; implicit-def: $sgpr74_sgpr75
.LBB162_229:                            ;   in Loop: Header=BB162_18 Depth=1
	s_andn2_b32 vcc_lo, exec_lo, s46
	s_cbranch_vccnz .LBB162_231
; %bb.230:                              ;   in Loop: Header=BB162_18 Depth=1
	v_cvt_f32_u32_e32 v3, s35
	s_sub_i32 s47, 0, s35
	v_rcp_iflag_f32_e32 v3, v3
	v_mul_f32_e32 v3, 0x4f7ffffe, v3
	v_cvt_u32_f32_e32 v3, v3
	v_readfirstlane_b32 s46, v3
	s_mul_i32 s47, s47, s46
	s_mul_hi_u32 s47, s46, s47
	s_add_i32 s46, s46, s47
	s_mul_hi_u32 s46, s45, s46
	s_mul_i32 s46, s46, s35
	s_sub_i32 s46, s45, s46
	s_sub_i32 s47, s46, s35
	s_cmp_ge_u32 s46, s35
	s_cselect_b32 s46, s47, s46
	s_sub_i32 s47, s46, s35
	s_cmp_ge_u32 s46, s35
	s_cselect_b32 s66, s47, s46
	s_mov_b64 s[74:75], s[66:67]
.LBB162_231:                            ;   in Loop: Header=BB162_18 Depth=1
	s_sub_u32 s72, s45, s74
	s_subb_u32 s73, s73, s75
	s_mov_b32 s46, 0
	s_mov_b32 s45, 0
	s_mov_b32 s47, exec_lo
                                        ; implicit-def: $vgpr10_vgpr11
	v_cmpx_gt_u64_e64 s[72:73], v[0:1]
	s_cbranch_execz .LBB162_240
; %bb.232:                              ;   in Loop: Header=BB162_18 Depth=1
	v_mov_b32_e32 v31, v1
	v_mov_b32_e32 v18, v34
	;; [unrolled: 1-line block ×3, first 2 shown]
                                        ; implicit-def: $sgpr66
	s_inst_prefetch 0x1
	s_branch .LBB162_235
	.p2align	6
.LBB162_233:                            ;   in Loop: Header=BB162_235 Depth=2
	s_or_b32 exec_lo, exec_lo, s74
	s_waitcnt lgkmcnt(0)
	s_barrier
	buffer_gl0_inv
	ds_read_b128 v[8:11], v19 offset:3072
	s_mov_b32 s74, -1
	s_mov_b32 s75, -1
	s_waitcnt lgkmcnt(0)
	s_barrier
	buffer_gl0_inv
	v_cmp_ne_u64_e32 vcc_lo, 0, v[8:9]
	s_cbranch_vccz .LBB162_238
.LBB162_234:                            ;   in Loop: Header=BB162_235 Depth=2
	s_and_b32 s2, exec_lo, s74
	s_or_b32 s45, s2, s45
	s_andn2_b32 s2, s66, exec_lo
	s_and_b32 s24, s75, exec_lo
	s_or_b32 s66, s2, s24
	s_andn2_b32 exec_lo, exec_lo, s45
	s_cbranch_execz .LBB162_239
.LBB162_235:                            ;   Parent Loop BB162_18 Depth=1
                                        ; =>  This Inner Loop Header: Depth=2
	s_mov_b32 s74, exec_lo
	v_cmpx_gt_u64_e64 s[22:23], v[30:31]
	s_cbranch_execz .LBB162_233
; %bb.236:                              ;   in Loop: Header=BB162_235 Depth=2
	ds_read_b64 v[4:5], v18
	s_waitcnt lgkmcnt(0)
	v_xor_b32_e32 v3, 0x80000000, v5
	v_and_b32_e32 v8, v4, v12
	v_and_b32_e32 v9, v3, v13
	v_cmp_eq_u64_e32 vcc_lo, v[8:9], v[14:15]
	s_and_b32 exec_lo, exec_lo, vcc_lo
	s_cbranch_execz .LBB162_233
; %bb.237:                              ;   in Loop: Header=BB162_235 Depth=2
	v_mov_b32_e32 v3, v19
	ds_write_b128 v19, v[2:5] offset:3072
	s_branch .LBB162_233
.LBB162_238:                            ;   in Loop: Header=BB162_235 Depth=2
	v_add_co_u32 v30, vcc_lo, v30, s35
	v_add_co_ci_u32_e64 v31, null, 0, v31, vcc_lo
	v_add_nc_u32_e32 v18, s96, v18
	s_mov_b32 s75, 0
	v_cmp_le_u64_e32 vcc_lo, s[72:73], v[30:31]
	s_orn2_b32 s74, vcc_lo, exec_lo
	s_branch .LBB162_234
.LBB162_239:                            ;   in Loop: Header=BB162_18 Depth=1
	s_inst_prefetch 0x2
	s_or_b32 exec_lo, exec_lo, s45
	s_and_b32 s45, s66, exec_lo
.LBB162_240:                            ;   in Loop: Header=BB162_18 Depth=1
	s_or_b32 exec_lo, exec_lo, s47
.LBB162_241:                            ;   in Loop: Header=BB162_18 Depth=1
	s_and_b32 vcc_lo, exec_lo, s46
	s_cbranch_vccz .LBB162_257
; %bb.242:                              ;   in Loop: Header=BB162_18 Depth=1
	s_mov_b32 s68, s67
	s_cmp_lg_u64 s[68:69], 0
	s_cbranch_scc0 .LBB162_244
; %bb.243:                              ;   in Loop: Header=BB162_18 Depth=1
	v_cvt_f32_u32_e32 v3, s35
	s_sub_u32 s23, 0, s35
	s_subb_u32 s24, 0, 0
	v_fmac_f32_e64 v3, 0x4f800000, 0
	v_rcp_f32_e32 v3, v3
	v_mul_f32_e32 v3, 0x5f7ffffc, v3
	v_mul_f32_e32 v4, 0x2f800000, v3
	v_trunc_f32_e32 v4, v4
	v_fmac_f32_e32 v3, 0xcf800000, v4
	v_cvt_u32_f32_e32 v4, v4
	v_cvt_u32_f32_e32 v3, v3
	v_readfirstlane_b32 s2, v4
	v_readfirstlane_b32 s22, v3
	s_mul_i32 s36, s23, s2
	s_mul_hi_u32 s38, s23, s22
	s_mul_i32 s37, s24, s22
	s_add_i32 s36, s38, s36
	s_mul_i32 s39, s23, s22
	s_add_i32 s36, s36, s37
	s_mul_hi_u32 s38, s22, s39
	s_mul_i32 s46, s22, s36
	s_mul_hi_u32 s44, s2, s39
	s_mul_i32 s37, s2, s39
	s_mul_hi_u32 s39, s22, s36
	s_add_u32 s38, s38, s46
	s_addc_u32 s39, 0, s39
	s_mul_hi_u32 s47, s2, s36
	s_add_u32 s37, s38, s37
	s_mul_i32 s36, s2, s36
	s_addc_u32 s37, s39, s44
	s_addc_u32 s38, s47, 0
	s_add_u32 s36, s37, s36
	s_addc_u32 s37, 0, s38
	s_add_u32 s22, s22, s36
	s_cselect_b32 s36, -1, 0
	s_mul_hi_u32 s38, s23, s22
	s_cmp_lg_u32 s36, 0
	s_mul_i32 s36, s23, s22
	s_addc_u32 s2, s2, s37
	s_mul_i32 s24, s24, s22
	s_mul_i32 s23, s23, s2
	s_mul_hi_u32 s37, s22, s36
	s_add_i32 s23, s38, s23
	s_mul_hi_u32 s38, s2, s36
	s_add_i32 s23, s23, s24
	s_mul_i32 s24, s2, s36
	s_mul_i32 s44, s22, s23
	s_mul_hi_u32 s39, s22, s23
	s_add_u32 s37, s37, s44
	s_addc_u32 s39, 0, s39
	s_mul_hi_u32 s36, s2, s23
	s_add_u32 s24, s37, s24
	s_mul_i32 s23, s2, s23
	s_addc_u32 s24, s39, s38
	s_addc_u32 s36, s36, 0
	s_add_u32 s23, s24, s23
	s_addc_u32 s24, 0, s36
	s_add_u32 s22, s22, s23
	s_cselect_b32 s23, -1, 0
	s_mul_hi_u32 s36, s92, s22
	s_cmp_lg_u32 s23, 0
	s_mul_hi_u32 s23, s69, s22
	s_addc_u32 s2, s2, s24
	s_mul_i32 s22, s69, s22
	s_mul_i32 s37, s92, s2
	s_mul_hi_u32 s24, s92, s2
	s_add_u32 s36, s36, s37
	s_addc_u32 s24, 0, s24
	s_mul_hi_u32 s38, s69, s2
	s_add_u32 s22, s36, s22
	s_mul_i32 s2, s69, s2
	s_addc_u32 s22, s24, s23
	s_addc_u32 s23, s38, 0
	s_add_u32 s2, s22, s2
	s_addc_u32 s22, 0, s23
	s_mul_hi_u32 s23, s35, s2
	s_mul_i32 s22, s35, s22
	s_mul_i32 s2, s35, s2
	s_add_i32 s23, s23, s22
	s_sub_u32 s2, s92, s2
	s_cselect_b32 s22, -1, 0
	s_mov_b32 s44, 0
	s_cmp_lg_u32 s22, 0
	s_subb_u32 s22, s69, s23
	s_sub_u32 s23, s2, s35
	s_cselect_b32 s24, -1, 0
	s_cmp_lg_u32 s24, 0
	s_subb_u32 s24, s22, 0
	s_sub_u32 s36, s23, s35
	s_cselect_b32 s37, -1, 0
	s_cmp_lg_u32 s37, 0
	s_subb_u32 s37, s24, 0
	s_cmp_ge_u32 s23, s35
	s_cselect_b32 s38, -1, 0
	s_cmp_eq_u32 s24, 0
	s_cselect_b32 s38, s38, -1
	s_cmp_lg_u32 s38, 0
	s_cselect_b32 s24, s37, s24
	s_cselect_b32 s36, s36, s23
	s_cmp_ge_u32 s2, s35
	s_cselect_b32 s23, -1, 0
	s_cmp_eq_u32 s22, 0
	s_cselect_b32 s23, s23, -1
	s_cmp_lg_u32 s23, 0
	s_cselect_b32 s23, s24, s22
	s_cselect_b32 s22, s36, s2
	s_branch .LBB162_245
.LBB162_244:                            ;   in Loop: Header=BB162_18 Depth=1
	s_mov_b32 s44, -1
                                        ; implicit-def: $sgpr22_sgpr23
.LBB162_245:                            ;   in Loop: Header=BB162_18 Depth=1
	s_andn2_b32 vcc_lo, exec_lo, s44
	s_cbranch_vccnz .LBB162_247
; %bb.246:                              ;   in Loop: Header=BB162_18 Depth=1
	v_cvt_f32_u32_e32 v3, s35
	s_sub_i32 s22, 0, s35
	v_rcp_iflag_f32_e32 v3, v3
	v_mul_f32_e32 v3, 0x4f7ffffe, v3
	v_cvt_u32_f32_e32 v3, v3
	v_readfirstlane_b32 s2, v3
	s_mul_i32 s22, s22, s2
	s_mul_hi_u32 s22, s2, s22
	s_add_i32 s2, s2, s22
	s_mul_hi_u32 s2, s92, s2
	s_mul_i32 s2, s2, s35
	s_sub_i32 s2, s92, s2
	s_sub_i32 s22, s2, s35
	s_cmp_ge_u32 s2, s35
	s_cselect_b32 s2, s22, s2
	s_sub_i32 s22, s2, s35
	s_cmp_ge_u32 s2, s35
	s_cselect_b32 s66, s22, s2
	s_mov_b64 s[22:23], s[66:67]
.LBB162_247:                            ;   in Loop: Header=BB162_18 Depth=1
	s_sub_u32 s22, s92, s22
	s_subb_u32 s23, s69, s23
	s_mov_b32 s44, exec_lo
                                        ; implicit-def: $vgpr10_vgpr11
	v_cmpx_gt_u64_e64 s[22:23], v[0:1]
	s_cbranch_execz .LBB162_256
; %bb.248:                              ;   in Loop: Header=BB162_18 Depth=1
	v_mov_b32_e32 v31, v1
	v_mov_b32_e32 v30, v0
	s_mov_b32 s46, 0
                                        ; implicit-def: $sgpr47
	s_branch .LBB162_251
.LBB162_249:                            ;   in Loop: Header=BB162_251 Depth=2
	s_or_b32 exec_lo, exec_lo, s66
	s_waitcnt lgkmcnt(0)
	s_barrier
	buffer_gl0_inv
	ds_read_b128 v[8:11], v19 offset:3072
	s_mov_b32 s68, -1
	s_mov_b32 s66, -1
	s_waitcnt lgkmcnt(0)
	s_barrier
	buffer_gl0_inv
	v_cmp_eq_u64_e32 vcc_lo, 0, v[8:9]
	s_cbranch_vccnz .LBB162_254
.LBB162_250:                            ;   in Loop: Header=BB162_251 Depth=2
	s_and_b32 s2, exec_lo, s68
	s_or_b32 s46, s2, s46
	s_andn2_b32 s2, s47, exec_lo
	s_and_b32 s24, s66, exec_lo
	s_or_b32 s47, s2, s24
	s_andn2_b32 exec_lo, exec_lo, s46
	s_cbranch_execz .LBB162_255
.LBB162_251:                            ;   Parent Loop BB162_18 Depth=1
                                        ; =>  This Inner Loop Header: Depth=2
	s_mov_b32 s66, exec_lo
	v_cmpx_gt_u64_e64 s[28:29], v[30:31]
	s_cbranch_execz .LBB162_249
; %bb.252:                              ;   in Loop: Header=BB162_251 Depth=2
	v_mul_lo_u32 v5, v31, s26
	v_mul_lo_u32 v8, v30, s27
	v_mad_u64_u32 v[3:4], null, v30, s26, 0
	v_add3_u32 v4, v4, v8, v5
	v_lshlrev_b64 v[3:4], 3, v[3:4]
	v_add_co_u32 v3, vcc_lo, s25, v3
	v_add_co_ci_u32_e64 v4, null, s33, v4, vcc_lo
	global_load_dwordx2 v[4:5], v[3:4], off
	s_waitcnt vmcnt(0)
	v_xor_b32_e32 v3, 0x80000000, v5
	v_and_b32_e32 v8, v4, v12
	v_and_b32_e32 v9, v3, v13
	v_cmp_eq_u64_e32 vcc_lo, v[8:9], v[14:15]
	s_and_b32 exec_lo, exec_lo, vcc_lo
	s_cbranch_execz .LBB162_249
; %bb.253:                              ;   in Loop: Header=BB162_251 Depth=2
	v_mov_b32_e32 v3, v19
	ds_write_b128 v19, v[2:5] offset:3072
	s_branch .LBB162_249
.LBB162_254:                            ;   in Loop: Header=BB162_251 Depth=2
	v_add_co_u32 v30, vcc_lo, v30, s35
	v_add_co_ci_u32_e64 v31, null, 0, v31, vcc_lo
	s_mov_b32 s66, 0
	v_cmp_le_u64_e32 vcc_lo, s[22:23], v[30:31]
	s_orn2_b32 s68, vcc_lo, exec_lo
	s_branch .LBB162_250
.LBB162_255:                            ;   in Loop: Header=BB162_18 Depth=1
	s_or_b32 exec_lo, exec_lo, s46
	s_andn2_b32 s2, s45, exec_lo
	s_and_b32 s22, s47, exec_lo
	s_or_b32 s45, s2, s22
.LBB162_256:                            ;   in Loop: Header=BB162_18 Depth=1
	s_or_b32 exec_lo, exec_lo, s44
	s_mov_b32 s68, 0
	s_mov_b32 s44, -1
.LBB162_257:                            ;   in Loop: Header=BB162_18 Depth=1
	s_orn2_b32 s23, s45, exec_lo
.LBB162_258:                            ;   in Loop: Header=BB162_18 Depth=1
	s_or_b32 exec_lo, exec_lo, s55
	s_mov_b32 s45, 0
	s_and_saveexec_b32 s22, s23
	s_cbranch_execz .LBB162_269
; %bb.259:                              ;   in Loop: Header=BB162_18 Depth=1
	v_mov_b32_e32 v3, 1
	v_mov_b32_e32 v4, 0
	;; [unrolled: 1-line block ×3, first 2 shown]
	s_xor_b32 s2, s54, -1
	s_and_saveexec_b32 s23, s2
	s_cbranch_execz .LBB162_268
; %bb.260:                              ;   in Loop: Header=BB162_18 Depth=1
	s_mov_b32 s2, exec_lo
	v_cmpx_ge_u64_e64 s[20:21], v[28:29]
	s_xor_b32 s45, exec_lo, s2
	s_cbranch_execz .LBB162_265
; %bb.261:                              ;   in Loop: Header=BB162_18 Depth=1
	ds_read_b64 v[3:4], v19 offset:5120
	v_or_b32_e32 v15, s13, v15
	v_or_b32_e32 v14, s12, v14
	;; [unrolled: 1-line block ×4, first 2 shown]
	s_waitcnt lgkmcnt(0)
	v_cmp_ne_u64_e32 vcc_lo, 0, v[3:4]
	s_cbranch_vccnz .LBB162_265
; %bb.262:                              ;   in Loop: Header=BB162_18 Depth=1
	s_and_saveexec_b32 s46, s3
; %bb.263:                              ;   in Loop: Header=BB162_18 Depth=1
	v_mov_b32_e32 v3, s20
	v_mov_b32_e32 v4, s21
	ds_write_b64 v19, v[3:4] offset:5128
; %bb.264:                              ;   in Loop: Header=BB162_18 Depth=1
	s_or_b32 exec_lo, exec_lo, s46
	s_waitcnt lgkmcnt(0)
	s_barrier
	buffer_gl0_inv
.LBB162_265:                            ;   in Loop: Header=BB162_18 Depth=1
	s_andn2_saveexec_b32 s45, s45
; %bb.266:                              ;   in Loop: Header=BB162_18 Depth=1
	v_sub_co_u32 v28, vcc_lo, v28, s20
	v_subrev_co_ci_u32_e64 v29, null, s21, v29, vcc_lo
; %bb.267:                              ;   in Loop: Header=BB162_18 Depth=1
	s_or_b32 exec_lo, exec_lo, s45
	v_mov_b32_e32 v3, v28
	v_mov_b32_e32 v39, 8
	;; [unrolled: 1-line block ×3, first 2 shown]
.LBB162_268:                            ;   in Loop: Header=BB162_18 Depth=1
	s_or_b32 exec_lo, exec_lo, s23
	v_mov_b32_e32 v29, v4
	v_mov_b32_e32 v28, v3
	s_mov_b32 s45, exec_lo
.LBB162_269:                            ;   in Loop: Header=BB162_18 Depth=1
	s_or_b32 exec_lo, exec_lo, s22
	s_orn2_b32 s22, s45, exec_lo
.LBB162_270:                            ;   in Loop: Header=BB162_18 Depth=1
	s_or_b32 exec_lo, exec_lo, s63
	v_mov_b32_e32 v31, v29
	v_mov_b32_e32 v30, v28
	s_andn2_b32 s23, s85, exec_lo
	s_and_b32 s44, s44, exec_lo
	s_andn2_b32 s45, s84, exec_lo
	s_and_b32 s46, s68, exec_lo
	s_or_b32 s85, s23, s44
	s_or_b32 s84, s45, s46
	s_and_b32 s23, s22, exec_lo
.LBB162_271:                            ;   in Loop: Header=BB162_18 Depth=1
	s_or_b32 exec_lo, exec_lo, s62
	s_orn2_b32 s22, s23, exec_lo
.LBB162_272:                            ;   in Loop: Header=BB162_18 Depth=1
	s_or_b32 exec_lo, exec_lo, s83
	v_mov_b32_e32 v28, v30
	v_mov_b32_e32 v29, v31
	s_andn2_b32 s23, s81, exec_lo
	s_and_b32 s44, s85, exec_lo
	s_andn2_b32 s45, s80, exec_lo
	s_and_b32 s46, s84, exec_lo
	s_or_b32 s81, s23, s44
	s_or_b32 s80, s45, s46
	s_and_b32 s23, s22, exec_lo
.LBB162_273:                            ;   in Loop: Header=BB162_18 Depth=1
	s_or_b32 exec_lo, exec_lo, s82
	s_orn2_b32 s22, s23, exec_lo
.LBB162_274:                            ;   in Loop: Header=BB162_18 Depth=1
	s_or_b32 exec_lo, exec_lo, s6
	s_mov_b32 s6, 0
	s_mov_b32 s23, 0
	s_and_saveexec_b32 s44, s22
	s_xor_b32 s22, exec_lo, s44
; %bb.275:                              ;   in Loop: Header=BB162_18 Depth=1
	v_cmp_ne_u32_e32 vcc_lo, 8, v39
	v_cmp_eq_u32_e64 s6, 8, v39
	s_and_b32 s23, vcc_lo, exec_lo
	s_and_b32 s6, s6, exec_lo
; %bb.276:                              ;   in Loop: Header=BB162_18 Depth=1
	s_or_b32 exec_lo, exec_lo, s22
	s_andn2_b32 s22, s77, exec_lo
	s_and_b32 s44, s81, exec_lo
	s_andn2_b32 s45, s76, exec_lo
	s_and_b32 s46, s80, exec_lo
	s_or_b32 s77, s22, s44
	s_or_b32 s76, s45, s46
	s_and_b32 s74, s23, exec_lo
	s_and_b32 s75, s6, exec_lo
.LBB162_277:                            ;   in Loop: Header=BB162_18 Depth=1
	s_or_b32 exec_lo, exec_lo, s79
.LBB162_278:                            ;   in Loop: Header=BB162_18 Depth=1
	s_and_b32 vcc_lo, exec_lo, s78
	s_cbranch_vccz .LBB162_294
; %bb.279:                              ;   in Loop: Header=BB162_18 Depth=1
	s_cmp_eq_u64 s[20:21], 1
                                        ; implicit-def: $sgpr78
                                        ; implicit-def: $sgpr9
	s_cselect_b32 s6, -1, 0
	s_and_b32 s62, s6, s7
	s_mov_b32 s6, -1
	s_and_saveexec_b32 s54, s62
	s_cbranch_execz .LBB162_312
; %bb.280:                              ;   in Loop: Header=BB162_18 Depth=1
	ds_read_b64 v[3:4], v19 offset:5120
	s_waitcnt lgkmcnt(0)
	s_barrier
	buffer_gl0_inv
	v_readfirstlane_b32 s6, v3
	v_readfirstlane_b32 s7, v4
	s_and_saveexec_b32 s9, s8
; %bb.281:                              ;   in Loop: Header=BB162_18 Depth=1
	v_mov_b32_e32 v18, v19
	ds_write_b64 v35, v[18:19]
; %bb.282:                              ;   in Loop: Header=BB162_18 Depth=1
	s_or_b32 exec_lo, exec_lo, s9
	v_or_b32_e32 v23, s13, v23
	v_or_b32_e32 v22, s12, v22
	;; [unrolled: 1-line block ×4, first 2 shown]
	s_mov_b32 s9, -1
	s_mov_b32 s78, 0
	s_cmp_eq_u64 s[6:7], 0
	s_mov_b32 s44, 0
	s_mov_b32 s45, -1
	s_waitcnt lgkmcnt(0)
	s_barrier
	buffer_gl0_inv
                                        ; implicit-def: $vgpr6_vgpr7
	s_cbranch_scc1 .LBB162_297
; %bb.283:                              ;   in Loop: Header=BB162_18 Depth=1
	s_add_u32 s44, s6, s90
	s_addc_u32 s23, s7, s91
	s_mov_b32 s22, s67
	s_cmp_lg_u64 s[22:23], 0
	s_cbranch_scc0 .LBB162_338
; %bb.284:                              ;   in Loop: Header=BB162_18 Depth=1
	v_cvt_f32_u32_e32 v3, s35
	s_sub_u32 s46, 0, s35
	s_subb_u32 s47, 0, 0
	v_fmac_f32_e64 v3, 0x4f800000, 0
	v_rcp_f32_e32 v3, v3
	v_mul_f32_e32 v3, 0x5f7ffffc, v3
	v_mul_f32_e32 v4, 0x2f800000, v3
	v_trunc_f32_e32 v4, v4
	v_fmac_f32_e32 v3, 0xcf800000, v4
	v_cvt_u32_f32_e32 v4, v4
	v_cvt_u32_f32_e32 v3, v3
	v_readfirstlane_b32 s22, v4
	v_readfirstlane_b32 s45, v3
	s_mul_i32 s55, s46, s22
	s_mul_hi_u32 s66, s46, s45
	s_mul_i32 s63, s47, s45
	s_add_i32 s55, s66, s55
	s_mul_i32 s68, s46, s45
	s_add_i32 s55, s55, s63
	s_mul_hi_u32 s66, s45, s68
	s_mul_i32 s73, s45, s55
	s_mul_hi_u32 s72, s22, s68
	s_mul_i32 s63, s22, s68
	s_mul_hi_u32 s68, s45, s55
	s_add_u32 s66, s66, s73
	s_addc_u32 s68, 0, s68
	s_mul_hi_u32 s76, s22, s55
	s_add_u32 s63, s66, s63
	s_mul_i32 s55, s22, s55
	s_addc_u32 s63, s68, s72
	s_addc_u32 s66, s76, 0
	s_add_u32 s55, s63, s55
	s_addc_u32 s63, 0, s66
	s_add_u32 s45, s45, s55
	s_cselect_b32 s55, -1, 0
	s_mul_hi_u32 s66, s46, s45
	s_cmp_lg_u32 s55, 0
	s_mul_i32 s55, s46, s45
	s_addc_u32 s22, s22, s63
	s_mul_i32 s47, s47, s45
	s_mul_i32 s46, s46, s22
	s_mul_hi_u32 s63, s45, s55
	s_add_i32 s46, s66, s46
	s_mul_hi_u32 s66, s22, s55
	s_add_i32 s46, s46, s47
	s_mul_i32 s47, s22, s55
	s_mul_i32 s72, s45, s46
	s_mul_hi_u32 s68, s45, s46
	s_add_u32 s63, s63, s72
	s_addc_u32 s68, 0, s68
	s_mul_hi_u32 s55, s22, s46
	s_add_u32 s47, s63, s47
	s_mul_i32 s46, s22, s46
	s_addc_u32 s47, s68, s66
	s_addc_u32 s55, s55, 0
	s_add_u32 s46, s47, s46
	s_addc_u32 s47, 0, s55
	s_add_u32 s45, s45, s46
	s_cselect_b32 s46, -1, 0
	s_mul_hi_u32 s55, s44, s45
	s_cmp_lg_u32 s46, 0
	s_mul_hi_u32 s46, s23, s45
	s_addc_u32 s22, s22, s47
	s_mul_i32 s45, s23, s45
	s_mul_i32 s63, s44, s22
	s_mul_hi_u32 s47, s44, s22
	s_add_u32 s55, s55, s63
	s_addc_u32 s47, 0, s47
	s_mul_hi_u32 s66, s23, s22
	s_add_u32 s45, s55, s45
	s_mul_i32 s22, s23, s22
	s_addc_u32 s45, s47, s46
	s_addc_u32 s46, s66, 0
	s_add_u32 s22, s45, s22
	s_addc_u32 s45, 0, s46
	s_mul_hi_u32 s46, s35, s22
	s_mul_i32 s45, s35, s45
	s_mul_i32 s22, s35, s22
	s_add_i32 s46, s46, s45
	s_sub_u32 s22, s44, s22
	s_cselect_b32 s45, -1, 0
	s_cmp_lg_u32 s45, 0
	s_subb_u32 s45, s23, s46
	s_sub_u32 s46, s22, s35
	s_cselect_b32 s47, -1, 0
	s_cmp_lg_u32 s47, 0
	s_subb_u32 s47, s45, 0
	s_sub_u32 s55, s46, s35
	s_cselect_b32 s63, -1, 0
	s_cmp_lg_u32 s63, 0
	s_subb_u32 s63, s47, 0
	s_cmp_ge_u32 s46, s35
	s_cselect_b32 s66, -1, 0
	s_cmp_eq_u32 s47, 0
	s_cselect_b32 s66, s66, -1
	s_cmp_lg_u32 s66, 0
	s_cselect_b32 s47, s63, s47
	s_cselect_b32 s46, s55, s46
	s_cmp_ge_u32 s22, s35
	s_cselect_b32 s55, -1, 0
	s_cmp_eq_u32 s45, 0
	s_cselect_b32 s55, s55, -1
	s_cmp_lg_u32 s55, 0
	s_cselect_b32 s73, s47, s45
	s_cselect_b32 s72, s46, s22
	s_cbranch_execnz .LBB162_286
.LBB162_285:                            ;   in Loop: Header=BB162_18 Depth=1
	v_cvt_f32_u32_e32 v3, s35
	s_sub_i32 s45, 0, s35
	v_rcp_iflag_f32_e32 v3, v3
	v_mul_f32_e32 v3, 0x4f7ffffe, v3
	v_cvt_u32_f32_e32 v3, v3
	v_readfirstlane_b32 s22, v3
	s_mul_i32 s45, s45, s22
	s_mul_hi_u32 s45, s22, s45
	s_add_i32 s22, s22, s45
	s_mul_hi_u32 s22, s44, s22
	s_mul_i32 s22, s22, s35
	s_sub_i32 s22, s44, s22
	s_sub_i32 s45, s22, s35
	s_cmp_ge_u32 s22, s35
	s_cselect_b32 s22, s45, s22
	s_sub_i32 s45, s22, s35
	s_cmp_ge_u32 s22, s35
	s_cselect_b32 s66, s45, s22
	s_mov_b64 s[72:73], s[66:67]
.LBB162_286:                            ;   in Loop: Header=BB162_18 Depth=1
	s_sub_u32 s22, s44, s72
	s_subb_u32 s23, s23, s73
	s_mov_b32 s45, 0
	s_mov_b32 s44, 0
	s_mov_b32 s46, exec_lo
                                        ; implicit-def: $vgpr6_vgpr7
	v_cmpx_gt_u64_e64 s[22:23], v[0:1]
	s_cbranch_execz .LBB162_296
; %bb.287:                              ;   in Loop: Header=BB162_18 Depth=1
	v_mov_b32_e32 v9, v1
	v_mov_b32_e32 v10, v34
	;; [unrolled: 1-line block ×3, first 2 shown]
                                        ; implicit-def: $sgpr47
	s_inst_prefetch 0x1
	s_branch .LBB162_290
	.p2align	6
.LBB162_288:                            ;   in Loop: Header=BB162_290 Depth=2
	s_or_b32 exec_lo, exec_lo, s55
	s_waitcnt lgkmcnt(0)
	s_barrier
	buffer_gl0_inv
	ds_read_b128 v[4:7], v19 offset:3072
	s_mov_b32 s55, -1
	s_mov_b32 s63, -1
	s_waitcnt lgkmcnt(0)
	s_barrier
	buffer_gl0_inv
	v_cmp_ne_u64_e32 vcc_lo, 0, v[4:5]
	s_cbranch_vccz .LBB162_293
.LBB162_289:                            ;   in Loop: Header=BB162_290 Depth=2
	s_and_b32 s2, exec_lo, s55
	s_or_b32 s44, s2, s44
	s_andn2_b32 s2, s47, exec_lo
	s_and_b32 s24, s63, exec_lo
	s_or_b32 s47, s2, s24
	s_andn2_b32 exec_lo, exec_lo, s44
	s_cbranch_execz .LBB162_295
.LBB162_290:                            ;   Parent Loop BB162_18 Depth=1
                                        ; =>  This Inner Loop Header: Depth=2
	s_mov_b32 s55, exec_lo
	v_cmpx_gt_u64_e64 s[6:7], v[8:9]
	s_cbranch_execz .LBB162_288
; %bb.291:                              ;   in Loop: Header=BB162_290 Depth=2
	ds_read_b64 v[4:5], v10
	s_waitcnt lgkmcnt(0)
	v_xor_b32_e32 v3, 0x80000000, v5
	v_and_b32_e32 v6, v4, v24
	v_and_b32_e32 v7, v3, v25
	v_cmp_eq_u64_e32 vcc_lo, v[6:7], v[22:23]
	s_and_b32 exec_lo, exec_lo, vcc_lo
	s_cbranch_execz .LBB162_288
; %bb.292:                              ;   in Loop: Header=BB162_290 Depth=2
	v_mov_b32_e32 v3, v19
	ds_write_b128 v19, v[2:5] offset:3072
	s_branch .LBB162_288
.LBB162_293:                            ;   in Loop: Header=BB162_290 Depth=2
	v_add_co_u32 v8, vcc_lo, v8, s35
	v_add_co_ci_u32_e64 v9, null, 0, v9, vcc_lo
	v_add_nc_u32_e32 v10, s96, v10
	s_mov_b32 s63, 0
	v_cmp_le_u64_e32 vcc_lo, s[22:23], v[8:9]
	s_orn2_b32 s55, vcc_lo, exec_lo
	s_branch .LBB162_289
.LBB162_294:                            ;   in Loop: Header=BB162_18 Depth=1
	v_mov_b32_e32 v23, v15
	v_mov_b32_e32 v25, v13
	;; [unrolled: 1-line block ×6, first 2 shown]
	s_mov_b32 s78, 0
	s_and_saveexec_b32 s6, s75
	s_cbranch_execnz .LBB162_471
	s_branch .LBB162_472
.LBB162_295:                            ;   in Loop: Header=BB162_18 Depth=1
	s_inst_prefetch 0x2
	s_or_b32 exec_lo, exec_lo, s44
	s_and_b32 s44, s47, exec_lo
.LBB162_296:                            ;   in Loop: Header=BB162_18 Depth=1
	s_or_b32 exec_lo, exec_lo, s46
.LBB162_297:                            ;   in Loop: Header=BB162_18 Depth=1
	s_and_b32 vcc_lo, exec_lo, s45
	s_cbranch_vccz .LBB162_311
; %bb.298:                              ;   in Loop: Header=BB162_18 Depth=1
	s_mov_b32 s68, s67
	s_cmp_lg_u64 s[68:69], 0
	s_cbranch_scc0 .LBB162_339
; %bb.299:                              ;   in Loop: Header=BB162_18 Depth=1
	v_cvt_f32_u32_e32 v3, s35
	s_sub_u32 s9, 0, s35
	s_subb_u32 s22, 0, 0
	v_fmac_f32_e64 v3, 0x4f800000, 0
	v_rcp_f32_e32 v3, v3
	v_mul_f32_e32 v3, 0x5f7ffffc, v3
	v_mul_f32_e32 v4, 0x2f800000, v3
	v_trunc_f32_e32 v4, v4
	v_fmac_f32_e32 v3, 0xcf800000, v4
	v_cvt_u32_f32_e32 v4, v4
	v_cvt_u32_f32_e32 v3, v3
	v_readfirstlane_b32 s6, v4
	v_readfirstlane_b32 s7, v3
	s_mul_i32 s23, s9, s6
	s_mul_hi_u32 s46, s9, s7
	s_mul_i32 s45, s22, s7
	s_add_i32 s23, s46, s23
	s_mul_i32 s47, s9, s7
	s_add_i32 s23, s23, s45
	s_mul_hi_u32 s46, s7, s47
	s_mul_i32 s63, s7, s23
	s_mul_hi_u32 s55, s6, s47
	s_mul_i32 s45, s6, s47
	s_mul_hi_u32 s47, s7, s23
	s_add_u32 s46, s46, s63
	s_addc_u32 s47, 0, s47
	s_mul_hi_u32 s66, s6, s23
	s_add_u32 s45, s46, s45
	s_mul_i32 s23, s6, s23
	s_addc_u32 s45, s47, s55
	s_addc_u32 s46, s66, 0
	s_add_u32 s23, s45, s23
	s_addc_u32 s45, 0, s46
	s_add_u32 s7, s7, s23
	s_cselect_b32 s23, -1, 0
	s_mul_hi_u32 s46, s9, s7
	s_cmp_lg_u32 s23, 0
	s_mul_i32 s23, s9, s7
	s_addc_u32 s6, s6, s45
	s_mul_i32 s22, s22, s7
	s_mul_i32 s9, s9, s6
	s_mul_hi_u32 s45, s7, s23
	s_add_i32 s9, s46, s9
	s_mul_hi_u32 s46, s6, s23
	s_add_i32 s9, s9, s22
	s_mul_i32 s22, s6, s23
	s_mul_i32 s55, s7, s9
	s_mul_hi_u32 s47, s7, s9
	s_add_u32 s45, s45, s55
	s_addc_u32 s47, 0, s47
	s_mul_hi_u32 s23, s6, s9
	s_add_u32 s22, s45, s22
	s_mul_i32 s9, s6, s9
	s_addc_u32 s22, s47, s46
	s_addc_u32 s23, s23, 0
	s_add_u32 s9, s22, s9
	s_addc_u32 s22, 0, s23
	s_add_u32 s7, s7, s9
	s_cselect_b32 s9, -1, 0
	s_mul_hi_u32 s23, s92, s7
	s_cmp_lg_u32 s9, 0
	s_mul_hi_u32 s9, s69, s7
	s_addc_u32 s6, s6, s22
	s_mul_i32 s7, s69, s7
	s_mul_i32 s45, s92, s6
	s_mul_hi_u32 s22, s92, s6
	s_add_u32 s23, s23, s45
	s_addc_u32 s22, 0, s22
	s_mul_hi_u32 s46, s69, s6
	s_add_u32 s7, s23, s7
	s_mul_i32 s6, s69, s6
	s_addc_u32 s7, s22, s9
	s_addc_u32 s9, s46, 0
	s_add_u32 s6, s7, s6
	s_addc_u32 s7, 0, s9
	s_mul_hi_u32 s9, s35, s6
	s_mul_i32 s7, s35, s7
	s_mul_i32 s6, s35, s6
	s_add_i32 s9, s9, s7
	s_sub_u32 s6, s92, s6
	s_cselect_b32 s7, -1, 0
	s_cmp_lg_u32 s7, 0
	s_subb_u32 s7, s69, s9
	s_sub_u32 s9, s6, s35
	s_cselect_b32 s22, -1, 0
	s_cmp_lg_u32 s22, 0
	s_subb_u32 s22, s7, 0
	;; [unrolled: 4-line block ×3, first 2 shown]
	s_cmp_ge_u32 s9, s35
	s_cselect_b32 s46, -1, 0
	s_cmp_eq_u32 s22, 0
	s_cselect_b32 s46, s46, -1
	s_cmp_lg_u32 s46, 0
	s_cselect_b32 s22, s45, s22
	s_cselect_b32 s9, s23, s9
	s_cmp_ge_u32 s6, s35
	s_cselect_b32 s23, -1, 0
	s_cmp_eq_u32 s7, 0
	s_cselect_b32 s23, s23, -1
	s_cmp_lg_u32 s23, 0
	s_cselect_b32 s7, s22, s7
	s_cselect_b32 s6, s9, s6
	s_cbranch_execnz .LBB162_301
.LBB162_300:                            ;   in Loop: Header=BB162_18 Depth=1
	v_cvt_f32_u32_e32 v3, s35
	s_sub_i32 s7, 0, s35
	v_rcp_iflag_f32_e32 v3, v3
	v_mul_f32_e32 v3, 0x4f7ffffe, v3
	v_cvt_u32_f32_e32 v3, v3
	v_readfirstlane_b32 s6, v3
	s_mul_i32 s7, s7, s6
	s_mul_hi_u32 s7, s6, s7
	s_add_i32 s6, s6, s7
	s_mul_hi_u32 s6, s92, s6
	s_mul_i32 s6, s6, s35
	s_sub_i32 s6, s92, s6
	s_sub_i32 s7, s6, s35
	s_cmp_ge_u32 s6, s35
	s_cselect_b32 s6, s7, s6
	s_sub_i32 s7, s6, s35
	s_cmp_ge_u32 s6, s35
	s_cselect_b32 s66, s7, s6
	s_mov_b64 s[6:7], s[66:67]
.LBB162_301:                            ;   in Loop: Header=BB162_18 Depth=1
	s_sub_u32 s6, s92, s6
	s_subb_u32 s7, s69, s7
	s_mov_b32 s9, exec_lo
                                        ; implicit-def: $vgpr6_vgpr7
	v_cmpx_gt_u64_e64 s[6:7], v[0:1]
	s_cbranch_execz .LBB162_310
; %bb.302:                              ;   in Loop: Header=BB162_18 Depth=1
	v_mov_b32_e32 v9, v1
	v_mov_b32_e32 v8, v0
	s_mov_b32 s23, 0
                                        ; implicit-def: $sgpr22
	s_branch .LBB162_305
.LBB162_303:                            ;   in Loop: Header=BB162_305 Depth=2
	s_or_b32 exec_lo, exec_lo, s45
	s_waitcnt lgkmcnt(0)
	s_barrier
	buffer_gl0_inv
	ds_read_b128 v[4:7], v19 offset:3072
	s_mov_b32 s46, -1
	s_mov_b32 s45, -1
	s_waitcnt lgkmcnt(0)
	s_barrier
	buffer_gl0_inv
	v_cmp_ne_u64_e32 vcc_lo, 0, v[4:5]
	s_cbranch_vccz .LBB162_308
.LBB162_304:                            ;   in Loop: Header=BB162_305 Depth=2
	s_and_b32 s2, exec_lo, s46
	s_or_b32 s23, s2, s23
	s_andn2_b32 s2, s22, exec_lo
	s_and_b32 s22, s45, exec_lo
	s_or_b32 s22, s2, s22
	s_andn2_b32 exec_lo, exec_lo, s23
	s_cbranch_execz .LBB162_309
.LBB162_305:                            ;   Parent Loop BB162_18 Depth=1
                                        ; =>  This Inner Loop Header: Depth=2
	s_mov_b32 s45, exec_lo
	v_cmpx_gt_u64_e64 s[28:29], v[8:9]
	s_cbranch_execz .LBB162_303
; %bb.306:                              ;   in Loop: Header=BB162_305 Depth=2
	v_mul_lo_u32 v5, v9, s26
	v_mul_lo_u32 v6, v8, s27
	v_mad_u64_u32 v[3:4], null, v8, s26, 0
	v_add3_u32 v4, v4, v6, v5
	v_lshlrev_b64 v[3:4], 3, v[3:4]
	v_add_co_u32 v3, vcc_lo, s25, v3
	v_add_co_ci_u32_e64 v4, null, s33, v4, vcc_lo
	global_load_dwordx2 v[4:5], v[3:4], off
	s_waitcnt vmcnt(0)
	v_xor_b32_e32 v3, 0x80000000, v5
	v_and_b32_e32 v6, v4, v24
	v_and_b32_e32 v7, v3, v25
	v_cmp_eq_u64_e32 vcc_lo, v[6:7], v[22:23]
	s_and_b32 exec_lo, exec_lo, vcc_lo
	s_cbranch_execz .LBB162_303
; %bb.307:                              ;   in Loop: Header=BB162_305 Depth=2
	v_mov_b32_e32 v3, v19
	ds_write_b128 v19, v[2:5] offset:3072
	s_branch .LBB162_303
.LBB162_308:                            ;   in Loop: Header=BB162_305 Depth=2
	v_add_co_u32 v8, vcc_lo, v8, s35
	v_add_co_ci_u32_e64 v9, null, 0, v9, vcc_lo
	s_mov_b32 s45, 0
	v_cmp_le_u64_e32 vcc_lo, s[6:7], v[8:9]
	s_orn2_b32 s46, vcc_lo, exec_lo
	s_branch .LBB162_304
.LBB162_309:                            ;   in Loop: Header=BB162_18 Depth=1
	s_or_b32 exec_lo, exec_lo, s23
	s_andn2_b32 s2, s44, exec_lo
	s_and_b32 s6, s22, exec_lo
	s_or_b32 s44, s2, s6
.LBB162_310:                            ;   in Loop: Header=BB162_18 Depth=1
	s_or_b32 exec_lo, exec_lo, s9
	s_mov_b32 s9, 0
	s_mov_b32 s78, -1
.LBB162_311:                            ;   in Loop: Header=BB162_18 Depth=1
	s_orn2_b32 s6, s44, exec_lo
.LBB162_312:                            ;   in Loop: Header=BB162_18 Depth=1
	s_or_b32 exec_lo, exec_lo, s54
                                        ; implicit-def: $vgpr28_vgpr29
                                        ; implicit-def: $vgpr39
	s_and_saveexec_b32 s72, s6
	s_cbranch_execz .LBB162_470
; %bb.313:                              ;   in Loop: Header=BB162_18 Depth=1
	v_mov_b32_e32 v28, 1
	v_mov_b32_e32 v29, 0
	;; [unrolled: 1-line block ×3, first 2 shown]
	s_xor_b32 s22, s62, -1
	s_mov_b32 s7, 0
	s_and_saveexec_b32 s6, s22
	s_cbranch_execz .LBB162_322
; %bb.314:                              ;   in Loop: Header=BB162_18 Depth=1
	s_mov_b32 s7, exec_lo
	v_cmpx_ge_u64_e64 s[20:21], v[26:27]
	s_xor_b32 s7, exec_lo, s7
	s_cbranch_execz .LBB162_319
; %bb.315:                              ;   in Loop: Header=BB162_18 Depth=1
	ds_read_b64 v[3:4], v19 offset:5120
	v_or_b32_e32 v23, s13, v23
	v_or_b32_e32 v22, s12, v22
	;; [unrolled: 1-line block ×4, first 2 shown]
	s_waitcnt lgkmcnt(0)
	v_cmp_ne_u64_e32 vcc_lo, 0, v[3:4]
	s_cbranch_vccnz .LBB162_319
; %bb.316:                              ;   in Loop: Header=BB162_18 Depth=1
	s_and_saveexec_b32 s22, s3
; %bb.317:                              ;   in Loop: Header=BB162_18 Depth=1
	v_mov_b32_e32 v3, s20
	v_mov_b32_e32 v4, s21
	ds_write_b64 v19, v[3:4] offset:5128
; %bb.318:                              ;   in Loop: Header=BB162_18 Depth=1
	s_or_b32 exec_lo, exec_lo, s22
	s_waitcnt lgkmcnt(0)
	s_barrier
	buffer_gl0_inv
.LBB162_319:                            ;   in Loop: Header=BB162_18 Depth=1
	s_or_saveexec_b32 s7, s7
	v_mov_b32_e32 v39, 5
	s_mov_b32 s22, 0
	s_xor_b32 exec_lo, exec_lo, s7
; %bb.320:                              ;   in Loop: Header=BB162_18 Depth=1
	v_sub_co_u32 v26, vcc_lo, v26, s20
	v_subrev_co_ci_u32_e64 v27, null, s21, v27, vcc_lo
	v_mov_b32_e32 v39, 0
	s_mov_b32 s22, exec_lo
; %bb.321:                              ;   in Loop: Header=BB162_18 Depth=1
	s_or_b32 exec_lo, exec_lo, s7
	v_mov_b32_e32 v29, v27
	v_mov_b32_e32 v28, v26
	s_and_b32 s7, s22, exec_lo
.LBB162_322:                            ;   in Loop: Header=BB162_18 Depth=1
	s_or_b32 exec_lo, exec_lo, s6
	s_mov_b32 s6, -1
                                        ; implicit-def: $sgpr76
                                        ; implicit-def: $sgpr77
	s_and_saveexec_b32 s20, s7
	s_xor_b32 s73, exec_lo, s20
	s_cbranch_execz .LBB162_467
; %bb.323:                              ;   in Loop: Header=BB162_18 Depth=1
	v_cmp_eq_u64_e32 vcc_lo, 1, v[28:29]
	s_cmp_eq_u64 s[18:19], 1
                                        ; implicit-def: $sgpr77
                                        ; implicit-def: $sgpr76
	s_cselect_b32 s6, -1, 0
	s_and_b32 s62, s6, vcc_lo
	s_mov_b32 s6, -1
	s_and_saveexec_b32 s54, s62
	s_cbranch_execz .LBB162_357
; %bb.324:                              ;   in Loop: Header=BB162_18 Depth=1
	ds_read_b64 v[3:4], v19 offset:5120
	s_waitcnt lgkmcnt(0)
	s_barrier
	buffer_gl0_inv
	v_readfirstlane_b32 s6, v3
	v_readfirstlane_b32 s7, v4
	s_and_saveexec_b32 s20, s8
; %bb.325:                              ;   in Loop: Header=BB162_18 Depth=1
	v_mov_b32_e32 v18, v19
	ds_write_b64 v35, v[18:19]
; %bb.326:                              ;   in Loop: Header=BB162_18 Depth=1
	s_or_b32 exec_lo, exec_lo, s20
	v_and_b32_e32 v3, s15, v23
	v_and_b32_e32 v4, s14, v22
	s_lshl_b64 s[20:21], 2, s65
	v_or_b32_e32 v25, s13, v25
	v_or_b32_e32 v24, s12, v24
	;; [unrolled: 1-line block ×4, first 2 shown]
	s_mov_b32 s76, -1
	s_mov_b32 s77, 0
	s_cmp_eq_u64 s[6:7], 0
	s_mov_b32 s22, 0
	s_mov_b32 s23, -1
	s_waitcnt lgkmcnt(0)
	s_barrier
	buffer_gl0_inv
                                        ; implicit-def: $vgpr6_vgpr7
	s_cbranch_scc1 .LBB162_342
; %bb.327:                              ;   in Loop: Header=BB162_18 Depth=1
	s_add_u32 s44, s6, s90
	s_addc_u32 s21, s7, s91
	s_mov_b32 s20, s67
	s_cmp_lg_u64 s[20:21], 0
	s_cbranch_scc0 .LBB162_383
; %bb.328:                              ;   in Loop: Header=BB162_18 Depth=1
	v_cvt_f32_u32_e32 v3, s35
	s_sub_u32 s23, 0, s35
	s_subb_u32 s45, 0, 0
	v_fmac_f32_e64 v3, 0x4f800000, 0
	v_rcp_f32_e32 v3, v3
	v_mul_f32_e32 v3, 0x5f7ffffc, v3
	v_mul_f32_e32 v4, 0x2f800000, v3
	v_trunc_f32_e32 v4, v4
	v_fmac_f32_e32 v3, 0xcf800000, v4
	v_cvt_u32_f32_e32 v4, v4
	v_cvt_u32_f32_e32 v3, v3
	v_readfirstlane_b32 s20, v4
	v_readfirstlane_b32 s22, v3
	s_mul_i32 s46, s23, s20
	s_mul_hi_u32 s55, s23, s22
	s_mul_i32 s47, s45, s22
	s_add_i32 s46, s55, s46
	s_mul_i32 s63, s23, s22
	s_add_i32 s46, s46, s47
	s_mul_hi_u32 s55, s22, s63
	s_mul_i32 s68, s22, s46
	s_mul_hi_u32 s66, s20, s63
	s_mul_i32 s47, s20, s63
	s_mul_hi_u32 s63, s22, s46
	s_add_u32 s55, s55, s68
	s_addc_u32 s63, 0, s63
	s_mul_hi_u32 s79, s20, s46
	s_add_u32 s47, s55, s47
	s_mul_i32 s46, s20, s46
	s_addc_u32 s47, s63, s66
	s_addc_u32 s55, s79, 0
	s_add_u32 s46, s47, s46
	s_addc_u32 s47, 0, s55
	s_add_u32 s22, s22, s46
	s_cselect_b32 s46, -1, 0
	s_mul_hi_u32 s55, s23, s22
	s_cmp_lg_u32 s46, 0
	s_mul_i32 s46, s23, s22
	s_addc_u32 s20, s20, s47
	s_mul_i32 s45, s45, s22
	s_mul_i32 s23, s23, s20
	s_mul_hi_u32 s47, s22, s46
	s_add_i32 s23, s55, s23
	s_mul_hi_u32 s55, s20, s46
	s_add_i32 s23, s23, s45
	s_mul_i32 s45, s20, s46
	s_mul_i32 s66, s22, s23
	s_mul_hi_u32 s63, s22, s23
	s_add_u32 s47, s47, s66
	s_addc_u32 s63, 0, s63
	s_mul_hi_u32 s46, s20, s23
	s_add_u32 s45, s47, s45
	s_mul_i32 s23, s20, s23
	s_addc_u32 s45, s63, s55
	s_addc_u32 s46, s46, 0
	s_add_u32 s23, s45, s23
	s_addc_u32 s45, 0, s46
	s_add_u32 s22, s22, s23
	s_cselect_b32 s23, -1, 0
	s_mul_hi_u32 s46, s44, s22
	s_cmp_lg_u32 s23, 0
	s_mul_hi_u32 s23, s21, s22
	s_addc_u32 s20, s20, s45
	s_mul_i32 s22, s21, s22
	s_mul_i32 s47, s44, s20
	s_mul_hi_u32 s45, s44, s20
	s_add_u32 s46, s46, s47
	s_addc_u32 s45, 0, s45
	s_mul_hi_u32 s55, s21, s20
	s_add_u32 s22, s46, s22
	s_mul_i32 s20, s21, s20
	s_addc_u32 s22, s45, s23
	s_addc_u32 s23, s55, 0
	s_add_u32 s20, s22, s20
	s_addc_u32 s22, 0, s23
	s_mul_hi_u32 s23, s35, s20
	s_mul_i32 s22, s35, s22
	s_mul_i32 s20, s35, s20
	s_add_i32 s23, s23, s22
	s_sub_u32 s20, s44, s20
	s_cselect_b32 s22, -1, 0
	s_cmp_lg_u32 s22, 0
	s_subb_u32 s22, s21, s23
	s_sub_u32 s23, s20, s35
	s_cselect_b32 s45, -1, 0
	s_cmp_lg_u32 s45, 0
	s_subb_u32 s45, s22, 0
	;; [unrolled: 4-line block ×3, first 2 shown]
	s_cmp_ge_u32 s23, s35
	s_cselect_b32 s55, -1, 0
	s_cmp_eq_u32 s45, 0
	s_cselect_b32 s55, s55, -1
	s_cmp_lg_u32 s55, 0
	s_cselect_b32 s45, s47, s45
	s_cselect_b32 s46, s46, s23
	s_cmp_ge_u32 s20, s35
	s_cselect_b32 s23, -1, 0
	s_cmp_eq_u32 s22, 0
	s_cselect_b32 s23, s23, -1
	s_cmp_lg_u32 s23, 0
	s_cselect_b32 s23, s45, s22
	s_cselect_b32 s22, s46, s20
	s_cbranch_execnz .LBB162_330
.LBB162_329:                            ;   in Loop: Header=BB162_18 Depth=1
	v_cvt_f32_u32_e32 v3, s35
	s_sub_i32 s22, 0, s35
	v_rcp_iflag_f32_e32 v3, v3
	v_mul_f32_e32 v3, 0x4f7ffffe, v3
	v_cvt_u32_f32_e32 v3, v3
	v_readfirstlane_b32 s20, v3
	s_mul_i32 s22, s22, s20
	s_mul_hi_u32 s22, s20, s22
	s_add_i32 s20, s20, s22
	s_mul_hi_u32 s20, s44, s20
	s_mul_i32 s20, s20, s35
	s_sub_i32 s20, s44, s20
	s_sub_i32 s22, s20, s35
	s_cmp_ge_u32 s20, s35
	s_cselect_b32 s20, s22, s20
	s_sub_i32 s22, s20, s35
	s_cmp_ge_u32 s20, s35
	s_cselect_b32 s66, s22, s20
	s_mov_b64 s[22:23], s[66:67]
.LBB162_330:                            ;   in Loop: Header=BB162_18 Depth=1
	s_sub_u32 s20, s44, s22
	s_subb_u32 s21, s21, s23
	s_mov_b32 s23, 0
	s_mov_b32 s22, 0
	s_mov_b32 s44, exec_lo
                                        ; implicit-def: $vgpr6_vgpr7
	v_cmpx_gt_u64_e64 s[20:21], v[0:1]
	s_cbranch_execz .LBB162_341
; %bb.331:                              ;   in Loop: Header=BB162_18 Depth=1
	v_mov_b32_e32 v9, v1
	v_mov_b32_e32 v10, v34
	;; [unrolled: 1-line block ×3, first 2 shown]
                                        ; implicit-def: $sgpr45
	s_inst_prefetch 0x1
	s_branch .LBB162_334
	.p2align	6
.LBB162_332:                            ;   in Loop: Header=BB162_334 Depth=2
	s_or_b32 exec_lo, exec_lo, s46
	s_waitcnt lgkmcnt(0)
	s_barrier
	buffer_gl0_inv
	ds_read_b128 v[4:7], v19 offset:3072
	s_mov_b32 s46, -1
	s_mov_b32 s47, -1
	s_waitcnt lgkmcnt(0)
	s_barrier
	buffer_gl0_inv
	v_cmp_ne_u64_e32 vcc_lo, 0, v[4:5]
	s_cbranch_vccz .LBB162_337
.LBB162_333:                            ;   in Loop: Header=BB162_334 Depth=2
	s_and_b32 s2, exec_lo, s46
	s_or_b32 s22, s2, s22
	s_andn2_b32 s2, s45, exec_lo
	s_and_b32 s24, s47, exec_lo
	s_or_b32 s45, s2, s24
	s_andn2_b32 exec_lo, exec_lo, s22
	s_cbranch_execz .LBB162_340
.LBB162_334:                            ;   Parent Loop BB162_18 Depth=1
                                        ; =>  This Inner Loop Header: Depth=2
	s_mov_b32 s46, exec_lo
	v_cmpx_gt_u64_e64 s[6:7], v[8:9]
	s_cbranch_execz .LBB162_332
; %bb.335:                              ;   in Loop: Header=BB162_334 Depth=2
	ds_read_b64 v[4:5], v10
	s_waitcnt lgkmcnt(0)
	v_xor_b32_e32 v3, 0x80000000, v5
	v_and_b32_e32 v6, v4, v24
	v_and_b32_e32 v7, v3, v25
	v_cmp_eq_u64_e32 vcc_lo, v[6:7], v[22:23]
	s_and_b32 exec_lo, exec_lo, vcc_lo
	s_cbranch_execz .LBB162_332
; %bb.336:                              ;   in Loop: Header=BB162_334 Depth=2
	v_mov_b32_e32 v3, v19
	ds_write_b128 v19, v[2:5] offset:3072
	s_branch .LBB162_332
.LBB162_337:                            ;   in Loop: Header=BB162_334 Depth=2
	v_add_co_u32 v8, vcc_lo, v8, s35
	v_add_co_ci_u32_e64 v9, null, 0, v9, vcc_lo
	v_add_nc_u32_e32 v10, s96, v10
	s_mov_b32 s47, 0
	v_cmp_le_u64_e32 vcc_lo, s[20:21], v[8:9]
	s_orn2_b32 s46, vcc_lo, exec_lo
	s_branch .LBB162_333
.LBB162_338:                            ;   in Loop: Header=BB162_18 Depth=1
                                        ; implicit-def: $sgpr72_sgpr73
	s_branch .LBB162_285
.LBB162_339:                            ;   in Loop: Header=BB162_18 Depth=1
                                        ; implicit-def: $sgpr6_sgpr7
	s_branch .LBB162_300
.LBB162_340:                            ;   in Loop: Header=BB162_18 Depth=1
	s_inst_prefetch 0x2
	s_or_b32 exec_lo, exec_lo, s22
	s_and_b32 s22, s45, exec_lo
.LBB162_341:                            ;   in Loop: Header=BB162_18 Depth=1
	s_or_b32 exec_lo, exec_lo, s44
.LBB162_342:                            ;   in Loop: Header=BB162_18 Depth=1
	s_and_b32 vcc_lo, exec_lo, s23
	s_cbranch_vccz .LBB162_356
; %bb.343:                              ;   in Loop: Header=BB162_18 Depth=1
	s_mov_b32 s68, s67
	s_cmp_lg_u64 s[68:69], 0
	s_cbranch_scc0 .LBB162_384
; %bb.344:                              ;   in Loop: Header=BB162_18 Depth=1
	v_cvt_f32_u32_e32 v3, s35
	s_sub_u32 s20, 0, s35
	s_subb_u32 s21, 0, 0
	v_fmac_f32_e64 v3, 0x4f800000, 0
	v_rcp_f32_e32 v3, v3
	v_mul_f32_e32 v3, 0x5f7ffffc, v3
	v_mul_f32_e32 v4, 0x2f800000, v3
	v_trunc_f32_e32 v4, v4
	v_fmac_f32_e32 v3, 0xcf800000, v4
	v_cvt_u32_f32_e32 v4, v4
	v_cvt_u32_f32_e32 v3, v3
	v_readfirstlane_b32 s6, v4
	v_readfirstlane_b32 s7, v3
	s_mul_i32 s23, s20, s6
	s_mul_hi_u32 s45, s20, s7
	s_mul_i32 s44, s21, s7
	s_add_i32 s23, s45, s23
	s_mul_i32 s46, s20, s7
	s_add_i32 s23, s23, s44
	s_mul_hi_u32 s45, s7, s46
	s_mul_i32 s55, s7, s23
	s_mul_hi_u32 s47, s6, s46
	s_mul_i32 s44, s6, s46
	s_mul_hi_u32 s46, s7, s23
	s_add_u32 s45, s45, s55
	s_addc_u32 s46, 0, s46
	s_mul_hi_u32 s63, s6, s23
	s_add_u32 s44, s45, s44
	s_mul_i32 s23, s6, s23
	s_addc_u32 s44, s46, s47
	s_addc_u32 s45, s63, 0
	s_add_u32 s23, s44, s23
	s_addc_u32 s44, 0, s45
	s_add_u32 s7, s7, s23
	s_cselect_b32 s23, -1, 0
	s_mul_hi_u32 s45, s20, s7
	s_cmp_lg_u32 s23, 0
	s_mul_i32 s23, s20, s7
	s_addc_u32 s6, s6, s44
	s_mul_i32 s21, s21, s7
	s_mul_i32 s20, s20, s6
	s_mul_hi_u32 s44, s7, s23
	s_add_i32 s20, s45, s20
	s_mul_hi_u32 s45, s6, s23
	s_add_i32 s20, s20, s21
	s_mul_i32 s21, s6, s23
	s_mul_i32 s47, s7, s20
	s_mul_hi_u32 s46, s7, s20
	s_add_u32 s44, s44, s47
	s_addc_u32 s46, 0, s46
	s_mul_hi_u32 s23, s6, s20
	s_add_u32 s21, s44, s21
	s_mul_i32 s20, s6, s20
	s_addc_u32 s21, s46, s45
	s_addc_u32 s23, s23, 0
	s_add_u32 s20, s21, s20
	s_addc_u32 s21, 0, s23
	s_add_u32 s7, s7, s20
	s_cselect_b32 s20, -1, 0
	s_mul_hi_u32 s23, s92, s7
	s_cmp_lg_u32 s20, 0
	s_mul_hi_u32 s20, s69, s7
	s_addc_u32 s6, s6, s21
	s_mul_i32 s7, s69, s7
	s_mul_i32 s44, s92, s6
	s_mul_hi_u32 s21, s92, s6
	s_add_u32 s23, s23, s44
	s_addc_u32 s21, 0, s21
	s_mul_hi_u32 s45, s69, s6
	s_add_u32 s7, s23, s7
	s_mul_i32 s6, s69, s6
	s_addc_u32 s7, s21, s20
	s_addc_u32 s20, s45, 0
	s_add_u32 s6, s7, s6
	s_addc_u32 s7, 0, s20
	s_mul_hi_u32 s20, s35, s6
	s_mul_i32 s7, s35, s7
	s_mul_i32 s6, s35, s6
	s_add_i32 s20, s20, s7
	s_sub_u32 s6, s92, s6
	s_cselect_b32 s7, -1, 0
	s_cmp_lg_u32 s7, 0
	s_subb_u32 s7, s69, s20
	s_sub_u32 s20, s6, s35
	s_cselect_b32 s21, -1, 0
	s_cmp_lg_u32 s21, 0
	s_subb_u32 s21, s7, 0
	;; [unrolled: 4-line block ×3, first 2 shown]
	s_cmp_ge_u32 s20, s35
	s_cselect_b32 s45, -1, 0
	s_cmp_eq_u32 s21, 0
	s_cselect_b32 s45, s45, -1
	s_cmp_lg_u32 s45, 0
	s_cselect_b32 s21, s44, s21
	s_cselect_b32 s20, s23, s20
	s_cmp_ge_u32 s6, s35
	s_cselect_b32 s23, -1, 0
	s_cmp_eq_u32 s7, 0
	s_cselect_b32 s23, s23, -1
	s_cmp_lg_u32 s23, 0
	s_cselect_b32 s7, s21, s7
	s_cselect_b32 s6, s20, s6
	s_cbranch_execnz .LBB162_346
.LBB162_345:                            ;   in Loop: Header=BB162_18 Depth=1
	v_cvt_f32_u32_e32 v3, s35
	s_sub_i32 s7, 0, s35
	v_rcp_iflag_f32_e32 v3, v3
	v_mul_f32_e32 v3, 0x4f7ffffe, v3
	v_cvt_u32_f32_e32 v3, v3
	v_readfirstlane_b32 s6, v3
	s_mul_i32 s7, s7, s6
	s_mul_hi_u32 s7, s6, s7
	s_add_i32 s6, s6, s7
	s_mul_hi_u32 s6, s92, s6
	s_mul_i32 s6, s6, s35
	s_sub_i32 s6, s92, s6
	s_sub_i32 s7, s6, s35
	s_cmp_ge_u32 s6, s35
	s_cselect_b32 s6, s7, s6
	s_sub_i32 s7, s6, s35
	s_cmp_ge_u32 s6, s35
	s_cselect_b32 s66, s7, s6
	s_mov_b64 s[6:7], s[66:67]
.LBB162_346:                            ;   in Loop: Header=BB162_18 Depth=1
	s_sub_u32 s6, s92, s6
	s_subb_u32 s7, s69, s7
	s_mov_b32 s20, exec_lo
                                        ; implicit-def: $vgpr6_vgpr7
	v_cmpx_gt_u64_e64 s[6:7], v[0:1]
	s_cbranch_execz .LBB162_355
; %bb.347:                              ;   in Loop: Header=BB162_18 Depth=1
	v_mov_b32_e32 v9, v1
	v_mov_b32_e32 v8, v0
	s_mov_b32 s21, 0
                                        ; implicit-def: $sgpr23
	s_branch .LBB162_350
.LBB162_348:                            ;   in Loop: Header=BB162_350 Depth=2
	s_or_b32 exec_lo, exec_lo, s44
	s_waitcnt lgkmcnt(0)
	s_barrier
	buffer_gl0_inv
	ds_read_b128 v[4:7], v19 offset:3072
	s_mov_b32 s45, -1
	s_mov_b32 s44, -1
	s_waitcnt lgkmcnt(0)
	s_barrier
	buffer_gl0_inv
	v_cmp_eq_u64_e32 vcc_lo, 0, v[4:5]
	s_cbranch_vccnz .LBB162_353
.LBB162_349:                            ;   in Loop: Header=BB162_350 Depth=2
	s_and_b32 s2, exec_lo, s45
	s_or_b32 s21, s2, s21
	s_andn2_b32 s2, s23, exec_lo
	s_and_b32 s23, s44, exec_lo
	s_or_b32 s23, s2, s23
	s_andn2_b32 exec_lo, exec_lo, s21
	s_cbranch_execz .LBB162_354
.LBB162_350:                            ;   Parent Loop BB162_18 Depth=1
                                        ; =>  This Inner Loop Header: Depth=2
	s_mov_b32 s44, exec_lo
	v_cmpx_gt_u64_e64 s[28:29], v[8:9]
	s_cbranch_execz .LBB162_348
; %bb.351:                              ;   in Loop: Header=BB162_350 Depth=2
	v_mul_lo_u32 v5, v9, s26
	v_mul_lo_u32 v6, v8, s27
	v_mad_u64_u32 v[3:4], null, v8, s26, 0
	v_add3_u32 v4, v4, v6, v5
	v_lshlrev_b64 v[3:4], 3, v[3:4]
	v_add_co_u32 v3, vcc_lo, s25, v3
	v_add_co_ci_u32_e64 v4, null, s33, v4, vcc_lo
	global_load_dwordx2 v[4:5], v[3:4], off
	s_waitcnt vmcnt(0)
	v_xor_b32_e32 v3, 0x80000000, v5
	v_and_b32_e32 v6, v4, v24
	v_and_b32_e32 v7, v3, v25
	v_cmp_eq_u64_e32 vcc_lo, v[6:7], v[22:23]
	s_and_b32 exec_lo, exec_lo, vcc_lo
	s_cbranch_execz .LBB162_348
; %bb.352:                              ;   in Loop: Header=BB162_350 Depth=2
	v_mov_b32_e32 v3, v19
	ds_write_b128 v19, v[2:5] offset:3072
	s_branch .LBB162_348
.LBB162_353:                            ;   in Loop: Header=BB162_350 Depth=2
	v_add_co_u32 v8, vcc_lo, v8, s35
	v_add_co_ci_u32_e64 v9, null, 0, v9, vcc_lo
	s_mov_b32 s44, 0
	v_cmp_le_u64_e32 vcc_lo, s[6:7], v[8:9]
	s_orn2_b32 s45, vcc_lo, exec_lo
	s_branch .LBB162_349
.LBB162_354:                            ;   in Loop: Header=BB162_18 Depth=1
	s_or_b32 exec_lo, exec_lo, s21
	s_andn2_b32 s2, s22, exec_lo
	s_and_b32 s6, s23, exec_lo
	s_or_b32 s22, s2, s6
.LBB162_355:                            ;   in Loop: Header=BB162_18 Depth=1
	s_or_b32 exec_lo, exec_lo, s20
	s_mov_b32 s76, 0
	s_mov_b32 s77, -1
.LBB162_356:                            ;   in Loop: Header=BB162_18 Depth=1
	s_orn2_b32 s6, s22, exec_lo
.LBB162_357:                            ;   in Loop: Header=BB162_18 Depth=1
	s_or_b32 exec_lo, exec_lo, s54
	s_mov_b32 s7, 0
	s_and_saveexec_b32 s22, s6
	s_cbranch_execz .LBB162_466
; %bb.358:                              ;   in Loop: Header=BB162_18 Depth=1
	v_mov_b32_e32 v8, 1
	v_mov_b32_e32 v9, 0
	;; [unrolled: 1-line block ×3, first 2 shown]
	s_xor_b32 s20, s62, -1
	s_and_saveexec_b32 s6, s20
	s_cbranch_execz .LBB162_367
; %bb.359:                              ;   in Loop: Header=BB162_18 Depth=1
	s_mov_b32 s7, exec_lo
	v_cmpx_ge_u64_e64 s[18:19], v[28:29]
	s_xor_b32 s7, exec_lo, s7
	s_cbranch_execz .LBB162_364
; %bb.360:                              ;   in Loop: Header=BB162_18 Depth=1
	ds_read_b64 v[3:4], v19 offset:5120
	v_and_b32_e32 v5, s15, v23
	v_and_b32_e32 v8, s14, v22
	s_lshl_b64 s[20:21], 2, s65
	v_or_b32_e32 v25, s13, v25
	v_or_b32_e32 v24, s12, v24
	;; [unrolled: 1-line block ×4, first 2 shown]
	s_waitcnt lgkmcnt(0)
	v_cmp_ne_u64_e32 vcc_lo, 0, v[3:4]
	s_cbranch_vccnz .LBB162_364
; %bb.361:                              ;   in Loop: Header=BB162_18 Depth=1
	s_and_saveexec_b32 s20, s3
; %bb.362:                              ;   in Loop: Header=BB162_18 Depth=1
	v_mov_b32_e32 v3, s18
	v_mov_b32_e32 v4, s19
	ds_write_b64 v19, v[3:4] offset:5128
; %bb.363:                              ;   in Loop: Header=BB162_18 Depth=1
	s_or_b32 exec_lo, exec_lo, s20
	s_waitcnt lgkmcnt(0)
	s_barrier
	buffer_gl0_inv
.LBB162_364:                            ;   in Loop: Header=BB162_18 Depth=1
	s_or_saveexec_b32 s7, s7
	v_mov_b32_e32 v39, 5
	s_mov_b32 s20, 0
	s_xor_b32 exec_lo, exec_lo, s7
; %bb.365:                              ;   in Loop: Header=BB162_18 Depth=1
	v_sub_co_u32 v28, vcc_lo, v28, s18
	v_subrev_co_ci_u32_e64 v29, null, s19, v29, vcc_lo
	v_mov_b32_e32 v39, 0
	s_mov_b32 s20, exec_lo
; %bb.366:                              ;   in Loop: Header=BB162_18 Depth=1
	s_or_b32 exec_lo, exec_lo, s7
	v_mov_b32_e32 v8, v28
	v_mov_b32_e32 v9, v29
	s_and_b32 s7, s20, exec_lo
.LBB162_367:                            ;   in Loop: Header=BB162_18 Depth=1
	s_or_b32 exec_lo, exec_lo, s6
	s_mov_b32 s6, -1
                                        ; implicit-def: $sgpr79
                                        ; implicit-def: $sgpr80
	s_and_saveexec_b32 s23, s7
	s_cbranch_execz .LBB162_465
; %bb.368:                              ;   in Loop: Header=BB162_18 Depth=1
	v_cmp_eq_u64_e32 vcc_lo, 1, v[8:9]
	s_cmp_eq_u64 s[16:17], 1
                                        ; implicit-def: $sgpr80
                                        ; implicit-def: $sgpr79
	s_cselect_b32 s6, -1, 0
	s_and_b32 s62, s6, vcc_lo
	s_mov_b32 s6, -1
	s_and_saveexec_b32 s54, s62
	s_cbranch_execz .LBB162_402
; %bb.369:                              ;   in Loop: Header=BB162_18 Depth=1
	ds_read_b64 v[3:4], v19 offset:5120
	s_waitcnt lgkmcnt(0)
	s_barrier
	buffer_gl0_inv
	v_readfirstlane_b32 s6, v3
	v_readfirstlane_b32 s7, v4
	s_and_saveexec_b32 s18, s8
; %bb.370:                              ;   in Loop: Header=BB162_18 Depth=1
	v_mov_b32_e32 v18, v19
	ds_write_b64 v35, v[18:19]
; %bb.371:                              ;   in Loop: Header=BB162_18 Depth=1
	s_or_b32 exec_lo, exec_lo, s18
	v_and_b32_e32 v3, s15, v23
	v_and_b32_e32 v4, s14, v22
	s_lshl_b64 s[18:19], 1, s65
	v_or_b32_e32 v25, s13, v25
	v_or_b32_e32 v24, s12, v24
	;; [unrolled: 1-line block ×4, first 2 shown]
	s_mov_b32 s79, -1
	s_mov_b32 s80, 0
	s_cmp_eq_u64 s[6:7], 0
	s_mov_b32 s20, 0
	s_mov_b32 s21, -1
	s_waitcnt lgkmcnt(0)
	s_barrier
	buffer_gl0_inv
                                        ; implicit-def: $vgpr6_vgpr7
	s_cbranch_scc1 .LBB162_387
; %bb.372:                              ;   in Loop: Header=BB162_18 Depth=1
	s_add_u32 s44, s6, s90
	s_addc_u32 s19, s7, s91
	s_mov_b32 s18, s67
	s_cmp_lg_u64 s[18:19], 0
	s_cbranch_scc0 .LBB162_419
; %bb.373:                              ;   in Loop: Header=BB162_18 Depth=1
	v_cvt_f32_u32_e32 v3, s35
	s_sub_u32 s21, 0, s35
	s_subb_u32 s45, 0, 0
	v_fmac_f32_e64 v3, 0x4f800000, 0
	v_rcp_f32_e32 v3, v3
	v_mul_f32_e32 v3, 0x5f7ffffc, v3
	v_mul_f32_e32 v4, 0x2f800000, v3
	v_trunc_f32_e32 v4, v4
	v_fmac_f32_e32 v3, 0xcf800000, v4
	v_cvt_u32_f32_e32 v4, v4
	v_cvt_u32_f32_e32 v3, v3
	v_readfirstlane_b32 s18, v4
	v_readfirstlane_b32 s20, v3
	s_mul_i32 s46, s21, s18
	s_mul_hi_u32 s55, s21, s20
	s_mul_i32 s47, s45, s20
	s_add_i32 s46, s55, s46
	s_mul_i32 s63, s21, s20
	s_add_i32 s46, s46, s47
	s_mul_hi_u32 s55, s20, s63
	s_mul_i32 s68, s20, s46
	s_mul_hi_u32 s66, s18, s63
	s_mul_i32 s47, s18, s63
	s_mul_hi_u32 s63, s20, s46
	s_add_u32 s55, s55, s68
	s_addc_u32 s63, 0, s63
	s_mul_hi_u32 s81, s18, s46
	s_add_u32 s47, s55, s47
	s_mul_i32 s46, s18, s46
	s_addc_u32 s47, s63, s66
	s_addc_u32 s55, s81, 0
	s_add_u32 s46, s47, s46
	s_addc_u32 s47, 0, s55
	s_add_u32 s20, s20, s46
	s_cselect_b32 s46, -1, 0
	s_mul_hi_u32 s55, s21, s20
	s_cmp_lg_u32 s46, 0
	s_mul_i32 s46, s21, s20
	s_addc_u32 s18, s18, s47
	s_mul_i32 s45, s45, s20
	s_mul_i32 s21, s21, s18
	s_mul_hi_u32 s47, s20, s46
	s_add_i32 s21, s55, s21
	s_mul_hi_u32 s55, s18, s46
	s_add_i32 s21, s21, s45
	s_mul_i32 s45, s18, s46
	s_mul_i32 s66, s20, s21
	s_mul_hi_u32 s63, s20, s21
	s_add_u32 s47, s47, s66
	s_addc_u32 s63, 0, s63
	s_mul_hi_u32 s46, s18, s21
	s_add_u32 s45, s47, s45
	s_mul_i32 s21, s18, s21
	s_addc_u32 s45, s63, s55
	s_addc_u32 s46, s46, 0
	s_add_u32 s21, s45, s21
	s_addc_u32 s45, 0, s46
	s_add_u32 s20, s20, s21
	s_cselect_b32 s21, -1, 0
	s_mul_hi_u32 s46, s44, s20
	s_cmp_lg_u32 s21, 0
	s_mul_hi_u32 s21, s19, s20
	s_addc_u32 s18, s18, s45
	s_mul_i32 s20, s19, s20
	s_mul_i32 s47, s44, s18
	s_mul_hi_u32 s45, s44, s18
	s_add_u32 s46, s46, s47
	s_addc_u32 s45, 0, s45
	s_mul_hi_u32 s55, s19, s18
	s_add_u32 s20, s46, s20
	s_mul_i32 s18, s19, s18
	s_addc_u32 s20, s45, s21
	s_addc_u32 s21, s55, 0
	s_add_u32 s18, s20, s18
	s_addc_u32 s20, 0, s21
	s_mul_hi_u32 s21, s35, s18
	s_mul_i32 s20, s35, s20
	s_mul_i32 s18, s35, s18
	s_add_i32 s21, s21, s20
	s_sub_u32 s18, s44, s18
	s_cselect_b32 s20, -1, 0
	s_cmp_lg_u32 s20, 0
	s_subb_u32 s20, s19, s21
	s_sub_u32 s21, s18, s35
	s_cselect_b32 s45, -1, 0
	s_cmp_lg_u32 s45, 0
	s_subb_u32 s45, s20, 0
	;; [unrolled: 4-line block ×3, first 2 shown]
	s_cmp_ge_u32 s21, s35
	s_cselect_b32 s55, -1, 0
	s_cmp_eq_u32 s45, 0
	s_cselect_b32 s55, s55, -1
	s_cmp_lg_u32 s55, 0
	s_cselect_b32 s45, s47, s45
	s_cselect_b32 s46, s46, s21
	s_cmp_ge_u32 s18, s35
	s_cselect_b32 s21, -1, 0
	s_cmp_eq_u32 s20, 0
	s_cselect_b32 s21, s21, -1
	s_cmp_lg_u32 s21, 0
	s_cselect_b32 s21, s45, s20
	s_cselect_b32 s20, s46, s18
	s_cbranch_execnz .LBB162_375
.LBB162_374:                            ;   in Loop: Header=BB162_18 Depth=1
	v_cvt_f32_u32_e32 v3, s35
	s_sub_i32 s20, 0, s35
	v_rcp_iflag_f32_e32 v3, v3
	v_mul_f32_e32 v3, 0x4f7ffffe, v3
	v_cvt_u32_f32_e32 v3, v3
	v_readfirstlane_b32 s18, v3
	s_mul_i32 s20, s20, s18
	s_mul_hi_u32 s20, s18, s20
	s_add_i32 s18, s18, s20
	s_mul_hi_u32 s18, s44, s18
	s_mul_i32 s18, s18, s35
	s_sub_i32 s18, s44, s18
	s_sub_i32 s20, s18, s35
	s_cmp_ge_u32 s18, s35
	s_cselect_b32 s18, s20, s18
	s_sub_i32 s20, s18, s35
	s_cmp_ge_u32 s18, s35
	s_cselect_b32 s66, s20, s18
	s_mov_b64 s[20:21], s[66:67]
.LBB162_375:                            ;   in Loop: Header=BB162_18 Depth=1
	s_sub_u32 s18, s44, s20
	s_subb_u32 s19, s19, s21
	s_mov_b32 s21, 0
	s_mov_b32 s20, 0
	s_mov_b32 s44, exec_lo
                                        ; implicit-def: $vgpr6_vgpr7
	v_cmpx_gt_u64_e64 s[18:19], v[0:1]
	s_cbranch_execz .LBB162_386
; %bb.376:                              ;   in Loop: Header=BB162_18 Depth=1
	v_mov_b32_e32 v11, v1
	v_mov_b32_e32 v12, v34
	;; [unrolled: 1-line block ×3, first 2 shown]
                                        ; implicit-def: $sgpr45
	s_inst_prefetch 0x1
	s_branch .LBB162_379
	.p2align	6
.LBB162_377:                            ;   in Loop: Header=BB162_379 Depth=2
	s_or_b32 exec_lo, exec_lo, s46
	s_waitcnt lgkmcnt(0)
	s_barrier
	buffer_gl0_inv
	ds_read_b128 v[4:7], v19 offset:3072
	s_mov_b32 s46, -1
	s_mov_b32 s47, -1
	s_waitcnt lgkmcnt(0)
	s_barrier
	buffer_gl0_inv
	v_cmp_ne_u64_e32 vcc_lo, 0, v[4:5]
	s_cbranch_vccz .LBB162_382
.LBB162_378:                            ;   in Loop: Header=BB162_379 Depth=2
	s_and_b32 s2, exec_lo, s46
	s_or_b32 s20, s2, s20
	s_andn2_b32 s2, s45, exec_lo
	s_and_b32 s24, s47, exec_lo
	s_or_b32 s45, s2, s24
	s_andn2_b32 exec_lo, exec_lo, s20
	s_cbranch_execz .LBB162_385
.LBB162_379:                            ;   Parent Loop BB162_18 Depth=1
                                        ; =>  This Inner Loop Header: Depth=2
	s_mov_b32 s46, exec_lo
	v_cmpx_gt_u64_e64 s[6:7], v[10:11]
	s_cbranch_execz .LBB162_377
; %bb.380:                              ;   in Loop: Header=BB162_379 Depth=2
	ds_read_b64 v[4:5], v12
	s_waitcnt lgkmcnt(0)
	v_xor_b32_e32 v3, 0x80000000, v5
	v_and_b32_e32 v6, v4, v24
	v_and_b32_e32 v7, v3, v25
	v_cmp_eq_u64_e32 vcc_lo, v[6:7], v[22:23]
	s_and_b32 exec_lo, exec_lo, vcc_lo
	s_cbranch_execz .LBB162_377
; %bb.381:                              ;   in Loop: Header=BB162_379 Depth=2
	v_mov_b32_e32 v3, v19
	ds_write_b128 v19, v[2:5] offset:3072
	s_branch .LBB162_377
.LBB162_382:                            ;   in Loop: Header=BB162_379 Depth=2
	v_add_co_u32 v10, vcc_lo, v10, s35
	v_add_co_ci_u32_e64 v11, null, 0, v11, vcc_lo
	v_add_nc_u32_e32 v12, s96, v12
	s_mov_b32 s47, 0
	v_cmp_le_u64_e32 vcc_lo, s[18:19], v[10:11]
	s_orn2_b32 s46, vcc_lo, exec_lo
	s_branch .LBB162_378
.LBB162_383:                            ;   in Loop: Header=BB162_18 Depth=1
                                        ; implicit-def: $sgpr22_sgpr23
	s_branch .LBB162_329
.LBB162_384:                            ;   in Loop: Header=BB162_18 Depth=1
                                        ; implicit-def: $sgpr6_sgpr7
	s_branch .LBB162_345
.LBB162_385:                            ;   in Loop: Header=BB162_18 Depth=1
	s_inst_prefetch 0x2
	s_or_b32 exec_lo, exec_lo, s20
	s_and_b32 s20, s45, exec_lo
.LBB162_386:                            ;   in Loop: Header=BB162_18 Depth=1
	s_or_b32 exec_lo, exec_lo, s44
.LBB162_387:                            ;   in Loop: Header=BB162_18 Depth=1
	s_and_b32 vcc_lo, exec_lo, s21
	s_cbranch_vccz .LBB162_401
; %bb.388:                              ;   in Loop: Header=BB162_18 Depth=1
	s_mov_b32 s68, s67
	s_cmp_lg_u64 s[68:69], 0
	s_cbranch_scc0 .LBB162_420
; %bb.389:                              ;   in Loop: Header=BB162_18 Depth=1
	v_cvt_f32_u32_e32 v3, s35
	s_sub_u32 s18, 0, s35
	s_subb_u32 s19, 0, 0
	v_fmac_f32_e64 v3, 0x4f800000, 0
	v_rcp_f32_e32 v3, v3
	v_mul_f32_e32 v3, 0x5f7ffffc, v3
	v_mul_f32_e32 v4, 0x2f800000, v3
	v_trunc_f32_e32 v4, v4
	v_fmac_f32_e32 v3, 0xcf800000, v4
	v_cvt_u32_f32_e32 v4, v4
	v_cvt_u32_f32_e32 v3, v3
	v_readfirstlane_b32 s6, v4
	v_readfirstlane_b32 s7, v3
	s_mul_i32 s21, s18, s6
	s_mul_hi_u32 s45, s18, s7
	s_mul_i32 s44, s19, s7
	s_add_i32 s21, s45, s21
	s_mul_i32 s46, s18, s7
	s_add_i32 s21, s21, s44
	s_mul_hi_u32 s45, s7, s46
	s_mul_i32 s55, s7, s21
	s_mul_hi_u32 s47, s6, s46
	s_mul_i32 s44, s6, s46
	s_mul_hi_u32 s46, s7, s21
	s_add_u32 s45, s45, s55
	s_addc_u32 s46, 0, s46
	s_mul_hi_u32 s63, s6, s21
	s_add_u32 s44, s45, s44
	s_mul_i32 s21, s6, s21
	s_addc_u32 s44, s46, s47
	s_addc_u32 s45, s63, 0
	s_add_u32 s21, s44, s21
	s_addc_u32 s44, 0, s45
	s_add_u32 s7, s7, s21
	s_cselect_b32 s21, -1, 0
	s_mul_hi_u32 s45, s18, s7
	s_cmp_lg_u32 s21, 0
	s_mul_i32 s21, s18, s7
	s_addc_u32 s6, s6, s44
	s_mul_i32 s19, s19, s7
	s_mul_i32 s18, s18, s6
	s_mul_hi_u32 s44, s7, s21
	s_add_i32 s18, s45, s18
	s_mul_hi_u32 s45, s6, s21
	s_add_i32 s18, s18, s19
	s_mul_i32 s19, s6, s21
	s_mul_i32 s47, s7, s18
	s_mul_hi_u32 s46, s7, s18
	s_add_u32 s44, s44, s47
	s_addc_u32 s46, 0, s46
	s_mul_hi_u32 s21, s6, s18
	s_add_u32 s19, s44, s19
	s_mul_i32 s18, s6, s18
	s_addc_u32 s19, s46, s45
	s_addc_u32 s21, s21, 0
	s_add_u32 s18, s19, s18
	s_addc_u32 s19, 0, s21
	s_add_u32 s7, s7, s18
	s_cselect_b32 s18, -1, 0
	s_mul_hi_u32 s21, s92, s7
	s_cmp_lg_u32 s18, 0
	s_mul_hi_u32 s18, s69, s7
	s_addc_u32 s6, s6, s19
	s_mul_i32 s7, s69, s7
	s_mul_i32 s44, s92, s6
	s_mul_hi_u32 s19, s92, s6
	s_add_u32 s21, s21, s44
	s_addc_u32 s19, 0, s19
	s_mul_hi_u32 s45, s69, s6
	s_add_u32 s7, s21, s7
	s_mul_i32 s6, s69, s6
	s_addc_u32 s7, s19, s18
	s_addc_u32 s18, s45, 0
	s_add_u32 s6, s7, s6
	s_addc_u32 s7, 0, s18
	s_mul_hi_u32 s18, s35, s6
	s_mul_i32 s7, s35, s7
	s_mul_i32 s6, s35, s6
	s_add_i32 s18, s18, s7
	s_sub_u32 s6, s92, s6
	s_cselect_b32 s7, -1, 0
	s_cmp_lg_u32 s7, 0
	s_subb_u32 s7, s69, s18
	s_sub_u32 s18, s6, s35
	s_cselect_b32 s19, -1, 0
	s_cmp_lg_u32 s19, 0
	s_subb_u32 s19, s7, 0
	;; [unrolled: 4-line block ×3, first 2 shown]
	s_cmp_ge_u32 s18, s35
	s_cselect_b32 s45, -1, 0
	s_cmp_eq_u32 s19, 0
	s_cselect_b32 s45, s45, -1
	s_cmp_lg_u32 s45, 0
	s_cselect_b32 s19, s44, s19
	s_cselect_b32 s18, s21, s18
	s_cmp_ge_u32 s6, s35
	s_cselect_b32 s21, -1, 0
	s_cmp_eq_u32 s7, 0
	s_cselect_b32 s21, s21, -1
	s_cmp_lg_u32 s21, 0
	s_cselect_b32 s7, s19, s7
	s_cselect_b32 s6, s18, s6
	s_cbranch_execnz .LBB162_391
.LBB162_390:                            ;   in Loop: Header=BB162_18 Depth=1
	v_cvt_f32_u32_e32 v3, s35
	s_sub_i32 s7, 0, s35
	v_rcp_iflag_f32_e32 v3, v3
	v_mul_f32_e32 v3, 0x4f7ffffe, v3
	v_cvt_u32_f32_e32 v3, v3
	v_readfirstlane_b32 s6, v3
	s_mul_i32 s7, s7, s6
	s_mul_hi_u32 s7, s6, s7
	s_add_i32 s6, s6, s7
	s_mul_hi_u32 s6, s92, s6
	s_mul_i32 s6, s6, s35
	s_sub_i32 s6, s92, s6
	s_sub_i32 s7, s6, s35
	s_cmp_ge_u32 s6, s35
	s_cselect_b32 s6, s7, s6
	s_sub_i32 s7, s6, s35
	s_cmp_ge_u32 s6, s35
	s_cselect_b32 s66, s7, s6
	s_mov_b64 s[6:7], s[66:67]
.LBB162_391:                            ;   in Loop: Header=BB162_18 Depth=1
	s_sub_u32 s6, s92, s6
	s_subb_u32 s7, s69, s7
	s_mov_b32 s18, exec_lo
                                        ; implicit-def: $vgpr6_vgpr7
	v_cmpx_gt_u64_e64 s[6:7], v[0:1]
	s_cbranch_execz .LBB162_400
; %bb.392:                              ;   in Loop: Header=BB162_18 Depth=1
	v_mov_b32_e32 v11, v1
	v_mov_b32_e32 v10, v0
	s_mov_b32 s19, 0
                                        ; implicit-def: $sgpr21
	s_branch .LBB162_395
.LBB162_393:                            ;   in Loop: Header=BB162_395 Depth=2
	s_or_b32 exec_lo, exec_lo, s44
	s_waitcnt lgkmcnt(0)
	s_barrier
	buffer_gl0_inv
	ds_read_b128 v[4:7], v19 offset:3072
	s_mov_b32 s45, -1
	s_mov_b32 s44, -1
	s_waitcnt lgkmcnt(0)
	s_barrier
	buffer_gl0_inv
	v_cmp_eq_u64_e32 vcc_lo, 0, v[4:5]
	s_cbranch_vccnz .LBB162_398
.LBB162_394:                            ;   in Loop: Header=BB162_395 Depth=2
	s_and_b32 s2, exec_lo, s45
	s_or_b32 s19, s2, s19
	s_andn2_b32 s2, s21, exec_lo
	s_and_b32 s21, s44, exec_lo
	s_or_b32 s21, s2, s21
	s_andn2_b32 exec_lo, exec_lo, s19
	s_cbranch_execz .LBB162_399
.LBB162_395:                            ;   Parent Loop BB162_18 Depth=1
                                        ; =>  This Inner Loop Header: Depth=2
	s_mov_b32 s44, exec_lo
	v_cmpx_gt_u64_e64 s[28:29], v[10:11]
	s_cbranch_execz .LBB162_393
; %bb.396:                              ;   in Loop: Header=BB162_395 Depth=2
	v_mul_lo_u32 v5, v11, s26
	v_mul_lo_u32 v6, v10, s27
	v_mad_u64_u32 v[3:4], null, v10, s26, 0
	v_add3_u32 v4, v4, v6, v5
	v_lshlrev_b64 v[3:4], 3, v[3:4]
	v_add_co_u32 v3, vcc_lo, s25, v3
	v_add_co_ci_u32_e64 v4, null, s33, v4, vcc_lo
	global_load_dwordx2 v[4:5], v[3:4], off
	s_waitcnt vmcnt(0)
	v_xor_b32_e32 v3, 0x80000000, v5
	v_and_b32_e32 v6, v4, v24
	v_and_b32_e32 v7, v3, v25
	v_cmp_eq_u64_e32 vcc_lo, v[6:7], v[22:23]
	s_and_b32 exec_lo, exec_lo, vcc_lo
	s_cbranch_execz .LBB162_393
; %bb.397:                              ;   in Loop: Header=BB162_395 Depth=2
	v_mov_b32_e32 v3, v19
	ds_write_b128 v19, v[2:5] offset:3072
	s_branch .LBB162_393
.LBB162_398:                            ;   in Loop: Header=BB162_395 Depth=2
	v_add_co_u32 v10, vcc_lo, v10, s35
	v_add_co_ci_u32_e64 v11, null, 0, v11, vcc_lo
	s_mov_b32 s44, 0
	v_cmp_le_u64_e32 vcc_lo, s[6:7], v[10:11]
	s_orn2_b32 s45, vcc_lo, exec_lo
	s_branch .LBB162_394
.LBB162_399:                            ;   in Loop: Header=BB162_18 Depth=1
	s_or_b32 exec_lo, exec_lo, s19
	s_andn2_b32 s2, s20, exec_lo
	s_and_b32 s6, s21, exec_lo
	s_or_b32 s20, s2, s6
.LBB162_400:                            ;   in Loop: Header=BB162_18 Depth=1
	s_or_b32 exec_lo, exec_lo, s18
	s_mov_b32 s79, 0
	s_mov_b32 s80, -1
.LBB162_401:                            ;   in Loop: Header=BB162_18 Depth=1
	s_orn2_b32 s6, s20, exec_lo
.LBB162_402:                            ;   in Loop: Header=BB162_18 Depth=1
	s_or_b32 exec_lo, exec_lo, s54
	s_mov_b32 s7, 0
	s_and_saveexec_b32 s20, s6
	s_cbranch_execz .LBB162_464
; %bb.403:                              ;   in Loop: Header=BB162_18 Depth=1
	v_mov_b32_e32 v10, 1
	v_mov_b32_e32 v11, 0
	;; [unrolled: 1-line block ×3, first 2 shown]
	s_xor_b32 s18, s62, -1
	s_and_saveexec_b32 s6, s18
	s_cbranch_execz .LBB162_412
; %bb.404:                              ;   in Loop: Header=BB162_18 Depth=1
	s_mov_b32 s7, exec_lo
	v_cmpx_ge_u64_e64 s[16:17], v[8:9]
	s_xor_b32 s7, exec_lo, s7
	s_cbranch_execz .LBB162_409
; %bb.405:                              ;   in Loop: Header=BB162_18 Depth=1
	ds_read_b64 v[3:4], v19 offset:5120
	v_and_b32_e32 v5, s15, v23
	v_and_b32_e32 v10, s14, v22
	s_lshl_b64 s[18:19], 1, s65
	v_or_b32_e32 v25, s13, v25
	v_or_b32_e32 v24, s12, v24
	v_or_b32_e32 v23, s19, v5
	v_or_b32_e32 v22, s18, v10
	s_waitcnt lgkmcnt(0)
	v_cmp_ne_u64_e32 vcc_lo, 0, v[3:4]
	s_cbranch_vccnz .LBB162_409
; %bb.406:                              ;   in Loop: Header=BB162_18 Depth=1
	s_and_saveexec_b32 s18, s3
; %bb.407:                              ;   in Loop: Header=BB162_18 Depth=1
	v_mov_b32_e32 v3, s16
	v_mov_b32_e32 v4, s17
	ds_write_b64 v19, v[3:4] offset:5128
; %bb.408:                              ;   in Loop: Header=BB162_18 Depth=1
	s_or_b32 exec_lo, exec_lo, s18
	s_waitcnt lgkmcnt(0)
	s_barrier
	buffer_gl0_inv
.LBB162_409:                            ;   in Loop: Header=BB162_18 Depth=1
	s_or_saveexec_b32 s7, s7
	v_mov_b32_e32 v39, 5
	s_mov_b32 s18, 0
	s_xor_b32 exec_lo, exec_lo, s7
; %bb.410:                              ;   in Loop: Header=BB162_18 Depth=1
	v_sub_co_u32 v8, vcc_lo, v8, s16
	v_subrev_co_ci_u32_e64 v9, null, s17, v9, vcc_lo
	v_mov_b32_e32 v39, 0
	s_mov_b32 s18, exec_lo
; %bb.411:                              ;   in Loop: Header=BB162_18 Depth=1
	s_or_b32 exec_lo, exec_lo, s7
	v_mov_b32_e32 v11, v9
	v_mov_b32_e32 v10, v8
	s_and_b32 s7, s18, exec_lo
.LBB162_412:                            ;   in Loop: Header=BB162_18 Depth=1
	s_or_b32 exec_lo, exec_lo, s6
	s_mov_b32 s6, -1
                                        ; implicit-def: $sgpr63
                                        ; implicit-def: $sgpr62
	s_and_saveexec_b32 s21, s7
	s_cbranch_execz .LBB162_463
; %bb.413:                              ;   in Loop: Header=BB162_18 Depth=1
	v_cmp_eq_u64_e32 vcc_lo, 1, v[10:11]
	s_cmp_eq_u64 s[10:11], 1
	s_mov_b32 s7, -1
	s_cselect_b32 s6, -1, 0
                                        ; implicit-def: $sgpr63
                                        ; implicit-def: $sgpr62
	s_and_b32 s54, s6, vcc_lo
	s_and_saveexec_b32 s55, s54
	s_cbranch_execz .LBB162_451
; %bb.414:                              ;   in Loop: Header=BB162_18 Depth=1
	ds_read_b64 v[3:4], v19 offset:5120
	s_waitcnt lgkmcnt(0)
	s_barrier
	buffer_gl0_inv
	v_readfirstlane_b32 s6, v3
	v_readfirstlane_b32 s7, v4
	s_and_saveexec_b32 s16, s8
; %bb.415:                              ;   in Loop: Header=BB162_18 Depth=1
	v_mov_b32_e32 v18, v19
	ds_write_b64 v35, v[18:19]
; %bb.416:                              ;   in Loop: Header=BB162_18 Depth=1
	s_or_b32 exec_lo, exec_lo, s16
	v_and_b32_e32 v23, s15, v23
	v_and_b32_e32 v22, s14, v22
	v_or_b32_e32 v25, s13, v25
	v_or_b32_e32 v24, s12, v24
	s_mov_b32 s62, -1
	s_mov_b32 s63, 0
	s_cmp_eq_u64 s[6:7], 0
	s_mov_b32 s18, 0
	s_mov_b32 s19, -1
	s_waitcnt lgkmcnt(0)
	s_barrier
	buffer_gl0_inv
                                        ; implicit-def: $vgpr6_vgpr7
	s_cbranch_scc1 .LBB162_434
; %bb.417:                              ;   in Loop: Header=BB162_18 Depth=1
	s_add_u32 s44, s6, s90
	s_addc_u32 s17, s7, s91
	s_mov_b32 s16, s67
	s_cmp_lg_u64 s[16:17], 0
	s_cbranch_scc0 .LBB162_421
; %bb.418:                              ;   in Loop: Header=BB162_18 Depth=1
	v_cvt_f32_u32_e32 v3, s35
	s_sub_u32 s19, 0, s35
	s_subb_u32 s45, 0, 0
	v_fmac_f32_e64 v3, 0x4f800000, 0
	v_rcp_f32_e32 v3, v3
	v_mul_f32_e32 v3, 0x5f7ffffc, v3
	v_mul_f32_e32 v4, 0x2f800000, v3
	v_trunc_f32_e32 v4, v4
	v_fmac_f32_e32 v3, 0xcf800000, v4
	v_cvt_u32_f32_e32 v4, v4
	v_cvt_u32_f32_e32 v3, v3
	v_readfirstlane_b32 s16, v4
	v_readfirstlane_b32 s18, v3
	s_mul_i32 s46, s19, s16
	s_mul_hi_u32 s66, s19, s18
	s_mul_i32 s47, s45, s18
	s_add_i32 s46, s66, s46
	s_mul_i32 s68, s19, s18
	s_add_i32 s46, s46, s47
	s_mul_hi_u32 s66, s18, s68
	s_mul_i32 s82, s18, s46
	s_mul_hi_u32 s81, s16, s68
	s_mul_i32 s47, s16, s68
	s_mul_hi_u32 s68, s18, s46
	s_add_u32 s66, s66, s82
	s_addc_u32 s68, 0, s68
	s_mul_hi_u32 s83, s16, s46
	s_add_u32 s47, s66, s47
	s_mul_i32 s46, s16, s46
	s_addc_u32 s47, s68, s81
	s_addc_u32 s66, s83, 0
	s_add_u32 s46, s47, s46
	s_addc_u32 s47, 0, s66
	s_add_u32 s18, s18, s46
	s_cselect_b32 s46, -1, 0
	s_mul_hi_u32 s66, s19, s18
	s_cmp_lg_u32 s46, 0
	s_mul_i32 s46, s19, s18
	s_addc_u32 s16, s16, s47
	s_mul_i32 s45, s45, s18
	s_mul_i32 s19, s19, s16
	s_mul_hi_u32 s47, s18, s46
	s_add_i32 s19, s66, s19
	s_mul_hi_u32 s66, s16, s46
	s_add_i32 s19, s19, s45
	s_mul_i32 s45, s16, s46
	s_mul_i32 s81, s18, s19
	s_mul_hi_u32 s68, s18, s19
	s_add_u32 s47, s47, s81
	s_addc_u32 s68, 0, s68
	s_mul_hi_u32 s46, s16, s19
	s_add_u32 s45, s47, s45
	s_mul_i32 s19, s16, s19
	s_addc_u32 s45, s68, s66
	s_addc_u32 s46, s46, 0
	s_add_u32 s19, s45, s19
	s_addc_u32 s45, 0, s46
	s_add_u32 s18, s18, s19
	s_cselect_b32 s19, -1, 0
	s_mul_hi_u32 s46, s44, s18
	s_cmp_lg_u32 s19, 0
	s_mul_hi_u32 s19, s17, s18
	s_addc_u32 s16, s16, s45
	s_mul_i32 s18, s17, s18
	s_mul_i32 s47, s44, s16
	s_mul_hi_u32 s45, s44, s16
	s_add_u32 s46, s46, s47
	s_addc_u32 s45, 0, s45
	s_mul_hi_u32 s66, s17, s16
	s_add_u32 s18, s46, s18
	s_mul_i32 s16, s17, s16
	s_addc_u32 s18, s45, s19
	s_addc_u32 s19, s66, 0
	s_add_u32 s16, s18, s16
	s_addc_u32 s18, 0, s19
	s_mul_hi_u32 s19, s35, s16
	s_mul_i32 s18, s35, s18
	s_mul_i32 s16, s35, s16
	s_add_i32 s19, s19, s18
	s_sub_u32 s16, s44, s16
	s_cselect_b32 s18, -1, 0
	s_cmp_lg_u32 s18, 0
	s_subb_u32 s18, s17, s19
	s_sub_u32 s19, s16, s35
	s_cselect_b32 s45, -1, 0
	s_cmp_lg_u32 s45, 0
	s_subb_u32 s45, s18, 0
	;; [unrolled: 4-line block ×3, first 2 shown]
	s_cmp_ge_u32 s19, s35
	s_cselect_b32 s66, -1, 0
	s_cmp_eq_u32 s45, 0
	s_cselect_b32 s66, s66, -1
	s_cmp_lg_u32 s66, 0
	s_cselect_b32 s45, s47, s45
	s_cselect_b32 s46, s46, s19
	s_cmp_ge_u32 s16, s35
	s_cselect_b32 s19, -1, 0
	s_cmp_eq_u32 s18, 0
	s_cselect_b32 s19, s19, -1
	s_cmp_lg_u32 s19, 0
	s_cselect_b32 s19, s45, s18
	s_cselect_b32 s18, s46, s16
	s_mov_b32 s16, 0
	s_branch .LBB162_422
.LBB162_419:                            ;   in Loop: Header=BB162_18 Depth=1
                                        ; implicit-def: $sgpr20_sgpr21
	s_branch .LBB162_374
.LBB162_420:                            ;   in Loop: Header=BB162_18 Depth=1
                                        ; implicit-def: $sgpr6_sgpr7
	s_branch .LBB162_390
.LBB162_421:                            ;   in Loop: Header=BB162_18 Depth=1
	s_mov_b32 s16, -1
                                        ; implicit-def: $sgpr18_sgpr19
.LBB162_422:                            ;   in Loop: Header=BB162_18 Depth=1
	s_andn2_b32 vcc_lo, exec_lo, s16
	s_cbranch_vccnz .LBB162_424
; %bb.423:                              ;   in Loop: Header=BB162_18 Depth=1
	v_cvt_f32_u32_e32 v3, s35
	s_sub_i32 s18, 0, s35
	v_rcp_iflag_f32_e32 v3, v3
	v_mul_f32_e32 v3, 0x4f7ffffe, v3
	v_cvt_u32_f32_e32 v3, v3
	v_readfirstlane_b32 s16, v3
	s_mul_i32 s18, s18, s16
	s_mul_hi_u32 s18, s16, s18
	s_add_i32 s16, s16, s18
	s_mul_hi_u32 s16, s44, s16
	s_mul_i32 s16, s16, s35
	s_sub_i32 s16, s44, s16
	s_sub_i32 s18, s16, s35
	s_cmp_ge_u32 s16, s35
	s_cselect_b32 s16, s18, s16
	s_sub_i32 s18, s16, s35
	s_cmp_ge_u32 s16, s35
	s_cselect_b32 s66, s18, s16
	s_mov_b64 s[18:19], s[66:67]
.LBB162_424:                            ;   in Loop: Header=BB162_18 Depth=1
	s_sub_u32 s16, s44, s18
	s_subb_u32 s17, s17, s19
	s_mov_b32 s19, 0
	s_mov_b32 s18, 0
	s_mov_b32 s44, exec_lo
                                        ; implicit-def: $vgpr6_vgpr7
	v_cmpx_gt_u64_e64 s[16:17], v[0:1]
	s_cbranch_execz .LBB162_433
; %bb.425:                              ;   in Loop: Header=BB162_18 Depth=1
	v_mov_b32_e32 v9, v1
	v_mov_b32_e32 v12, v34
	;; [unrolled: 1-line block ×3, first 2 shown]
                                        ; implicit-def: $sgpr45
	s_inst_prefetch 0x1
	s_branch .LBB162_428
	.p2align	6
.LBB162_426:                            ;   in Loop: Header=BB162_428 Depth=2
	s_or_b32 exec_lo, exec_lo, s46
	s_waitcnt lgkmcnt(0)
	s_barrier
	buffer_gl0_inv
	ds_read_b128 v[4:7], v19 offset:3072
	s_mov_b32 s46, -1
	s_mov_b32 s47, -1
	s_waitcnt lgkmcnt(0)
	s_barrier
	buffer_gl0_inv
	v_cmp_ne_u64_e32 vcc_lo, 0, v[4:5]
	s_cbranch_vccz .LBB162_431
.LBB162_427:                            ;   in Loop: Header=BB162_428 Depth=2
	s_and_b32 s2, exec_lo, s46
	s_or_b32 s18, s2, s18
	s_andn2_b32 s2, s45, exec_lo
	s_and_b32 s24, s47, exec_lo
	s_or_b32 s45, s2, s24
	s_andn2_b32 exec_lo, exec_lo, s18
	s_cbranch_execz .LBB162_432
.LBB162_428:                            ;   Parent Loop BB162_18 Depth=1
                                        ; =>  This Inner Loop Header: Depth=2
	s_mov_b32 s46, exec_lo
	v_cmpx_gt_u64_e64 s[6:7], v[8:9]
	s_cbranch_execz .LBB162_426
; %bb.429:                              ;   in Loop: Header=BB162_428 Depth=2
	ds_read_b64 v[4:5], v12
	s_waitcnt lgkmcnt(0)
	v_xor_b32_e32 v3, 0x80000000, v5
	v_and_b32_e32 v6, v4, v24
	v_and_b32_e32 v7, v3, v25
	v_cmp_eq_u64_e32 vcc_lo, v[6:7], v[22:23]
	s_and_b32 exec_lo, exec_lo, vcc_lo
	s_cbranch_execz .LBB162_426
; %bb.430:                              ;   in Loop: Header=BB162_428 Depth=2
	v_mov_b32_e32 v3, v19
	ds_write_b128 v19, v[2:5] offset:3072
	s_branch .LBB162_426
.LBB162_431:                            ;   in Loop: Header=BB162_428 Depth=2
	v_add_co_u32 v8, vcc_lo, v8, s35
	v_add_co_ci_u32_e64 v9, null, 0, v9, vcc_lo
	v_add_nc_u32_e32 v12, s96, v12
	s_mov_b32 s47, 0
	v_cmp_le_u64_e32 vcc_lo, s[16:17], v[8:9]
	s_orn2_b32 s46, vcc_lo, exec_lo
	s_branch .LBB162_427
.LBB162_432:                            ;   in Loop: Header=BB162_18 Depth=1
	s_inst_prefetch 0x2
	s_or_b32 exec_lo, exec_lo, s18
	s_and_b32 s18, s45, exec_lo
.LBB162_433:                            ;   in Loop: Header=BB162_18 Depth=1
	s_or_b32 exec_lo, exec_lo, s44
.LBB162_434:                            ;   in Loop: Header=BB162_18 Depth=1
	s_and_b32 vcc_lo, exec_lo, s19
	s_cbranch_vccz .LBB162_450
; %bb.435:                              ;   in Loop: Header=BB162_18 Depth=1
	s_mov_b32 s68, s67
	s_cmp_lg_u64 s[68:69], 0
	s_cbranch_scc0 .LBB162_437
; %bb.436:                              ;   in Loop: Header=BB162_18 Depth=1
	v_cvt_f32_u32_e32 v3, s35
	s_sub_u32 s16, 0, s35
	s_subb_u32 s17, 0, 0
	v_fmac_f32_e64 v3, 0x4f800000, 0
	v_rcp_f32_e32 v3, v3
	v_mul_f32_e32 v3, 0x5f7ffffc, v3
	v_mul_f32_e32 v4, 0x2f800000, v3
	v_trunc_f32_e32 v4, v4
	v_fmac_f32_e32 v3, 0xcf800000, v4
	v_cvt_u32_f32_e32 v4, v4
	v_cvt_u32_f32_e32 v3, v3
	v_readfirstlane_b32 s6, v4
	v_readfirstlane_b32 s7, v3
	s_mul_i32 s19, s16, s6
	s_mul_hi_u32 s45, s16, s7
	s_mul_i32 s44, s17, s7
	s_add_i32 s19, s45, s19
	s_mul_i32 s46, s16, s7
	s_add_i32 s19, s19, s44
	s_mul_hi_u32 s45, s7, s46
	s_mul_i32 s62, s7, s19
	s_mul_hi_u32 s47, s6, s46
	s_mul_i32 s44, s6, s46
	s_mul_hi_u32 s46, s7, s19
	s_add_u32 s45, s45, s62
	s_addc_u32 s46, 0, s46
	s_mul_hi_u32 s63, s6, s19
	s_add_u32 s44, s45, s44
	s_mul_i32 s19, s6, s19
	s_addc_u32 s44, s46, s47
	s_addc_u32 s45, s63, 0
	s_add_u32 s19, s44, s19
	s_addc_u32 s44, 0, s45
	s_add_u32 s7, s7, s19
	s_cselect_b32 s19, -1, 0
	s_mul_hi_u32 s45, s16, s7
	s_cmp_lg_u32 s19, 0
	s_mul_i32 s19, s16, s7
	s_addc_u32 s6, s6, s44
	s_mul_i32 s17, s17, s7
	s_mul_i32 s16, s16, s6
	s_mul_hi_u32 s44, s7, s19
	s_add_i32 s16, s45, s16
	s_mul_hi_u32 s45, s6, s19
	s_add_i32 s16, s16, s17
	s_mul_i32 s17, s6, s19
	s_mul_i32 s47, s7, s16
	s_mul_hi_u32 s46, s7, s16
	s_add_u32 s44, s44, s47
	s_addc_u32 s46, 0, s46
	s_mul_hi_u32 s19, s6, s16
	s_add_u32 s17, s44, s17
	s_mul_i32 s16, s6, s16
	s_addc_u32 s17, s46, s45
	s_addc_u32 s19, s19, 0
	s_add_u32 s16, s17, s16
	s_addc_u32 s17, 0, s19
	s_add_u32 s7, s7, s16
	s_cselect_b32 s16, -1, 0
	s_mul_hi_u32 s19, s92, s7
	s_cmp_lg_u32 s16, 0
	s_mul_hi_u32 s16, s69, s7
	s_addc_u32 s6, s6, s17
	s_mul_i32 s7, s69, s7
	s_mul_i32 s44, s92, s6
	s_mul_hi_u32 s17, s92, s6
	s_add_u32 s19, s19, s44
	s_addc_u32 s17, 0, s17
	s_mul_hi_u32 s45, s69, s6
	s_add_u32 s7, s19, s7
	s_mul_i32 s6, s69, s6
	s_addc_u32 s7, s17, s16
	s_addc_u32 s16, s45, 0
	s_add_u32 s6, s7, s6
	s_addc_u32 s7, 0, s16
	s_mul_hi_u32 s16, s35, s6
	s_mul_i32 s7, s35, s7
	s_mul_i32 s6, s35, s6
	s_add_i32 s16, s16, s7
	s_sub_u32 s6, s92, s6
	s_cselect_b32 s7, -1, 0
	s_cmp_lg_u32 s7, 0
	s_subb_u32 s7, s69, s16
	s_sub_u32 s16, s6, s35
	s_cselect_b32 s17, -1, 0
	s_cmp_lg_u32 s17, 0
	s_subb_u32 s17, s7, 0
	;; [unrolled: 4-line block ×3, first 2 shown]
	s_cmp_ge_u32 s16, s35
	s_cselect_b32 s45, -1, 0
	s_cmp_eq_u32 s17, 0
	s_cselect_b32 s45, s45, -1
	s_cmp_lg_u32 s45, 0
	s_cselect_b32 s17, s44, s17
	s_cselect_b32 s16, s19, s16
	s_cmp_ge_u32 s6, s35
	s_cselect_b32 s19, -1, 0
	s_cmp_eq_u32 s7, 0
	s_cselect_b32 s19, s19, -1
	s_cmp_lg_u32 s19, 0
	s_cselect_b32 s7, s17, s7
	s_cselect_b32 s6, s16, s6
	s_mov_b32 s16, 0
	s_branch .LBB162_438
.LBB162_437:                            ;   in Loop: Header=BB162_18 Depth=1
	s_mov_b32 s16, -1
                                        ; implicit-def: $sgpr6_sgpr7
.LBB162_438:                            ;   in Loop: Header=BB162_18 Depth=1
	s_andn2_b32 vcc_lo, exec_lo, s16
	s_cbranch_vccnz .LBB162_440
; %bb.439:                              ;   in Loop: Header=BB162_18 Depth=1
	v_cvt_f32_u32_e32 v3, s35
	s_sub_i32 s7, 0, s35
	v_rcp_iflag_f32_e32 v3, v3
	v_mul_f32_e32 v3, 0x4f7ffffe, v3
	v_cvt_u32_f32_e32 v3, v3
	v_readfirstlane_b32 s6, v3
	s_mul_i32 s7, s7, s6
	s_mul_hi_u32 s7, s6, s7
	s_add_i32 s6, s6, s7
	s_mul_hi_u32 s6, s92, s6
	s_mul_i32 s6, s6, s35
	s_sub_i32 s6, s92, s6
	s_sub_i32 s7, s6, s35
	s_cmp_ge_u32 s6, s35
	s_cselect_b32 s6, s7, s6
	s_sub_i32 s7, s6, s35
	s_cmp_ge_u32 s6, s35
	s_cselect_b32 s66, s7, s6
	s_mov_b64 s[6:7], s[66:67]
.LBB162_440:                            ;   in Loop: Header=BB162_18 Depth=1
	s_sub_u32 s6, s92, s6
	s_subb_u32 s7, s69, s7
	s_mov_b32 s16, exec_lo
                                        ; implicit-def: $vgpr6_vgpr7
	v_cmpx_gt_u64_e64 s[6:7], v[0:1]
	s_cbranch_execz .LBB162_449
; %bb.441:                              ;   in Loop: Header=BB162_18 Depth=1
	v_mov_b32_e32 v9, v1
	v_mov_b32_e32 v8, v0
	s_mov_b32 s17, 0
                                        ; implicit-def: $sgpr19
	s_branch .LBB162_444
.LBB162_442:                            ;   in Loop: Header=BB162_444 Depth=2
	s_or_b32 exec_lo, exec_lo, s44
	s_waitcnt lgkmcnt(0)
	s_barrier
	buffer_gl0_inv
	ds_read_b128 v[4:7], v19 offset:3072
	s_mov_b32 s45, -1
	s_mov_b32 s44, -1
	s_waitcnt lgkmcnt(0)
	s_barrier
	buffer_gl0_inv
	v_cmp_eq_u64_e32 vcc_lo, 0, v[4:5]
	s_cbranch_vccnz .LBB162_447
.LBB162_443:                            ;   in Loop: Header=BB162_444 Depth=2
	s_and_b32 s2, exec_lo, s45
	s_or_b32 s17, s2, s17
	s_andn2_b32 s2, s19, exec_lo
	s_and_b32 s19, s44, exec_lo
	s_or_b32 s19, s2, s19
	s_andn2_b32 exec_lo, exec_lo, s17
	s_cbranch_execz .LBB162_448
.LBB162_444:                            ;   Parent Loop BB162_18 Depth=1
                                        ; =>  This Inner Loop Header: Depth=2
	s_mov_b32 s44, exec_lo
	v_cmpx_gt_u64_e64 s[28:29], v[8:9]
	s_cbranch_execz .LBB162_442
; %bb.445:                              ;   in Loop: Header=BB162_444 Depth=2
	v_mul_lo_u32 v5, v9, s26
	v_mul_lo_u32 v6, v8, s27
	v_mad_u64_u32 v[3:4], null, v8, s26, 0
	v_add3_u32 v4, v4, v6, v5
	v_lshlrev_b64 v[3:4], 3, v[3:4]
	v_add_co_u32 v3, vcc_lo, s25, v3
	v_add_co_ci_u32_e64 v4, null, s33, v4, vcc_lo
	global_load_dwordx2 v[4:5], v[3:4], off
	s_waitcnt vmcnt(0)
	v_xor_b32_e32 v3, 0x80000000, v5
	v_and_b32_e32 v6, v4, v24
	v_and_b32_e32 v7, v3, v25
	v_cmp_eq_u64_e32 vcc_lo, v[6:7], v[22:23]
	s_and_b32 exec_lo, exec_lo, vcc_lo
	s_cbranch_execz .LBB162_442
; %bb.446:                              ;   in Loop: Header=BB162_444 Depth=2
	v_mov_b32_e32 v3, v19
	ds_write_b128 v19, v[2:5] offset:3072
	s_branch .LBB162_442
.LBB162_447:                            ;   in Loop: Header=BB162_444 Depth=2
	v_add_co_u32 v8, vcc_lo, v8, s35
	v_add_co_ci_u32_e64 v9, null, 0, v9, vcc_lo
	s_mov_b32 s44, 0
	v_cmp_le_u64_e32 vcc_lo, s[6:7], v[8:9]
	s_orn2_b32 s45, vcc_lo, exec_lo
	s_branch .LBB162_443
.LBB162_448:                            ;   in Loop: Header=BB162_18 Depth=1
	s_or_b32 exec_lo, exec_lo, s17
	s_andn2_b32 s2, s18, exec_lo
	s_and_b32 s6, s19, exec_lo
	s_or_b32 s18, s2, s6
.LBB162_449:                            ;   in Loop: Header=BB162_18 Depth=1
	s_or_b32 exec_lo, exec_lo, s16
	s_mov_b32 s62, 0
	s_mov_b32 s63, -1
.LBB162_450:                            ;   in Loop: Header=BB162_18 Depth=1
	s_orn2_b32 s7, s18, exec_lo
.LBB162_451:                            ;   in Loop: Header=BB162_18 Depth=1
	s_or_b32 exec_lo, exec_lo, s55
	s_mov_b32 s16, 0
	s_and_saveexec_b32 s6, s7
	s_cbranch_execz .LBB162_462
; %bb.452:                              ;   in Loop: Header=BB162_18 Depth=1
	v_mov_b32_e32 v3, 1
	v_mov_b32_e32 v4, 0
	;; [unrolled: 1-line block ×3, first 2 shown]
	s_xor_b32 s16, s54, -1
	s_and_saveexec_b32 s7, s16
	s_cbranch_execz .LBB162_461
; %bb.453:                              ;   in Loop: Header=BB162_18 Depth=1
	s_mov_b32 s16, exec_lo
	v_cmpx_ge_u64_e64 s[10:11], v[10:11]
	s_xor_b32 s16, exec_lo, s16
	s_cbranch_execz .LBB162_458
; %bb.454:                              ;   in Loop: Header=BB162_18 Depth=1
	ds_read_b64 v[3:4], v19 offset:5120
	v_and_b32_e32 v23, s15, v23
	v_and_b32_e32 v22, s14, v22
	v_or_b32_e32 v25, s13, v25
	v_or_b32_e32 v24, s12, v24
	s_waitcnt lgkmcnt(0)
	v_cmp_ne_u64_e32 vcc_lo, 0, v[3:4]
	s_cbranch_vccnz .LBB162_458
; %bb.455:                              ;   in Loop: Header=BB162_18 Depth=1
	s_and_saveexec_b32 s12, s3
; %bb.456:                              ;   in Loop: Header=BB162_18 Depth=1
	v_mov_b32_e32 v3, s10
	v_mov_b32_e32 v4, s11
	ds_write_b64 v19, v[3:4] offset:5128
; %bb.457:                              ;   in Loop: Header=BB162_18 Depth=1
	s_or_b32 exec_lo, exec_lo, s12
	s_waitcnt lgkmcnt(0)
	s_barrier
	buffer_gl0_inv
.LBB162_458:                            ;   in Loop: Header=BB162_18 Depth=1
	s_andn2_saveexec_b32 s12, s16
; %bb.459:                              ;   in Loop: Header=BB162_18 Depth=1
	v_sub_co_u32 v10, vcc_lo, v10, s10
	v_subrev_co_ci_u32_e64 v11, null, s11, v11, vcc_lo
; %bb.460:                              ;   in Loop: Header=BB162_18 Depth=1
	s_or_b32 exec_lo, exec_lo, s12
	v_mov_b32_e32 v3, v10
	v_mov_b32_e32 v39, 5
	;; [unrolled: 1-line block ×3, first 2 shown]
.LBB162_461:                            ;   in Loop: Header=BB162_18 Depth=1
	s_or_b32 exec_lo, exec_lo, s7
	v_mov_b32_e32 v11, v4
	v_mov_b32_e32 v10, v3
	s_mov_b32 s16, exec_lo
.LBB162_462:                            ;   in Loop: Header=BB162_18 Depth=1
	s_or_b32 exec_lo, exec_lo, s6
	s_orn2_b32 s6, s16, exec_lo
.LBB162_463:                            ;   in Loop: Header=BB162_18 Depth=1
	s_or_b32 exec_lo, exec_lo, s21
	v_mov_b32_e32 v8, v10
	v_mov_b32_e32 v9, v11
	s_andn2_b32 s7, s80, exec_lo
	s_and_b32 s10, s63, exec_lo
	s_andn2_b32 s11, s79, exec_lo
	s_and_b32 s12, s62, exec_lo
	s_or_b32 s80, s7, s10
	s_or_b32 s79, s11, s12
	s_and_b32 s7, s6, exec_lo
.LBB162_464:                            ;   in Loop: Header=BB162_18 Depth=1
	s_or_b32 exec_lo, exec_lo, s20
	s_orn2_b32 s6, s7, exec_lo
.LBB162_465:                            ;   in Loop: Header=BB162_18 Depth=1
	s_or_b32 exec_lo, exec_lo, s23
	v_mov_b32_e32 v29, v9
	v_mov_b32_e32 v28, v8
	s_andn2_b32 s7, s77, exec_lo
	s_and_b32 s10, s80, exec_lo
	s_andn2_b32 s11, s76, exec_lo
	s_and_b32 s12, s79, exec_lo
	s_or_b32 s77, s7, s10
	s_or_b32 s76, s11, s12
	s_and_b32 s7, s6, exec_lo
.LBB162_466:                            ;   in Loop: Header=BB162_18 Depth=1
	s_or_b32 exec_lo, exec_lo, s22
	s_orn2_b32 s6, s7, exec_lo
.LBB162_467:                            ;   in Loop: Header=BB162_18 Depth=1
	s_or_b32 exec_lo, exec_lo, s73
	s_mov_b32 s7, s75
	s_mov_b32 s10, s74
	s_and_saveexec_b32 s11, s6
; %bb.468:                              ;   in Loop: Header=BB162_18 Depth=1
	v_cmp_ne_u32_e32 vcc_lo, 5, v39
	v_cmp_eq_u32_e64 s6, 5, v39
	s_andn2_b32 s7, s74, exec_lo
	s_andn2_b32 s12, s75, exec_lo
	s_and_b32 s10, vcc_lo, exec_lo
	s_and_b32 s6, s6, exec_lo
	s_or_b32 s10, s7, s10
	s_or_b32 s7, s12, s6
; %bb.469:                              ;   in Loop: Header=BB162_18 Depth=1
	s_or_b32 exec_lo, exec_lo, s11
	s_andn2_b32 s2, s78, exec_lo
	s_and_b32 s6, s77, exec_lo
	s_andn2_b32 s9, s9, exec_lo
	s_and_b32 s11, s76, exec_lo
	s_or_b32 s78, s2, s6
	s_andn2_b32 s2, s74, exec_lo
	s_and_b32 s6, s10, exec_lo
	s_andn2_b32 s10, s75, exec_lo
	s_and_b32 s7, s7, exec_lo
	s_or_b32 s9, s9, s11
	s_or_b32 s74, s2, s6
	;; [unrolled: 1-line block ×3, first 2 shown]
.LBB162_470:                            ;   in Loop: Header=BB162_18 Depth=1
	s_or_b32 exec_lo, exec_lo, s72
	s_mov_b32 s76, 0
	s_mov_b32 s77, 0
	s_and_saveexec_b32 s6, s75
.LBB162_471:                            ;   in Loop: Header=BB162_18 Depth=1
	v_mov_b32_e32 v39, 0
	s_or_b32 s74, s74, exec_lo
.LBB162_472:                            ;   in Loop: Header=BB162_18 Depth=1
	s_or_b32 exec_lo, exec_lo, s6
	s_andn2_b32 s2, s49, exec_lo
	s_and_b32 s6, s78, exec_lo
	s_andn2_b32 s10, s61, exec_lo
	s_and_b32 s9, s9, exec_lo
	v_mov_b32_e32 v26, v28
	v_mov_b32_e32 v27, v29
	s_or_b32 s49, s2, s6
	s_or_b32 s61, s10, s9
	s_andn2_b32 s2, s51, exec_lo
	s_and_b32 s6, s77, exec_lo
	s_andn2_b32 s9, s50, exec_lo
	s_and_b32 s10, s76, exec_lo
	s_mov_b32 s7, -1
	s_andn2_b32 s48, s48, exec_lo
	s_or_b32 s51, s2, s6
	s_or_b32 s50, s9, s10
	s_and_saveexec_b32 s2, s74
	s_xor_b32 s6, exec_lo, s2
	s_cbranch_execz .LBB162_17
; %bb.473:                              ;   in Loop: Header=BB162_18 Depth=1
	s_mov_b32 s9, -1
	s_mov_b32 s10, exec_lo
	v_cmpx_eq_u32_e32 0, v39
	s_cbranch_execz .LBB162_16
; %bb.474:                              ;   in Loop: Header=BB162_18 Depth=1
	s_xor_b32 s99, s99, 1
	s_add_i32 s11, s65, -2
	s_cmp_eq_u32 s65, 0
	s_mov_b32 s65, s11
	s_cselect_b32 s7, -1, 0
	s_xor_b32 s9, exec_lo, -1
	s_orn2_b32 s7, s7, exec_lo
	s_branch .LBB162_16
.LBB162_475:
	s_or_b32 exec_lo, exec_lo, s97
	s_xor_b32 s7, s60, -1
	s_xor_b32 s9, vcc_hi, -1
	s_xor_b32 s10, s64, -1
	s_xor_b32 s2, s98, -1
	;; [unrolled: 1-line block ×3, first 2 shown]
	s_mov_b32 s8, 0
	s_and_saveexec_b32 s11, s2
	s_xor_b32 s12, exec_lo, s11
	s_cbranch_execnz .LBB162_480
; %bb.476:
	s_andn2_saveexec_b32 s0, s12
	s_cbranch_execnz .LBB162_499
.LBB162_477:
	s_or_b32 exec_lo, exec_lo, s0
	s_and_saveexec_b32 s0, s8
.LBB162_478:
	; divergent unreachable
.LBB162_479:
	s_endpgm
.LBB162_480:
	s_and_saveexec_b32 s2, s10
	s_xor_b32 s13, exec_lo, s2
	s_cbranch_execz .LBB162_497
; %bb.481:
	s_and_saveexec_b32 s2, s9
	s_xor_b32 s14, exec_lo, s2
	s_cbranch_execz .LBB162_495
; %bb.482:
	s_and_saveexec_b32 s2, s7
	s_xor_b32 s15, exec_lo, s2
	s_cbranch_execz .LBB162_493
; %bb.483:
	s_and_saveexec_b32 s2, s6
	s_xor_b32 s6, exec_lo, s2
; %bb.484:
	v_xor_b32_e32 v23, 0x80000000, v23
	v_mov_b32_e32 v6, v22
	v_mov_b32_e32 v7, v23
; %bb.485:
	s_or_b32 exec_lo, exec_lo, s6
	s_and_saveexec_b32 s6, s3
	v_readlane_b32 s38, v43, 6
; %bb.486:
	v_mov_b32_e32 v2, 0
	v_mov_b32_e32 v3, v2
	ds_write_b64 v2, v[2:3] offset:5136
; %bb.487:
	s_or_b32 exec_lo, exec_lo, s6
	v_mov_b32_e32 v2, 0
	v_mov_b32_e32 v3, 0
	s_waitcnt lgkmcnt(0)
	s_barrier
	buffer_gl0_inv
	s_and_saveexec_b32 s3, s1
	s_cbranch_execz .LBB162_489
; %bb.488:
	global_load_dwordx2 v[2:3], v[16:17], off
.LBB162_489:
	s_or_b32 exec_lo, exec_lo, s3
	s_clause 0x3
	s_load_dwordx2 s[36:37], s[4:5], 0x450
	s_load_dwordx2 s[44:45], s[4:5], 0x2a8
	s_load_dwordx4 s[20:23], s[4:5], 0x1d8
	s_load_dwordx4 s[48:51], s[4:5], 0x298
	s_add_u32 s2, s28, 31
	s_addc_u32 s7, s29, 0
	s_and_b32 s6, s2, 0xffffffe0
	s_mul_i32 s2, s58, s43
	s_mul_hi_u32 s3, s58, s42
	s_mul_i32 s8, s58, s42
	s_add_i32 s3, s3, s2
	s_sub_u32 s2, s34, s8
	s_subb_u32 s3, 0, s3
	v_cmp_gt_u64_e32 vcc_lo, s[6:7], v[0:1]
	s_waitcnt lgkmcnt(0)
	s_mul_i32 s8, s2, s37
	s_mul_hi_u32 s9, s2, s36
	s_mul_i32 s3, s3, s36
	s_add_i32 s8, s9, s8
	s_mul_i32 s16, s52, s22
	s_add_i32 s19, s8, s3
	v_readlane_b32 s8, v43, 0
	v_readlane_b32 s9, v43, 1
	s_mov_b32 s24, s8
	s_mul_i32 s3, s8, s21
	s_mul_hi_u32 s8, s8, s20
	s_mul_i32 s9, s24, s20
	s_add_i32 s8, s8, s3
	s_sub_u32 s3, s52, s9
	s_subb_u32 s8, s53, s8
	s_mul_i32 s9, s3, s51
	s_mul_hi_u32 s10, s3, s50
	s_mul_i32 s8, s8, s50
	s_add_i32 s9, s10, s9
	s_mul_i32 s10, s24, s49
	s_mul_hi_u32 s11, s24, s48
	s_add_i32 s9, s9, s8
	s_add_i32 s11, s11, s10
	s_mul_i32 s8, s52, s23
	s_mul_hi_u32 s10, s52, s22
	v_readlane_b32 s20, v43, 2
	s_add_i32 s10, s10, s8
	s_sub_u32 s16, s34, s16
	s_subb_u32 s10, 0, s10
	s_mul_i32 s8, s16, s45
	s_mul_hi_u32 s17, s16, s44
	s_mul_i32 s10, s10, s44
	s_add_i32 s17, s17, s8
	s_mul_i32 s8, s3, s50
	s_add_i32 s17, s17, s10
	s_mul_i32 s3, s20, s41
	s_mul_hi_u32 s10, s20, s40
	s_mul_i32 s18, s20, s40
	s_load_dwordx4 s[40:43], s[4:5], 0x440
	s_mul_i32 s16, s16, s44
	s_load_dwordx2 s[44:45], s[4:5], 0x1c8
	s_add_i32 s3, s10, s3
	s_sub_u32 s18, s58, s18
	v_readlane_b32 s21, v43, 3
	s_mov_b32 s34, s20
	s_subb_u32 s3, s59, s3
	s_mul_i32 s10, s24, s48
	s_lshl_b64 s[10:11], s[10:11], 3
	s_waitcnt lgkmcnt(0)
	s_mul_i32 s20, s18, s43
	s_mul_hi_u32 s21, s18, s42
	s_mul_i32 s3, s3, s42
	s_add_i32 s20, s21, s20
	s_mul_i32 s22, s34, s40
	s_add_i32 s21, s20, s3
	s_mul_i32 s3, s34, s41
	s_mul_hi_u32 s20, s34, s40
	v_readlane_b32 s40, v43, 4
	s_add_i32 s23, s20, s3
	s_add_u32 s3, s44, s10
	s_addc_u32 s10, s45, s11
	s_lshl_b64 s[8:9], s[8:9], 3
	v_readlane_b32 s41, v43, 5
	s_add_u32 s3, s3, s8
	s_addc_u32 s20, s10, s9
	s_clause 0x1
	s_load_dwordx2 s[8:9], s[4:5], 0x368
	s_load_dwordx2 s[10:11], s[4:5], 0x510
	s_lshl_b64 s[16:17], s[16:17], 3
	s_add_u32 s5, s3, s16
	s_addc_u32 s16, s20, s17
	s_lshl_b64 s[22:23], s[22:23], 3
	s_mul_i32 s20, s18, s42
	s_add_u32 s3, s40, s22
	s_addc_u32 s4, s41, s23
	s_lshl_b64 s[20:21], s[20:21], 3
	s_mul_i32 s18, s2, s36
	s_add_u32 s2, s3, s20
	s_addc_u32 s3, s4, s21
	s_lshl_b64 s[18:19], s[18:19], 3
	s_mov_b32 s4, -1
	s_add_u32 s17, s2, s18
	s_addc_u32 s18, s3, s19
	s_mov_b32 s19, 0
	s_mov_b32 s3, 0
	s_and_saveexec_b32 s20, vcc_lo
	s_cbranch_execnz .LBB162_500
; %bb.490:
	s_or_b32 exec_lo, exec_lo, s20
	s_and_saveexec_b32 s2, s4
	s_cbranch_execnz .LBB162_515
.LBB162_491:
	s_or_b32 exec_lo, exec_lo, s2
	s_and_saveexec_b32 s0, s3
	s_xor_b32 s0, exec_lo, s0
	s_cbranch_execnz .LBB162_538
.LBB162_492:
	s_or_b32 exec_lo, exec_lo, s0
	s_waitcnt lgkmcnt(0)
	s_and_b32 s8, s19, exec_lo
.LBB162_493:
	s_andn2_saveexec_b32 s0, s15
	s_cbranch_execnz .LBB162_540
.LBB162_494:
	s_or_b32 exec_lo, exec_lo, s0
	s_and_b32 s8, s8, exec_lo
.LBB162_495:
	s_andn2_saveexec_b32 s0, s14
	s_cbranch_execnz .LBB162_539
.LBB162_496:
	s_or_b32 exec_lo, exec_lo, s0
	s_and_b32 s8, s8, exec_lo
.LBB162_497:
	s_andn2_saveexec_b32 s0, s13
	s_cbranch_execnz .LBB162_534
.LBB162_498:
	s_or_b32 exec_lo, exec_lo, s0
	s_and_b32 s8, s8, exec_lo
	s_andn2_saveexec_b32 s0, s12
	s_cbranch_execz .LBB162_477
.LBB162_499:
	s_or_b32 s8, s8, exec_lo
	s_trap 2
	s_or_b32 exec_lo, exec_lo, s0
	s_and_saveexec_b32 s0, s8
	s_cbranch_execnz .LBB162_478
	s_branch .LBB162_479
.LBB162_500:
	v_mov_b32_e32 v19, v1
	v_xor_b32_e32 v5, 0x80000000, v7
	v_mov_b32_e32 v4, v6
	v_mov_b32_e32 v9, 0
	;; [unrolled: 1-line block ×3, first 2 shown]
	s_mov_b32 s21, 0
                                        ; implicit-def: $sgpr22
                                        ; implicit-def: $vgpr12_vgpr13
	s_branch .LBB162_502
.LBB162_501:                            ;   in Loop: Header=BB162_502 Depth=1
	s_or_b32 exec_lo, exec_lo, s24
	s_xor_b32 s2, s23, -1
	s_and_b32 s3, exec_lo, s4
	v_mov_b32_e32 v2, v14
	v_mov_b32_e32 v19, v11
	;; [unrolled: 1-line block ×3, first 2 shown]
	s_or_b32 s21, s3, s21
	v_mov_b32_e32 v18, v10
	s_andn2_b32 s3, s22, exec_lo
	s_and_b32 s2, s2, exec_lo
	s_or_b32 s22, s3, s2
	s_andn2_b32 exec_lo, exec_lo, s21
	s_cbranch_execz .LBB162_514
.LBB162_502:                            ; =>This Inner Loop Header: Depth=1
	v_add_co_u32 v10, s3, v18, s35
	v_mov_b32_e32 v14, 0
	v_add_co_ci_u32_e64 v11, null, 0, v19, s3
	v_mov_b32_e32 v15, 0
	s_mov_b32 s4, exec_lo
	v_cmpx_gt_u64_e64 s[28:29], v[10:11]
	s_cbranch_execz .LBB162_504
; %bb.503:                              ;   in Loop: Header=BB162_502 Depth=1
	v_mul_lo_u32 v8, v11, s26
	v_mul_lo_u32 v20, v10, s27
	v_mad_u64_u32 v[14:15], null, v10, s26, 0
	v_add3_u32 v15, v15, v20, v8
	v_lshlrev_b64 v[14:15], 3, v[14:15]
	v_add_co_u32 v14, s3, s25, v14
	v_add_co_ci_u32_e64 v15, null, s33, v15, s3
	global_load_dwordx2 v[14:15], v[14:15], off
.LBB162_504:                            ;   in Loop: Header=BB162_502 Depth=1
	s_or_b32 exec_lo, exec_lo, s4
	s_waitcnt vmcnt(0)
	v_xor_b32_e32 v21, 0x80000000, v3
	v_mov_b32_e32 v20, v2
	v_cmp_gt_u64_e64 s3, v[20:21], v[4:5]
	v_cndmask_b32_e64 v8, 0, 1, s3
	v_cmp_lt_u64_e64 s3, v[20:21], v[4:5]
	v_cndmask_b32_e64 v20, 0, 1, s3
	v_cmp_gt_u64_e64 s3, s[28:29], v[18:19]
	v_cndmask_b32_e64 v8, v20, v8, s38
	v_and_b32_e32 v8, 1, v8
	v_cmp_eq_u32_e64 s4, 1, v8
	s_and_b32 s24, s3, s4
	v_cndmask_b32_e64 v8, 0, 1, s24
	v_cmp_ne_u32_e64 s3, 0, v8
	s_cmp_lg_u32 s3, 0
	s_cselect_b32 s2, -1, 0
	s_and_b32 s2, s0, s2
	s_and_saveexec_b32 s23, s2
	s_cbranch_execz .LBB162_508
; %bb.505:                              ;   in Loop: Header=BB162_502 Depth=1
	s_mov_b32 s37, exec_lo
	s_bcnt1_i32_b32 s34, s3
	v_mbcnt_lo_u32_b32 v20, s37, 0
	s_mov_b32 s36, exec_lo
                                        ; implicit-def: $vgpr12_vgpr13
	v_cmpx_eq_u32_e32 0, v20
	s_cbranch_execz .LBB162_507
; %bb.506:                              ;   in Loop: Header=BB162_502 Depth=1
	s_bcnt1_i32_b32 s2, s37
	s_mul_i32 s2, s34, s2
	v_mov_b32_e32 v8, s2
	s_waitcnt lgkmcnt(0)
	ds_add_rtn_u64 v[12:13], v9, v[8:9] offset:5136
.LBB162_507:                            ;   in Loop: Header=BB162_502 Depth=1
	s_or_b32 exec_lo, exec_lo, s36
	s_waitcnt lgkmcnt(0)
	v_readfirstlane_b32 s37, v13
	v_readfirstlane_b32 s36, v12
	v_mad_u64_u32 v[12:13], null, s34, v20, s[36:37]
.LBB162_508:                            ;   in Loop: Header=BB162_502 Depth=1
	s_or_b32 exec_lo, exec_lo, s23
	s_waitcnt lgkmcnt(0)
	ds_bpermute_b32 v12, v9, v12
	ds_bpermute_b32 v13, v9, v13
	s_mov_b32 s4, -1
	s_mov_b32 s34, -1
	s_and_saveexec_b32 s23, s24
	s_cbranch_execz .LBB162_512
; %bb.509:                              ;   in Loop: Header=BB162_502 Depth=1
	v_and_b32_e32 v8, s3, v32
	s_mov_b32 s24, 0
	s_mov_b32 s34, exec_lo
	v_bcnt_u32_b32 v8, v8, 0
	s_waitcnt lgkmcnt(0)
	v_add_co_u32 v20, s3, v12, v8
	v_add_co_ci_u32_e64 v21, null, 0, v13, s3
	v_cmpx_gt_u64_e64 s[30:31], v[20:21]
; %bb.510:                              ;   in Loop: Header=BB162_502 Depth=1
	v_mul_lo_u32 v8, v21, s8
	v_mul_lo_u32 v24, v20, s9
	v_mad_u64_u32 v[22:23], null, v20, s8, 0
	v_mul_lo_u32 v25, v21, s10
	v_mul_lo_u32 v26, v20, s11
	v_mad_u64_u32 v[20:21], null, v20, s10, 0
	s_mov_b32 s24, exec_lo
	v_add3_u32 v23, v23, v24, v8
	v_add3_u32 v21, v21, v26, v25
	v_lshlrev_b64 v[22:23], 3, v[22:23]
	v_lshlrev_b64 v[20:21], 3, v[20:21]
	v_add_co_u32 v22, s3, s5, v22
	v_add_co_ci_u32_e64 v23, null, s16, v23, s3
	v_add_co_u32 v20, s3, s17, v20
	v_add_co_ci_u32_e64 v21, null, s18, v21, s3
	global_store_dwordx2 v[22:23], v[2:3], off
	global_store_dwordx2 v[20:21], v[18:19], off
; %bb.511:                              ;   in Loop: Header=BB162_502 Depth=1
	s_or_b32 exec_lo, exec_lo, s34
	s_orn2_b32 s34, s24, exec_lo
.LBB162_512:                            ;   in Loop: Header=BB162_502 Depth=1
	s_or_b32 exec_lo, exec_lo, s23
	s_mov_b32 s23, -1
	s_and_saveexec_b32 s24, s34
	s_cbranch_execz .LBB162_501
; %bb.513:                              ;   in Loop: Header=BB162_502 Depth=1
	v_cmp_le_u64_e64 s3, s[6:7], v[10:11]
	s_xor_b32 s23, exec_lo, -1
	s_orn2_b32 s4, s3, exec_lo
	s_branch .LBB162_501
.LBB162_514:
	s_or_b32 exec_lo, exec_lo, s21
	s_mov_b32 s3, exec_lo
	s_orn2_b32 s4, s22, exec_lo
	s_or_b32 exec_lo, exec_lo, s20
	s_and_saveexec_b32 s2, s4
	s_cbranch_execz .LBB162_491
.LBB162_515:
	s_waitcnt lgkmcnt(0)
	v_mov_b32_e32 v12, 0
	v_mov_b32_e32 v13, 0
	s_waitcnt vmcnt(0)
	s_waitcnt_vscnt null, 0x0
	s_barrier
	buffer_gl0_inv
	s_and_saveexec_b32 s4, s1
	s_cbranch_execz .LBB162_517
; %bb.516:
	global_load_dwordx2 v[12:13], v[16:17], off
.LBB162_517:
	s_or_b32 exec_lo, exec_lo, s4
	s_mov_b32 s1, 0
	s_and_saveexec_b32 s4, vcc_lo
	s_cbranch_execz .LBB162_537
; %bb.518:
	v_mov_b32_e32 v3, 0
	s_mov_b32 s19, 0
                                        ; implicit-def: $sgpr20
                                        ; implicit-def: $vgpr8_vgpr9
	s_branch .LBB162_521
.LBB162_519:                            ;   in Loop: Header=BB162_521 Depth=1
	s_or_b32 exec_lo, exec_lo, s21
	s_orn2_b32 s23, s24, exec_lo
	s_orn2_b32 s22, s22, exec_lo
.LBB162_520:                            ;   in Loop: Header=BB162_521 Depth=1
	s_or_b32 exec_lo, exec_lo, s1
	s_xor_b32 s1, s23, -1
	s_and_b32 s21, exec_lo, s22
	v_mov_b32_e32 v0, v4
	v_mov_b32_e32 v13, v11
	;; [unrolled: 1-line block ×3, first 2 shown]
	s_or_b32 s19, s21, s19
	v_mov_b32_e32 v12, v10
	s_andn2_b32 s20, s20, exec_lo
	s_and_b32 s1, s1, exec_lo
	s_or_b32 s20, s20, s1
	s_andn2_b32 exec_lo, exec_lo, s19
	s_cbranch_execz .LBB162_535
.LBB162_521:                            ; =>This Inner Loop Header: Depth=1
	v_add_co_u32 v4, vcc_lo, v0, s35
	v_mov_b32_e32 v10, 0
	v_add_co_ci_u32_e64 v5, null, 0, v1, vcc_lo
	v_mov_b32_e32 v11, 0
	s_mov_b32 s1, exec_lo
	v_cmpx_gt_u64_e64 s[28:29], v[4:5]
	s_cbranch_execz .LBB162_523
; %bb.522:                              ;   in Loop: Header=BB162_521 Depth=1
	v_mul_lo_u32 v2, v5, s26
	v_mul_lo_u32 v14, v4, s27
	v_mad_u64_u32 v[10:11], null, v4, s26, 0
	v_add3_u32 v11, v11, v14, v2
	v_lshlrev_b64 v[10:11], 3, v[10:11]
	v_add_co_u32 v10, vcc_lo, s25, v10
	v_add_co_ci_u32_e64 v11, null, s33, v11, vcc_lo
	global_load_dwordx2 v[10:11], v[10:11], off
.LBB162_523:                            ;   in Loop: Header=BB162_521 Depth=1
	s_or_b32 exec_lo, exec_lo, s1
	v_cmp_gt_u64_e32 vcc_lo, s[28:29], v[0:1]
	s_waitcnt vmcnt(0)
	v_cmp_eq_u64_e64 s1, v[12:13], v[6:7]
	s_and_b32 s21, vcc_lo, s1
	v_cndmask_b32_e64 v2, 0, 1, s21
	v_cmp_ne_u32_e32 vcc_lo, 0, v2
	s_cmp_lg_u32 vcc_lo, 0
	s_cselect_b32 s1, -1, 0
	s_and_b32 s1, s0, s1
	s_and_saveexec_b32 s22, s1
	s_cbranch_execz .LBB162_527
; %bb.524:                              ;   in Loop: Header=BB162_521 Depth=1
	s_mov_b32 s34, exec_lo
	s_bcnt1_i32_b32 s23, vcc_lo
	v_mbcnt_lo_u32_b32 v12, s34, 0
	s_mov_b32 s24, exec_lo
                                        ; implicit-def: $vgpr8_vgpr9
	v_cmpx_eq_u32_e32 0, v12
; %bb.525:                              ;   in Loop: Header=BB162_521 Depth=1
	s_bcnt1_i32_b32 s1, s34
	s_mul_i32 s1, s23, s1
	v_mov_b32_e32 v2, s1
	ds_add_rtn_u64 v[8:9], v3, v[2:3] offset:5136
; %bb.526:                              ;   in Loop: Header=BB162_521 Depth=1
	s_or_b32 exec_lo, exec_lo, s24
	s_waitcnt lgkmcnt(0)
	v_readfirstlane_b32 s37, v9
	v_readfirstlane_b32 s36, v8
	v_mad_u64_u32 v[8:9], null, s23, v12, s[36:37]
.LBB162_527:                            ;   in Loop: Header=BB162_521 Depth=1
	s_or_b32 exec_lo, exec_lo, s22
	ds_bpermute_b32 v8, v3, v8
	ds_bpermute_b32 v9, v3, v9
	s_cmp_eq_u32 vcc_lo, 0
	s_mov_b32 s22, -1
	s_cselect_b32 s23, -1, 0
	s_waitcnt lgkmcnt(0)
	v_cmp_gt_u64_e64 s1, s[30:31], v[8:9]
	s_or_b32 s24, s23, s1
	s_mov_b32 s23, -1
	s_and_saveexec_b32 s1, s24
	s_cbranch_execz .LBB162_520
; %bb.528:                              ;   in Loop: Header=BB162_521 Depth=1
	v_and_b32_e32 v2, vcc_lo, v32
	v_sub_co_u32 v12, vcc_lo, s30, v8
	v_sub_co_ci_u32_e64 v13, null, s31, v9, vcc_lo
	v_bcnt_u32_b32 v2, v2, 0
	s_mov_b32 s24, -1
	v_bcnt_u32_b32 v2, 0, v2
	v_cmp_gt_u64_e32 vcc_lo, v[12:13], v[2:3]
	s_and_b32 s34, s21, vcc_lo
	s_and_saveexec_b32 s21, s34
	s_cbranch_execz .LBB162_532
; %bb.529:                              ;   in Loop: Header=BB162_521 Depth=1
	v_add_co_u32 v12, vcc_lo, v8, v2
	v_add_co_ci_u32_e64 v13, null, 0, v9, vcc_lo
	s_mov_b32 s23, 0
	s_mov_b32 s24, exec_lo
	v_cmpx_gt_u64_e64 s[30:31], v[12:13]
; %bb.530:                              ;   in Loop: Header=BB162_521 Depth=1
	v_mul_lo_u32 v2, v13, s8
	v_mul_lo_u32 v16, v12, s9
	v_mad_u64_u32 v[14:15], null, v12, s8, 0
	v_mul_lo_u32 v17, v13, s10
	v_mul_lo_u32 v18, v12, s11
	v_mad_u64_u32 v[12:13], null, v12, s10, 0
	s_mov_b32 s23, exec_lo
	v_add3_u32 v15, v15, v16, v2
	v_add3_u32 v13, v13, v18, v17
	v_lshlrev_b64 v[14:15], 3, v[14:15]
	v_lshlrev_b64 v[12:13], 3, v[12:13]
	v_add_co_u32 v14, vcc_lo, s5, v14
	v_add_co_ci_u32_e64 v15, null, s16, v15, vcc_lo
	v_add_co_u32 v12, vcc_lo, s17, v12
	v_add_co_ci_u32_e64 v13, null, s18, v13, vcc_lo
	global_store_dwordx2 v[14:15], v[6:7], off
	global_store_dwordx2 v[12:13], v[0:1], off
; %bb.531:                              ;   in Loop: Header=BB162_521 Depth=1
	s_or_b32 exec_lo, exec_lo, s24
	s_xor_b32 s24, exec_lo, -1
	s_orn2_b32 s23, s23, exec_lo
.LBB162_532:                            ;   in Loop: Header=BB162_521 Depth=1
	s_or_b32 exec_lo, exec_lo, s21
	s_and_saveexec_b32 s21, s23
	s_cbranch_execz .LBB162_519
; %bb.533:                              ;   in Loop: Header=BB162_521 Depth=1
	v_cmp_le_u64_e32 vcc_lo, s[6:7], v[4:5]
	s_or_b32 s24, s24, exec_lo
	s_orn2_b32 s22, vcc_lo, exec_lo
	s_branch .LBB162_519
.LBB162_534:
	s_or_b32 s8, s8, exec_lo
	s_trap 2
	s_branch .LBB162_498
.LBB162_535:
	s_or_b32 exec_lo, exec_lo, s19
	s_mov_b32 s0, 0
	s_and_saveexec_b32 s1, s20
	s_xor_b32 s1, exec_lo, s1
	s_cbranch_execnz .LBB162_541
.LBB162_536:
	s_or_b32 exec_lo, exec_lo, s1
	s_and_b32 s1, s0, exec_lo
.LBB162_537:
	s_or_b32 exec_lo, exec_lo, s4
	s_and_b32 s19, s1, exec_lo
	s_andn2_b32 s3, s3, exec_lo
	s_or_b32 exec_lo, exec_lo, s2
	s_and_saveexec_b32 s0, s3
	s_xor_b32 s0, exec_lo, s0
	s_cbranch_execz .LBB162_492
.LBB162_538:
	s_or_b32 s19, s19, exec_lo
	s_trap 2
	s_branch .LBB162_492
.LBB162_539:
	s_or_b32 s8, s8, exec_lo
	s_trap 2
	s_branch .LBB162_496
.LBB162_540:
	s_or_b32 s8, s8, exec_lo
	s_trap 2
	s_branch .LBB162_494
.LBB162_541:
	s_mov_b32 s0, exec_lo
	s_trap 2
	s_branch .LBB162_536
	.section	.rodata,"a",@progbits
	.p2align	6, 0x0
	.amdhsa_kernel _ZN2at6native6sbtopk10gatherTopKIlmLi3ELb0EEEvNS_4cuda6detail10TensorInfoIKT_T0_EES8_S8_bS8_S8_NS5_IS6_S8_EES8_NS5_IlS8_EES8_PS6_
		.amdhsa_group_segment_fixed_size 5152
		.amdhsa_private_segment_fixed_size 0
		.amdhsa_kernarg_size 1568
		.amdhsa_user_sgpr_count 6
		.amdhsa_user_sgpr_private_segment_buffer 1
		.amdhsa_user_sgpr_dispatch_ptr 0
		.amdhsa_user_sgpr_queue_ptr 0
		.amdhsa_user_sgpr_kernarg_segment_ptr 1
		.amdhsa_user_sgpr_dispatch_id 0
		.amdhsa_user_sgpr_flat_scratch_init 0
		.amdhsa_user_sgpr_private_segment_size 0
		.amdhsa_wavefront_size32 1
		.amdhsa_uses_dynamic_stack 0
		.amdhsa_system_sgpr_private_segment_wavefront_offset 0
		.amdhsa_system_sgpr_workgroup_id_x 1
		.amdhsa_system_sgpr_workgroup_id_y 1
		.amdhsa_system_sgpr_workgroup_id_z 1
		.amdhsa_system_sgpr_workgroup_info 0
		.amdhsa_system_vgpr_workitem_id 0
		.amdhsa_next_free_vgpr 44
		.amdhsa_next_free_sgpr 105
		.amdhsa_reserve_vcc 1
		.amdhsa_reserve_flat_scratch 0
		.amdhsa_float_round_mode_32 0
		.amdhsa_float_round_mode_16_64 0
		.amdhsa_float_denorm_mode_32 3
		.amdhsa_float_denorm_mode_16_64 3
		.amdhsa_dx10_clamp 1
		.amdhsa_ieee_mode 1
		.amdhsa_fp16_overflow 0
		.amdhsa_workgroup_processor_mode 1
		.amdhsa_memory_ordered 1
		.amdhsa_forward_progress 1
		.amdhsa_shared_vgpr_count 0
		.amdhsa_exception_fp_ieee_invalid_op 0
		.amdhsa_exception_fp_denorm_src 0
		.amdhsa_exception_fp_ieee_div_zero 0
		.amdhsa_exception_fp_ieee_overflow 0
		.amdhsa_exception_fp_ieee_underflow 0
		.amdhsa_exception_fp_ieee_inexact 0
		.amdhsa_exception_int_div_zero 0
	.end_amdhsa_kernel
	.section	.text._ZN2at6native6sbtopk10gatherTopKIlmLi3ELb0EEEvNS_4cuda6detail10TensorInfoIKT_T0_EES8_S8_bS8_S8_NS5_IS6_S8_EES8_NS5_IlS8_EES8_PS6_,"axG",@progbits,_ZN2at6native6sbtopk10gatherTopKIlmLi3ELb0EEEvNS_4cuda6detail10TensorInfoIKT_T0_EES8_S8_bS8_S8_NS5_IS6_S8_EES8_NS5_IlS8_EES8_PS6_,comdat
.Lfunc_end162:
	.size	_ZN2at6native6sbtopk10gatherTopKIlmLi3ELb0EEEvNS_4cuda6detail10TensorInfoIKT_T0_EES8_S8_bS8_S8_NS5_IS6_S8_EES8_NS5_IlS8_EES8_PS6_, .Lfunc_end162-_ZN2at6native6sbtopk10gatherTopKIlmLi3ELb0EEEvNS_4cuda6detail10TensorInfoIKT_T0_EES8_S8_bS8_S8_NS5_IS6_S8_EES8_NS5_IlS8_EES8_PS6_
                                        ; -- End function
	.set _ZN2at6native6sbtopk10gatherTopKIlmLi3ELb0EEEvNS_4cuda6detail10TensorInfoIKT_T0_EES8_S8_bS8_S8_NS5_IS6_S8_EES8_NS5_IlS8_EES8_PS6_.num_vgpr, 44
	.set _ZN2at6native6sbtopk10gatherTopKIlmLi3ELb0EEEvNS_4cuda6detail10TensorInfoIKT_T0_EES8_S8_bS8_S8_NS5_IS6_S8_EES8_NS5_IlS8_EES8_PS6_.num_agpr, 0
	.set _ZN2at6native6sbtopk10gatherTopKIlmLi3ELb0EEEvNS_4cuda6detail10TensorInfoIKT_T0_EES8_S8_bS8_S8_NS5_IS6_S8_EES8_NS5_IlS8_EES8_PS6_.numbered_sgpr, 105
	.set _ZN2at6native6sbtopk10gatherTopKIlmLi3ELb0EEEvNS_4cuda6detail10TensorInfoIKT_T0_EES8_S8_bS8_S8_NS5_IS6_S8_EES8_NS5_IlS8_EES8_PS6_.num_named_barrier, 0
	.set _ZN2at6native6sbtopk10gatherTopKIlmLi3ELb0EEEvNS_4cuda6detail10TensorInfoIKT_T0_EES8_S8_bS8_S8_NS5_IS6_S8_EES8_NS5_IlS8_EES8_PS6_.private_seg_size, 0
	.set _ZN2at6native6sbtopk10gatherTopKIlmLi3ELb0EEEvNS_4cuda6detail10TensorInfoIKT_T0_EES8_S8_bS8_S8_NS5_IS6_S8_EES8_NS5_IlS8_EES8_PS6_.uses_vcc, 1
	.set _ZN2at6native6sbtopk10gatherTopKIlmLi3ELb0EEEvNS_4cuda6detail10TensorInfoIKT_T0_EES8_S8_bS8_S8_NS5_IS6_S8_EES8_NS5_IlS8_EES8_PS6_.uses_flat_scratch, 0
	.set _ZN2at6native6sbtopk10gatherTopKIlmLi3ELb0EEEvNS_4cuda6detail10TensorInfoIKT_T0_EES8_S8_bS8_S8_NS5_IS6_S8_EES8_NS5_IlS8_EES8_PS6_.has_dyn_sized_stack, 0
	.set _ZN2at6native6sbtopk10gatherTopKIlmLi3ELb0EEEvNS_4cuda6detail10TensorInfoIKT_T0_EES8_S8_bS8_S8_NS5_IS6_S8_EES8_NS5_IlS8_EES8_PS6_.has_recursion, 0
	.set _ZN2at6native6sbtopk10gatherTopKIlmLi3ELb0EEEvNS_4cuda6detail10TensorInfoIKT_T0_EES8_S8_bS8_S8_NS5_IS6_S8_EES8_NS5_IlS8_EES8_PS6_.has_indirect_call, 0
	.section	.AMDGPU.csdata,"",@progbits
; Kernel info:
; codeLenInByte = 26116
; TotalNumSgprs: 107
; NumVgprs: 44
; ScratchSize: 0
; MemoryBound: 0
; FloatMode: 240
; IeeeMode: 1
; LDSByteSize: 5152 bytes/workgroup (compile time only)
; SGPRBlocks: 0
; VGPRBlocks: 5
; NumSGPRsForWavesPerEU: 107
; NumVGPRsForWavesPerEU: 44
; Occupancy: 16
; WaveLimiterHint : 1
; COMPUTE_PGM_RSRC2:SCRATCH_EN: 0
; COMPUTE_PGM_RSRC2:USER_SGPR: 6
; COMPUTE_PGM_RSRC2:TRAP_HANDLER: 0
; COMPUTE_PGM_RSRC2:TGID_X_EN: 1
; COMPUTE_PGM_RSRC2:TGID_Y_EN: 1
; COMPUTE_PGM_RSRC2:TGID_Z_EN: 1
; COMPUTE_PGM_RSRC2:TIDIG_COMP_CNT: 0
	.section	.text._ZN2at6native6mbtopk23computeBlockDigitCountsIlmmLin1EEEvNS_4cuda6detail10TensorInfoIKT_T0_EEjPjjS8_iijT1_PSB_Ps,"axG",@progbits,_ZN2at6native6mbtopk23computeBlockDigitCountsIlmmLin1EEEvNS_4cuda6detail10TensorInfoIKT_T0_EEjPjjS8_iijT1_PSB_Ps,comdat
	.protected	_ZN2at6native6mbtopk23computeBlockDigitCountsIlmmLin1EEEvNS_4cuda6detail10TensorInfoIKT_T0_EEjPjjS8_iijT1_PSB_Ps ; -- Begin function _ZN2at6native6mbtopk23computeBlockDigitCountsIlmmLin1EEEvNS_4cuda6detail10TensorInfoIKT_T0_EEjPjjS8_iijT1_PSB_Ps
	.globl	_ZN2at6native6mbtopk23computeBlockDigitCountsIlmmLin1EEEvNS_4cuda6detail10TensorInfoIKT_T0_EEjPjjS8_iijT1_PSB_Ps
	.p2align	8
	.type	_ZN2at6native6mbtopk23computeBlockDigitCountsIlmmLin1EEEvNS_4cuda6detail10TensorInfoIKT_T0_EEjPjjS8_iijT1_PSB_Ps,@function
_ZN2at6native6mbtopk23computeBlockDigitCountsIlmmLin1EEEvNS_4cuda6detail10TensorInfoIKT_T0_EEjPjjS8_iijT1_PSB_Ps: ; @_ZN2at6native6mbtopk23computeBlockDigitCountsIlmmLin1EEEvNS_4cuda6detail10TensorInfoIKT_T0_EEjPjjS8_iijT1_PSB_Ps
; %bb.0:
	s_clause 0x2
	s_load_dwordx4 s[0:3], s[4:5], 0x1c0
	s_load_dword s9, s[4:5], 0x1b0
	s_load_dwordx2 s[10:11], s[4:5], 0x1e8
	s_mov_b32 s15, 0
	s_waitcnt lgkmcnt(0)
	v_cvt_f32_u32_e32 v1, s2
	s_mul_i32 s8, s11, s8
	s_sub_i32 s11, 0, s2
	s_add_i32 s7, s8, s7
	v_rcp_iflag_f32_e32 v1, v1
	s_mul_i32 s26, s7, s10
	s_add_i32 s26, s26, s6
	v_mul_f32_e32 v1, 0x4f7ffffe, v1
	v_cvt_u32_f32_e32 v1, v1
	v_readfirstlane_b32 s3, v1
	s_mul_i32 s11, s11, s3
	s_mul_hi_u32 s7, s3, s11
	s_add_i32 s3, s3, s7
	s_mul_hi_u32 s3, s26, s3
	s_mul_i32 s6, s3, s2
	s_add_i32 s7, s3, 1
	s_sub_i32 s6, s26, s6
	s_sub_i32 s8, s6, s2
	s_cmp_ge_u32 s6, s2
	s_cselect_b32 s3, s7, s3
	s_cselect_b32 s6, s8, s6
	s_add_i32 s7, s3, 1
	s_cmp_ge_u32 s6, s2
	s_cselect_b32 s14, s7, s3
	s_cmp_ge_u32 s14, s9
	s_cbranch_scc1 .LBB163_28
; %bb.1:
	s_clause 0x1
	s_load_dwordx4 s[8:11], s[4:5], 0x1d0
	s_load_dword s3, s[4:5], 0x198
	s_lshl_b64 s[6:7], s[14:15], 3
	s_mov_b64 s[22:23], s[14:15]
	s_mov_b64 s[12:13], 0
	s_waitcnt lgkmcnt(0)
	s_add_u32 s10, s10, s6
	s_addc_u32 s11, s11, s7
	s_load_dwordx2 s[6:7], s[4:5], 0x1e0
	s_load_dwordx2 s[10:11], s[10:11], 0x0
	s_cmp_lt_i32 s3, 2
	s_cbranch_scc1 .LBB163_7
; %bb.2:
	s_add_i32 s18, s3, -1
	s_mov_b32 s19, 0
	s_add_i32 s3, s3, 1
	s_lshl_b64 s[12:13], s[18:19], 3
	s_add_u32 s12, s4, s12
	s_addc_u32 s13, s5, s13
	s_add_u32 s20, s12, 8
	s_addc_u32 s21, s13, 0
	s_mov_b64 s[12:13], 0
.LBB163_3:                              ; =>This Inner Loop Header: Depth=1
	s_load_dwordx2 s[24:25], s[20:21], 0x0
	s_mov_b64 s[16:17], 0
	s_waitcnt lgkmcnt(0)
	v_cmp_lt_u64_e64 s15, s[22:23], s[24:25]
	s_and_b32 vcc_lo, exec_lo, s15
	s_cbranch_vccnz .LBB163_5
; %bb.4:                                ;   in Loop: Header=BB163_3 Depth=1
	v_cvt_f32_u32_e32 v1, s24
	s_sub_i32 s16, 0, s24
	v_rcp_iflag_f32_e32 v1, v1
	v_mul_f32_e32 v1, 0x4f7ffffe, v1
	v_cvt_u32_f32_e32 v1, v1
	v_readfirstlane_b32 s15, v1
	s_mul_i32 s16, s16, s15
	s_mul_hi_u32 s16, s15, s16
	s_add_i32 s15, s15, s16
	s_mul_hi_u32 s15, s22, s15
	s_mul_i32 s16, s15, s24
	s_add_i32 s17, s15, 1
	s_sub_i32 s16, s22, s16
	s_sub_i32 s18, s16, s24
	s_cmp_ge_u32 s16, s24
	s_cselect_b32 s15, s17, s15
	s_cselect_b32 s16, s18, s16
	s_add_i32 s17, s15, 1
	s_cmp_ge_u32 s16, s24
	s_cselect_b32 s18, s17, s15
	s_mov_b64 s[16:17], s[18:19]
.LBB163_5:                              ;   in Loop: Header=BB163_3 Depth=1
	s_load_dwordx2 s[28:29], s[20:21], 0xc8
	s_mul_i32 s15, s16, s25
	s_mul_hi_u32 s18, s16, s24
	s_mul_i32 s24, s16, s24
	s_add_i32 s18, s18, s15
	s_sub_u32 s15, s22, s24
	s_subb_u32 s18, s23, s18
	s_waitcnt lgkmcnt(0)
	s_mul_i32 s18, s28, s18
	s_mul_hi_u32 s22, s28, s15
	s_mul_i32 s23, s29, s15
	s_add_i32 s18, s22, s18
	s_mul_i32 s15, s28, s15
	s_add_i32 s18, s18, s23
	s_add_u32 s12, s15, s12
	s_addc_u32 s13, s18, s13
	s_add_i32 s3, s3, -1
	s_add_u32 s20, s20, -8
	s_addc_u32 s21, s21, -1
	s_cmp_gt_u32 s3, 2
	s_cbranch_scc0 .LBB163_8
; %bb.6:                                ;   in Loop: Header=BB163_3 Depth=1
	s_mov_b64 s[22:23], s[16:17]
	s_branch .LBB163_3
.LBB163_7:
	s_mov_b64 s[16:17], s[22:23]
.LBB163_8:
	v_cmp_gt_u32_e32 vcc_lo, 0x100, v0
	v_lshlrev_b32_e32 v3, 2, v0
	s_and_saveexec_b32 s3, vcc_lo
; %bb.9:
	v_mov_b32_e32 v1, 0
	ds_write_b32 v3, v1
; %bb.10:
	s_or_b32 exec_lo, exec_lo, s3
	s_load_dword s15, s[4:5], 0x1a0
	s_mul_i32 s3, s14, s2
	s_mov_b32 s17, 0
	s_sub_i32 s3, s26, s3
	s_waitcnt lgkmcnt(0)
	s_mul_i32 s14, s1, s3
	s_add_i32 s3, s3, 1
	s_lshl_b32 s18, s14, 8
	s_barrier
	buffer_gl0_inv
	s_sub_i32 s14, s15, s18
	s_add_u32 s20, s14, 0xff
	s_addc_u32 s21, 0, 0
	s_lshr_b64 s[20:21], s[20:21], 8
	s_cmp_lt_u32 s3, s2
	s_cselect_b32 s14, s1, s20
	s_cmp_lt_i32 s14, 1
	s_cbranch_scc1 .LBB163_26
; %bb.11:
	s_clause 0x2
	s_load_dwordx2 s[20:21], s[4:5], 0xd0
	s_load_dwordx2 s[2:3], s[4:5], 0x1b8
	;; [unrolled: 1-line block ×3, first 2 shown]
	v_add_nc_u32_e32 v4, s18, v0
	s_waitcnt lgkmcnt(0)
	s_mul_i32 s1, s21, s16
	s_mul_hi_u32 s19, s20, s16
	s_mul_i32 s20, s20, s16
	s_add_i32 s21, s19, s1
	s_lshl_b64 s[20:21], s[20:21], 3
	s_add_u32 s1, s4, s20
	s_addc_u32 s16, s5, s21
	s_lshl_b64 s[4:5], s[12:13], 3
	s_add_u32 s4, s1, s4
	s_addc_u32 s5, s16, s5
	s_and_b32 s1, s0, 0xff
	s_cmp_eq_u32 s14, 1
	s_cbranch_scc1 .LBB163_21
; %bb.12:
	v_mov_b32_e32 v5, 1
	v_mov_b32_e32 v6, 2
	;; [unrolled: 1-line block ×3, first 2 shown]
	s_and_b32 s12, s14, 0x7ffffffe
	s_mov_b32 s13, 0
	s_branch .LBB163_14
.LBB163_13:                             ;   in Loop: Header=BB163_14 Depth=1
	s_or_b32 exec_lo, exec_lo, s16
	v_add_nc_u32_e32 v7, 0x200, v7
	s_add_i32 s13, s13, 2
	s_cmp_eq_u32 s12, s13
	s_cbranch_scc1 .LBB163_20
.LBB163_14:                             ; =>This Inner Loop Header: Depth=1
	s_mov_b32 s16, exec_lo
	v_cmpx_gt_u32_e64 s15, v7
	s_cbranch_execz .LBB163_17
; %bb.15:                               ;   in Loop: Header=BB163_14 Depth=1
	v_mad_u64_u32 v[1:2], null, s2, v7, 0
	v_mad_u64_u32 v[8:9], null, s3, v7, v[2:3]
	v_mov_b32_e32 v2, v8
	v_lshlrev_b64 v[1:2], 3, v[1:2]
	v_add_co_u32 v1, s0, s4, v1
	v_add_co_ci_u32_e64 v2, null, s5, v2, s0
	global_load_dwordx2 v[1:2], v[1:2], off
	s_waitcnt vmcnt(0)
	v_xor_b32_e32 v2, 0x80000000, v2
	v_xor_b32_e32 v10, s10, v1
	;; [unrolled: 1-line block ×3, first 2 shown]
	v_and_b32_e32 v9, s9, v8
	v_and_b32_e32 v8, s8, v10
	v_cmp_eq_u64_e64 s0, 0, v[8:9]
	s_and_b32 exec_lo, exec_lo, s0
; %bb.16:                               ;   in Loop: Header=BB163_14 Depth=1
	v_lshrrev_b64 v[1:2], s1, v[1:2]
	v_lshlrev_b32_sdwa v1, v6, v1 dst_sel:DWORD dst_unused:UNUSED_PAD src0_sel:DWORD src1_sel:BYTE_0
	ds_add_u32 v1, v5
.LBB163_17:                             ;   in Loop: Header=BB163_14 Depth=1
	s_or_b32 exec_lo, exec_lo, s16
	v_add_nc_u32_e32 v1, 0x100, v7
	s_mov_b32 s16, exec_lo
	v_cmpx_gt_u32_e64 s15, v1
	s_cbranch_execz .LBB163_13
; %bb.18:                               ;   in Loop: Header=BB163_14 Depth=1
	v_mad_u64_u32 v[8:9], null, s2, v1, 0
	v_mov_b32_e32 v2, v9
	v_mad_u64_u32 v[1:2], null, s3, v1, v[2:3]
	v_mov_b32_e32 v9, v1
	v_lshlrev_b64 v[1:2], 3, v[8:9]
	v_add_co_u32 v1, s0, s4, v1
	v_add_co_ci_u32_e64 v2, null, s5, v2, s0
	global_load_dwordx2 v[1:2], v[1:2], off
	s_waitcnt vmcnt(0)
	v_xor_b32_e32 v2, 0x80000000, v2
	v_xor_b32_e32 v10, s10, v1
	;; [unrolled: 1-line block ×3, first 2 shown]
	v_and_b32_e32 v9, s9, v8
	v_and_b32_e32 v8, s8, v10
	v_cmp_eq_u64_e64 s0, 0, v[8:9]
	s_and_b32 exec_lo, exec_lo, s0
	s_cbranch_execz .LBB163_13
; %bb.19:                               ;   in Loop: Header=BB163_14 Depth=1
	v_lshrrev_b64 v[1:2], s1, v[1:2]
	v_lshlrev_b32_sdwa v1, v6, v1 dst_sel:DWORD dst_unused:UNUSED_PAD src0_sel:DWORD src1_sel:BYTE_0
	ds_add_u32 v1, v5
	s_branch .LBB163_13
.LBB163_20:
	s_lshl_b32 s17, s12, 8
.LBB163_21:
	s_bitcmp0_b32 s14, 0
	s_cbranch_scc1 .LBB163_26
; %bb.22:
	v_add_nc_u32_e32 v1, s17, v4
	s_mov_b32 s12, exec_lo
	v_cmpx_gt_u32_e64 s15, v1
	s_cbranch_execz .LBB163_25
; %bb.23:
	v_mad_u64_u32 v[4:5], null, s2, v1, 0
	v_mov_b32_e32 v2, v5
	v_mad_u64_u32 v[1:2], null, s3, v1, v[2:3]
	v_mov_b32_e32 v5, v1
	v_lshlrev_b64 v[1:2], 3, v[4:5]
	v_add_co_u32 v1, s0, s4, v1
	v_add_co_ci_u32_e64 v2, null, s5, v2, s0
	global_load_dwordx2 v[1:2], v[1:2], off
	s_waitcnt vmcnt(0)
	v_xor_b32_e32 v2, 0x80000000, v2
	v_xor_b32_e32 v6, s10, v1
	;; [unrolled: 1-line block ×3, first 2 shown]
	v_and_b32_e32 v5, s9, v4
	v_and_b32_e32 v4, s8, v6
	v_cmp_eq_u64_e64 s0, 0, v[4:5]
	s_and_b32 exec_lo, exec_lo, s0
	s_cbranch_execz .LBB163_25
; %bb.24:
	v_lshrrev_b64 v[1:2], s1, v[1:2]
	v_mov_b32_e32 v2, 2
	v_lshlrev_b32_sdwa v1, v2, v1 dst_sel:DWORD dst_unused:UNUSED_PAD src0_sel:DWORD src1_sel:BYTE_0
	v_mov_b32_e32 v2, 1
	ds_add_u32 v1, v2
.LBB163_25:
	s_or_b32 exec_lo, exec_lo, s12
.LBB163_26:
	s_waitcnt lgkmcnt(0)
	s_barrier
	buffer_gl0_inv
	s_and_saveexec_b32 s0, vcc_lo
	s_cbranch_execz .LBB163_28
; %bb.27:
	ds_read_b32 v2, v3
	v_lshl_or_b32 v0, s26, 8, v0
	v_mov_b32_e32 v1, 0
	v_lshlrev_b64 v[0:1], 1, v[0:1]
	v_add_co_u32 v0, vcc_lo, s6, v0
	v_add_co_ci_u32_e64 v1, null, s7, v1, vcc_lo
	s_waitcnt lgkmcnt(0)
	global_store_short v[0:1], v2, off
.LBB163_28:
	s_endpgm
	.section	.rodata,"a",@progbits
	.p2align	6, 0x0
	.amdhsa_kernel _ZN2at6native6mbtopk23computeBlockDigitCountsIlmmLin1EEEvNS_4cuda6detail10TensorInfoIKT_T0_EEjPjjS8_iijT1_PSB_Ps
		.amdhsa_group_segment_fixed_size 1024
		.amdhsa_private_segment_fixed_size 0
		.amdhsa_kernarg_size 744
		.amdhsa_user_sgpr_count 6
		.amdhsa_user_sgpr_private_segment_buffer 1
		.amdhsa_user_sgpr_dispatch_ptr 0
		.amdhsa_user_sgpr_queue_ptr 0
		.amdhsa_user_sgpr_kernarg_segment_ptr 1
		.amdhsa_user_sgpr_dispatch_id 0
		.amdhsa_user_sgpr_flat_scratch_init 0
		.amdhsa_user_sgpr_private_segment_size 0
		.amdhsa_wavefront_size32 1
		.amdhsa_uses_dynamic_stack 0
		.amdhsa_system_sgpr_private_segment_wavefront_offset 0
		.amdhsa_system_sgpr_workgroup_id_x 1
		.amdhsa_system_sgpr_workgroup_id_y 1
		.amdhsa_system_sgpr_workgroup_id_z 1
		.amdhsa_system_sgpr_workgroup_info 0
		.amdhsa_system_vgpr_workitem_id 0
		.amdhsa_next_free_vgpr 11
		.amdhsa_next_free_sgpr 30
		.amdhsa_reserve_vcc 1
		.amdhsa_reserve_flat_scratch 0
		.amdhsa_float_round_mode_32 0
		.amdhsa_float_round_mode_16_64 0
		.amdhsa_float_denorm_mode_32 3
		.amdhsa_float_denorm_mode_16_64 3
		.amdhsa_dx10_clamp 1
		.amdhsa_ieee_mode 1
		.amdhsa_fp16_overflow 0
		.amdhsa_workgroup_processor_mode 1
		.amdhsa_memory_ordered 1
		.amdhsa_forward_progress 1
		.amdhsa_shared_vgpr_count 0
		.amdhsa_exception_fp_ieee_invalid_op 0
		.amdhsa_exception_fp_denorm_src 0
		.amdhsa_exception_fp_ieee_div_zero 0
		.amdhsa_exception_fp_ieee_overflow 0
		.amdhsa_exception_fp_ieee_underflow 0
		.amdhsa_exception_fp_ieee_inexact 0
		.amdhsa_exception_int_div_zero 0
	.end_amdhsa_kernel
	.section	.text._ZN2at6native6mbtopk23computeBlockDigitCountsIlmmLin1EEEvNS_4cuda6detail10TensorInfoIKT_T0_EEjPjjS8_iijT1_PSB_Ps,"axG",@progbits,_ZN2at6native6mbtopk23computeBlockDigitCountsIlmmLin1EEEvNS_4cuda6detail10TensorInfoIKT_T0_EEjPjjS8_iijT1_PSB_Ps,comdat
.Lfunc_end163:
	.size	_ZN2at6native6mbtopk23computeBlockDigitCountsIlmmLin1EEEvNS_4cuda6detail10TensorInfoIKT_T0_EEjPjjS8_iijT1_PSB_Ps, .Lfunc_end163-_ZN2at6native6mbtopk23computeBlockDigitCountsIlmmLin1EEEvNS_4cuda6detail10TensorInfoIKT_T0_EEjPjjS8_iijT1_PSB_Ps
                                        ; -- End function
	.set _ZN2at6native6mbtopk23computeBlockDigitCountsIlmmLin1EEEvNS_4cuda6detail10TensorInfoIKT_T0_EEjPjjS8_iijT1_PSB_Ps.num_vgpr, 11
	.set _ZN2at6native6mbtopk23computeBlockDigitCountsIlmmLin1EEEvNS_4cuda6detail10TensorInfoIKT_T0_EEjPjjS8_iijT1_PSB_Ps.num_agpr, 0
	.set _ZN2at6native6mbtopk23computeBlockDigitCountsIlmmLin1EEEvNS_4cuda6detail10TensorInfoIKT_T0_EEjPjjS8_iijT1_PSB_Ps.numbered_sgpr, 30
	.set _ZN2at6native6mbtopk23computeBlockDigitCountsIlmmLin1EEEvNS_4cuda6detail10TensorInfoIKT_T0_EEjPjjS8_iijT1_PSB_Ps.num_named_barrier, 0
	.set _ZN2at6native6mbtopk23computeBlockDigitCountsIlmmLin1EEEvNS_4cuda6detail10TensorInfoIKT_T0_EEjPjjS8_iijT1_PSB_Ps.private_seg_size, 0
	.set _ZN2at6native6mbtopk23computeBlockDigitCountsIlmmLin1EEEvNS_4cuda6detail10TensorInfoIKT_T0_EEjPjjS8_iijT1_PSB_Ps.uses_vcc, 1
	.set _ZN2at6native6mbtopk23computeBlockDigitCountsIlmmLin1EEEvNS_4cuda6detail10TensorInfoIKT_T0_EEjPjjS8_iijT1_PSB_Ps.uses_flat_scratch, 0
	.set _ZN2at6native6mbtopk23computeBlockDigitCountsIlmmLin1EEEvNS_4cuda6detail10TensorInfoIKT_T0_EEjPjjS8_iijT1_PSB_Ps.has_dyn_sized_stack, 0
	.set _ZN2at6native6mbtopk23computeBlockDigitCountsIlmmLin1EEEvNS_4cuda6detail10TensorInfoIKT_T0_EEjPjjS8_iijT1_PSB_Ps.has_recursion, 0
	.set _ZN2at6native6mbtopk23computeBlockDigitCountsIlmmLin1EEEvNS_4cuda6detail10TensorInfoIKT_T0_EEjPjjS8_iijT1_PSB_Ps.has_indirect_call, 0
	.section	.AMDGPU.csdata,"",@progbits
; Kernel info:
; codeLenInByte = 1268
; TotalNumSgprs: 32
; NumVgprs: 11
; ScratchSize: 0
; MemoryBound: 0
; FloatMode: 240
; IeeeMode: 1
; LDSByteSize: 1024 bytes/workgroup (compile time only)
; SGPRBlocks: 0
; VGPRBlocks: 1
; NumSGPRsForWavesPerEU: 32
; NumVGPRsForWavesPerEU: 11
; Occupancy: 16
; WaveLimiterHint : 0
; COMPUTE_PGM_RSRC2:SCRATCH_EN: 0
; COMPUTE_PGM_RSRC2:USER_SGPR: 6
; COMPUTE_PGM_RSRC2:TRAP_HANDLER: 0
; COMPUTE_PGM_RSRC2:TGID_X_EN: 1
; COMPUTE_PGM_RSRC2:TGID_Y_EN: 1
; COMPUTE_PGM_RSRC2:TGID_Z_EN: 1
; COMPUTE_PGM_RSRC2:TIDIG_COMP_CNT: 0
	.section	.text._ZN2at6native6mbtopk10gatherTopKIlmLin1EEEvNS_4cuda6detail10TensorInfoIKT_T0_EES8_S8_bjS8_NS5_IS6_S8_EES8_NS5_IlS8_EES8_jjPS6_PjSD_j,"axG",@progbits,_ZN2at6native6mbtopk10gatherTopKIlmLin1EEEvNS_4cuda6detail10TensorInfoIKT_T0_EES8_S8_bjS8_NS5_IS6_S8_EES8_NS5_IlS8_EES8_jjPS6_PjSD_j,comdat
	.protected	_ZN2at6native6mbtopk10gatherTopKIlmLin1EEEvNS_4cuda6detail10TensorInfoIKT_T0_EES8_S8_bjS8_NS5_IS6_S8_EES8_NS5_IlS8_EES8_jjPS6_PjSD_j ; -- Begin function _ZN2at6native6mbtopk10gatherTopKIlmLin1EEEvNS_4cuda6detail10TensorInfoIKT_T0_EES8_S8_bjS8_NS5_IS6_S8_EES8_NS5_IlS8_EES8_jjPS6_PjSD_j
	.globl	_ZN2at6native6mbtopk10gatherTopKIlmLin1EEEvNS_4cuda6detail10TensorInfoIKT_T0_EES8_S8_bjS8_NS5_IS6_S8_EES8_NS5_IlS8_EES8_jjPS6_PjSD_j
	.p2align	8
	.type	_ZN2at6native6mbtopk10gatherTopKIlmLin1EEEvNS_4cuda6detail10TensorInfoIKT_T0_EES8_S8_bjS8_NS5_IS6_S8_EES8_NS5_IlS8_EES8_jjPS6_PjSD_j,@function
_ZN2at6native6mbtopk10gatherTopKIlmLin1EEEvNS_4cuda6detail10TensorInfoIKT_T0_EES8_S8_bjS8_NS5_IS6_S8_EES8_NS5_IlS8_EES8_jjPS6_PjSD_j: ; @_ZN2at6native6mbtopk10gatherTopKIlmLin1EEEvNS_4cuda6detail10TensorInfoIKT_T0_EES8_S8_bjS8_NS5_IS6_S8_EES8_NS5_IlS8_EES8_jjPS6_PjSD_j
; %bb.0:
	s_clause 0x1
	s_load_dwordx2 s[0:1], s[4:5], 0x538
	s_load_dword s2, s[4:5], 0x530
	s_waitcnt lgkmcnt(0)
	s_mul_i32 s1, s1, s8
	s_add_i32 s1, s1, s7
	s_mul_i32 s0, s1, s0
	s_add_i32 s0, s0, s6
	s_cmp_ge_u32 s0, s2
	s_cbranch_scc1 .LBB164_61
; %bb.1:
	s_clause 0x1
	s_load_dwordx2 s[6:7], s[4:5], 0x510
	s_load_dwordx4 s[8:11], s[4:5], 0x1a0
	s_mov_b32 s13, 0
	s_waitcnt lgkmcnt(0)
	v_cvt_f32_u32_e32 v1, s7
	s_sub_i32 s2, 0, s7
	s_lshl_b32 s33, s6, 8
	v_rcp_iflag_f32_e32 v1, v1
	v_mul_f32_e32 v1, 0x4f7ffffe, v1
	v_cvt_u32_f32_e32 v1, v1
	v_readfirstlane_b32 s1, v1
	s_mul_i32 s2, s2, s1
	s_mul_hi_u32 s2, s1, s2
	s_add_i32 s1, s1, s2
	s_mul_hi_u32 s1, s0, s1
	s_mul_i32 s2, s1, s7
	s_add_i32 s3, s1, 1
	s_sub_i32 s2, s0, s2
	s_sub_i32 s12, s2, s7
	s_cmp_ge_u32 s2, s7
	s_cselect_b32 s1, s3, s1
	s_cselect_b32 s2, s12, s2
	s_add_i32 s3, s1, 1
	s_cmp_ge_u32 s2, s7
	s_cselect_b32 s12, s3, s1
	s_mul_i32 s20, s12, s7
	s_sub_i32 s52, s0, s20
	s_add_i32 s0, s52, 1
	s_cmp_lt_u32 s0, s7
	s_cbranch_scc1 .LBB164_3
; %bb.2:
	s_mul_i32 s0, s52, s33
	s_sub_u32 s0, s8, s0
	s_subb_u32 s1, s9, 0
	s_add_u32 s0, s0, 0xff
	s_addc_u32 s1, s1, 0
	s_ashr_i32 s2, s1, 31
	s_lshr_b32 s2, s2, 24
	s_add_u32 s0, s0, s2
	s_addc_u32 s1, s1, 0
	s_lshr_b64 s[0:1], s[0:1], 8
	s_mov_b32 s6, s0
.LBB164_3:
	s_load_dword s2, s[4:5], 0x198
	s_mov_b64 s[18:19], 0
	s_mov_b64 s[22:23], s[12:13]
	s_waitcnt lgkmcnt(0)
	s_cmp_lt_i32 s2, 2
	s_cbranch_scc1 .LBB164_9
; %bb.4:
	s_add_i32 s0, s2, -1
	s_mov_b32 s1, 0
	s_add_i32 s21, s2, 1
	s_lshl_b64 s[14:15], s[0:1], 3
	s_add_u32 s0, s4, s14
	s_addc_u32 s3, s5, s15
	s_add_u32 s2, s0, 8
	s_addc_u32 s3, s3, 0
	s_mov_b64 s[14:15], s[12:13]
.LBB164_5:                              ; =>This Inner Loop Header: Depth=1
	s_load_dwordx2 s[16:17], s[2:3], 0x0
	s_mov_b64 s[22:23], 0
	s_waitcnt lgkmcnt(0)
	v_cmp_lt_u64_e64 s0, s[14:15], s[16:17]
	s_and_b32 vcc_lo, exec_lo, s0
	s_cbranch_vccnz .LBB164_7
; %bb.6:                                ;   in Loop: Header=BB164_5 Depth=1
	v_cvt_f32_u32_e32 v1, s16
	s_sub_i32 s22, 0, s16
	v_rcp_iflag_f32_e32 v1, v1
	v_mul_f32_e32 v1, 0x4f7ffffe, v1
	v_cvt_u32_f32_e32 v1, v1
	v_readfirstlane_b32 s0, v1
	s_mul_i32 s22, s22, s0
	s_mul_hi_u32 s22, s0, s22
	s_add_i32 s0, s0, s22
	s_mul_hi_u32 s0, s14, s0
	s_mul_i32 s22, s0, s16
	s_add_i32 s23, s0, 1
	s_sub_i32 s22, s14, s22
	s_sub_i32 s24, s22, s16
	s_cmp_ge_u32 s22, s16
	s_cselect_b32 s0, s23, s0
	s_cselect_b32 s22, s24, s22
	s_add_i32 s23, s0, 1
	s_cmp_ge_u32 s22, s16
	s_cselect_b32 s0, s23, s0
	s_mov_b64 s[22:23], s[0:1]
.LBB164_7:                              ;   in Loop: Header=BB164_5 Depth=1
	s_load_dwordx2 s[24:25], s[2:3], 0xc8
	s_mul_i32 s0, s22, s17
	s_mul_hi_u32 s17, s22, s16
	s_mul_i32 s16, s22, s16
	s_add_i32 s17, s17, s0
	s_sub_u32 s0, s14, s16
	s_subb_u32 s14, s15, s17
	s_waitcnt lgkmcnt(0)
	s_mul_i32 s14, s24, s14
	s_mul_hi_u32 s15, s24, s0
	s_mul_i32 s16, s25, s0
	s_add_i32 s14, s15, s14
	s_mul_i32 s0, s24, s0
	s_add_i32 s14, s14, s16
	s_add_u32 s18, s0, s18
	s_addc_u32 s19, s14, s19
	s_add_i32 s21, s21, -1
	s_add_u32 s2, s2, -8
	s_addc_u32 s3, s3, -1
	s_cmp_gt_u32 s21, 2
	s_cbranch_scc0 .LBB164_9
; %bb.8:                                ;   in Loop: Header=BB164_5 Depth=1
	s_mov_b64 s[14:15], s[22:23]
	s_branch .LBB164_5
.LBB164_9:
	s_clause 0x1
	s_load_dword s14, s[4:5], 0x358
	s_load_dwordx2 s[26:27], s[4:5], 0xd0
	s_add_u32 s0, s4, 0x1c0
	s_addc_u32 s1, s5, 0
	s_mov_b64 s[24:25], 0
	s_mov_b64 s[28:29], s[12:13]
	s_waitcnt lgkmcnt(0)
	s_cmp_lt_i32 s14, 2
	s_cbranch_scc1 .LBB164_15
; %bb.10:
	s_add_i32 s2, s14, -1
	s_mov_b32 s3, 0
	s_add_i32 s21, s14, 1
	s_lshl_b64 s[16:17], s[2:3], 3
	s_add_u32 s2, s0, s16
	s_addc_u32 s15, s1, s17
	s_add_u32 s14, s2, 8
	s_addc_u32 s15, s15, 0
	s_mov_b64 s[16:17], s[12:13]
.LBB164_11:                             ; =>This Inner Loop Header: Depth=1
	s_load_dwordx2 s[30:31], s[14:15], 0x0
	s_mov_b64 s[28:29], 0
	s_waitcnt lgkmcnt(0)
	v_cmp_lt_u64_e64 s2, s[16:17], s[30:31]
	s_and_b32 vcc_lo, exec_lo, s2
	s_cbranch_vccnz .LBB164_13
; %bb.12:                               ;   in Loop: Header=BB164_11 Depth=1
	v_cvt_f32_u32_e32 v1, s30
	s_sub_i32 s23, 0, s30
	v_rcp_iflag_f32_e32 v1, v1
	v_mul_f32_e32 v1, 0x4f7ffffe, v1
	v_cvt_u32_f32_e32 v1, v1
	v_readfirstlane_b32 s2, v1
	s_mul_i32 s23, s23, s2
	s_mul_hi_u32 s23, s2, s23
	s_add_i32 s2, s2, s23
	s_mul_hi_u32 s2, s16, s2
	s_mul_i32 s23, s2, s30
	s_add_i32 s28, s2, 1
	s_sub_i32 s23, s16, s23
	s_sub_i32 s29, s23, s30
	s_cmp_ge_u32 s23, s30
	s_cselect_b32 s2, s28, s2
	s_cselect_b32 s23, s29, s23
	s_add_i32 s28, s2, 1
	s_cmp_ge_u32 s23, s30
	s_cselect_b32 s2, s28, s2
	s_mov_b64 s[28:29], s[2:3]
.LBB164_13:                             ;   in Loop: Header=BB164_11 Depth=1
	s_load_dwordx2 s[34:35], s[14:15], 0xc8
	s_mul_i32 s2, s28, s31
	s_mul_hi_u32 s23, s28, s30
	s_mul_i32 s30, s28, s30
	s_add_i32 s23, s23, s2
	s_sub_u32 s2, s16, s30
	s_subb_u32 s16, s17, s23
	s_waitcnt lgkmcnt(0)
	s_mul_i32 s16, s34, s16
	s_mul_hi_u32 s17, s34, s2
	s_mul_i32 s23, s35, s2
	s_add_i32 s16, s17, s16
	s_mul_i32 s2, s34, s2
	s_add_i32 s16, s16, s23
	s_add_u32 s24, s2, s24
	s_addc_u32 s25, s16, s25
	s_add_i32 s21, s21, -1
	s_add_u32 s14, s14, -8
	s_addc_u32 s15, s15, -1
	s_cmp_gt_u32 s21, 2
	s_cbranch_scc0 .LBB164_15
; %bb.14:                               ;   in Loop: Header=BB164_11 Depth=1
	s_mov_b64 s[16:17], s[28:29]
	s_branch .LBB164_11
.LBB164_15:
	s_clause 0x1
	s_load_dword s2, s[4:5], 0x500
	s_load_dwordx2 s[34:35], s[0:1], 0xd0
	s_add_u32 s3, s4, 0x368
	s_addc_u32 s14, s5, 0
	s_mov_b64 s[30:31], 0
	s_waitcnt lgkmcnt(0)
	s_cmp_lt_i32 s2, 2
	s_cbranch_scc1 .LBB164_21
; %bb.16:
	s_add_i32 s0, s2, -1
	s_mov_b32 s1, 0
	s_add_i32 s21, s2, 1
	s_lshl_b64 s[16:17], s[0:1], 3
	s_add_u32 s0, s3, s16
	s_addc_u32 s3, s14, s17
	s_add_u32 s2, s0, 8
	s_addc_u32 s3, s3, 0
	s_mov_b64 s[14:15], s[12:13]
.LBB164_17:                             ; =>This Inner Loop Header: Depth=1
	s_load_dwordx2 s[16:17], s[2:3], 0x0
	s_mov_b64 s[36:37], 0
	s_waitcnt lgkmcnt(0)
	v_cmp_lt_u64_e64 s0, s[14:15], s[16:17]
	s_and_b32 vcc_lo, exec_lo, s0
	s_cbranch_vccnz .LBB164_19
; %bb.18:                               ;   in Loop: Header=BB164_17 Depth=1
	v_cvt_f32_u32_e32 v1, s16
	s_sub_i32 s23, 0, s16
	v_rcp_iflag_f32_e32 v1, v1
	v_mul_f32_e32 v1, 0x4f7ffffe, v1
	v_cvt_u32_f32_e32 v1, v1
	v_readfirstlane_b32 s0, v1
	s_mul_i32 s23, s23, s0
	s_mul_hi_u32 s23, s0, s23
	s_add_i32 s0, s0, s23
	s_mul_hi_u32 s0, s14, s0
	s_mul_i32 s23, s0, s16
	s_add_i32 s29, s0, 1
	s_sub_i32 s23, s14, s23
	s_sub_i32 s36, s23, s16
	s_cmp_ge_u32 s23, s16
	s_cselect_b32 s0, s29, s0
	s_cselect_b32 s23, s36, s23
	s_add_i32 s29, s0, 1
	s_cmp_ge_u32 s23, s16
	s_cselect_b32 s0, s29, s0
	s_mov_b64 s[36:37], s[0:1]
.LBB164_19:                             ;   in Loop: Header=BB164_17 Depth=1
	s_load_dwordx2 s[38:39], s[2:3], 0xc8
	s_mul_i32 s0, s36, s17
	s_mul_hi_u32 s17, s36, s16
	s_mul_i32 s16, s36, s16
	s_add_i32 s17, s17, s0
	s_sub_u32 s0, s14, s16
	s_subb_u32 s14, s15, s17
	s_waitcnt lgkmcnt(0)
	s_mul_i32 s14, s38, s14
	s_mul_hi_u32 s15, s38, s0
	s_mul_i32 s16, s39, s0
	s_add_i32 s14, s15, s14
	s_mul_i32 s0, s38, s0
	s_add_i32 s14, s14, s16
	s_add_u32 s30, s0, s30
	s_addc_u32 s31, s14, s31
	s_add_i32 s21, s21, -1
	s_add_u32 s2, s2, -8
	s_addc_u32 s3, s3, -1
	s_cmp_gt_u32 s21, 2
	s_cbranch_scc0 .LBB164_22
; %bb.20:                               ;   in Loop: Header=BB164_17 Depth=1
	s_mov_b64 s[14:15], s[36:37]
	s_branch .LBB164_17
.LBB164_21:
	s_mov_b64 s[36:37], s[12:13]
.LBB164_22:
	s_load_dwordx4 s[0:3], s[4:5], 0x518
	s_lshl_b64 s[12:13], s[12:13], 3
	s_mov_b32 s21, 0
	s_waitcnt lgkmcnt(0)
	s_add_u32 s0, s0, s12
	s_addc_u32 s1, s1, s13
	s_clause 0x3
	s_load_dwordx2 s[40:41], s[4:5], 0x438
	s_load_dwordx2 s[44:45], s[4:5], 0x0
	;; [unrolled: 1-line block ×5, first 2 shown]
	v_cmp_ne_u32_e64 s0, 0, v0
	v_cmp_eq_u32_e64 s1, 0, v0
	s_and_saveexec_b32 s23, s1
	s_cbranch_execz .LBB164_38
; %bb.23:
	s_load_dwordx2 s[46:47], s[4:5], 0x528
	s_lshl_b64 s[48:49], s[20:21], 2
	s_mov_b32 s20, 0
	s_add_u32 s12, s2, s48
	s_addc_u32 s13, s3, s49
	s_mov_b32 s29, 0
	s_waitcnt lgkmcnt(0)
	s_add_u32 s14, s46, s48
	s_addc_u32 s15, s47, s49
	s_cmp_lt_u32 s7, 4
	s_cbranch_scc1 .LBB164_35
; %bb.24:
	s_mov_b32 s37, 0
.LBB164_25:                             ; =>This Inner Loop Header: Depth=1
	s_add_u32 s12, s2, s48
	s_addc_u32 s13, s3, s49
	s_add_u32 s50, s46, s48
	s_load_dwordx4 s[12:15], s[12:13], 0x0
	s_addc_u32 s51, s47, s49
	s_cmp_ge_u32 s37, s52
	s_cbranch_scc0 .LBB164_32
; %bb.26:                               ;   in Loop: Header=BB164_25 Depth=1
	s_add_i32 s53, s37, 1
	s_cmp_ge_u32 s53, s52
	s_cbranch_scc0 .LBB164_33
.LBB164_27:                             ;   in Loop: Header=BB164_25 Depth=1
	s_add_i32 s53, s53, 1
	s_cmp_ge_u32 s53, s52
	s_cbranch_scc0 .LBB164_34
.LBB164_28:                             ;   in Loop: Header=BB164_25 Depth=1
	s_add_i32 s53, s53, 1
	s_cmp_ge_u32 s53, s52
	s_cbranch_scc1 .LBB164_30
.LBB164_29:                             ;   in Loop: Header=BB164_25 Depth=1
	s_load_dword s50, s[50:51], 0xc
	s_waitcnt lgkmcnt(0)
	s_add_i32 s21, s21, s15
	s_add_i32 s20, s50, s20
.LBB164_30:                             ;   in Loop: Header=BB164_25 Depth=1
	s_waitcnt lgkmcnt(0)
	s_add_i32 s12, s12, s29
	s_add_i32 s12, s12, s13
	;; [unrolled: 1-line block ×4, first 2 shown]
	s_add_u32 s2, s2, 16
	s_addc_u32 s3, s3, 0
	s_add_u32 s46, s46, 16
	s_addc_u32 s47, s47, 0
	s_add_i32 s51, s53, 4
	s_add_u32 s14, s46, s48
	s_addc_u32 s15, s47, s49
	s_add_u32 s12, s2, s48
	s_addc_u32 s13, s3, s49
	s_add_i32 s50, s53, 1
	s_cmp_ge_u32 s51, s7
	s_cbranch_scc1 .LBB164_36
; %bb.31:                               ;   in Loop: Header=BB164_25 Depth=1
	s_mov_b32 s37, s50
	s_branch .LBB164_25
.LBB164_32:                             ;   in Loop: Header=BB164_25 Depth=1
	s_load_dword s53, s[50:51], 0x0
	s_waitcnt lgkmcnt(0)
	s_add_i32 s21, s12, s21
	s_add_i32 s20, s53, s20
	s_add_i32 s53, s37, 1
	s_cmp_ge_u32 s53, s52
	s_cbranch_scc1 .LBB164_27
.LBB164_33:                             ;   in Loop: Header=BB164_25 Depth=1
	s_load_dword s54, s[50:51], 0x4
	s_waitcnt lgkmcnt(0)
	s_add_i32 s21, s21, s13
	s_add_i32 s20, s54, s20
	;; [unrolled: 1-line block ×3, first 2 shown]
	s_cmp_ge_u32 s53, s52
	s_cbranch_scc1 .LBB164_28
.LBB164_34:                             ;   in Loop: Header=BB164_25 Depth=1
	s_load_dword s54, s[50:51], 0x8
	s_waitcnt lgkmcnt(0)
	s_add_i32 s21, s21, s14
	s_add_i32 s20, s54, s20
	;; [unrolled: 1-line block ×3, first 2 shown]
	s_cmp_ge_u32 s53, s52
	s_cbranch_scc0 .LBB164_29
	s_branch .LBB164_30
.LBB164_35:
	s_mov_b32 s2, 0
	s_cmp_ge_u32 s2, s7
	s_cbranch_scc0 .LBB164_59
	s_branch .LBB164_37
.LBB164_36:
	s_add_i32 s2, s37, 4
	s_cmp_ge_u32 s2, s7
	s_cbranch_scc0 .LBB164_59
.LBB164_37:
	v_mov_b32_e32 v1, s20
	v_mov_b32_e32 v2, s29
	;; [unrolled: 1-line block ×4, first 2 shown]
	ds_write_b96 v4, v[1:3] offset:1056
.LBB164_38:
	s_or_b32 exec_lo, exec_lo, s23
	s_cmp_eq_u32 s6, 0
	s_waitcnt lgkmcnt(0)
	s_barrier
	buffer_gl0_inv
	s_cbranch_scc1 .LBB164_61
; %bb.39:
	s_mul_i32 s7, s27, s22
	s_mul_hi_u32 s12, s26, s22
	v_mov_b32_e32 v5, 0
	s_mul_i32 s2, s35, s28
	s_mul_hi_u32 s3, s34, s28
	s_add_i32 s13, s12, s7
	s_mul_i32 s12, s26, s22
	s_add_i32 s3, s3, s2
	s_mul_i32 s2, s41, s36
	s_mul_hi_u32 s7, s40, s36
	s_lshl_b64 s[12:13], s[12:13], 3
	s_add_i32 s15, s7, s2
	ds_read_b96 v[1:3], v5 offset:1056
	s_add_u32 s7, s44, s12
	s_addc_u32 s14, s45, s13
	s_lshl_b64 s[12:13], s[18:19], 3
	s_mul_i32 s2, s34, s28
	s_add_u32 s7, s7, s12
	s_addc_u32 s20, s14, s13
	s_lshl_b64 s[2:3], s[2:3], 3
	s_mul_i32 s14, s40, s36
	s_add_u32 s12, s42, s2
	s_addc_u32 s13, s43, s3
	s_lshl_b64 s[2:3], s[24:25], 3
	v_add_nc_u32_e32 v8, -1, v0
	s_add_u32 s21, s12, s2
	s_addc_u32 s22, s13, s3
	s_lshl_b64 s[2:3], s[14:15], 3
	v_lshrrev_b32_e32 v4, 3, v0
	s_add_u32 s12, s38, s2
	s_addc_u32 s13, s39, s3
	s_lshl_b64 s[2:3], s[30:31], 3
	v_lshrrev_b32_e32 v6, 3, v8
	s_add_u32 s23, s12, s2
	s_addc_u32 s24, s13, s3
	s_clause 0x3
	s_load_dword s3, s[4:5], 0x1b0
	s_load_dwordx2 s[14:15], s[4:5], 0x1b8
	s_load_dwordx2 s[18:19], s[4:5], 0x360
	;; [unrolled: 1-line block ×3, first 2 shown]
	s_waitcnt lgkmcnt(0)
	v_add_nc_u32_e32 v1, v1, v2
	v_and_b32_e32 v12, 0x1ffffffc, v6
	v_and_b32_e32 v2, 28, v4
	;; [unrolled: 1-line block ×3, first 2 shown]
	v_lshlrev_b32_e32 v9, 5, v0
	v_mad_u64_u32 v[6:7], null, s52, s33, v[0:1]
	v_mbcnt_lo_u32_b32 v10, -1, 0
	s_xor_b32 s13, s17, 0x80000000
	v_lshl_add_u32 v11, v0, 2, v2
	v_cmp_gt_u32_e64 s2, 32, v0
	v_lshl_add_u32 v0, v8, 2, v12
	v_add_nc_u32_e32 v12, v4, v9
	v_and_b32_e32 v13, 15, v10
	v_bfe_i32 v14, v10, 4, 1
	v_add_nc_u32_e32 v15, -1, v10
	v_mov_b32_e32 v4, v6
	s_bitcmp1_b32 s3, 0
	s_mov_b32 s12, s16
	s_cselect_b32 s3, -1, 0
                                        ; implicit-def: $vgpr6_vgpr7
	s_branch .LBB164_42
.LBB164_40:                             ;   in Loop: Header=BB164_42 Depth=1
	s_or_b32 exec_lo, exec_lo, s25
	v_add_nc_u32_e32 v1, v2, v1
.LBB164_41:                             ;   in Loop: Header=BB164_42 Depth=1
	v_add_nc_u32_e32 v3, v16, v3
	v_add_nc_u32_e32 v4, 0x100, v4
	s_add_i32 s6, s6, -1
	s_cmp_lg_u32 s6, 0
	s_cbranch_scc0 .LBB164_61
.LBB164_42:                             ; =>This Inner Loop Header: Depth=1
	v_mov_b32_e32 v2, v5
	v_mov_b32_e32 v8, v5
	s_mov_b32 s25, exec_lo
	v_cmpx_gt_u64_e64 s[8:9], v[4:5]
	s_cbranch_execz .LBB164_44
; %bb.43:                               ;   in Loop: Header=BB164_42 Depth=1
	v_mad_u64_u32 v[6:7], null, s14, v4, 0
	v_mov_b32_e32 v2, v7
	v_mad_u64_u32 v[7:8], null, s15, v4, v[2:3]
	v_lshlrev_b64 v[6:7], 3, v[6:7]
	v_add_co_u32 v6, vcc_lo, s7, v6
	v_add_co_ci_u32_e64 v7, null, s20, v7, vcc_lo
	global_load_dwordx2 v[6:7], v[6:7], off
	s_waitcnt vmcnt(0)
	v_xor_b32_e32 v9, 0x80000000, v7
	v_mov_b32_e32 v8, v6
	v_cmp_lt_u64_e32 vcc_lo, s[12:13], v[8:9]
	v_cndmask_b32_e64 v2, 0, 1, vcc_lo
	v_cmp_gt_u64_e32 vcc_lo, s[12:13], v[8:9]
	v_cndmask_b32_e64 v8, 0, 1, vcc_lo
	v_cmp_eq_u64_e32 vcc_lo, s[16:17], v[6:7]
	v_cndmask_b32_e64 v2, v8, v2, s3
	v_cndmask_b32_e64 v8, 0, 1, vcc_lo
	v_and_b32_e32 v2, 1, v2
.LBB164_44:                             ;   in Loop: Header=BB164_42 Depth=1
	s_or_b32 exec_lo, exec_lo, s25
	ds_write_b32 v11, v2
	s_waitcnt lgkmcnt(0)
	s_barrier
	buffer_gl0_inv
	s_and_saveexec_b32 s25, s2
	s_cbranch_execz .LBB164_46
; %bb.45:                               ;   in Loop: Header=BB164_42 Depth=1
	ds_read2_b32 v[16:17], v12 offset1:1
	ds_read2_b32 v[18:19], v12 offset0:2 offset1:3
	ds_read2_b32 v[20:21], v12 offset0:4 offset1:5
	;; [unrolled: 1-line block ×3, first 2 shown]
	v_cmp_ne_u32_e32 vcc_lo, 0, v13
	; wave barrier
	s_waitcnt lgkmcnt(3)
	v_add_nc_u32_e32 v9, v17, v16
	s_waitcnt lgkmcnt(2)
	v_add3_u32 v9, v9, v18, v19
	s_waitcnt lgkmcnt(1)
	v_add3_u32 v9, v9, v20, v21
	;; [unrolled: 2-line block ×3, first 2 shown]
	v_mov_b32_dpp v17, v9 row_shr:1 row_mask:0xf bank_mask:0xf
	v_cndmask_b32_e32 v17, 0, v17, vcc_lo
	v_cmp_lt_u32_e32 vcc_lo, 1, v13
	v_add_nc_u32_e32 v9, v17, v9
	v_mov_b32_dpp v17, v9 row_shr:2 row_mask:0xf bank_mask:0xf
	v_cndmask_b32_e32 v17, 0, v17, vcc_lo
	v_cmp_lt_u32_e32 vcc_lo, 3, v13
	v_add_nc_u32_e32 v9, v9, v17
	;; [unrolled: 4-line block ×3, first 2 shown]
	v_mov_b32_dpp v17, v9 row_shr:8 row_mask:0xf bank_mask:0xf
	v_cndmask_b32_e32 v17, 0, v17, vcc_lo
	v_cmp_gt_i32_e32 vcc_lo, 0, v15
	v_add_nc_u32_e32 v9, v9, v17
	v_cndmask_b32_e32 v18, v15, v10, vcc_lo
	ds_swizzle_b32 v17, v9 offset:swizzle(BROADCAST,32,15)
	v_lshlrev_b32_e32 v18, 2, v18
	s_waitcnt lgkmcnt(0)
	v_and_b32_e32 v17, v14, v17
	v_add_nc_u32_e32 v9, v9, v17
	ds_bpermute_b32 v9, v18, v9
	s_waitcnt lgkmcnt(0)
	v_add_nc_u32_e32 v9, v9, v16
	v_cndmask_b32_e64 v9, v9, v2, s1
	ds_write_b32 v12, v9
	; wave barrier
	ds_read2_b32 v[16:17], v12 offset0:1 offset1:2
	ds_read2_b32 v[18:19], v12 offset0:3 offset1:4
	;; [unrolled: 1-line block ×3, first 2 shown]
	ds_read_b32 v22, v12 offset:28
	s_waitcnt lgkmcnt(3)
	v_add_nc_u32_e32 v9, v16, v9
	v_add_nc_u32_e32 v16, v17, v9
	s_waitcnt lgkmcnt(2)
	v_add_nc_u32_e32 v17, v18, v16
	v_add_nc_u32_e32 v18, v19, v17
	;; [unrolled: 3-line block ×3, first 2 shown]
	s_waitcnt lgkmcnt(0)
	v_add_nc_u32_e32 v21, v22, v20
	ds_write2_b32 v12, v9, v16 offset0:1 offset1:2
	ds_write2_b32 v12, v17, v18 offset0:3 offset1:4
	;; [unrolled: 1-line block ×3, first 2 shown]
	ds_write_b32 v12, v21 offset:28
.LBB164_46:                             ;   in Loop: Header=BB164_42 Depth=1
	s_or_b32 exec_lo, exec_lo, s25
	v_mov_b32_e32 v9, 0
	s_waitcnt lgkmcnt(0)
	s_barrier
	buffer_gl0_inv
	s_and_saveexec_b32 s25, s0
; %bb.47:                               ;   in Loop: Header=BB164_42 Depth=1
	ds_read_b32 v9, v0
; %bb.48:                               ;   in Loop: Header=BB164_42 Depth=1
	s_or_b32 exec_lo, exec_lo, s25
	ds_read_b32 v16, v5 offset:1048
	s_mov_b32 s25, exec_lo
	s_waitcnt lgkmcnt(0)
	s_barrier
	buffer_gl0_inv
	v_cmpx_ne_u32_e32 0, v2
	s_cbranch_execz .LBB164_50
; %bb.49:                               ;   in Loop: Header=BB164_42 Depth=1
	v_add_nc_u32_e32 v22, v9, v3
	v_mad_u64_u32 v[17:18], null, s18, v22, 0
	v_mad_u64_u32 v[19:20], null, s4, v22, 0
	v_mov_b32_e32 v2, v18
	v_mov_b32_e32 v9, v20
	v_mad_u64_u32 v[20:21], null, s19, v22, v[2:3]
	v_mad_u64_u32 v[21:22], null, s5, v22, v[9:10]
	v_mov_b32_e32 v18, v20
	v_mov_b32_e32 v20, v21
	v_lshlrev_b64 v[17:18], 3, v[17:18]
	v_lshlrev_b64 v[19:20], 3, v[19:20]
	v_add_co_u32 v17, vcc_lo, s21, v17
	v_add_co_ci_u32_e64 v18, null, s22, v18, vcc_lo
	v_add_co_u32 v19, vcc_lo, s23, v19
	v_add_co_ci_u32_e64 v20, null, s24, v20, vcc_lo
	global_store_dwordx2 v[17:18], v[6:7], off
	global_store_dwordx2 v[19:20], v[4:5], off
.LBB164_50:                             ;   in Loop: Header=BB164_42 Depth=1
	s_or_b32 exec_lo, exec_lo, s25
	v_mov_b32_e32 v2, v5
	v_cmp_le_u64_e32 vcc_lo, s[10:11], v[1:2]
	s_cbranch_vccnz .LBB164_41
; %bb.51:                               ;   in Loop: Header=BB164_42 Depth=1
	ds_write_b32 v11, v8
	s_waitcnt lgkmcnt(0)
	s_waitcnt_vscnt null, 0x0
	s_barrier
	buffer_gl0_inv
	s_and_saveexec_b32 s25, s2
	s_cbranch_execz .LBB164_53
; %bb.52:                               ;   in Loop: Header=BB164_42 Depth=1
	ds_read2_b32 v[17:18], v12 offset1:1
	ds_read2_b32 v[19:20], v12 offset0:2 offset1:3
	ds_read2_b32 v[21:22], v12 offset0:4 offset1:5
	;; [unrolled: 1-line block ×3, first 2 shown]
	v_cmp_ne_u32_e32 vcc_lo, 0, v13
	; wave barrier
	s_waitcnt lgkmcnt(3)
	v_add_nc_u32_e32 v2, v18, v17
	s_waitcnt lgkmcnt(2)
	v_add3_u32 v2, v2, v19, v20
	s_waitcnt lgkmcnt(1)
	v_add3_u32 v2, v2, v21, v22
	;; [unrolled: 2-line block ×3, first 2 shown]
	v_mov_b32_dpp v9, v2 row_shr:1 row_mask:0xf bank_mask:0xf
	v_cndmask_b32_e32 v9, 0, v9, vcc_lo
	v_cmp_lt_u32_e32 vcc_lo, 1, v13
	v_add_nc_u32_e32 v2, v9, v2
	v_mov_b32_dpp v9, v2 row_shr:2 row_mask:0xf bank_mask:0xf
	v_cndmask_b32_e32 v9, 0, v9, vcc_lo
	v_cmp_lt_u32_e32 vcc_lo, 3, v13
	v_add_nc_u32_e32 v2, v2, v9
	;; [unrolled: 4-line block ×3, first 2 shown]
	v_mov_b32_dpp v9, v2 row_shr:8 row_mask:0xf bank_mask:0xf
	v_cndmask_b32_e32 v9, 0, v9, vcc_lo
	v_cmp_gt_i32_e32 vcc_lo, 0, v15
	v_add_nc_u32_e32 v2, v2, v9
	v_cndmask_b32_e32 v18, v15, v10, vcc_lo
	ds_swizzle_b32 v9, v2 offset:swizzle(BROADCAST,32,15)
	v_lshlrev_b32_e32 v18, 2, v18
	s_waitcnt lgkmcnt(0)
	v_and_b32_e32 v9, v14, v9
	v_add_nc_u32_e32 v2, v2, v9
	ds_bpermute_b32 v2, v18, v2
	s_waitcnt lgkmcnt(0)
	v_add_nc_u32_e32 v2, v2, v17
	v_cndmask_b32_e64 v2, v2, v8, s1
	ds_write_b32 v12, v2
	; wave barrier
	ds_read2_b32 v[17:18], v12 offset0:1 offset1:2
	ds_read2_b32 v[19:20], v12 offset0:3 offset1:4
	;; [unrolled: 1-line block ×3, first 2 shown]
	ds_read_b32 v9, v12 offset:28
	s_waitcnt lgkmcnt(3)
	v_add_nc_u32_e32 v2, v17, v2
	v_add_nc_u32_e32 v17, v18, v2
	s_waitcnt lgkmcnt(2)
	v_add_nc_u32_e32 v18, v19, v17
	v_add_nc_u32_e32 v19, v20, v18
	;; [unrolled: 3-line block ×3, first 2 shown]
	s_waitcnt lgkmcnt(0)
	v_add_nc_u32_e32 v9, v9, v21
	ds_write2_b32 v12, v2, v17 offset0:1 offset1:2
	ds_write2_b32 v12, v18, v19 offset0:3 offset1:4
	ds_write2_b32 v12, v20, v21 offset0:5 offset1:6
	ds_write_b32 v12, v9 offset:28
.LBB164_53:                             ;   in Loop: Header=BB164_42 Depth=1
	s_or_b32 exec_lo, exec_lo, s25
	v_mov_b32_e32 v9, 0
	s_waitcnt lgkmcnt(0)
	s_barrier
	buffer_gl0_inv
	s_and_saveexec_b32 s25, s0
; %bb.54:                               ;   in Loop: Header=BB164_42 Depth=1
	ds_read_b32 v9, v0
; %bb.55:                               ;   in Loop: Header=BB164_42 Depth=1
	s_or_b32 exec_lo, exec_lo, s25
	ds_read_b32 v2, v5 offset:1048
	s_mov_b32 s25, exec_lo
	s_waitcnt lgkmcnt(0)
	s_barrier
	buffer_gl0_inv
	v_cmpx_ne_u32_e32 0, v8
	s_cbranch_execz .LBB164_40
; %bb.56:                               ;   in Loop: Header=BB164_42 Depth=1
	v_add_nc_u32_e32 v8, v9, v1
	v_mov_b32_e32 v9, v5
	v_cmp_gt_u64_e32 vcc_lo, s[10:11], v[8:9]
	s_and_b32 exec_lo, exec_lo, vcc_lo
	s_cbranch_execz .LBB164_40
; %bb.57:                               ;   in Loop: Header=BB164_42 Depth=1
	v_mad_u64_u32 v[17:18], null, s18, v8, 0
	v_mad_u64_u32 v[19:20], null, s4, v8, 0
	v_mov_b32_e32 v9, v18
	v_mov_b32_e32 v18, v20
	v_mad_u64_u32 v[20:21], null, s19, v8, v[9:10]
	v_mad_u64_u32 v[8:9], null, s5, v8, v[18:19]
	v_mov_b32_e32 v18, v20
	v_mov_b32_e32 v20, v8
	v_lshlrev_b64 v[8:9], 3, v[17:18]
	v_lshlrev_b64 v[17:18], 3, v[19:20]
	v_add_co_u32 v8, vcc_lo, s21, v8
	v_add_co_ci_u32_e64 v9, null, s22, v9, vcc_lo
	v_add_co_u32 v17, vcc_lo, s23, v17
	v_add_co_ci_u32_e64 v18, null, s24, v18, vcc_lo
	global_store_dwordx2 v[8:9], v[6:7], off
	global_store_dwordx2 v[17:18], v[4:5], off
	s_branch .LBB164_40
	.p2align	6
.LBB164_58:                             ;   in Loop: Header=BB164_59 Depth=1
	s_add_u32 s12, s12, 4
	s_addc_u32 s13, s13, 0
	s_waitcnt lgkmcnt(0)
	s_add_i32 s29, s3, s29
	s_add_u32 s14, s14, 4
	s_addc_u32 s15, s15, 0
	s_add_i32 s2, s2, 1
	s_cmp_lt_u32 s2, s7
	s_cbranch_scc0 .LBB164_37
.LBB164_59:                             ; =>This Inner Loop Header: Depth=1
	s_load_dword s3, s[12:13], 0x0
	s_cmp_ge_u32 s2, s52
	s_cbranch_scc1 .LBB164_58
; %bb.60:                               ;   in Loop: Header=BB164_59 Depth=1
	s_load_dword s37, s[14:15], 0x0
	s_waitcnt lgkmcnt(0)
	s_add_i32 s21, s3, s21
	s_add_i32 s20, s37, s20
	s_branch .LBB164_58
.LBB164_61:
	s_endpgm
	.section	.rodata,"a",@progbits
	.p2align	6, 0x0
	.amdhsa_kernel _ZN2at6native6mbtopk10gatherTopKIlmLin1EEEvNS_4cuda6detail10TensorInfoIKT_T0_EES8_S8_bjS8_NS5_IS6_S8_EES8_NS5_IlS8_EES8_jjPS6_PjSD_j
		.amdhsa_group_segment_fixed_size 1068
		.amdhsa_private_segment_fixed_size 0
		.amdhsa_kernarg_size 1592
		.amdhsa_user_sgpr_count 6
		.amdhsa_user_sgpr_private_segment_buffer 1
		.amdhsa_user_sgpr_dispatch_ptr 0
		.amdhsa_user_sgpr_queue_ptr 0
		.amdhsa_user_sgpr_kernarg_segment_ptr 1
		.amdhsa_user_sgpr_dispatch_id 0
		.amdhsa_user_sgpr_flat_scratch_init 0
		.amdhsa_user_sgpr_private_segment_size 0
		.amdhsa_wavefront_size32 1
		.amdhsa_uses_dynamic_stack 0
		.amdhsa_system_sgpr_private_segment_wavefront_offset 0
		.amdhsa_system_sgpr_workgroup_id_x 1
		.amdhsa_system_sgpr_workgroup_id_y 1
		.amdhsa_system_sgpr_workgroup_id_z 1
		.amdhsa_system_sgpr_workgroup_info 0
		.amdhsa_system_vgpr_workitem_id 0
		.amdhsa_next_free_vgpr 25
		.amdhsa_next_free_sgpr 55
		.amdhsa_reserve_vcc 1
		.amdhsa_reserve_flat_scratch 0
		.amdhsa_float_round_mode_32 0
		.amdhsa_float_round_mode_16_64 0
		.amdhsa_float_denorm_mode_32 3
		.amdhsa_float_denorm_mode_16_64 3
		.amdhsa_dx10_clamp 1
		.amdhsa_ieee_mode 1
		.amdhsa_fp16_overflow 0
		.amdhsa_workgroup_processor_mode 1
		.amdhsa_memory_ordered 1
		.amdhsa_forward_progress 1
		.amdhsa_shared_vgpr_count 0
		.amdhsa_exception_fp_ieee_invalid_op 0
		.amdhsa_exception_fp_denorm_src 0
		.amdhsa_exception_fp_ieee_div_zero 0
		.amdhsa_exception_fp_ieee_overflow 0
		.amdhsa_exception_fp_ieee_underflow 0
		.amdhsa_exception_fp_ieee_inexact 0
		.amdhsa_exception_int_div_zero 0
	.end_amdhsa_kernel
	.section	.text._ZN2at6native6mbtopk10gatherTopKIlmLin1EEEvNS_4cuda6detail10TensorInfoIKT_T0_EES8_S8_bjS8_NS5_IS6_S8_EES8_NS5_IlS8_EES8_jjPS6_PjSD_j,"axG",@progbits,_ZN2at6native6mbtopk10gatherTopKIlmLin1EEEvNS_4cuda6detail10TensorInfoIKT_T0_EES8_S8_bjS8_NS5_IS6_S8_EES8_NS5_IlS8_EES8_jjPS6_PjSD_j,comdat
.Lfunc_end164:
	.size	_ZN2at6native6mbtopk10gatherTopKIlmLin1EEEvNS_4cuda6detail10TensorInfoIKT_T0_EES8_S8_bjS8_NS5_IS6_S8_EES8_NS5_IlS8_EES8_jjPS6_PjSD_j, .Lfunc_end164-_ZN2at6native6mbtopk10gatherTopKIlmLin1EEEvNS_4cuda6detail10TensorInfoIKT_T0_EES8_S8_bjS8_NS5_IS6_S8_EES8_NS5_IlS8_EES8_jjPS6_PjSD_j
                                        ; -- End function
	.set _ZN2at6native6mbtopk10gatherTopKIlmLin1EEEvNS_4cuda6detail10TensorInfoIKT_T0_EES8_S8_bjS8_NS5_IS6_S8_EES8_NS5_IlS8_EES8_jjPS6_PjSD_j.num_vgpr, 25
	.set _ZN2at6native6mbtopk10gatherTopKIlmLin1EEEvNS_4cuda6detail10TensorInfoIKT_T0_EES8_S8_bjS8_NS5_IS6_S8_EES8_NS5_IlS8_EES8_jjPS6_PjSD_j.num_agpr, 0
	.set _ZN2at6native6mbtopk10gatherTopKIlmLin1EEEvNS_4cuda6detail10TensorInfoIKT_T0_EES8_S8_bjS8_NS5_IS6_S8_EES8_NS5_IlS8_EES8_jjPS6_PjSD_j.numbered_sgpr, 55
	.set _ZN2at6native6mbtopk10gatherTopKIlmLin1EEEvNS_4cuda6detail10TensorInfoIKT_T0_EES8_S8_bjS8_NS5_IS6_S8_EES8_NS5_IlS8_EES8_jjPS6_PjSD_j.num_named_barrier, 0
	.set _ZN2at6native6mbtopk10gatherTopKIlmLin1EEEvNS_4cuda6detail10TensorInfoIKT_T0_EES8_S8_bjS8_NS5_IS6_S8_EES8_NS5_IlS8_EES8_jjPS6_PjSD_j.private_seg_size, 0
	.set _ZN2at6native6mbtopk10gatherTopKIlmLin1EEEvNS_4cuda6detail10TensorInfoIKT_T0_EES8_S8_bjS8_NS5_IS6_S8_EES8_NS5_IlS8_EES8_jjPS6_PjSD_j.uses_vcc, 1
	.set _ZN2at6native6mbtopk10gatherTopKIlmLin1EEEvNS_4cuda6detail10TensorInfoIKT_T0_EES8_S8_bjS8_NS5_IS6_S8_EES8_NS5_IlS8_EES8_jjPS6_PjSD_j.uses_flat_scratch, 0
	.set _ZN2at6native6mbtopk10gatherTopKIlmLin1EEEvNS_4cuda6detail10TensorInfoIKT_T0_EES8_S8_bjS8_NS5_IS6_S8_EES8_NS5_IlS8_EES8_jjPS6_PjSD_j.has_dyn_sized_stack, 0
	.set _ZN2at6native6mbtopk10gatherTopKIlmLin1EEEvNS_4cuda6detail10TensorInfoIKT_T0_EES8_S8_bjS8_NS5_IS6_S8_EES8_NS5_IlS8_EES8_jjPS6_PjSD_j.has_recursion, 0
	.set _ZN2at6native6mbtopk10gatherTopKIlmLin1EEEvNS_4cuda6detail10TensorInfoIKT_T0_EES8_S8_bjS8_NS5_IS6_S8_EES8_NS5_IlS8_EES8_jjPS6_PjSD_j.has_indirect_call, 0
	.section	.AMDGPU.csdata,"",@progbits
; Kernel info:
; codeLenInByte = 3344
; TotalNumSgprs: 57
; NumVgprs: 25
; ScratchSize: 0
; MemoryBound: 0
; FloatMode: 240
; IeeeMode: 1
; LDSByteSize: 1068 bytes/workgroup (compile time only)
; SGPRBlocks: 0
; VGPRBlocks: 3
; NumSGPRsForWavesPerEU: 57
; NumVGPRsForWavesPerEU: 25
; Occupancy: 16
; WaveLimiterHint : 1
; COMPUTE_PGM_RSRC2:SCRATCH_EN: 0
; COMPUTE_PGM_RSRC2:USER_SGPR: 6
; COMPUTE_PGM_RSRC2:TRAP_HANDLER: 0
; COMPUTE_PGM_RSRC2:TGID_X_EN: 1
; COMPUTE_PGM_RSRC2:TGID_Y_EN: 1
; COMPUTE_PGM_RSRC2:TGID_Z_EN: 1
; COMPUTE_PGM_RSRC2:TIDIG_COMP_CNT: 0
	.section	.text._ZN2at6native6sbtopk10gatherTopKIlmLin1ELb0EEEvNS_4cuda6detail10TensorInfoIKT_T0_EES8_S8_bS8_S8_NS5_IS6_S8_EES8_NS5_IlS8_EES8_PS6_,"axG",@progbits,_ZN2at6native6sbtopk10gatherTopKIlmLin1ELb0EEEvNS_4cuda6detail10TensorInfoIKT_T0_EES8_S8_bS8_S8_NS5_IS6_S8_EES8_NS5_IlS8_EES8_PS6_,comdat
	.protected	_ZN2at6native6sbtopk10gatherTopKIlmLin1ELb0EEEvNS_4cuda6detail10TensorInfoIKT_T0_EES8_S8_bS8_S8_NS5_IS6_S8_EES8_NS5_IlS8_EES8_PS6_ ; -- Begin function _ZN2at6native6sbtopk10gatherTopKIlmLin1ELb0EEEvNS_4cuda6detail10TensorInfoIKT_T0_EES8_S8_bS8_S8_NS5_IS6_S8_EES8_NS5_IlS8_EES8_PS6_
	.globl	_ZN2at6native6sbtopk10gatherTopKIlmLin1ELb0EEEvNS_4cuda6detail10TensorInfoIKT_T0_EES8_S8_bS8_S8_NS5_IS6_S8_EES8_NS5_IlS8_EES8_PS6_
	.p2align	8
	.type	_ZN2at6native6sbtopk10gatherTopKIlmLin1ELb0EEEvNS_4cuda6detail10TensorInfoIKT_T0_EES8_S8_bS8_S8_NS5_IS6_S8_EES8_NS5_IlS8_EES8_PS6_,@function
_ZN2at6native6sbtopk10gatherTopKIlmLin1ELb0EEEvNS_4cuda6detail10TensorInfoIKT_T0_EES8_S8_bS8_S8_NS5_IS6_S8_EES8_NS5_IlS8_EES8_PS6_: ; @_ZN2at6native6sbtopk10gatherTopKIlmLin1ELb0EEEvNS_4cuda6detail10TensorInfoIKT_T0_EES8_S8_bS8_S8_NS5_IS6_S8_EES8_NS5_IlS8_EES8_PS6_
; %bb.0:
	s_clause 0x1
	s_load_dwordx2 s[12:13], s[4:5], 0x520
	s_load_dwordx4 s[24:27], s[4:5], 0x1b8
	s_add_u32 s10, s4, 0x520
	s_addc_u32 s11, s5, 0
	s_mov_b32 s3, 0
	s_waitcnt lgkmcnt(0)
	s_mul_i32 s0, s13, s8
	s_add_i32 s0, s0, s7
	s_mul_i32 s0, s0, s12
	s_add_i32 s2, s0, s6
	v_cmp_le_u64_e64 s0, s[24:25], s[2:3]
	s_and_b32 vcc_lo, exec_lo, s0
	s_cbranch_vccnz .LBB165_493
; %bb.1:
	s_load_dword s7, s[4:5], 0x198
	s_mov_b64 s[0:1], 0
	s_mov_b64 s[8:9], s[2:3]
	s_waitcnt lgkmcnt(0)
	s_cmp_lt_i32 s7, 2
	s_cbranch_scc1 .LBB165_9
; %bb.2:
	s_mov_b32 s14, 0
	s_add_i32 s0, s7, -1
	s_mov_b32 s1, s14
	s_add_i32 s7, s7, 1
	s_lshl_b64 s[8:9], s[0:1], 3
	s_mov_b64 s[0:1], 0
	s_add_u32 s8, s4, s8
	s_addc_u32 s9, s5, s9
	s_add_u32 s16, s8, 8
	s_addc_u32 s17, s9, 0
	s_mov_b64 s[18:19], s[2:3]
.LBB165_3:                              ; =>This Inner Loop Header: Depth=1
	s_load_dwordx2 s[20:21], s[16:17], 0x0
	s_mov_b32 s13, -1
	s_waitcnt lgkmcnt(0)
	s_or_b64 s[8:9], s[18:19], s[20:21]
	s_mov_b32 s15, s9
                                        ; implicit-def: $sgpr8_sgpr9
	s_cmp_lg_u64 s[14:15], 0
	s_cbranch_scc0 .LBB165_5
; %bb.4:                                ;   in Loop: Header=BB165_3 Depth=1
	v_cvt_f32_u32_e32 v1, s20
	v_cvt_f32_u32_e32 v2, s21
	s_sub_u32 s13, 0, s20
	s_subb_u32 s15, 0, s21
	v_fmac_f32_e32 v1, 0x4f800000, v2
	v_rcp_f32_e32 v1, v1
	v_mul_f32_e32 v1, 0x5f7ffffc, v1
	v_mul_f32_e32 v2, 0x2f800000, v1
	v_trunc_f32_e32 v2, v2
	v_fmac_f32_e32 v1, 0xcf800000, v2
	v_cvt_u32_f32_e32 v2, v2
	v_cvt_u32_f32_e32 v1, v1
	v_readfirstlane_b32 s8, v2
	v_readfirstlane_b32 s9, v1
	s_mul_i32 s22, s13, s8
	s_mul_hi_u32 s24, s13, s9
	s_mul_i32 s23, s15, s9
	s_add_i32 s22, s24, s22
	s_mul_i32 s25, s13, s9
	s_add_i32 s22, s22, s23
	s_mul_hi_u32 s24, s9, s25
	s_mul_i32 s29, s9, s22
	s_mul_hi_u32 s28, s8, s25
	s_mul_i32 s23, s8, s25
	s_mul_hi_u32 s25, s9, s22
	s_add_u32 s24, s24, s29
	s_addc_u32 s25, 0, s25
	s_mul_hi_u32 s30, s8, s22
	s_add_u32 s23, s24, s23
	s_mul_i32 s22, s8, s22
	s_addc_u32 s23, s25, s28
	s_addc_u32 s24, s30, 0
	s_add_u32 s22, s23, s22
	s_addc_u32 s23, 0, s24
	s_add_u32 s9, s9, s22
	s_cselect_b32 s22, -1, 0
	s_mul_hi_u32 s24, s13, s9
	s_cmp_lg_u32 s22, 0
	s_mul_i32 s22, s13, s9
	s_addc_u32 s8, s8, s23
	s_mul_i32 s15, s15, s9
	s_mul_i32 s13, s13, s8
	s_mul_hi_u32 s23, s9, s22
	s_add_i32 s13, s24, s13
	s_mul_hi_u32 s24, s8, s22
	s_add_i32 s13, s13, s15
	s_mul_i32 s15, s8, s22
	s_mul_i32 s28, s9, s13
	s_mul_hi_u32 s25, s9, s13
	s_add_u32 s23, s23, s28
	s_addc_u32 s25, 0, s25
	s_mul_hi_u32 s22, s8, s13
	s_add_u32 s15, s23, s15
	s_mul_i32 s13, s8, s13
	s_addc_u32 s15, s25, s24
	s_addc_u32 s22, s22, 0
	s_add_u32 s13, s15, s13
	s_addc_u32 s15, 0, s22
	s_add_u32 s9, s9, s13
	s_cselect_b32 s13, -1, 0
	s_mul_hi_u32 s22, s18, s9
	s_cmp_lg_u32 s13, 0
	s_mul_hi_u32 s13, s19, s9
	s_addc_u32 s8, s8, s15
	s_mul_i32 s9, s19, s9
	s_mul_i32 s23, s18, s8
	s_mul_hi_u32 s15, s18, s8
	s_add_u32 s22, s22, s23
	s_addc_u32 s15, 0, s15
	s_mul_hi_u32 s24, s19, s8
	s_add_u32 s9, s22, s9
	s_mul_i32 s8, s19, s8
	s_addc_u32 s9, s15, s13
	s_addc_u32 s13, s24, 0
	s_add_u32 s8, s9, s8
	s_addc_u32 s9, 0, s13
	s_mul_hi_u32 s13, s20, s8
	s_mul_i32 s15, s20, s9
	s_mul_i32 s22, s21, s8
	s_add_i32 s13, s13, s15
	s_mul_i32 s15, s20, s8
	s_add_i32 s13, s13, s22
	s_sub_i32 s22, s19, s13
	s_sub_u32 s15, s18, s15
	s_cselect_b32 s23, -1, 0
	s_cmp_lg_u32 s23, 0
	s_subb_u32 s22, s22, s21
	s_sub_u32 s24, s15, s20
	s_cselect_b32 s25, -1, 0
	s_cmp_lg_u32 s25, 0
	s_subb_u32 s22, s22, 0
	s_cmp_ge_u32 s22, s21
	s_cselect_b32 s25, -1, 0
	s_cmp_ge_u32 s24, s20
	s_cselect_b32 s24, -1, 0
	s_cmp_eq_u32 s22, s21
	s_cselect_b32 s22, s24, s25
	s_add_u32 s24, s8, 1
	s_addc_u32 s25, s9, 0
	s_add_u32 s28, s8, 2
	s_addc_u32 s29, s9, 0
	s_cmp_lg_u32 s22, 0
	s_cselect_b32 s22, s28, s24
	s_cselect_b32 s24, s29, s25
	s_cmp_lg_u32 s23, 0
	s_subb_u32 s13, s19, s13
	s_cmp_ge_u32 s13, s21
	s_cselect_b32 s23, -1, 0
	s_cmp_ge_u32 s15, s20
	s_cselect_b32 s15, -1, 0
	s_cmp_eq_u32 s13, s21
	s_cselect_b32 s13, s15, s23
	s_cmp_lg_u32 s13, 0
	s_mov_b32 s13, 0
	s_cselect_b32 s9, s24, s9
	s_cselect_b32 s8, s22, s8
.LBB165_5:                              ;   in Loop: Header=BB165_3 Depth=1
	s_andn2_b32 vcc_lo, exec_lo, s13
	s_cbranch_vccnz .LBB165_7
; %bb.6:                                ;   in Loop: Header=BB165_3 Depth=1
	v_cvt_f32_u32_e32 v1, s20
	s_sub_i32 s9, 0, s20
	v_rcp_iflag_f32_e32 v1, v1
	v_mul_f32_e32 v1, 0x4f7ffffe, v1
	v_cvt_u32_f32_e32 v1, v1
	v_readfirstlane_b32 s8, v1
	s_mul_i32 s9, s9, s8
	s_mul_hi_u32 s9, s8, s9
	s_add_i32 s8, s8, s9
	s_mul_hi_u32 s8, s18, s8
	s_mul_i32 s9, s8, s20
	s_add_i32 s13, s8, 1
	s_sub_i32 s9, s18, s9
	s_sub_i32 s15, s9, s20
	s_cmp_ge_u32 s9, s20
	s_cselect_b32 s8, s13, s8
	s_cselect_b32 s9, s15, s9
	s_add_i32 s13, s8, 1
	s_cmp_ge_u32 s9, s20
	s_mov_b32 s9, s14
	s_cselect_b32 s8, s13, s8
.LBB165_7:                              ;   in Loop: Header=BB165_3 Depth=1
	s_load_dwordx2 s[22:23], s[16:17], 0xc8
	s_mul_i32 s13, s8, s21
	s_mul_hi_u32 s15, s8, s20
	s_mul_i32 s21, s9, s20
	s_add_i32 s13, s15, s13
	s_mul_i32 s15, s8, s20
	s_add_i32 s13, s13, s21
	s_sub_u32 s15, s18, s15
	s_subb_u32 s13, s19, s13
	s_waitcnt lgkmcnt(0)
	s_mul_i32 s13, s22, s13
	s_mul_hi_u32 s18, s22, s15
	s_mul_i32 s19, s23, s15
	s_add_i32 s13, s18, s13
	s_mul_i32 s15, s22, s15
	s_add_i32 s13, s13, s19
	s_add_u32 s0, s15, s0
	s_addc_u32 s1, s13, s1
	s_add_i32 s7, s7, -1
	s_add_u32 s16, s16, -8
	s_addc_u32 s17, s17, -1
	s_cmp_gt_u32 s7, 2
	s_cbranch_scc0 .LBB165_9
; %bb.8:                                ;   in Loop: Header=BB165_3 Depth=1
	s_mov_b64 s[18:19], s[8:9]
	s_branch .LBB165_3
.LBB165_9:
	s_clause 0x1
	s_load_dword s7, s[4:5], 0x360
	s_load_dwordx2 s[14:15], s[4:5], 0xd0
	s_add_u32 s16, s4, 0x1c8
	s_addc_u32 s17, s5, 0
	s_mov_b64 s[24:25], 0
	s_mov_b64 s[34:35], s[2:3]
	s_waitcnt lgkmcnt(0)
	s_cmp_lt_i32 s7, 2
	s_cbranch_scc1 .LBB165_17
; %bb.10:
	s_mov_b32 s18, 0
	s_add_i32 s20, s7, -1
	s_mov_b32 s21, s18
	s_add_i32 s7, s7, 1
	s_lshl_b64 s[20:21], s[20:21], 3
	s_mov_b64 s[22:23], s[2:3]
	s_add_u32 s13, s16, s20
	s_addc_u32 s19, s17, s21
	s_add_u32 s20, s13, 8
	s_addc_u32 s21, s19, 0
.LBB165_11:                             ; =>This Inner Loop Header: Depth=1
	s_load_dwordx2 s[28:29], s[20:21], 0x0
	s_mov_b32 s13, -1
                                        ; implicit-def: $sgpr34_sgpr35
	s_waitcnt lgkmcnt(0)
	s_or_b64 s[30:31], s[22:23], s[28:29]
	s_mov_b32 s19, s31
	s_cmp_lg_u64 s[18:19], 0
	s_cbranch_scc0 .LBB165_13
; %bb.12:                               ;   in Loop: Header=BB165_11 Depth=1
	v_cvt_f32_u32_e32 v1, s28
	v_cvt_f32_u32_e32 v2, s29
	s_sub_u32 s30, 0, s28
	s_subb_u32 s31, 0, s29
	v_fmac_f32_e32 v1, 0x4f800000, v2
	v_rcp_f32_e32 v1, v1
	v_mul_f32_e32 v1, 0x5f7ffffc, v1
	v_mul_f32_e32 v2, 0x2f800000, v1
	v_trunc_f32_e32 v2, v2
	v_fmac_f32_e32 v1, 0xcf800000, v2
	v_cvt_u32_f32_e32 v2, v2
	v_cvt_u32_f32_e32 v1, v1
	v_readfirstlane_b32 s13, v2
	v_readfirstlane_b32 s19, v1
	s_mul_i32 s33, s30, s13
	s_mul_hi_u32 s35, s30, s19
	s_mul_i32 s34, s31, s19
	s_add_i32 s33, s35, s33
	s_mul_i32 s36, s30, s19
	s_add_i32 s33, s33, s34
	s_mul_hi_u32 s35, s19, s36
	s_mul_i32 s38, s19, s33
	s_mul_hi_u32 s37, s13, s36
	s_mul_i32 s34, s13, s36
	s_mul_hi_u32 s36, s19, s33
	s_add_u32 s35, s35, s38
	s_addc_u32 s36, 0, s36
	s_mul_hi_u32 s39, s13, s33
	s_add_u32 s34, s35, s34
	s_mul_i32 s33, s13, s33
	s_addc_u32 s34, s36, s37
	s_addc_u32 s35, s39, 0
	s_add_u32 s33, s34, s33
	s_addc_u32 s34, 0, s35
	s_add_u32 s19, s19, s33
	s_cselect_b32 s33, -1, 0
	s_mul_hi_u32 s35, s30, s19
	s_cmp_lg_u32 s33, 0
	s_mul_i32 s33, s30, s19
	s_addc_u32 s13, s13, s34
	s_mul_i32 s31, s31, s19
	s_mul_i32 s30, s30, s13
	s_mul_hi_u32 s34, s19, s33
	s_add_i32 s30, s35, s30
	s_mul_hi_u32 s35, s13, s33
	s_add_i32 s30, s30, s31
	s_mul_i32 s31, s13, s33
	s_mul_i32 s37, s19, s30
	s_mul_hi_u32 s36, s19, s30
	s_add_u32 s34, s34, s37
	s_addc_u32 s36, 0, s36
	s_mul_hi_u32 s33, s13, s30
	s_add_u32 s31, s34, s31
	s_mul_i32 s30, s13, s30
	s_addc_u32 s31, s36, s35
	s_addc_u32 s33, s33, 0
	s_add_u32 s30, s31, s30
	s_addc_u32 s31, 0, s33
	s_add_u32 s19, s19, s30
	s_cselect_b32 s30, -1, 0
	s_mul_hi_u32 s33, s22, s19
	s_cmp_lg_u32 s30, 0
	s_mul_hi_u32 s30, s23, s19
	s_addc_u32 s13, s13, s31
	s_mul_i32 s19, s23, s19
	s_mul_i32 s34, s22, s13
	s_mul_hi_u32 s31, s22, s13
	s_add_u32 s33, s33, s34
	s_addc_u32 s31, 0, s31
	s_mul_hi_u32 s35, s23, s13
	s_add_u32 s19, s33, s19
	s_mul_i32 s13, s23, s13
	s_addc_u32 s19, s31, s30
	s_addc_u32 s30, s35, 0
	s_add_u32 s13, s19, s13
	s_addc_u32 s19, 0, s30
	s_mul_hi_u32 s30, s28, s13
	s_mul_i32 s31, s28, s19
	s_mul_i32 s33, s29, s13
	s_add_i32 s30, s30, s31
	s_mul_i32 s31, s28, s13
	s_add_i32 s30, s30, s33
	s_sub_i32 s33, s23, s30
	s_sub_u32 s31, s22, s31
	s_cselect_b32 s34, -1, 0
	s_cmp_lg_u32 s34, 0
	s_subb_u32 s33, s33, s29
	s_sub_u32 s35, s31, s28
	s_cselect_b32 s36, -1, 0
	s_cmp_lg_u32 s36, 0
	s_subb_u32 s33, s33, 0
	s_cmp_ge_u32 s33, s29
	s_cselect_b32 s36, -1, 0
	s_cmp_ge_u32 s35, s28
	s_cselect_b32 s35, -1, 0
	s_cmp_eq_u32 s33, s29
	s_cselect_b32 s33, s35, s36
	s_add_u32 s35, s13, 1
	s_addc_u32 s36, s19, 0
	s_add_u32 s37, s13, 2
	s_addc_u32 s38, s19, 0
	s_cmp_lg_u32 s33, 0
	s_cselect_b32 s33, s37, s35
	s_cselect_b32 s35, s38, s36
	s_cmp_lg_u32 s34, 0
	s_subb_u32 s30, s23, s30
	s_cmp_ge_u32 s30, s29
	s_cselect_b32 s34, -1, 0
	s_cmp_ge_u32 s31, s28
	s_cselect_b32 s31, -1, 0
	s_cmp_eq_u32 s30, s29
	s_cselect_b32 s30, s31, s34
	s_cmp_lg_u32 s30, 0
	s_cselect_b32 s35, s35, s19
	s_cselect_b32 s34, s33, s13
	s_mov_b32 s13, 0
.LBB165_13:                             ;   in Loop: Header=BB165_11 Depth=1
	s_andn2_b32 vcc_lo, exec_lo, s13
	s_cbranch_vccnz .LBB165_15
; %bb.14:                               ;   in Loop: Header=BB165_11 Depth=1
	v_cvt_f32_u32_e32 v1, s28
	s_sub_i32 s19, 0, s28
	s_mov_b32 s35, s18
	v_rcp_iflag_f32_e32 v1, v1
	v_mul_f32_e32 v1, 0x4f7ffffe, v1
	v_cvt_u32_f32_e32 v1, v1
	v_readfirstlane_b32 s13, v1
	s_mul_i32 s19, s19, s13
	s_mul_hi_u32 s19, s13, s19
	s_add_i32 s13, s13, s19
	s_mul_hi_u32 s13, s22, s13
	s_mul_i32 s19, s13, s28
	s_add_i32 s30, s13, 1
	s_sub_i32 s19, s22, s19
	s_sub_i32 s31, s19, s28
	s_cmp_ge_u32 s19, s28
	s_cselect_b32 s13, s30, s13
	s_cselect_b32 s19, s31, s19
	s_add_i32 s30, s13, 1
	s_cmp_ge_u32 s19, s28
	s_cselect_b32 s34, s30, s13
.LBB165_15:                             ;   in Loop: Header=BB165_11 Depth=1
	s_load_dwordx2 s[30:31], s[20:21], 0xc8
	s_mul_i32 s13, s34, s29
	s_mul_hi_u32 s19, s34, s28
	s_mul_i32 s29, s35, s28
	s_add_i32 s13, s19, s13
	s_mul_i32 s19, s34, s28
	s_add_i32 s13, s13, s29
	s_sub_u32 s19, s22, s19
	s_subb_u32 s13, s23, s13
	s_waitcnt lgkmcnt(0)
	s_mul_i32 s13, s30, s13
	s_mul_hi_u32 s22, s30, s19
	s_mul_i32 s23, s31, s19
	s_add_i32 s13, s22, s13
	s_mul_i32 s19, s30, s19
	s_add_i32 s13, s13, s23
	s_add_u32 s24, s19, s24
	s_addc_u32 s25, s13, s25
	s_add_i32 s7, s7, -1
	s_add_u32 s20, s20, -8
	s_addc_u32 s21, s21, -1
	s_cmp_gt_u32 s7, 2
	s_cbranch_scc0 .LBB165_17
; %bb.16:                               ;   in Loop: Header=BB165_11 Depth=1
	s_mov_b64 s[22:23], s[34:35]
	s_branch .LBB165_11
.LBB165_17:
	s_clause 0x1
	s_load_dword s7, s[4:5], 0x508
	s_load_dwordx2 s[16:17], s[16:17], 0xd0
                                        ; implicit-def: $vgpr55 : SGPR spill to VGPR lane
	s_add_u32 s13, s4, 0x370
	s_mov_b64 s[40:41], 0
	s_waitcnt lgkmcnt(0)
	v_writelane_b32 v55, s16, 0
	v_writelane_b32 v55, s17, 1
	s_addc_u32 s17, s5, 0
	s_cmp_lt_i32 s7, 2
	s_cbranch_scc1 .LBB165_25
; %bb.18:
	s_mov_b32 s16, 0
	s_add_i32 s18, s7, -1
	s_mov_b32 s19, s16
	s_add_i32 s7, s7, 1
	s_lshl_b64 s[18:19], s[18:19], 3
	s_add_u32 s13, s13, s18
	s_addc_u32 s17, s17, s19
	s_add_u32 s18, s13, 8
	s_addc_u32 s19, s17, 0
.LBB165_19:                             ; =>This Inner Loop Header: Depth=1
	s_load_dwordx2 s[20:21], s[18:19], 0x0
	s_mov_b32 s13, -1
                                        ; implicit-def: $sgpr48_sgpr49
	s_waitcnt lgkmcnt(0)
	s_or_b64 s[22:23], s[2:3], s[20:21]
	s_mov_b32 s17, s23
	s_cmp_lg_u64 s[16:17], 0
	s_cbranch_scc0 .LBB165_21
; %bb.20:                               ;   in Loop: Header=BB165_19 Depth=1
	v_cvt_f32_u32_e32 v1, s20
	v_cvt_f32_u32_e32 v2, s21
	s_sub_u32 s22, 0, s20
	s_subb_u32 s23, 0, s21
	v_fmac_f32_e32 v1, 0x4f800000, v2
	v_rcp_f32_e32 v1, v1
	v_mul_f32_e32 v1, 0x5f7ffffc, v1
	v_mul_f32_e32 v2, 0x2f800000, v1
	v_trunc_f32_e32 v2, v2
	v_fmac_f32_e32 v1, 0xcf800000, v2
	v_cvt_u32_f32_e32 v2, v2
	v_cvt_u32_f32_e32 v1, v1
	v_readfirstlane_b32 s13, v2
	v_readfirstlane_b32 s17, v1
	s_mul_i32 s28, s22, s13
	s_mul_hi_u32 s30, s22, s17
	s_mul_i32 s29, s23, s17
	s_add_i32 s28, s30, s28
	s_mul_i32 s31, s22, s17
	s_add_i32 s28, s28, s29
	s_mul_hi_u32 s30, s17, s31
	s_mul_i32 s36, s17, s28
	s_mul_hi_u32 s33, s13, s31
	s_mul_i32 s29, s13, s31
	s_mul_hi_u32 s31, s17, s28
	s_add_u32 s30, s30, s36
	s_addc_u32 s31, 0, s31
	s_mul_hi_u32 s37, s13, s28
	s_add_u32 s29, s30, s29
	s_mul_i32 s28, s13, s28
	s_addc_u32 s29, s31, s33
	s_addc_u32 s30, s37, 0
	s_add_u32 s28, s29, s28
	s_addc_u32 s29, 0, s30
	s_add_u32 s17, s17, s28
	s_cselect_b32 s28, -1, 0
	s_mul_hi_u32 s30, s22, s17
	s_cmp_lg_u32 s28, 0
	s_mul_i32 s28, s22, s17
	s_addc_u32 s13, s13, s29
	s_mul_i32 s23, s23, s17
	s_mul_i32 s22, s22, s13
	s_mul_hi_u32 s29, s17, s28
	s_add_i32 s22, s30, s22
	s_mul_hi_u32 s30, s13, s28
	s_add_i32 s22, s22, s23
	s_mul_i32 s23, s13, s28
	s_mul_i32 s33, s17, s22
	s_mul_hi_u32 s31, s17, s22
	s_add_u32 s29, s29, s33
	s_addc_u32 s31, 0, s31
	s_mul_hi_u32 s28, s13, s22
	s_add_u32 s23, s29, s23
	s_mul_i32 s22, s13, s22
	s_addc_u32 s23, s31, s30
	s_addc_u32 s28, s28, 0
	s_add_u32 s22, s23, s22
	s_addc_u32 s23, 0, s28
	s_add_u32 s17, s17, s22
	s_cselect_b32 s22, -1, 0
	s_mul_hi_u32 s28, s2, s17
	s_cmp_lg_u32 s22, 0
	s_mul_hi_u32 s22, s3, s17
	s_addc_u32 s13, s13, s23
	s_mul_i32 s17, s3, s17
	s_mul_i32 s29, s2, s13
	s_mul_hi_u32 s23, s2, s13
	s_add_u32 s28, s28, s29
	s_addc_u32 s23, 0, s23
	s_mul_hi_u32 s30, s3, s13
	s_add_u32 s17, s28, s17
	s_mul_i32 s13, s3, s13
	s_addc_u32 s17, s23, s22
	s_addc_u32 s22, s30, 0
	s_add_u32 s13, s17, s13
	s_addc_u32 s17, 0, s22
	s_mul_hi_u32 s22, s20, s13
	s_mul_i32 s23, s20, s17
	s_mul_i32 s28, s21, s13
	s_add_i32 s22, s22, s23
	s_mul_i32 s23, s20, s13
	s_add_i32 s22, s22, s28
	s_sub_i32 s28, s3, s22
	s_sub_u32 s23, s2, s23
	s_cselect_b32 s29, -1, 0
	s_cmp_lg_u32 s29, 0
	s_subb_u32 s28, s28, s21
	s_sub_u32 s30, s23, s20
	s_cselect_b32 s31, -1, 0
	s_cmp_lg_u32 s31, 0
	s_subb_u32 s28, s28, 0
	s_cmp_ge_u32 s28, s21
	s_cselect_b32 s31, -1, 0
	s_cmp_ge_u32 s30, s20
	s_cselect_b32 s30, -1, 0
	s_cmp_eq_u32 s28, s21
	s_cselect_b32 s28, s30, s31
	s_add_u32 s30, s13, 1
	s_addc_u32 s31, s17, 0
	s_add_u32 s33, s13, 2
	s_addc_u32 s36, s17, 0
	s_cmp_lg_u32 s28, 0
	s_cselect_b32 s28, s33, s30
	s_cselect_b32 s30, s36, s31
	s_cmp_lg_u32 s29, 0
	s_subb_u32 s22, s3, s22
	s_cmp_ge_u32 s22, s21
	s_cselect_b32 s29, -1, 0
	s_cmp_ge_u32 s23, s20
	s_cselect_b32 s23, -1, 0
	s_cmp_eq_u32 s22, s21
	s_cselect_b32 s22, s23, s29
	s_cmp_lg_u32 s22, 0
	s_cselect_b32 s49, s30, s17
	s_cselect_b32 s48, s28, s13
	s_mov_b32 s13, 0
.LBB165_21:                             ;   in Loop: Header=BB165_19 Depth=1
	s_andn2_b32 vcc_lo, exec_lo, s13
	s_cbranch_vccnz .LBB165_23
; %bb.22:                               ;   in Loop: Header=BB165_19 Depth=1
	v_cvt_f32_u32_e32 v1, s20
	s_sub_i32 s17, 0, s20
	s_mov_b32 s49, s16
	v_rcp_iflag_f32_e32 v1, v1
	v_mul_f32_e32 v1, 0x4f7ffffe, v1
	v_cvt_u32_f32_e32 v1, v1
	v_readfirstlane_b32 s13, v1
	s_mul_i32 s17, s17, s13
	s_mul_hi_u32 s17, s13, s17
	s_add_i32 s13, s13, s17
	s_mul_hi_u32 s13, s2, s13
	s_mul_i32 s17, s13, s20
	s_add_i32 s22, s13, 1
	s_sub_i32 s17, s2, s17
	s_sub_i32 s23, s17, s20
	s_cmp_ge_u32 s17, s20
	s_cselect_b32 s13, s22, s13
	s_cselect_b32 s17, s23, s17
	s_add_i32 s22, s13, 1
	s_cmp_ge_u32 s17, s20
	s_cselect_b32 s48, s22, s13
.LBB165_23:                             ;   in Loop: Header=BB165_19 Depth=1
	s_load_dwordx2 s[22:23], s[18:19], 0xc8
	s_mul_i32 s13, s48, s21
	s_mul_hi_u32 s17, s48, s20
	s_mul_i32 s21, s49, s20
	s_add_i32 s13, s17, s13
	s_mul_i32 s17, s48, s20
	s_add_i32 s13, s13, s21
	s_sub_u32 s2, s2, s17
	s_subb_u32 s3, s3, s13
	s_waitcnt lgkmcnt(0)
	s_mul_i32 s3, s22, s3
	s_mul_hi_u32 s13, s22, s2
	s_mul_i32 s17, s23, s2
	s_add_i32 s3, s13, s3
	s_mul_i32 s2, s22, s2
	s_add_i32 s3, s3, s17
	s_add_u32 s40, s2, s40
	s_addc_u32 s41, s3, s41
	s_add_i32 s7, s7, -1
	s_add_u32 s18, s18, -8
	s_addc_u32 s19, s19, -1
	s_cmp_gt_u32 s7, 2
	s_cbranch_scc0 .LBB165_26
; %bb.24:                               ;   in Loop: Header=BB165_19 Depth=1
	s_mov_b64 s[2:3], s[48:49]
	s_branch .LBB165_19
.LBB165_25:
	s_mov_b64 s[48:49], s[2:3]
.LBB165_26:
	s_clause 0x2
	s_load_dwordx4 s[28:31], s[4:5], 0x1a0
	s_load_dwordx2 s[92:93], s[4:5], 0x0
	s_load_dwordx2 s[2:3], s[4:5], 0x1c8
	s_mov_b32 s57, 0
	s_waitcnt lgkmcnt(0)
	v_writelane_b32 v55, s2, 2
	v_writelane_b32 v55, s3, 3
	s_load_dwordx2 s[2:3], s[4:5], 0x370
	s_waitcnt lgkmcnt(0)
	v_writelane_b32 v55, s2, 4
	v_writelane_b32 v55, s3, 5
	v_cmp_eq_u32_e64 s3, 0, v0
	s_and_saveexec_b32 s2, s3
	s_cbranch_execz .LBB165_28
; %bb.27:
	v_mov_b32_e32 v1, 0
	v_mov_b32_e32 v3, s28
	;; [unrolled: 1-line block ×4, first 2 shown]
	ds_write_b32 v1, v1 offset:5144
	ds_write_b128 v1, v[1:4] offset:5120
.LBB165_28:
	s_or_b32 exec_lo, exec_lo, s2
	s_mul_i32 s2, s14, s9
	s_mul_hi_u32 s7, s14, s8
	s_load_dword s13, s[4:5], 0x1b0
	s_add_i32 s2, s7, s2
	s_mul_i32 s7, s15, s8
	s_waitcnt lgkmcnt(0)
	s_add_i32 s9, s2, s7
	s_barrier
	buffer_gl0_inv
	s_load_dword s2, s[10:11], 0xc
	s_mul_i32 s8, s14, s8
	v_mbcnt_lo_u32_b32 v47, -1, 0
	s_lshl_b64 s[16:17], s[8:9], 3
	v_cmp_gt_u32_e32 vcc_lo, 32, v0
	s_add_u32 s14, s92, s16
	s_addc_u32 s15, s93, s17
	s_lshl_b64 s[46:47], s[0:1], 3
	v_cmp_gt_i32_e64 s1, 4, v47
	s_add_u32 s82, s14, s46
	s_addc_u32 s83, s15, s47
	v_lshlrev_b32_e32 v50, 5, v0
	v_mad_u64_u32 v[2:3], null, s26, v0, 0
	s_bitcmp1_b32 s13, 0
	v_lshlrev_b64 v[6:7], v47, -1
	s_cselect_b32 s94, -1, 0
	s_and_b32 s85, vcc_lo, s1
	s_xor_b32 s84, s94, -1
	v_or_b32_e32 v9, 24, v50
	s_waitcnt lgkmcnt(0)
	s_and_b32 s33, s2, 0xffff
	s_bfe_u32 s2, s2, 0xb0005
	s_bfe_u32 s7, s33, 0x80008
	v_or_b32_e32 v11, 16, v50
	s_lshl_b32 s87, s7, 3
	s_cmp_gt_u32 s33, 31
	v_mad_u64_u32 v[22:23], null, s26, v9, s[14:15]
	s_cselect_b32 s88, -1, 0
	s_add_u32 s89, s33, -1
	s_addc_u32 s90, 0, -1
	s_add_u32 s91, s89, s28
	s_addc_u32 s59, s90, s29
	s_cmp_lt_u32 s6, s12
	v_mad_u64_u32 v[24:25], null, s26, v11, s[14:15]
	s_cselect_b32 s6, 12, 18
	v_or_b32_e32 v12, 8, v50
	s_add_u32 s60, s10, s6
	s_addc_u32 s61, s11, 0
	s_add_i32 s2, s2, -1
	s_bfe_u32 s7, s33, 0x30005
	s_and_b32 s2, s2, 0xffff
	v_mov_b32_e32 v1, v3
	s_cmp_gt_u32 s2, 6
	v_mad_u64_u32 v[26:27], null, s26, v12, s[14:15]
	s_cselect_b32 s2, -1, 0
	v_not_b32_e32 v46, v6
	v_writelane_b32 v55, s2, 6
	v_mov_b32_e32 v6, v23
	v_mov_b32_e32 v7, v25
	s_cmp_lg_u32 s7, 0
	v_mad_u64_u32 v[3:4], null, s27, v0, v[1:2]
	v_writelane_b32 v55, s7, 7
	s_cselect_b32 s2, -1, 0
	s_movk_i32 s6, 0x3e0
	v_mad_u64_u32 v[9:10], null, s27, v9, v[6:7]
	v_writelane_b32 v55, s2, 8
	s_add_u32 s2, s16, s46
	v_and_or_b32 v51, v0, s6, 0xc00
	s_addc_u32 s6, s17, s47
	v_mov_b32_e32 v8, v27
	s_add_u32 s10, s92, s2
	s_addc_u32 s11, s93, s6
	v_lshlrev_b64 v[4:5], 3, v[2:3]
	v_writelane_b32 v55, s10, 9
	v_mov_b32_e32 v19, 0
	v_mad_u64_u32 v[6:7], null, s27, v11, v[7:8]
	v_lshlrev_b64 v[2:3], 5, v[2:3]
	v_mad_u64_u32 v[7:8], null, s27, v12, v[8:9]
	v_writelane_b32 v55, s11, 10
	s_lshl_b64 s[64:65], s[26:27], 3
	s_lshl_b64 s[66:67], s[26:27], 5
	s_lshl_b32 s95, s33, 3
	v_mov_b32_e32 v1, v19
	v_add_co_u32 v16, vcc_lo, s82, v4
	s_add_u32 s2, s92, s46
	v_lshlrev_b32_e32 v48, 3, v0
	s_addc_u32 s6, s93, s47
	v_add_co_ci_u32_e64 v17, null, s83, v5, vcc_lo
	v_add_co_u32 v28, vcc_lo, s14, v2
	s_add_u32 s2, s2, s16
	v_add_co_ci_u32_e64 v29, null, s15, v3, vcc_lo
	v_writelane_b32 v55, s16, 11
	s_addc_u32 s10, s6, s17
	v_add_co_u32 v32, vcc_lo, s2, v4
	v_cmp_lt_u64_e64 s86, 0x180, s[28:29]
	v_cmp_gt_u64_e64 s1, s[28:29], v[0:1]
	v_mov_b32_e32 v25, v6
	v_mov_b32_e32 v27, v7
	s_mul_i32 s7, s27, s33
	s_mul_hi_u32 s9, s26, s33
	v_mov_b32_e32 v6, 0
	v_mov_b32_e32 v37, s31
	;; [unrolled: 1-line block ×4, first 2 shown]
	v_cmp_eq_u32_e64 s0, 0, v47
	v_lshlrev_b32_e32 v20, 2, v0
	v_mov_b32_e32 v21, v19
	v_cmp_gt_u32_e64 s8, 2, v0
	v_add_nc_u32_e32 v49, 0xc00, v48
	v_mov_b32_e32 v23, v9
	v_lshl_or_b32 v52, v47, 3, 0xc00
	v_add_co_ci_u32_e64 v33, null, s10, v5, vcc_lo
	v_mov_b32_e32 v7, 0
	v_mov_b32_e32 v36, s30
	;; [unrolled: 1-line block ×5, first 2 shown]
	s_add_i32 s7, s9, s7
	s_mul_i32 s6, s26, s33
	s_mov_b32 s50, 62
	s_lshl_b64 s[36:37], s[6:7], 3
	s_mov_b32 s96, 0
	s_mov_b32 s98, 0
	v_writelane_b32 v55, s17, 12
                                        ; implicit-def: $sgpr97
                                        ; implicit-def: $vcc_hi
                                        ; implicit-def: $sgpr104
                                        ; implicit-def: $sgpr51
                                        ; implicit-def: $sgpr99
                                        ; implicit-def: $sgpr43
                                        ; implicit-def: $sgpr52
                                        ; implicit-def: $sgpr54
                                        ; implicit-def: $sgpr42
                                        ; implicit-def: $sgpr55
	s_branch .LBB165_31
.LBB165_29:                             ;   in Loop: Header=BB165_31 Depth=1
	s_or_b32 exec_lo, exec_lo, s9
	v_mov_b32_e32 v36, v38
	v_mov_b32_e32 v37, v39
	s_andn2_b32 s9, s55, exec_lo
	s_and_b32 s7, s7, exec_lo
	s_andn2_b32 s42, s42, exec_lo
	s_or_b32 s55, s9, s7
	s_andn2_b32 s54, s54, exec_lo
	s_andn2_b32 s52, s52, exec_lo
	s_andn2_b32 s43, s43, exec_lo
	s_orn2_b32 s6, s6, exec_lo
.LBB165_30:                             ;   in Loop: Header=BB165_31 Depth=1
	s_or_b32 exec_lo, exec_lo, s2
	s_and_b32 s2, exec_lo, s6
	s_or_b32 s96, s2, s96
	s_andn2_b32 s2, s99, exec_lo
	s_and_b32 s6, s55, exec_lo
	s_andn2_b32 s7, s51, exec_lo
	s_or_b32 s99, s2, s6
	s_and_b32 s2, s42, exec_lo
	s_andn2_b32 s6, s104, exec_lo
	s_and_b32 s9, s54, exec_lo
	s_or_b32 s51, s7, s2
	s_or_b32 s104, s6, s9
	s_andn2_b32 s2, vcc_hi, exec_lo
	s_and_b32 s6, s52, exec_lo
	s_andn2_b32 s7, s97, exec_lo
	s_and_b32 s9, s43, exec_lo
	s_or_b32 vcc_hi, s2, s6
	s_or_b32 s97, s7, s9
	s_andn2_b32 exec_lo, exec_lo, s96
	s_cbranch_execz .LBB165_489
.LBB165_31:                             ; =>This Loop Header: Depth=1
                                        ;     Child Loop BB165_37 Depth 2
                                        ;     Child Loop BB165_50 Depth 2
	;; [unrolled: 1-line block ×24, first 2 shown]
	ds_read_b128 v[8:11], v19 offset:5120
	s_waitcnt lgkmcnt(0)
	v_readfirstlane_b32 s69, v9
	v_readfirstlane_b32 s68, v8
	s_cmp_lg_u64 s[68:69], 0
	s_cbranch_scc1 .LBB165_58
; %bb.32:                               ;   in Loop: Header=BB165_31 Depth=1
	s_and_b32 vcc_lo, exec_lo, s86
	s_cbranch_vccz .LBB165_45
; %bb.33:                               ;   in Loop: Header=BB165_31 Depth=1
	v_cmp_gt_u64_e32 vcc_lo, 0x181, v[10:11]
	s_mov_b32 s2, 0
	s_mov_b32 s6, 0
	s_cbranch_vccz .LBB165_46
; %bb.34:                               ;   in Loop: Header=BB165_31 Depth=1
	s_and_saveexec_b32 s9, s1
	s_cbranch_execz .LBB165_113
; %bb.35:                               ;   in Loop: Header=BB165_31 Depth=1
	global_load_ushort v10, v19, s[60:61]
	global_load_dwordx2 v[8:9], v[16:17], off
	v_readlane_b32 s10, v55, 9
	v_readlane_b32 s11, v55, 10
	s_mov_b32 s12, 0
	s_waitcnt vmcnt(1)
	v_readfirstlane_b32 s6, v10
	s_and_b32 s6, 0xffff, s6
	v_add_nc_u32_e32 v5, s6, v0
	s_mul_i32 s7, s65, s6
	v_mad_u64_u32 v[3:4], null, s64, v5, s[10:11]
	s_mul_hi_u32 s10, s64, s6
	s_mul_i32 s11, s64, s6
	s_add_i32 s10, s10, s7
	v_mad_u64_u32 v[4:5], null, s65, v5, v[4:5]
	v_and_b32_e32 v5, 0xffff, v10
	v_mov_b32_e32 v11, v1
	v_mov_b32_e32 v10, v0
	s_branch .LBB165_37
.LBB165_36:                             ;   in Loop: Header=BB165_37 Depth=2
	s_or_b32 exec_lo, exec_lo, s7
	v_add_co_u32 v3, vcc_lo, v3, s11
	v_mov_b32_e32 v8, v12
	v_add_co_ci_u32_e64 v4, null, s10, v4, vcc_lo
	v_mov_b32_e32 v9, v13
	s_andn2_b32 exec_lo, exec_lo, s12
	s_cbranch_execz .LBB165_113
.LBB165_37:                             ;   Parent Loop BB165_31 Depth=1
                                        ; =>  This Inner Loop Header: Depth=2
	v_add_co_u32 v10, vcc_lo, v10, v5
	v_mov_b32_e32 v12, 0
	v_add_co_ci_u32_e64 v11, null, 0, v11, vcc_lo
	v_mov_b32_e32 v13, 0
	s_mov_b32 s7, exec_lo
	v_cmp_le_u64_e32 vcc_lo, s[28:29], v[10:11]
	v_cmpx_gt_u64_e64 s[28:29], v[10:11]
	s_cbranch_execz .LBB165_39
; %bb.38:                               ;   in Loop: Header=BB165_37 Depth=2
	global_load_dwordx2 v[12:13], v[3:4], off
.LBB165_39:                             ;   in Loop: Header=BB165_37 Depth=2
	s_or_b32 exec_lo, exec_lo, s7
	s_waitcnt vmcnt(0) lgkmcnt(0)
	v_xor_b32_e32 v14, 0x80000000, v9
	v_and_b32_e32 v15, v14, v35
	v_and_b32_e32 v14, v8, v34
	v_cmp_eq_u64_e64 s6, v[14:15], v[30:31]
	v_mov_b32_e32 v14, 0
	s_cmp_lg_u32 s6, 0
	s_cselect_b32 s7, -1, 0
	s_and_b32 s7, s0, s7
	s_and_saveexec_b32 s13, s7
	s_cbranch_execz .LBB165_43
; %bb.40:                               ;   in Loop: Header=BB165_37 Depth=2
	s_mov_b32 s16, exec_lo
	s_bcnt1_i32_b32 s14, s6
	v_mbcnt_lo_u32_b32 v14, s16, 0
	s_mov_b32 s15, exec_lo
                                        ; implicit-def: $vgpr15
	v_cmpx_eq_u32_e32 0, v14
; %bb.41:                               ;   in Loop: Header=BB165_37 Depth=2
	s_bcnt1_i32_b32 s7, s16
	s_mul_i32 s7, s14, s7
	v_mov_b32_e32 v15, s7
	ds_add_rtn_u32 v15, v19, v15 offset:5144
; %bb.42:                               ;   in Loop: Header=BB165_37 Depth=2
	s_or_b32 exec_lo, exec_lo, s15
	s_waitcnt lgkmcnt(0)
	v_readfirstlane_b32 s7, v15
	v_mad_u32_u24 v14, s14, v14, s7
.LBB165_43:                             ;   in Loop: Header=BB165_37 Depth=2
	s_or_b32 exec_lo, exec_lo, s13
	ds_bpermute_b32 v14, v19, v14
	s_and_b32 s7, exec_lo, vcc_lo
	s_or_b32 s12, s7, s12
	s_and_saveexec_b32 s7, s6
	s_cbranch_execz .LBB165_36
; %bb.44:                               ;   in Loop: Header=BB165_37 Depth=2
	v_and_b32_e32 v15, s6, v46
	v_bcnt_u32_b32 v15, v15, 0
	v_lshlrev_b32_e32 v15, 3, v15
	s_waitcnt lgkmcnt(0)
	v_lshl_add_u32 v14, v14, 3, v15
	ds_write_b64 v14, v[8:9]
	s_branch .LBB165_36
.LBB165_45:                             ;   in Loop: Header=BB165_31 Depth=1
	s_mov_b32 s2, -1
	s_mov_b32 s6, 0
.LBB165_46:                             ;   in Loop: Header=BB165_31 Depth=1
	s_and_b32 vcc_lo, exec_lo, s2
	s_cbranch_vccz .LBB165_56
.LBB165_47:                             ;   in Loop: Header=BB165_31 Depth=1
	s_and_saveexec_b32 s2, s1
	s_cbranch_execz .LBB165_53
; %bb.48:                               ;   in Loop: Header=BB165_31 Depth=1
	global_load_ushort v5, v19, s[60:61]
	global_load_dwordx2 v[3:4], v[16:17], off
	s_mov_b32 s7, exec_lo
	s_waitcnt vmcnt(1)
	v_add_nc_u32_sdwa v18, v5, v0 dst_sel:DWORD dst_unused:UNUSED_PAD src0_sel:WORD_0 src1_sel:DWORD
	v_readfirstlane_b32 s6, v5
	v_mov_b32_e32 v5, v0
	v_cmpx_gt_u64_e64 s[28:29], v[18:19]
	s_cbranch_execz .LBB165_52
; %bb.49:                               ;   in Loop: Header=BB165_31 Depth=1
	v_readlane_b32 s10, v55, 9
	v_readlane_b32 s11, v55, 10
	s_and_b32 s9, s6, 0xffff
	v_mov_b32_e32 v15, v1
	v_mov_b32_e32 v14, v0
	s_mul_i32 s6, s65, s9
	v_mad_u64_u32 v[8:9], null, s64, v18, s[10:11]
	s_mul_hi_u32 s10, s64, s9
	s_mul_i32 s12, s64, s9
	s_add_i32 s10, s10, s6
	s_mov_b32 s11, 0
	v_mov_b32_e32 v5, v9
	v_mad_u64_u32 v[9:10], null, s65, v18, v[5:6]
	v_mov_b32_e32 v10, v18
	v_mov_b32_e32 v11, v19
	.p2align	6
.LBB165_50:                             ;   Parent Loop BB165_31 Depth=1
                                        ; =>  This Inner Loop Header: Depth=2
	global_load_dwordx2 v[12:13], v[8:9], off
	v_mov_b32_e32 v39, v11
	v_mov_b32_e32 v38, v10
	v_lshlrev_b32_e32 v5, 3, v14
	v_add_co_u32 v10, vcc_lo, v38, s9
	v_add_co_ci_u32_e64 v11, null, 0, v39, vcc_lo
	v_add_co_u32 v8, vcc_lo, v8, s12
	s_waitcnt vmcnt(1)
	ds_write_b64 v5, v[3:4]
	v_cmp_le_u64_e64 s6, s[28:29], v[10:11]
	v_add_co_ci_u32_e64 v9, null, s10, v9, vcc_lo
	v_mov_b32_e32 v14, v38
	v_mov_b32_e32 v15, v39
	s_or_b32 s11, s6, s11
	s_waitcnt vmcnt(0)
	v_mov_b32_e32 v3, v12
	v_mov_b32_e32 v4, v13
	s_andn2_b32 exec_lo, exec_lo, s11
	s_cbranch_execnz .LBB165_50
; %bb.51:                               ;   in Loop: Header=BB165_31 Depth=1
	s_or_b32 exec_lo, exec_lo, s11
	v_mov_b32_e32 v3, v12
	v_subrev_nc_u32_e32 v5, s9, v10
	v_mov_b32_e32 v4, v13
.LBB165_52:                             ;   in Loop: Header=BB165_31 Depth=1
	s_or_b32 exec_lo, exec_lo, s7
	v_lshlrev_b32_e32 v5, 3, v5
	s_waitcnt vmcnt(0)
	ds_write_b64 v5, v[3:4]
.LBB165_53:                             ;   in Loop: Header=BB165_31 Depth=1
	s_or_b32 exec_lo, exec_lo, s2
	s_waitcnt lgkmcnt(0)
	s_barrier
	buffer_gl0_inv
	s_and_saveexec_b32 s2, s3
; %bb.54:                               ;   in Loop: Header=BB165_31 Depth=1
	v_mov_b32_e32 v3, s28
	v_mov_b32_e32 v4, s29
	ds_write_b64 v19, v[3:4] offset:5120
; %bb.55:                               ;   in Loop: Header=BB165_31 Depth=1
	s_or_b32 exec_lo, exec_lo, s2
	s_waitcnt lgkmcnt(0)
	s_mov_b32 s6, -1
	s_barrier
.LBB165_56:                             ;   in Loop: Header=BB165_31 Depth=1
	s_and_b32 vcc_lo, exec_lo, s6
	s_mov_b64 s[68:69], 0
	s_cbranch_vccz .LBB165_58
; %bb.57:                               ;   in Loop: Header=BB165_31 Depth=1
	buffer_gl0_inv
	ds_read_b64 v[3:4], v19 offset:5120
	s_waitcnt lgkmcnt(0)
	v_readfirstlane_b32 s68, v3
.LBB165_58:                             ;   in Loop: Header=BB165_31 Depth=1
	s_cmp_lt_i32 s68, 1
	s_mov_b32 s2, -1
                                        ; implicit-def: $vgpr14_vgpr15
                                        ; implicit-def: $vgpr10_vgpr11
	s_cbranch_scc1 .LBB165_68
; %bb.59:                               ;   in Loop: Header=BB165_31 Depth=1
	s_and_b32 vcc_lo, exec_lo, s2
	s_cbranch_vccnz .LBB165_82
.LBB165_60:                             ;   in Loop: Header=BB165_31 Depth=1
	s_lshl_b32 s2, s98, 7
	s_and_saveexec_b32 s6, s0
	s_cbranch_execz .LBB165_62
.LBB165_61:                             ;   in Loop: Header=BB165_31 Depth=1
	v_lshl_add_u32 v3, s2, 3, v51
	ds_write_b128 v3, v[8:11]
	ds_write_b128 v3, v[12:15] offset:16
.LBB165_62:                             ;   in Loop: Header=BB165_31 Depth=1
	s_or_b32 exec_lo, exec_lo, s6
	s_waitcnt lgkmcnt(0)
	s_barrier
	buffer_gl0_inv
	s_and_saveexec_b32 s6, s85
	s_cbranch_execz .LBB165_97
; %bb.63:                               ;   in Loop: Header=BB165_31 Depth=1
	v_mov_b32_e32 v3, 0
	v_mov_b32_e32 v4, 0
	s_andn2_b32 vcc_lo, exec_lo, s88
	s_cbranch_vccnz .LBB165_96
; %bb.64:                               ;   in Loop: Header=BB165_31 Depth=1
	v_readlane_b32 s7, v55, 6
	v_mov_b32_e32 v3, 0
	v_mov_b32_e32 v4, 0
	s_andn2_b32 vcc_lo, exec_lo, s7
	s_cbranch_vccnz .LBB165_92
; %bb.65:                               ;   in Loop: Header=BB165_31 Depth=1
	v_lshl_add_u32 v5, s98, 10, v52
	s_mov_b32 s7, 0
	s_inst_prefetch 0x1
	.p2align	6
.LBB165_66:                             ;   Parent Loop BB165_31 Depth=1
                                        ; =>  This Inner Loop Header: Depth=2
	ds_read2_b64 v[8:11], v5 offset1:4
	ds_read2_b64 v[12:15], v5 offset0:8 offset1:12
	ds_read2_b64 v[38:41], v5 offset0:16 offset1:20
	s_add_i32 s7, s7, 8
	s_cmp_eq_u32 s87, s7
	s_waitcnt lgkmcnt(2)
	v_add_co_u32 v3, vcc_lo, v8, v3
	v_add_co_ci_u32_e64 v4, null, v9, v4, vcc_lo
	v_add_co_u32 v3, vcc_lo, v10, v3
	v_add_co_ci_u32_e64 v4, null, v11, v4, vcc_lo
	ds_read2_b64 v[8:11], v5 offset0:24 offset1:28
	s_waitcnt lgkmcnt(2)
	v_add_co_u32 v3, vcc_lo, v12, v3
	v_add_co_ci_u32_e64 v4, null, v13, v4, vcc_lo
	v_add_nc_u32_e32 v5, 0x100, v5
	v_add_co_u32 v3, vcc_lo, v14, v3
	v_add_co_ci_u32_e64 v4, null, v15, v4, vcc_lo
	s_waitcnt lgkmcnt(1)
	v_add_co_u32 v3, vcc_lo, v38, v3
	v_add_co_ci_u32_e64 v4, null, v39, v4, vcc_lo
	v_add_co_u32 v3, vcc_lo, v40, v3
	v_add_co_ci_u32_e64 v4, null, v41, v4, vcc_lo
	s_waitcnt lgkmcnt(0)
	v_add_co_u32 v3, vcc_lo, v8, v3
	v_add_co_ci_u32_e64 v4, null, v9, v4, vcc_lo
	v_add_co_u32 v3, vcc_lo, v10, v3
	v_add_co_ci_u32_e64 v4, null, v11, v4, vcc_lo
	s_cbranch_scc0 .LBB165_66
; %bb.67:                               ;   in Loop: Header=BB165_31 Depth=1
	s_inst_prefetch 0x2
	s_mov_b32 s7, s87
	s_branch .LBB165_93
.LBB165_68:                             ;   in Loop: Header=BB165_31 Depth=1
	global_load_ushort v3, v19, s[60:61]
	s_mov_b32 s6, s57
	s_mov_b32 s7, s29
	s_waitcnt vmcnt(0)
	v_readfirstlane_b32 s2, v3
	s_and_b32 s2, s2, 0xffff
	s_lshl_b32 s38, s2, 2
	s_cmp_lg_u64 s[6:7], 0
	s_cbranch_scc0 .LBB165_91
; %bb.69:                               ;   in Loop: Header=BB165_31 Depth=1
	v_cvt_f32_u32_e32 v3, s38
	s_sub_u32 s9, 0, s38
	s_subb_u32 s10, 0, 0
	v_fmac_f32_e64 v3, 0x4f800000, 0
	v_rcp_f32_e32 v3, v3
	v_mul_f32_e32 v3, 0x5f7ffffc, v3
	v_mul_f32_e32 v4, 0x2f800000, v3
	v_trunc_f32_e32 v4, v4
	v_fmac_f32_e32 v3, 0xcf800000, v4
	v_cvt_u32_f32_e32 v4, v4
	v_cvt_u32_f32_e32 v3, v3
	v_readfirstlane_b32 s6, v4
	v_readfirstlane_b32 s7, v3
	s_mul_i32 s11, s9, s6
	s_mul_hi_u32 s13, s9, s7
	s_mul_i32 s12, s10, s7
	s_add_i32 s11, s13, s11
	s_mul_i32 s14, s9, s7
	s_add_i32 s11, s11, s12
	s_mul_hi_u32 s13, s7, s14
	s_mul_i32 s16, s7, s11
	s_mul_hi_u32 s15, s6, s14
	s_mul_i32 s12, s6, s14
	s_mul_hi_u32 s14, s7, s11
	s_add_u32 s13, s13, s16
	s_addc_u32 s14, 0, s14
	s_mul_hi_u32 s17, s6, s11
	s_add_u32 s12, s13, s12
	s_mul_i32 s11, s6, s11
	s_addc_u32 s12, s14, s15
	s_addc_u32 s13, s17, 0
	s_add_u32 s11, s12, s11
	s_addc_u32 s12, 0, s13
	s_add_u32 s7, s7, s11
	s_cselect_b32 s11, -1, 0
	s_mul_hi_u32 s13, s9, s7
	s_cmp_lg_u32 s11, 0
	s_mul_i32 s11, s9, s7
	s_addc_u32 s6, s6, s12
	s_mul_i32 s10, s10, s7
	s_mul_i32 s9, s9, s6
	s_mul_hi_u32 s12, s7, s11
	s_add_i32 s9, s13, s9
	s_mul_hi_u32 s13, s6, s11
	s_add_i32 s9, s9, s10
	s_mul_i32 s10, s6, s11
	s_mul_i32 s15, s7, s9
	s_mul_hi_u32 s14, s7, s9
	s_add_u32 s12, s12, s15
	s_addc_u32 s14, 0, s14
	s_mul_hi_u32 s11, s6, s9
	s_add_u32 s10, s12, s10
	s_mul_i32 s9, s6, s9
	s_addc_u32 s10, s14, s13
	s_addc_u32 s11, s11, 0
	s_add_u32 s9, s10, s9
	s_addc_u32 s10, 0, s11
	s_add_u32 s7, s7, s9
	s_cselect_b32 s9, -1, 0
	s_mul_hi_u32 s11, s28, s7
	s_cmp_lg_u32 s9, 0
	s_mul_hi_u32 s9, s29, s7
	s_addc_u32 s6, s6, s10
	s_mul_i32 s7, s29, s7
	s_mul_i32 s12, s28, s6
	s_mul_hi_u32 s10, s28, s6
	s_add_u32 s11, s11, s12
	s_addc_u32 s10, 0, s10
	s_mul_hi_u32 s13, s29, s6
	s_add_u32 s7, s11, s7
	s_mul_i32 s6, s29, s6
	s_addc_u32 s7, s10, s9
	s_addc_u32 s9, s13, 0
	s_add_u32 s6, s7, s6
	s_addc_u32 s7, 0, s9
	s_mul_hi_u32 s9, s38, s6
	s_mul_i32 s7, s38, s7
	s_mul_i32 s6, s38, s6
	s_add_i32 s9, s9, s7
	s_sub_u32 s6, s28, s6
	s_cselect_b32 s7, -1, 0
	s_cmp_lg_u32 s7, 0
	s_subb_u32 s7, s29, s9
	s_sub_u32 s9, s6, s38
	s_cselect_b32 s10, -1, 0
	s_cmp_lg_u32 s10, 0
	s_subb_u32 s10, s7, 0
	;; [unrolled: 4-line block ×3, first 2 shown]
	s_cmp_ge_u32 s9, s38
	s_cselect_b32 s13, -1, 0
	s_cmp_eq_u32 s10, 0
	s_cselect_b32 s13, s13, -1
	s_cmp_lg_u32 s13, 0
	s_cselect_b32 s10, s12, s10
	s_cselect_b32 s9, s11, s9
	s_cmp_ge_u32 s6, s38
	s_cselect_b32 s11, -1, 0
	s_cmp_eq_u32 s7, 0
	s_cselect_b32 s11, s11, -1
	s_cmp_lg_u32 s11, 0
	s_cselect_b32 s7, s10, s7
	s_cselect_b32 s6, s9, s6
	s_cbranch_execnz .LBB165_71
.LBB165_70:                             ;   in Loop: Header=BB165_31 Depth=1
	v_cvt_f32_u32_e32 v3, s38
	s_sub_i32 s7, 0, s38
	v_rcp_iflag_f32_e32 v3, v3
	v_mul_f32_e32 v3, 0x4f7ffffe, v3
	v_cvt_u32_f32_e32 v3, v3
	v_readfirstlane_b32 s6, v3
	s_mul_i32 s7, s7, s6
	s_mul_hi_u32 s7, s6, s7
	s_add_i32 s6, s6, s7
	s_mul_hi_u32 s6, s28, s6
	s_mul_i32 s6, s6, s38
	s_sub_i32 s6, s28, s6
	s_sub_i32 s7, s6, s38
	s_cmp_ge_u32 s6, s38
	s_cselect_b32 s6, s7, s6
	s_sub_i32 s7, s6, s38
	s_cmp_ge_u32 s6, s38
	s_cselect_b32 s56, s7, s6
	s_mov_b64 s[6:7], s[56:57]
.LBB165_71:                             ;   in Loop: Header=BB165_31 Depth=1
	v_mov_b32_e32 v8, 0
	v_mov_b32_e32 v10, 0
	;; [unrolled: 1-line block ×8, first 2 shown]
	s_sub_u32 s70, s28, s6
	s_subb_u32 s71, s29, s7
	s_mov_b32 s39, exec_lo
	v_cmpx_gt_u64_e64 s[70:71], v[20:21]
	s_cbranch_execz .LBB165_75
; %bb.72:                               ;   in Loop: Header=BB165_31 Depth=1
	v_mov_b32_e32 v3, v28
	v_mov_b32_e32 v39, v27
	;; [unrolled: 1-line block ×10, first 2 shown]
	s_mul_i32 s6, s67, s2
	s_mul_hi_u32 s7, s66, s2
	s_mul_i32 s56, s66, s2
	s_add_i32 s53, s7, s6
	s_mov_b64 s[72:73], 0
	s_mov_b32 s58, 0
	s_mov_b64 s[74:75], 0
	s_mov_b64 s[76:77], 0
	;; [unrolled: 1-line block ×3, first 2 shown]
.LBB165_73:                             ;   Parent Loop BB165_31 Depth=1
                                        ; =>  This Inner Loop Header: Depth=2
	v_add_co_u32 v8, vcc_lo, v3, s46
	v_add_co_ci_u32_e64 v9, null, s47, v4, vcc_lo
	global_load_dwordx2 v[8:9], v[8:9], off
	s_waitcnt vmcnt(0)
	v_xor_b32_e32 v9, 0x80000000, v9
	v_and_b32_e32 v10, v8, v34
	v_and_b32_e32 v11, v9, v35
	v_lshrrev_b64 v[8:9], s50, v[8:9]
	v_cmp_eq_u64_e32 vcc_lo, v[10:11], v[30:31]
	v_add_co_u32 v10, s6, v38, s46
	v_add_co_ci_u32_e64 v11, null, s47, v39, s6
	v_and_b32_e32 v18, 3, v8
	global_load_dwordx2 v[10:11], v[10:11], off
	v_cmp_eq_u64_e64 s22, 0, v[18:19]
	v_cmp_eq_u64_e64 s23, 1, v[18:19]
	s_and_b32 s22, vcc_lo, s22
	v_cndmask_b32_e64 v5, 0, 1, s22
	v_cmp_ne_u32_e64 s22, 0, v5
	s_bcnt1_i32_b32 s22, s22
	s_waitcnt vmcnt(0)
	v_xor_b32_e32 v11, 0x80000000, v11
	v_and_b32_e32 v12, v10, v34
	v_and_b32_e32 v13, v11, v35
	v_lshrrev_b64 v[8:9], s50, v[10:11]
	v_mov_b32_e32 v9, v19
	v_cmp_eq_u64_e64 s6, v[12:13], v[30:31]
	v_add_co_u32 v12, s7, v40, s46
	v_add_co_ci_u32_e64 v13, null, s47, v41, s7
	v_and_b32_e32 v8, 3, v8
	global_load_dwordx2 v[12:13], v[12:13], off
	v_cmp_eq_u64_e64 s10, 0, v[8:9]
	v_cmp_eq_u64_e64 s11, 1, v[8:9]
	;; [unrolled: 1-line block ×4, first 2 shown]
	s_and_b32 s10, s6, s10
	v_cndmask_b32_e64 v5, 0, 1, s10
	v_cmp_ne_u32_e64 s10, 0, v5
	s_bcnt1_i32_b32 s10, s10
	s_add_i32 s10, s10, s22
	s_waitcnt vmcnt(0)
	v_xor_b32_e32 v13, 0x80000000, v13
	v_and_b32_e32 v14, v12, v34
	v_and_b32_e32 v15, v13, v35
	v_lshrrev_b64 v[8:9], s50, v[12:13]
	v_mov_b32_e32 v9, v19
	v_cmp_eq_u64_e64 s7, v[14:15], v[30:31]
	v_add_co_u32 v14, s9, v42, s46
	v_add_co_ci_u32_e64 v15, null, s47, v43, s9
	v_and_b32_e32 v8, 3, v8
	global_load_dwordx2 v[14:15], v[14:15], off
	v_cmp_eq_u64_e64 s14, 0, v[8:9]
	v_cmp_eq_u64_e64 s15, 1, v[8:9]
	;; [unrolled: 1-line block ×4, first 2 shown]
	s_and_b32 s14, s7, s14
	v_cndmask_b32_e64 v5, 0, 1, s14
	v_cmp_ne_u32_e64 s14, 0, v5
	s_bcnt1_i32_b32 s14, s14
	s_add_i32 s10, s10, s14
	s_waitcnt vmcnt(0)
	v_xor_b32_e32 v15, 0x80000000, v15
	v_and_b32_e32 v53, v14, v34
	v_lshrrev_b64 v[8:9], s50, v[14:15]
	v_and_b32_e32 v54, v15, v35
	v_mov_b32_e32 v9, v19
	v_and_b32_e32 v8, 3, v8
	v_cmp_eq_u64_e64 s9, v[53:54], v[30:31]
	v_cmp_eq_u64_e64 s18, 0, v[8:9]
	;; [unrolled: 1-line block ×5, first 2 shown]
	s_and_b32 s18, s9, s18
	v_cndmask_b32_e64 v5, 0, 1, s18
	v_cmp_ne_u32_e64 s18, 0, v5
	s_bcnt1_i32_b32 s18, s18
	s_add_i32 s10, s10, s18
	v_cmp_eq_u64_e64 s18, 2, v[18:19]
	s_add_u32 s78, s78, s10
	s_addc_u32 s79, s79, 0
	s_and_b32 s10, vcc_lo, s23
	s_and_b32 s11, s6, s11
	v_cndmask_b32_e64 v5, 0, 1, s10
	s_and_b32 s14, s7, s15
	s_and_b32 s15, s9, s19
	v_mov_b32_e32 v8, s78
	v_mov_b32_e32 v9, s79
	v_cmp_ne_u32_e64 s10, 0, v5
	v_cndmask_b32_e64 v5, 0, 1, s11
	s_bcnt1_i32_b32 s10, s10
	v_cmp_ne_u32_e64 s11, 0, v5
	v_cndmask_b32_e64 v5, 0, 1, s14
	s_bcnt1_i32_b32 s11, s11
	v_cmp_ne_u32_e64 s14, 0, v5
	v_cndmask_b32_e64 v5, 0, 1, s15
	s_add_i32 s10, s11, s10
	s_bcnt1_i32_b32 s14, s14
	v_cmp_ne_u32_e64 s15, 0, v5
	s_add_i32 s10, s10, s14
	s_bcnt1_i32_b32 s15, s15
	s_add_i32 s10, s10, s15
	v_cmp_eq_u64_e64 s15, 3, v[18:19]
	s_add_u32 s76, s76, s10
	s_addc_u32 s77, s77, 0
	s_and_b32 s10, vcc_lo, s18
	s_and_b32 s11, s6, s12
	v_cndmask_b32_e64 v5, 0, 1, s10
	s_and_b32 s12, s7, s16
	s_and_b32 s14, s9, s20
	v_mov_b32_e32 v10, s76
	v_mov_b32_e32 v11, s77
	v_cmp_ne_u32_e64 s10, 0, v5
	v_cndmask_b32_e64 v5, 0, 1, s11
	s_bcnt1_i32_b32 s10, s10
	v_cmp_ne_u32_e64 s11, 0, v5
	v_cndmask_b32_e64 v5, 0, 1, s12
	s_bcnt1_i32_b32 s11, s11
	v_cmp_ne_u32_e64 s12, 0, v5
	v_cndmask_b32_e64 v5, 0, 1, s14
	s_add_i32 s10, s11, s10
	v_add_co_u32 v42, s11, v42, s56
	s_bcnt1_i32_b32 s12, s12
	v_cmp_ne_u32_e64 s14, 0, v5
	s_add_i32 s10, s10, s12
	v_add_co_ci_u32_e64 v43, null, s53, v43, s11
	v_add_co_u32 v40, s12, v40, s56
	s_bcnt1_i32_b32 s14, s14
	v_add_co_ci_u32_e64 v41, null, s53, v41, s12
	s_add_i32 s10, s10, s14
	v_add_co_u32 v3, s14, v3, s56
	s_add_u32 s74, s74, s10
	s_addc_u32 s75, s75, 0
	s_and_b32 s10, vcc_lo, s15
	s_and_b32 s6, s6, s13
	v_cndmask_b32_e64 v5, 0, 1, s10
	s_and_b32 s7, s7, s17
	s_and_b32 s9, s9, s21
	v_add_co_u32 v44, s10, v44, s38
	v_cmp_ne_u32_e32 vcc_lo, 0, v5
	v_cndmask_b32_e64 v5, 0, 1, s6
	v_add_co_ci_u32_e64 v45, null, 0, v45, s10
	v_add_co_u32 v38, s13, v38, s56
	v_cmp_ne_u32_e64 s6, 0, v5
	v_cndmask_b32_e64 v5, 0, 1, s7
	s_bcnt1_i32_b32 s11, vcc_lo
	v_cmp_le_u64_e64 s10, s[70:71], v[44:45]
	v_mov_b32_e32 v12, s74
	s_bcnt1_i32_b32 s6, s6
	v_cmp_ne_u32_e64 s7, 0, v5
	v_cndmask_b32_e64 v5, 0, 1, s9
	s_add_i32 s6, s6, s11
	v_add_co_ci_u32_e64 v39, null, s53, v39, s13
	s_bcnt1_i32_b32 s7, s7
	v_cmp_ne_u32_e64 s9, 0, v5
	s_add_i32 s6, s6, s7
	v_add_co_ci_u32_e64 v4, null, s53, v4, s14
	v_mov_b32_e32 v13, s75
	s_bcnt1_i32_b32 s9, s9
	s_add_i32 s6, s6, s9
	s_add_u32 s72, s72, s6
	s_addc_u32 s73, s73, 0
	v_mov_b32_e32 v14, s72
	v_mov_b32_e32 v15, s73
	s_or_b32 s58, s10, s58
	s_andn2_b32 exec_lo, exec_lo, s58
	s_cbranch_execnz .LBB165_73
; %bb.74:                               ;   in Loop: Header=BB165_31 Depth=1
	s_or_b32 exec_lo, exec_lo, s58
.LBB165_75:                             ;   in Loop: Header=BB165_31 Depth=1
	s_or_b32 exec_lo, exec_lo, s39
	v_add_co_u32 v3, s6, s70, v0
	v_add_co_ci_u32_e64 v4, null, s71, 0, s6
	s_mov_b32 s11, exec_lo
	v_cmpx_gt_u64_e64 s[28:29], v[3:4]
	s_cbranch_execz .LBB165_81
; %bb.76:                               ;   in Loop: Header=BB165_31 Depth=1
	v_mul_lo_u32 v5, v4, s26
	v_mul_lo_u32 v18, v3, s27
	v_mad_u64_u32 v[38:39], null, v3, s26, 0
	s_mov_b32 s12, 0
	v_add3_u32 v39, v39, v18, v5
	v_lshlrev_b64 v[38:39], 3, v[38:39]
	v_add_co_u32 v38, vcc_lo, s82, v38
	v_add_co_ci_u32_e64 v39, null, s83, v39, vcc_lo
	global_load_dwordx2 v[40:41], v[38:39], off
	s_branch .LBB165_78
.LBB165_77:                             ;   in Loop: Header=BB165_78 Depth=2
	s_or_b32 exec_lo, exec_lo, s7
	s_waitcnt vmcnt(0)
	v_xor_b32_e32 v41, 0x80000000, v41
	s_and_b32 s9, exec_lo, vcc_lo
	s_or_b32 s12, s9, s12
	v_lshrrev_b64 v[42:43], s50, v[40:41]
	v_and_b32_e32 v40, v40, v34
	v_and_b32_e32 v41, v41, v35
	;; [unrolled: 1-line block ×3, first 2 shown]
	v_cmp_eq_u64_e64 s6, v[40:41], v[30:31]
	v_cmp_eq_u64_e64 s7, 0, v[18:19]
	v_cmp_eq_u64_e32 vcc_lo, 1, v[18:19]
	v_cmp_eq_u64_e64 s9, 2, v[18:19]
	v_cmp_eq_u64_e64 s10, 3, v[18:19]
	s_and_b32 s7, s6, s7
	v_cndmask_b32_e64 v5, 0, 1, s7
	s_and_b32 s7, s6, vcc_lo
	v_cndmask_b32_e64 v18, 0, 1, s7
	s_and_b32 s7, s6, s9
	s_and_b32 s6, s6, s10
	v_cndmask_b32_e64 v40, 0, 1, s7
	v_cmp_ne_u32_e32 vcc_lo, 0, v5
	v_cndmask_b32_e64 v41, 0, 1, s6
	v_cmp_ne_u32_e64 s6, 0, v18
	v_cmp_ne_u32_e64 s7, 0, v40
	s_bcnt1_i32_b32 s10, vcc_lo
	v_cmp_ne_u32_e64 s9, 0, v41
	s_bcnt1_i32_b32 s6, s6
	v_add_co_u32 v8, vcc_lo, v8, s10
	s_bcnt1_i32_b32 s7, s7
	v_add_co_ci_u32_e64 v9, null, 0, v9, vcc_lo
	v_add_co_u32 v10, vcc_lo, v10, s6
	v_add_co_ci_u32_e64 v11, null, 0, v11, vcc_lo
	v_add_co_u32 v12, vcc_lo, v12, s7
	s_bcnt1_i32_b32 s6, s9
	v_add_co_ci_u32_e64 v13, null, 0, v13, vcc_lo
	v_add_co_u32 v14, vcc_lo, v14, s6
	v_mov_b32_e32 v41, v39
	v_add_co_ci_u32_e64 v15, null, 0, v15, vcc_lo
	v_mov_b32_e32 v40, v38
	s_andn2_b32 exec_lo, exec_lo, s12
	s_cbranch_execz .LBB165_80
.LBB165_78:                             ;   Parent Loop BB165_31 Depth=1
                                        ; =>  This Inner Loop Header: Depth=2
	v_add_co_u32 v3, vcc_lo, v3, s2
	v_mov_b32_e32 v38, 0
	v_add_co_ci_u32_e64 v4, null, 0, v4, vcc_lo
	v_mov_b32_e32 v39, 0
	s_mov_b32 s7, exec_lo
	v_cmp_le_u64_e32 vcc_lo, s[28:29], v[3:4]
	v_cmpx_gt_u64_e64 s[28:29], v[3:4]
	s_cbranch_execz .LBB165_77
; %bb.79:                               ;   in Loop: Header=BB165_78 Depth=2
	v_mul_lo_u32 v5, v4, s26
	v_mul_lo_u32 v18, v3, s27
	v_mad_u64_u32 v[38:39], null, v3, s26, 0
	v_add3_u32 v39, v39, v18, v5
	v_lshlrev_b64 v[38:39], 3, v[38:39]
	v_add_co_u32 v38, s6, s82, v38
	v_add_co_ci_u32_e64 v39, null, s83, v39, s6
	global_load_dwordx2 v[38:39], v[38:39], off
	s_branch .LBB165_77
.LBB165_80:                             ;   in Loop: Header=BB165_31 Depth=1
	s_or_b32 exec_lo, exec_lo, s12
.LBB165_81:                             ;   in Loop: Header=BB165_31 Depth=1
	s_or_b32 exec_lo, exec_lo, s11
	s_branch .LBB165_60
.LBB165_82:                             ;   in Loop: Header=BB165_31 Depth=1
	global_load_ushort v5, v19, s[60:61]
	v_mov_b32_e32 v8, 0
	v_mov_b32_e32 v10, 0
	;; [unrolled: 1-line block ×8, first 2 shown]
	s_mov_b32 s39, exec_lo
	s_waitcnt vmcnt(0)
	v_readfirstlane_b32 s2, v5
	s_and_b32 s2, 0xffff, s2
	s_lshl_b32 s38, s2, 2
	v_cvt_f32_u32_e32 v3, s38
	s_sub_i32 s7, 0, s38
	v_rcp_iflag_f32_e32 v3, v3
	v_mul_f32_e32 v3, 0x4f7ffffe, v3
	v_cvt_u32_f32_e32 v3, v3
	v_readfirstlane_b32 s6, v3
	s_mul_i32 s7, s7, s6
	s_mul_hi_u32 s7, s6, s7
	s_add_i32 s6, s6, s7
	s_mul_hi_u32 s6, s68, s6
	s_mul_i32 s7, s6, s38
	s_add_i32 s9, s6, 1
	s_sub_i32 s7, s68, s7
	s_sub_i32 s10, s7, s38
	s_cmp_ge_u32 s7, s38
	s_cselect_b32 s6, s9, s6
	s_cselect_b32 s7, s10, s7
	s_add_i32 s9, s6, 1
	s_cmp_ge_u32 s7, s38
	s_cselect_b32 s6, s9, s6
	s_mul_hi_u32 s71, s2, s6
	s_mul_i32 s70, s2, s6
	s_lshl_b64 s[72:73], s[70:71], 2
	v_cmpx_gt_u64_e64 s[72:73], v[20:21]
	s_cbranch_execz .LBB165_86
; %bb.83:                               ;   in Loop: Header=BB165_31 Depth=1
	v_mov_b32_e32 v3, v20
	v_mov_b32_e32 v38, v50
	;; [unrolled: 1-line block ×3, first 2 shown]
	s_lshl_b32 s53, s2, 5
	s_mov_b64 s[74:75], 0
	s_mov_b32 s56, 0
	s_mov_b64 s[76:77], 0
	s_mov_b64 s[78:79], 0
	;; [unrolled: 1-line block ×3, first 2 shown]
.LBB165_84:                             ;   Parent Loop BB165_31 Depth=1
                                        ; =>  This Inner Loop Header: Depth=2
	ds_read_b128 v[8:11], v38
	s_waitcnt lgkmcnt(0)
	v_xor_b32_e32 v9, 0x80000000, v9
	v_xor_b32_e32 v11, 0x80000000, v11
	v_and_b32_e32 v12, v8, v34
	v_and_b32_e32 v14, v10, v34
	v_lshrrev_b64 v[39:40], s50, v[8:9]
	v_and_b32_e32 v13, v9, v35
	v_and_b32_e32 v15, v11, v35
	v_lshrrev_b64 v[40:41], s50, v[10:11]
	ds_read_b128 v[8:11], v38 offset:16
	v_add_nc_u32_e32 v38, s53, v38
	v_and_b32_e32 v18, 3, v39
	v_cmp_eq_u64_e32 vcc_lo, v[12:13], v[30:31]
	v_cmp_eq_u64_e64 s6, v[14:15], v[30:31]
	v_cmp_eq_u64_e64 s22, 0, v[18:19]
	v_cmp_eq_u64_e64 s23, 1, v[18:19]
	s_and_b32 s22, vcc_lo, s22
	s_waitcnt lgkmcnt(0)
	v_xor_b32_e32 v9, 0x80000000, v9
	v_xor_b32_e32 v11, 0x80000000, v11
	v_and_b32_e32 v41, v8, v34
	v_and_b32_e32 v43, v10, v34
	;; [unrolled: 1-line block ×3, first 2 shown]
	v_lshrrev_b64 v[8:9], s50, v[8:9]
	v_lshrrev_b64 v[9:10], s50, v[10:11]
	v_and_b32_e32 v44, v11, v35
	v_and_b32_e32 v10, 3, v40
	v_mov_b32_e32 v11, v19
	v_cmp_eq_u64_e64 s7, v[41:42], v[30:31]
	v_cmp_eq_u64_e64 s9, v[43:44], v[30:31]
	;; [unrolled: 1-line block ×6, first 2 shown]
	v_and_b32_e32 v10, 3, v8
	v_and_b32_e32 v8, 3, v9
	v_mov_b32_e32 v9, v19
	s_and_b32 s10, s6, s10
	v_cmp_eq_u64_e64 s14, 0, v[10:11]
	v_cmp_eq_u64_e64 s15, 1, v[10:11]
	;; [unrolled: 1-line block ×6, first 2 shown]
	v_cndmask_b32_e64 v8, 0, 1, s22
	s_and_b32 s14, s7, s14
	s_and_b32 s18, s9, s18
	v_cmp_eq_u64_e64 s16, 2, v[10:11]
	v_cmp_eq_u64_e64 s17, 3, v[10:11]
	v_cmp_ne_u32_e64 s22, 0, v8
	v_cndmask_b32_e64 v8, 0, 1, s10
	s_bcnt1_i32_b32 s22, s22
	v_cmp_ne_u32_e64 s10, 0, v8
	v_cndmask_b32_e64 v8, 0, 1, s14
	s_bcnt1_i32_b32 s10, s10
	v_cmp_ne_u32_e64 s14, 0, v8
	v_cndmask_b32_e64 v8, 0, 1, s18
	s_add_i32 s10, s10, s22
	s_bcnt1_i32_b32 s14, s14
	v_cmp_ne_u32_e64 s18, 0, v8
	s_add_i32 s10, s10, s14
	s_bcnt1_i32_b32 s18, s18
	s_add_i32 s10, s10, s18
	v_cmp_eq_u64_e64 s18, 2, v[18:19]
	s_add_u32 s80, s80, s10
	s_addc_u32 s81, s81, 0
	s_and_b32 s10, vcc_lo, s23
	s_and_b32 s11, s6, s11
	v_cndmask_b32_e64 v8, 0, 1, s10
	s_and_b32 s14, s7, s15
	s_and_b32 s15, s9, s19
	v_cmp_ne_u32_e64 s10, 0, v8
	v_cndmask_b32_e64 v8, 0, 1, s11
	s_bcnt1_i32_b32 s10, s10
	v_cmp_ne_u32_e64 s11, 0, v8
	v_cndmask_b32_e64 v8, 0, 1, s14
	s_bcnt1_i32_b32 s11, s11
	v_cmp_ne_u32_e64 s14, 0, v8
	v_cndmask_b32_e64 v8, 0, 1, s15
	s_add_i32 s10, s11, s10
	s_bcnt1_i32_b32 s14, s14
	v_cmp_ne_u32_e64 s15, 0, v8
	s_add_i32 s10, s10, s14
	s_bcnt1_i32_b32 s15, s15
	s_add_i32 s10, s10, s15
	v_cmp_eq_u64_e64 s15, 3, v[18:19]
	s_add_u32 s78, s78, s10
	s_addc_u32 s79, s79, 0
	s_and_b32 s10, vcc_lo, s18
	s_and_b32 s11, s6, s12
	v_cndmask_b32_e64 v8, 0, 1, s10
	s_and_b32 s12, s7, s16
	s_and_b32 s14, s9, s20
	v_mov_b32_e32 v10, s78
	v_mov_b32_e32 v11, s79
	v_cmp_ne_u32_e64 s10, 0, v8
	v_cndmask_b32_e64 v8, 0, 1, s11
	s_bcnt1_i32_b32 s10, s10
	v_cmp_ne_u32_e64 s11, 0, v8
	v_cndmask_b32_e64 v8, 0, 1, s12
	s_bcnt1_i32_b32 s11, s11
	v_cmp_ne_u32_e64 s12, 0, v8
	v_cndmask_b32_e64 v8, 0, 1, s14
	s_add_i32 s10, s11, s10
	s_bcnt1_i32_b32 s12, s12
	v_cmp_ne_u32_e64 s14, 0, v8
	s_add_i32 s10, s10, s12
	s_bcnt1_i32_b32 s14, s14
	s_add_i32 s10, s10, s14
	s_add_u32 s76, s76, s10
	s_addc_u32 s77, s77, 0
	s_and_b32 s10, vcc_lo, s15
	s_and_b32 s6, s6, s13
	v_cndmask_b32_e64 v8, 0, 1, s10
	s_and_b32 s7, s7, s17
	s_and_b32 s9, s9, s21
	v_add_co_u32 v3, s10, v3, s38
	v_cmp_ne_u32_e32 vcc_lo, 0, v8
	v_cndmask_b32_e64 v8, 0, 1, s6
	v_add_co_ci_u32_e64 v4, null, 0, v4, s10
	v_mov_b32_e32 v12, s76
	s_bcnt1_i32_b32 s11, vcc_lo
	v_cmp_ne_u32_e64 s6, 0, v8
	v_cndmask_b32_e64 v8, 0, 1, s7
	v_cmp_le_u64_e64 s10, s[72:73], v[3:4]
	v_mov_b32_e32 v13, s77
	s_bcnt1_i32_b32 s6, s6
	v_cmp_ne_u32_e64 s7, 0, v8
	v_cndmask_b32_e64 v8, 0, 1, s9
	s_add_i32 s6, s6, s11
	s_bcnt1_i32_b32 s7, s7
	v_cmp_ne_u32_e64 s9, 0, v8
	s_add_i32 s6, s6, s7
	v_mov_b32_e32 v8, s80
	v_mov_b32_e32 v9, s81
	s_bcnt1_i32_b32 s9, s9
	s_add_i32 s6, s6, s9
	s_add_u32 s74, s74, s6
	s_addc_u32 s75, s75, 0
	v_mov_b32_e32 v14, s74
	v_mov_b32_e32 v15, s75
	s_or_b32 s56, s10, s56
	s_andn2_b32 exec_lo, exec_lo, s56
	s_cbranch_execnz .LBB165_84
; %bb.85:                               ;   in Loop: Header=BB165_31 Depth=1
	s_or_b32 exec_lo, exec_lo, s56
.LBB165_86:                             ;   in Loop: Header=BB165_31 Depth=1
	s_or_b32 exec_lo, exec_lo, s39
	v_add_co_u32 v3, s6, s72, v0
	v_and_b32_e32 v5, 0xffff, v5
	v_add_co_ci_u32_e64 v4, null, s73, 0, s6
	s_and_b32 s56, s68, 0x7fffffff
	s_mov_b32 s12, exec_lo
	v_cmpx_gt_u64_e64 s[56:57], v[3:4]
	s_cbranch_execz .LBB165_90
; %bb.87:                               ;   in Loop: Header=BB165_31 Depth=1
	v_lshl_add_u32 v38, s70, 5, v48
	s_lshl_b32 s13, s2, 3
	s_mov_b32 s2, 0
.LBB165_88:                             ;   Parent Loop BB165_31 Depth=1
                                        ; =>  This Inner Loop Header: Depth=2
	ds_read_b64 v[39:40], v38
	v_add_co_u32 v3, vcc_lo, v3, v5
	v_add_co_ci_u32_e64 v4, null, 0, v4, vcc_lo
	v_add_nc_u32_e32 v38, s13, v38
	v_cmp_le_u64_e32 vcc_lo, s[56:57], v[3:4]
	s_waitcnt lgkmcnt(0)
	v_xor_b32_e32 v40, 0x80000000, v40
	v_and_b32_e32 v41, v39, v34
	v_and_b32_e32 v42, v40, v35
	v_lshrrev_b64 v[39:40], s50, v[39:40]
	v_cmp_eq_u64_e64 s6, v[41:42], v[30:31]
	v_and_b32_e32 v18, 3, v39
	v_cmp_eq_u64_e64 s7, 0, v[18:19]
	v_cmp_eq_u64_e64 s9, 1, v[18:19]
	;; [unrolled: 1-line block ×4, first 2 shown]
	s_and_b32 s7, s6, s7
	v_cndmask_b32_e64 v18, 0, 1, s7
	s_and_b32 s7, s6, s9
	v_cndmask_b32_e64 v39, 0, 1, s7
	s_and_b32 s7, s6, s10
	s_and_b32 s6, s6, s11
	v_cndmask_b32_e64 v40, 0, 1, s7
	v_cndmask_b32_e64 v41, 0, 1, s6
	v_cmp_ne_u32_e64 s6, 0, v18
	v_cmp_ne_u32_e64 s7, 0, v39
	;; [unrolled: 1-line block ×4, first 2 shown]
	s_bcnt1_i32_b32 s6, s6
	s_bcnt1_i32_b32 s7, s7
	v_add_co_u32 v8, s6, v8, s6
	s_bcnt1_i32_b32 s9, s9
	v_add_co_ci_u32_e64 v9, null, 0, v9, s6
	v_add_co_u32 v10, s6, v10, s7
	s_bcnt1_i32_b32 s10, s10
	v_add_co_ci_u32_e64 v11, null, 0, v11, s6
	v_add_co_u32 v12, s6, v12, s9
	v_add_co_ci_u32_e64 v13, null, 0, v13, s6
	v_add_co_u32 v14, s6, v14, s10
	v_add_co_ci_u32_e64 v15, null, 0, v15, s6
	s_or_b32 s2, vcc_lo, s2
	s_andn2_b32 exec_lo, exec_lo, s2
	s_cbranch_execnz .LBB165_88
; %bb.89:                               ;   in Loop: Header=BB165_31 Depth=1
	s_or_b32 exec_lo, exec_lo, s2
.LBB165_90:                             ;   in Loop: Header=BB165_31 Depth=1
	s_or_b32 exec_lo, exec_lo, s12
	s_lshl_b32 s2, s98, 7
	s_and_saveexec_b32 s6, s0
	s_cbranch_execnz .LBB165_61
	s_branch .LBB165_62
.LBB165_91:                             ;   in Loop: Header=BB165_31 Depth=1
                                        ; implicit-def: $sgpr6_sgpr7
	s_branch .LBB165_70
.LBB165_92:                             ;   in Loop: Header=BB165_31 Depth=1
	s_mov_b32 s7, 0
.LBB165_93:                             ;   in Loop: Header=BB165_31 Depth=1
	v_readlane_b32 s9, v55, 8
	s_andn2_b32 vcc_lo, exec_lo, s9
	s_cbranch_vccnz .LBB165_96
; %bb.94:                               ;   in Loop: Header=BB165_31 Depth=1
	s_lshl_b32 s9, s98, 10
	s_lshl_b32 s7, s7, 5
	v_add3_u32 v5, s9, s7, v52
	v_readlane_b32 s7, v55, 7
.LBB165_95:                             ;   Parent Loop BB165_31 Depth=1
                                        ; =>  This Inner Loop Header: Depth=2
	ds_read_b64 v[8:9], v5
	v_add_nc_u32_e32 v5, 32, v5
	s_add_i32 s7, s7, -1
	s_cmp_lg_u32 s7, 0
	s_waitcnt lgkmcnt(0)
	v_add_co_u32 v3, vcc_lo, v8, v3
	v_add_co_ci_u32_e64 v4, null, v9, v4, vcc_lo
	s_cbranch_scc1 .LBB165_95
.LBB165_96:                             ;   in Loop: Header=BB165_31 Depth=1
	v_add_lshl_u32 v5, s2, v47, 3
	ds_write_b64 v5, v[3:4] offset:3072
.LBB165_97:                             ;   in Loop: Header=BB165_31 Depth=1
	s_or_b32 exec_lo, exec_lo, s6
	s_lshl_b32 s2, s2, 3
	s_waitcnt lgkmcnt(0)
	v_mov_b32_e32 v3, s2
	s_barrier
	buffer_gl0_inv
	v_cmp_eq_u64_e64 s7, 1, v[36:37]
	s_lshl_b64 s[12:13], 3, s50
	ds_read_b128 v[8:11], v3 offset:3072
	ds_read_b128 v[12:15], v3 offset:3088
	s_mov_b32 s74, -1
	s_not_b64 s[14:15], s[12:13]
	s_mov_b32 s9, 0
	s_andn2_b32 vcc_lo, exec_lo, s84
	s_mov_b32 s70, 0
	s_mov_b32 s53, 0
                                        ; implicit-def: $sgpr72
                                        ; implicit-def: $sgpr73
                                        ; implicit-def: $vgpr38_vgpr39
                                        ; implicit-def: $vgpr44
	s_waitcnt lgkmcnt(1)
	v_readfirstlane_b32 s11, v9
	v_readfirstlane_b32 s10, v8
	;; [unrolled: 1-line block ×4, first 2 shown]
	s_waitcnt lgkmcnt(0)
	v_readfirstlane_b32 s19, v13
	v_readfirstlane_b32 s18, v12
	;; [unrolled: 1-line block ×4, first 2 shown]
                                        ; implicit-def: $vgpr14_vgpr15
                                        ; implicit-def: $vgpr12_vgpr13
                                        ; implicit-def: $vgpr10_vgpr11
	s_cbranch_vccnz .LBB165_292
; %bb.98:                               ;   in Loop: Header=BB165_31 Depth=1
	s_cmp_eq_u64 s[10:11], 1
	v_mov_b32_e32 v14, v30
	v_mov_b32_e32 v12, v34
	;; [unrolled: 1-line block ×6, first 2 shown]
	s_cselect_b32 s2, -1, 0
	s_mov_b32 s6, -1
	s_and_b32 s2, s2, s7
                                        ; implicit-def: $sgpr73
                                        ; implicit-def: $sgpr72
	s_and_saveexec_b32 s38, s2
	s_cbranch_execz .LBB165_133
; %bb.99:                               ;   in Loop: Header=BB165_31 Depth=1
	ds_read_b64 v[3:4], v19 offset:5120
	s_waitcnt lgkmcnt(0)
	s_barrier
	buffer_gl0_inv
	v_readfirstlane_b32 s22, v3
	v_readfirstlane_b32 s23, v4
	s_and_saveexec_b32 s6, s8
; %bb.100:                              ;   in Loop: Header=BB165_31 Depth=1
	v_mov_b32_e32 v18, v19
	ds_write_b64 v49, v[18:19]
; %bb.101:                              ;   in Loop: Header=BB165_31 Depth=1
	s_or_b32 exec_lo, exec_lo, s6
	v_and_b32_e32 v15, s15, v31
	v_and_b32_e32 v14, s14, v30
	v_or_b32_e32 v13, s13, v35
	v_or_b32_e32 v12, s12, v34
	s_mov_b32 s72, -1
	s_mov_b32 s73, 0
	s_cmp_eq_u64 s[22:23], 0
	s_mov_b32 s39, 0
	s_mov_b32 s6, -1
	s_waitcnt lgkmcnt(0)
	s_barrier
	buffer_gl0_inv
                                        ; implicit-def: $vgpr10_vgpr11
	s_cbranch_scc1 .LBB165_118
; %bb.102:                              ;   in Loop: Header=BB165_31 Depth=1
	s_add_u32 s6, s22, s89
	s_addc_u32 s69, s23, s90
	s_mov_b32 s68, s57
	s_cmp_lg_u64 s[68:69], 0
	s_cbranch_scc0 .LBB165_159
; %bb.103:                              ;   in Loop: Header=BB165_31 Depth=1
	v_cvt_f32_u32_e32 v3, s33
	s_sub_u32 s45, 0, s33
	s_subb_u32 s53, 0, 0
	v_fmac_f32_e64 v3, 0x4f800000, 0
	v_rcp_f32_e32 v3, v3
	v_mul_f32_e32 v3, 0x5f7ffffc, v3
	v_mul_f32_e32 v4, 0x2f800000, v3
	v_trunc_f32_e32 v4, v4
	v_fmac_f32_e32 v3, 0xcf800000, v4
	v_cvt_u32_f32_e32 v4, v4
	v_cvt_u32_f32_e32 v3, v3
	v_readfirstlane_b32 s39, v4
	v_readfirstlane_b32 s44, v3
	s_mul_i32 s56, s45, s39
	s_mul_hi_u32 s62, s45, s44
	s_mul_i32 s58, s53, s44
	s_add_i32 s56, s62, s56
	s_mul_i32 s63, s45, s44
	s_add_i32 s56, s56, s58
	s_mul_hi_u32 s62, s44, s63
	s_mul_i32 s70, s44, s56
	s_mul_hi_u32 s68, s39, s63
	s_mul_i32 s58, s39, s63
	s_mul_hi_u32 s63, s44, s56
	s_add_u32 s62, s62, s70
	s_addc_u32 s63, 0, s63
	s_mul_hi_u32 s71, s39, s56
	s_add_u32 s58, s62, s58
	s_mul_i32 s56, s39, s56
	s_addc_u32 s58, s63, s68
	s_addc_u32 s62, s71, 0
	s_add_u32 s56, s58, s56
	s_addc_u32 s58, 0, s62
	s_add_u32 s44, s44, s56
	s_cselect_b32 s56, -1, 0
	s_mul_hi_u32 s62, s45, s44
	s_cmp_lg_u32 s56, 0
	s_mul_i32 s56, s45, s44
	s_addc_u32 s39, s39, s58
	s_mul_i32 s53, s53, s44
	s_mul_i32 s45, s45, s39
	s_mul_hi_u32 s58, s44, s56
	s_add_i32 s45, s62, s45
	s_mul_hi_u32 s62, s39, s56
	s_add_i32 s45, s45, s53
	s_mul_i32 s53, s39, s56
	s_mul_i32 s68, s44, s45
	s_mul_hi_u32 s63, s44, s45
	s_add_u32 s58, s58, s68
	s_addc_u32 s63, 0, s63
	s_mul_hi_u32 s56, s39, s45
	s_add_u32 s53, s58, s53
	s_mul_i32 s45, s39, s45
	s_addc_u32 s53, s63, s62
	s_addc_u32 s56, s56, 0
	s_add_u32 s45, s53, s45
	s_addc_u32 s53, 0, s56
	s_add_u32 s44, s44, s45
	s_cselect_b32 s45, -1, 0
	s_mul_hi_u32 s56, s6, s44
	s_cmp_lg_u32 s45, 0
	s_mul_hi_u32 s45, s69, s44
	s_addc_u32 s39, s39, s53
	s_mul_i32 s44, s69, s44
	s_mul_i32 s58, s6, s39
	s_mul_hi_u32 s53, s6, s39
	s_add_u32 s56, s56, s58
	s_addc_u32 s53, 0, s53
	s_mul_hi_u32 s62, s69, s39
	s_add_u32 s44, s56, s44
	s_mul_i32 s39, s69, s39
	s_addc_u32 s44, s53, s45
	s_addc_u32 s45, s62, 0
	s_add_u32 s39, s44, s39
	s_addc_u32 s44, 0, s45
	s_mul_hi_u32 s45, s33, s39
	s_mul_i32 s44, s33, s44
	s_mul_i32 s39, s33, s39
	s_add_i32 s45, s45, s44
	s_sub_u32 s39, s6, s39
	s_cselect_b32 s44, -1, 0
	s_cmp_lg_u32 s44, 0
	s_subb_u32 s44, s69, s45
	s_sub_u32 s45, s39, s33
	s_cselect_b32 s53, -1, 0
	s_cmp_lg_u32 s53, 0
	s_subb_u32 s53, s44, 0
	;; [unrolled: 4-line block ×3, first 2 shown]
	s_cmp_ge_u32 s45, s33
	s_cselect_b32 s62, -1, 0
	s_cmp_eq_u32 s53, 0
	s_cselect_b32 s62, s62, -1
	s_cmp_lg_u32 s62, 0
	s_cselect_b32 s53, s58, s53
	s_cselect_b32 s45, s56, s45
	s_cmp_ge_u32 s39, s33
	s_cselect_b32 s56, -1, 0
	s_cmp_eq_u32 s44, 0
	s_cselect_b32 s56, s56, -1
	s_cmp_lg_u32 s56, 0
	s_cselect_b32 s71, s53, s44
	s_cselect_b32 s70, s45, s39
	s_cbranch_execnz .LBB165_105
.LBB165_104:                            ;   in Loop: Header=BB165_31 Depth=1
	v_cvt_f32_u32_e32 v3, s33
	s_sub_i32 s44, 0, s33
	v_rcp_iflag_f32_e32 v3, v3
	v_mul_f32_e32 v3, 0x4f7ffffe, v3
	v_cvt_u32_f32_e32 v3, v3
	v_readfirstlane_b32 s39, v3
	s_mul_i32 s44, s44, s39
	s_mul_hi_u32 s44, s39, s44
	s_add_i32 s39, s39, s44
	s_mul_hi_u32 s39, s6, s39
	s_mul_i32 s39, s39, s33
	s_sub_i32 s39, s6, s39
	s_sub_i32 s44, s39, s33
	s_cmp_ge_u32 s39, s33
	s_cselect_b32 s39, s44, s39
	s_sub_i32 s44, s39, s33
	s_cmp_ge_u32 s39, s33
	s_cselect_b32 s56, s44, s39
	s_mov_b64 s[70:71], s[56:57]
.LBB165_105:                            ;   in Loop: Header=BB165_31 Depth=1
	s_sub_u32 s68, s6, s70
	s_subb_u32 s69, s69, s71
	s_mov_b32 s6, 0
	s_mov_b32 s39, 0
	s_mov_b32 s53, exec_lo
                                        ; implicit-def: $vgpr10_vgpr11
	v_cmpx_gt_u64_e64 s[68:69], v[0:1]
	s_cbranch_execz .LBB165_117
; %bb.106:                              ;   in Loop: Header=BB165_31 Depth=1
	v_mov_b32_e32 v39, v1
	v_mov_b32_e32 v18, v48
	;; [unrolled: 1-line block ×3, first 2 shown]
                                        ; implicit-def: $sgpr56
	s_inst_prefetch 0x1
	s_branch .LBB165_109
	.p2align	6
.LBB165_107:                            ;   in Loop: Header=BB165_109 Depth=2
	s_or_b32 exec_lo, exec_lo, s44
	s_waitcnt lgkmcnt(0)
	s_barrier
	buffer_gl0_inv
	ds_read_b128 v[8:11], v19 offset:3072
	s_mov_b32 s44, -1
	s_mov_b32 s45, -1
	s_waitcnt lgkmcnt(0)
	s_barrier
	buffer_gl0_inv
	v_cmp_ne_u64_e32 vcc_lo, 0, v[8:9]
	s_cbranch_vccz .LBB165_112
.LBB165_108:                            ;   in Loop: Header=BB165_109 Depth=2
	s_and_b32 s44, exec_lo, s44
	s_or_b32 s39, s44, s39
	s_andn2_b32 s44, s56, exec_lo
	s_and_b32 s45, s45, exec_lo
	s_or_b32 s56, s44, s45
	s_andn2_b32 exec_lo, exec_lo, s39
	s_cbranch_execz .LBB165_116
.LBB165_109:                            ;   Parent Loop BB165_31 Depth=1
                                        ; =>  This Inner Loop Header: Depth=2
	s_mov_b32 s44, exec_lo
	v_cmpx_gt_u64_e64 s[22:23], v[38:39]
	s_cbranch_execz .LBB165_107
; %bb.110:                              ;   in Loop: Header=BB165_109 Depth=2
	ds_read_b64 v[4:5], v18
	s_waitcnt lgkmcnt(0)
	v_xor_b32_e32 v3, 0x80000000, v5
	v_and_b32_e32 v8, v4, v12
	v_and_b32_e32 v9, v3, v13
	v_cmp_eq_u64_e32 vcc_lo, v[8:9], v[14:15]
	s_and_b32 exec_lo, exec_lo, vcc_lo
	s_cbranch_execz .LBB165_107
; %bb.111:                              ;   in Loop: Header=BB165_109 Depth=2
	v_mov_b32_e32 v3, v19
	ds_write_b128 v19, v[2:5] offset:3072
	s_branch .LBB165_107
.LBB165_112:                            ;   in Loop: Header=BB165_109 Depth=2
	v_add_co_u32 v38, vcc_lo, v38, s33
	v_add_co_ci_u32_e64 v39, null, 0, v39, vcc_lo
	v_add_nc_u32_e32 v18, s95, v18
	s_mov_b32 s45, 0
	v_cmp_le_u64_e32 vcc_lo, s[68:69], v[38:39]
	s_orn2_b32 s44, vcc_lo, exec_lo
	s_branch .LBB165_108
.LBB165_113:                            ;   in Loop: Header=BB165_31 Depth=1
	s_or_b32 exec_lo, exec_lo, s9
	s_waitcnt lgkmcnt(0)
	s_barrier
	buffer_gl0_inv
	s_and_saveexec_b32 s6, s3
	s_cbranch_execz .LBB165_115
; %bb.114:                              ;   in Loop: Header=BB165_31 Depth=1
	ds_read_b32 v3, v19 offset:5144
	s_waitcnt lgkmcnt(0)
	v_ashrrev_i32_e32 v4, 31, v3
	ds_write_b64 v19, v[3:4] offset:5120
.LBB165_115:                            ;   in Loop: Header=BB165_31 Depth=1
	s_or_b32 exec_lo, exec_lo, s6
	s_waitcnt lgkmcnt(0)
	s_mov_b32 s6, -1
	s_barrier
	s_and_b32 vcc_lo, exec_lo, s2
	s_cbranch_vccnz .LBB165_47
	s_branch .LBB165_56
.LBB165_116:                            ;   in Loop: Header=BB165_31 Depth=1
	s_inst_prefetch 0x2
	s_or_b32 exec_lo, exec_lo, s39
	s_and_b32 s39, s56, exec_lo
.LBB165_117:                            ;   in Loop: Header=BB165_31 Depth=1
	s_or_b32 exec_lo, exec_lo, s53
.LBB165_118:                            ;   in Loop: Header=BB165_31 Depth=1
	s_and_b32 vcc_lo, exec_lo, s6
	s_cbranch_vccz .LBB165_132
; %bb.119:                              ;   in Loop: Header=BB165_31 Depth=1
	s_mov_b32 s58, s57
	s_cmp_lg_u64 s[58:59], 0
	s_cbranch_scc0 .LBB165_160
; %bb.120:                              ;   in Loop: Header=BB165_31 Depth=1
	v_cvt_f32_u32_e32 v3, s33
	s_sub_u32 s23, 0, s33
	s_subb_u32 s44, 0, 0
	v_fmac_f32_e64 v3, 0x4f800000, 0
	v_rcp_f32_e32 v3, v3
	v_mul_f32_e32 v3, 0x5f7ffffc, v3
	v_mul_f32_e32 v4, 0x2f800000, v3
	v_trunc_f32_e32 v4, v4
	v_fmac_f32_e32 v3, 0xcf800000, v4
	v_cvt_u32_f32_e32 v4, v4
	v_cvt_u32_f32_e32 v3, v3
	v_readfirstlane_b32 s6, v4
	v_readfirstlane_b32 s22, v3
	s_mul_i32 s45, s23, s6
	s_mul_hi_u32 s56, s23, s22
	s_mul_i32 s53, s44, s22
	s_add_i32 s45, s56, s45
	s_mul_i32 s58, s23, s22
	s_add_i32 s45, s45, s53
	s_mul_hi_u32 s56, s22, s58
	s_mul_i32 s63, s22, s45
	s_mul_hi_u32 s62, s6, s58
	s_mul_i32 s53, s6, s58
	s_mul_hi_u32 s58, s22, s45
	s_add_u32 s56, s56, s63
	s_addc_u32 s58, 0, s58
	s_mul_hi_u32 s68, s6, s45
	s_add_u32 s53, s56, s53
	s_mul_i32 s45, s6, s45
	s_addc_u32 s53, s58, s62
	s_addc_u32 s56, s68, 0
	s_add_u32 s45, s53, s45
	s_addc_u32 s53, 0, s56
	s_add_u32 s22, s22, s45
	s_cselect_b32 s45, -1, 0
	s_mul_hi_u32 s56, s23, s22
	s_cmp_lg_u32 s45, 0
	s_mul_i32 s45, s23, s22
	s_addc_u32 s6, s6, s53
	s_mul_i32 s44, s44, s22
	s_mul_i32 s23, s23, s6
	s_mul_hi_u32 s53, s22, s45
	s_add_i32 s23, s56, s23
	s_mul_hi_u32 s56, s6, s45
	s_add_i32 s23, s23, s44
	s_mul_i32 s44, s6, s45
	s_mul_i32 s62, s22, s23
	s_mul_hi_u32 s58, s22, s23
	s_add_u32 s53, s53, s62
	s_addc_u32 s58, 0, s58
	s_mul_hi_u32 s45, s6, s23
	s_add_u32 s44, s53, s44
	s_mul_i32 s23, s6, s23
	s_addc_u32 s44, s58, s56
	s_addc_u32 s45, s45, 0
	s_add_u32 s23, s44, s23
	s_addc_u32 s44, 0, s45
	s_add_u32 s22, s22, s23
	s_cselect_b32 s23, -1, 0
	s_mul_hi_u32 s45, s91, s22
	s_cmp_lg_u32 s23, 0
	s_mul_hi_u32 s23, s59, s22
	s_addc_u32 s6, s6, s44
	s_mul_i32 s22, s59, s22
	s_mul_i32 s53, s91, s6
	s_mul_hi_u32 s44, s91, s6
	s_add_u32 s45, s45, s53
	s_addc_u32 s44, 0, s44
	s_mul_hi_u32 s56, s59, s6
	s_add_u32 s22, s45, s22
	s_mul_i32 s6, s59, s6
	s_addc_u32 s22, s44, s23
	s_addc_u32 s23, s56, 0
	s_add_u32 s6, s22, s6
	s_addc_u32 s22, 0, s23
	s_mul_hi_u32 s23, s33, s6
	s_mul_i32 s22, s33, s22
	s_mul_i32 s6, s33, s6
	s_add_i32 s23, s23, s22
	s_sub_u32 s6, s91, s6
	s_cselect_b32 s22, -1, 0
	s_cmp_lg_u32 s22, 0
	s_subb_u32 s22, s59, s23
	s_sub_u32 s23, s6, s33
	s_cselect_b32 s44, -1, 0
	s_cmp_lg_u32 s44, 0
	s_subb_u32 s44, s22, 0
	;; [unrolled: 4-line block ×3, first 2 shown]
	s_cmp_ge_u32 s23, s33
	s_cselect_b32 s56, -1, 0
	s_cmp_eq_u32 s44, 0
	s_cselect_b32 s56, s56, -1
	s_cmp_lg_u32 s56, 0
	s_cselect_b32 s44, s53, s44
	s_cselect_b32 s45, s45, s23
	s_cmp_ge_u32 s6, s33
	s_cselect_b32 s23, -1, 0
	s_cmp_eq_u32 s22, 0
	s_cselect_b32 s23, s23, -1
	s_cmp_lg_u32 s23, 0
	s_cselect_b32 s23, s44, s22
	s_cselect_b32 s22, s45, s6
	s_cbranch_execnz .LBB165_122
.LBB165_121:                            ;   in Loop: Header=BB165_31 Depth=1
	v_cvt_f32_u32_e32 v3, s33
	s_sub_i32 s22, 0, s33
	v_rcp_iflag_f32_e32 v3, v3
	v_mul_f32_e32 v3, 0x4f7ffffe, v3
	v_cvt_u32_f32_e32 v3, v3
	v_readfirstlane_b32 s6, v3
	s_mul_i32 s22, s22, s6
	s_mul_hi_u32 s22, s6, s22
	s_add_i32 s6, s6, s22
	s_mul_hi_u32 s6, s91, s6
	s_mul_i32 s6, s6, s33
	s_sub_i32 s6, s91, s6
	s_sub_i32 s22, s6, s33
	s_cmp_ge_u32 s6, s33
	s_cselect_b32 s6, s22, s6
	s_sub_i32 s22, s6, s33
	s_cmp_ge_u32 s6, s33
	s_cselect_b32 s56, s22, s6
	s_mov_b64 s[22:23], s[56:57]
.LBB165_122:                            ;   in Loop: Header=BB165_31 Depth=1
	s_sub_u32 s22, s91, s22
	s_subb_u32 s23, s59, s23
	s_mov_b32 s53, exec_lo
                                        ; implicit-def: $vgpr10_vgpr11
	v_cmpx_gt_u64_e64 s[22:23], v[0:1]
	s_cbranch_execz .LBB165_131
; %bb.123:                              ;   in Loop: Header=BB165_31 Depth=1
	v_mov_b32_e32 v39, v33
	v_mov_b32_e32 v41, v1
	;; [unrolled: 1-line block ×4, first 2 shown]
	s_mov_b32 s58, 0
                                        ; implicit-def: $sgpr56
	s_inst_prefetch 0x1
	s_branch .LBB165_126
	.p2align	6
.LBB165_124:                            ;   in Loop: Header=BB165_126 Depth=2
	s_or_b32 exec_lo, exec_lo, s6
	s_waitcnt lgkmcnt(0)
	s_barrier
	buffer_gl0_inv
	ds_read_b128 v[8:11], v19 offset:3072
	s_mov_b32 s6, -1
	s_mov_b32 s44, -1
	s_waitcnt lgkmcnt(0)
	s_barrier
	buffer_gl0_inv
	v_cmp_ne_u64_e32 vcc_lo, 0, v[8:9]
	s_cbranch_vccz .LBB165_129
.LBB165_125:                            ;   in Loop: Header=BB165_126 Depth=2
	s_and_b32 s6, exec_lo, s6
	s_or_b32 s58, s6, s58
	s_andn2_b32 s6, s56, exec_lo
	s_and_b32 s44, s44, exec_lo
	s_or_b32 s56, s6, s44
	s_andn2_b32 exec_lo, exec_lo, s58
	s_cbranch_execz .LBB165_130
.LBB165_126:                            ;   Parent Loop BB165_31 Depth=1
                                        ; =>  This Inner Loop Header: Depth=2
	s_mov_b32 s6, exec_lo
	v_cmpx_gt_u64_e64 s[28:29], v[40:41]
	s_cbranch_execz .LBB165_124
; %bb.127:                              ;   in Loop: Header=BB165_126 Depth=2
	global_load_dwordx2 v[4:5], v[38:39], off
	s_waitcnt vmcnt(0)
	v_xor_b32_e32 v3, 0x80000000, v5
	v_and_b32_e32 v8, v4, v12
	v_and_b32_e32 v9, v3, v13
	v_cmp_eq_u64_e32 vcc_lo, v[8:9], v[14:15]
	s_and_b32 exec_lo, exec_lo, vcc_lo
	s_cbranch_execz .LBB165_124
; %bb.128:                              ;   in Loop: Header=BB165_126 Depth=2
	v_mov_b32_e32 v3, v19
	ds_write_b128 v19, v[2:5] offset:3072
	s_branch .LBB165_124
.LBB165_129:                            ;   in Loop: Header=BB165_126 Depth=2
	v_add_co_u32 v40, vcc_lo, v40, s33
	v_add_co_ci_u32_e64 v41, null, 0, v41, vcc_lo
	v_add_co_u32 v38, s6, v38, s36
	v_add_co_ci_u32_e64 v39, null, s37, v39, s6
	v_cmp_le_u64_e32 vcc_lo, s[22:23], v[40:41]
	s_mov_b32 s44, 0
	s_orn2_b32 s6, vcc_lo, exec_lo
	s_branch .LBB165_125
.LBB165_130:                            ;   in Loop: Header=BB165_31 Depth=1
	s_inst_prefetch 0x2
	s_or_b32 exec_lo, exec_lo, s58
	s_andn2_b32 s6, s39, exec_lo
	s_and_b32 s22, s56, exec_lo
	s_or_b32 s39, s6, s22
.LBB165_131:                            ;   in Loop: Header=BB165_31 Depth=1
	s_or_b32 exec_lo, exec_lo, s53
	s_mov_b32 s72, 0
	s_mov_b32 s73, -1
.LBB165_132:                            ;   in Loop: Header=BB165_31 Depth=1
	s_orn2_b32 s6, s39, exec_lo
.LBB165_133:                            ;   in Loop: Header=BB165_31 Depth=1
	s_or_b32 exec_lo, exec_lo, s38
	s_mov_b32 s74, 0
	s_mov_b32 s70, 0
	;; [unrolled: 1-line block ×3, first 2 shown]
                                        ; implicit-def: $vgpr38_vgpr39
                                        ; implicit-def: $vgpr44
	s_and_saveexec_b32 s75, s6
	s_cbranch_execz .LBB165_291
; %bb.134:                              ;   in Loop: Header=BB165_31 Depth=1
	v_mov_b32_e32 v38, 1
	v_mov_b32_e32 v39, 0
	;; [unrolled: 1-line block ×3, first 2 shown]
	s_xor_b32 s22, s2, -1
	s_mov_b32 s6, 0
	s_and_saveexec_b32 s2, s22
	s_cbranch_execz .LBB165_143
; %bb.135:                              ;   in Loop: Header=BB165_31 Depth=1
	s_mov_b32 s6, exec_lo
	v_cmpx_ge_u64_e64 s[10:11], v[36:37]
	s_xor_b32 s6, exec_lo, s6
	s_cbranch_execz .LBB165_140
; %bb.136:                              ;   in Loop: Header=BB165_31 Depth=1
	ds_read_b64 v[3:4], v19 offset:5120
	v_and_b32_e32 v15, s15, v15
	v_and_b32_e32 v14, s14, v14
	v_or_b32_e32 v13, s13, v13
	v_or_b32_e32 v12, s12, v12
	s_waitcnt lgkmcnt(0)
	v_cmp_ne_u64_e32 vcc_lo, 0, v[3:4]
	s_cbranch_vccnz .LBB165_140
; %bb.137:                              ;   in Loop: Header=BB165_31 Depth=1
	s_and_saveexec_b32 s22, s3
; %bb.138:                              ;   in Loop: Header=BB165_31 Depth=1
	v_mov_b32_e32 v3, s10
	v_mov_b32_e32 v4, s11
	ds_write_b64 v19, v[3:4] offset:5128
; %bb.139:                              ;   in Loop: Header=BB165_31 Depth=1
	s_or_b32 exec_lo, exec_lo, s22
	s_waitcnt lgkmcnt(0)
	s_barrier
	buffer_gl0_inv
.LBB165_140:                            ;   in Loop: Header=BB165_31 Depth=1
	s_or_saveexec_b32 s6, s6
	v_mov_b32_e32 v39, v37
	v_mov_b32_e32 v44, 8
	;; [unrolled: 1-line block ×3, first 2 shown]
	s_mov_b32 s22, 0
	s_xor_b32 exec_lo, exec_lo, s6
; %bb.141:                              ;   in Loop: Header=BB165_31 Depth=1
	v_sub_co_u32 v38, vcc_lo, v36, s10
	v_subrev_co_ci_u32_e64 v39, null, s11, v37, vcc_lo
	v_mov_b32_e32 v44, 0
	s_mov_b32 s22, exec_lo
; %bb.142:                              ;   in Loop: Header=BB165_31 Depth=1
	s_or_b32 exec_lo, exec_lo, s6
	s_and_b32 s6, s22, exec_lo
.LBB165_143:                            ;   in Loop: Header=BB165_31 Depth=1
	s_or_b32 exec_lo, exec_lo, s2
	s_mov_b32 s2, -1
                                        ; implicit-def: $sgpr76
                                        ; implicit-def: $sgpr77
	s_and_saveexec_b32 s22, s6
	s_xor_b32 s53, exec_lo, s22
	s_cbranch_execz .LBB165_288
; %bb.144:                              ;   in Loop: Header=BB165_31 Depth=1
	v_cmp_eq_u64_e32 vcc_lo, 1, v[38:39]
	s_cmp_eq_u64 s[16:17], 1
	s_mov_b32 s6, -1
	s_cselect_b32 s2, -1, 0
                                        ; implicit-def: $sgpr77
                                        ; implicit-def: $sgpr76
	s_and_b32 s2, s2, vcc_lo
	s_and_saveexec_b32 s62, s2
	s_cbranch_execz .LBB165_178
; %bb.145:                              ;   in Loop: Header=BB165_31 Depth=1
	ds_read_b64 v[3:4], v19 offset:5120
	s_waitcnt lgkmcnt(0)
	s_barrier
	buffer_gl0_inv
	v_readfirstlane_b32 s22, v3
	v_readfirstlane_b32 s23, v4
	s_and_saveexec_b32 s6, s8
; %bb.146:                              ;   in Loop: Header=BB165_31 Depth=1
	v_mov_b32_e32 v18, v19
	ds_write_b64 v49, v[18:19]
; %bb.147:                              ;   in Loop: Header=BB165_31 Depth=1
	s_or_b32 exec_lo, exec_lo, s6
	v_and_b32_e32 v3, s15, v15
	v_and_b32_e32 v4, s14, v14
	s_lshl_b64 s[38:39], 1, s50
	v_or_b32_e32 v13, s13, v13
	v_or_b32_e32 v12, s12, v12
	v_or_b32_e32 v15, s39, v3
	v_or_b32_e32 v14, s38, v4
	s_mov_b32 s76, -1
	s_mov_b32 s77, 0
	s_cmp_eq_u64 s[22:23], 0
	s_mov_b32 s38, 0
	s_mov_b32 s6, -1
	s_waitcnt lgkmcnt(0)
	s_barrier
	buffer_gl0_inv
                                        ; implicit-def: $vgpr10_vgpr11
	s_cbranch_scc1 .LBB165_163
; %bb.148:                              ;   in Loop: Header=BB165_31 Depth=1
	s_add_u32 s6, s22, s89
	s_addc_u32 s69, s23, s90
	s_mov_b32 s68, s57
	s_cmp_lg_u64 s[68:69], 0
	s_cbranch_scc0 .LBB165_204
; %bb.149:                              ;   in Loop: Header=BB165_31 Depth=1
	v_cvt_f32_u32_e32 v3, s33
	s_sub_u32 s44, 0, s33
	s_subb_u32 s45, 0, 0
	v_fmac_f32_e64 v3, 0x4f800000, 0
	v_rcp_f32_e32 v3, v3
	v_mul_f32_e32 v3, 0x5f7ffffc, v3
	v_mul_f32_e32 v4, 0x2f800000, v3
	v_trunc_f32_e32 v4, v4
	v_fmac_f32_e32 v3, 0xcf800000, v4
	v_cvt_u32_f32_e32 v4, v4
	v_cvt_u32_f32_e32 v3, v3
	v_readfirstlane_b32 s38, v4
	v_readfirstlane_b32 s39, v3
	s_mul_i32 s56, s44, s38
	s_mul_hi_u32 s63, s44, s39
	s_mul_i32 s58, s45, s39
	s_add_i32 s56, s63, s56
	s_mul_i32 s68, s44, s39
	s_add_i32 s56, s56, s58
	s_mul_hi_u32 s63, s39, s68
	s_mul_i32 s71, s39, s56
	s_mul_hi_u32 s70, s38, s68
	s_mul_i32 s58, s38, s68
	s_mul_hi_u32 s68, s39, s56
	s_add_u32 s63, s63, s71
	s_addc_u32 s68, 0, s68
	s_mul_hi_u32 s78, s38, s56
	s_add_u32 s58, s63, s58
	s_mul_i32 s56, s38, s56
	s_addc_u32 s58, s68, s70
	s_addc_u32 s63, s78, 0
	s_add_u32 s56, s58, s56
	s_addc_u32 s58, 0, s63
	s_add_u32 s39, s39, s56
	s_cselect_b32 s56, -1, 0
	s_mul_hi_u32 s63, s44, s39
	s_cmp_lg_u32 s56, 0
	s_mul_i32 s56, s44, s39
	s_addc_u32 s38, s38, s58
	s_mul_i32 s45, s45, s39
	s_mul_i32 s44, s44, s38
	s_mul_hi_u32 s58, s39, s56
	s_add_i32 s44, s63, s44
	s_mul_hi_u32 s63, s38, s56
	s_add_i32 s44, s44, s45
	s_mul_i32 s45, s38, s56
	s_mul_i32 s70, s39, s44
	s_mul_hi_u32 s68, s39, s44
	s_add_u32 s58, s58, s70
	s_addc_u32 s68, 0, s68
	s_mul_hi_u32 s56, s38, s44
	s_add_u32 s45, s58, s45
	s_mul_i32 s44, s38, s44
	s_addc_u32 s45, s68, s63
	s_addc_u32 s56, s56, 0
	s_add_u32 s44, s45, s44
	s_addc_u32 s45, 0, s56
	s_add_u32 s39, s39, s44
	s_cselect_b32 s44, -1, 0
	s_mul_hi_u32 s56, s6, s39
	s_cmp_lg_u32 s44, 0
	s_mul_hi_u32 s44, s69, s39
	s_addc_u32 s38, s38, s45
	s_mul_i32 s39, s69, s39
	s_mul_i32 s58, s6, s38
	s_mul_hi_u32 s45, s6, s38
	s_add_u32 s56, s56, s58
	s_addc_u32 s45, 0, s45
	s_mul_hi_u32 s63, s69, s38
	s_add_u32 s39, s56, s39
	s_mul_i32 s38, s69, s38
	s_addc_u32 s39, s45, s44
	s_addc_u32 s44, s63, 0
	s_add_u32 s38, s39, s38
	s_addc_u32 s39, 0, s44
	s_mul_hi_u32 s44, s33, s38
	s_mul_i32 s39, s33, s39
	s_mul_i32 s38, s33, s38
	s_add_i32 s44, s44, s39
	s_sub_u32 s38, s6, s38
	s_cselect_b32 s39, -1, 0
	s_cmp_lg_u32 s39, 0
	s_subb_u32 s39, s69, s44
	s_sub_u32 s44, s38, s33
	s_cselect_b32 s45, -1, 0
	s_cmp_lg_u32 s45, 0
	s_subb_u32 s45, s39, 0
	;; [unrolled: 4-line block ×3, first 2 shown]
	s_cmp_ge_u32 s44, s33
	s_cselect_b32 s63, -1, 0
	s_cmp_eq_u32 s45, 0
	s_cselect_b32 s63, s63, -1
	s_cmp_lg_u32 s63, 0
	s_cselect_b32 s45, s58, s45
	s_cselect_b32 s44, s56, s44
	s_cmp_ge_u32 s38, s33
	s_cselect_b32 s56, -1, 0
	s_cmp_eq_u32 s39, 0
	s_cselect_b32 s56, s56, -1
	s_cmp_lg_u32 s56, 0
	s_cselect_b32 s71, s45, s39
	s_cselect_b32 s70, s44, s38
	s_cbranch_execnz .LBB165_151
.LBB165_150:                            ;   in Loop: Header=BB165_31 Depth=1
	v_cvt_f32_u32_e32 v3, s33
	s_sub_i32 s39, 0, s33
	v_rcp_iflag_f32_e32 v3, v3
	v_mul_f32_e32 v3, 0x4f7ffffe, v3
	v_cvt_u32_f32_e32 v3, v3
	v_readfirstlane_b32 s38, v3
	s_mul_i32 s39, s39, s38
	s_mul_hi_u32 s39, s38, s39
	s_add_i32 s38, s38, s39
	s_mul_hi_u32 s38, s6, s38
	s_mul_i32 s38, s38, s33
	s_sub_i32 s38, s6, s38
	s_sub_i32 s39, s38, s33
	s_cmp_ge_u32 s38, s33
	s_cselect_b32 s38, s39, s38
	s_sub_i32 s39, s38, s33
	s_cmp_ge_u32 s38, s33
	s_cselect_b32 s56, s39, s38
	s_mov_b64 s[70:71], s[56:57]
.LBB165_151:                            ;   in Loop: Header=BB165_31 Depth=1
	s_sub_u32 s68, s6, s70
	s_subb_u32 s69, s69, s71
	s_mov_b32 s6, 0
	s_mov_b32 s38, 0
	s_mov_b32 s39, exec_lo
                                        ; implicit-def: $vgpr10_vgpr11
	v_cmpx_gt_u64_e64 s[68:69], v[0:1]
	s_cbranch_execz .LBB165_162
; %bb.152:                              ;   in Loop: Header=BB165_31 Depth=1
	v_mov_b32_e32 v41, v1
	v_mov_b32_e32 v18, v48
	;; [unrolled: 1-line block ×3, first 2 shown]
                                        ; implicit-def: $sgpr56
	s_inst_prefetch 0x1
	s_branch .LBB165_155
	.p2align	6
.LBB165_153:                            ;   in Loop: Header=BB165_155 Depth=2
	s_or_b32 exec_lo, exec_lo, s58
	s_waitcnt lgkmcnt(0)
	s_barrier
	buffer_gl0_inv
	ds_read_b128 v[8:11], v19 offset:3072
	s_mov_b32 s44, -1
	s_mov_b32 s45, -1
	s_waitcnt lgkmcnt(0)
	s_barrier
	buffer_gl0_inv
	v_cmp_ne_u64_e32 vcc_lo, 0, v[8:9]
	s_cbranch_vccz .LBB165_158
.LBB165_154:                            ;   in Loop: Header=BB165_155 Depth=2
	s_and_b32 s44, exec_lo, s44
	s_or_b32 s38, s44, s38
	s_andn2_b32 s44, s56, exec_lo
	s_and_b32 s45, s45, exec_lo
	s_or_b32 s56, s44, s45
	s_andn2_b32 exec_lo, exec_lo, s38
	s_cbranch_execz .LBB165_161
.LBB165_155:                            ;   Parent Loop BB165_31 Depth=1
                                        ; =>  This Inner Loop Header: Depth=2
	s_mov_b32 s58, exec_lo
	v_cmpx_gt_u64_e64 s[22:23], v[40:41]
	s_cbranch_execz .LBB165_153
; %bb.156:                              ;   in Loop: Header=BB165_155 Depth=2
	ds_read_b64 v[4:5], v18
	s_waitcnt lgkmcnt(0)
	v_xor_b32_e32 v3, 0x80000000, v5
	v_and_b32_e32 v8, v4, v12
	v_and_b32_e32 v9, v3, v13
	v_cmp_eq_u64_e32 vcc_lo, v[8:9], v[14:15]
	s_and_b32 exec_lo, exec_lo, vcc_lo
	s_cbranch_execz .LBB165_153
; %bb.157:                              ;   in Loop: Header=BB165_155 Depth=2
	v_mov_b32_e32 v3, v19
	ds_write_b128 v19, v[2:5] offset:3072
	s_branch .LBB165_153
.LBB165_158:                            ;   in Loop: Header=BB165_155 Depth=2
	v_add_co_u32 v40, vcc_lo, v40, s33
	v_add_co_ci_u32_e64 v41, null, 0, v41, vcc_lo
	v_add_nc_u32_e32 v18, s95, v18
	s_mov_b32 s45, 0
	v_cmp_le_u64_e32 vcc_lo, s[68:69], v[40:41]
	s_orn2_b32 s44, vcc_lo, exec_lo
	s_branch .LBB165_154
.LBB165_159:                            ;   in Loop: Header=BB165_31 Depth=1
                                        ; implicit-def: $sgpr70_sgpr71
	s_branch .LBB165_104
.LBB165_160:                            ;   in Loop: Header=BB165_31 Depth=1
                                        ; implicit-def: $sgpr22_sgpr23
	s_branch .LBB165_121
.LBB165_161:                            ;   in Loop: Header=BB165_31 Depth=1
	s_inst_prefetch 0x2
	s_or_b32 exec_lo, exec_lo, s38
	s_and_b32 s38, s56, exec_lo
.LBB165_162:                            ;   in Loop: Header=BB165_31 Depth=1
	s_or_b32 exec_lo, exec_lo, s39
.LBB165_163:                            ;   in Loop: Header=BB165_31 Depth=1
	s_and_b32 vcc_lo, exec_lo, s6
	s_cbranch_vccz .LBB165_177
; %bb.164:                              ;   in Loop: Header=BB165_31 Depth=1
	s_mov_b32 s58, s57
	s_cmp_lg_u64 s[58:59], 0
	s_cbranch_scc0 .LBB165_205
; %bb.165:                              ;   in Loop: Header=BB165_31 Depth=1
	v_cvt_f32_u32_e32 v3, s33
	s_sub_u32 s23, 0, s33
	s_subb_u32 s39, 0, 0
	v_fmac_f32_e64 v3, 0x4f800000, 0
	v_rcp_f32_e32 v3, v3
	v_mul_f32_e32 v3, 0x5f7ffffc, v3
	v_mul_f32_e32 v4, 0x2f800000, v3
	v_trunc_f32_e32 v4, v4
	v_fmac_f32_e32 v3, 0xcf800000, v4
	v_cvt_u32_f32_e32 v4, v4
	v_cvt_u32_f32_e32 v3, v3
	v_readfirstlane_b32 s6, v4
	v_readfirstlane_b32 s22, v3
	s_mul_i32 s44, s23, s6
	s_mul_hi_u32 s56, s23, s22
	s_mul_i32 s45, s39, s22
	s_add_i32 s44, s56, s44
	s_mul_i32 s58, s23, s22
	s_add_i32 s44, s44, s45
	s_mul_hi_u32 s56, s22, s58
	s_mul_i32 s68, s22, s44
	s_mul_hi_u32 s63, s6, s58
	s_mul_i32 s45, s6, s58
	s_mul_hi_u32 s58, s22, s44
	s_add_u32 s56, s56, s68
	s_addc_u32 s58, 0, s58
	s_mul_hi_u32 s69, s6, s44
	s_add_u32 s45, s56, s45
	s_mul_i32 s44, s6, s44
	s_addc_u32 s45, s58, s63
	s_addc_u32 s56, s69, 0
	s_add_u32 s44, s45, s44
	s_addc_u32 s45, 0, s56
	s_add_u32 s22, s22, s44
	s_cselect_b32 s44, -1, 0
	s_mul_hi_u32 s56, s23, s22
	s_cmp_lg_u32 s44, 0
	s_mul_i32 s44, s23, s22
	s_addc_u32 s6, s6, s45
	s_mul_i32 s39, s39, s22
	s_mul_i32 s23, s23, s6
	s_mul_hi_u32 s45, s22, s44
	s_add_i32 s23, s56, s23
	s_mul_hi_u32 s56, s6, s44
	s_add_i32 s23, s23, s39
	s_mul_i32 s39, s6, s44
	s_mul_i32 s63, s22, s23
	s_mul_hi_u32 s58, s22, s23
	s_add_u32 s45, s45, s63
	s_addc_u32 s58, 0, s58
	s_mul_hi_u32 s44, s6, s23
	s_add_u32 s39, s45, s39
	s_mul_i32 s23, s6, s23
	s_addc_u32 s39, s58, s56
	s_addc_u32 s44, s44, 0
	s_add_u32 s23, s39, s23
	s_addc_u32 s39, 0, s44
	s_add_u32 s22, s22, s23
	s_cselect_b32 s23, -1, 0
	s_mul_hi_u32 s44, s91, s22
	s_cmp_lg_u32 s23, 0
	s_mul_hi_u32 s23, s59, s22
	s_addc_u32 s6, s6, s39
	s_mul_i32 s22, s59, s22
	s_mul_i32 s45, s91, s6
	s_mul_hi_u32 s39, s91, s6
	s_add_u32 s44, s44, s45
	s_addc_u32 s39, 0, s39
	s_mul_hi_u32 s56, s59, s6
	s_add_u32 s22, s44, s22
	s_mul_i32 s6, s59, s6
	s_addc_u32 s22, s39, s23
	s_addc_u32 s23, s56, 0
	s_add_u32 s6, s22, s6
	s_addc_u32 s22, 0, s23
	s_mul_hi_u32 s23, s33, s6
	s_mul_i32 s22, s33, s22
	s_mul_i32 s6, s33, s6
	s_add_i32 s23, s23, s22
	s_sub_u32 s6, s91, s6
	s_cselect_b32 s22, -1, 0
	s_cmp_lg_u32 s22, 0
	s_subb_u32 s22, s59, s23
	s_sub_u32 s23, s6, s33
	s_cselect_b32 s39, -1, 0
	s_cmp_lg_u32 s39, 0
	s_subb_u32 s39, s22, 0
	;; [unrolled: 4-line block ×3, first 2 shown]
	s_cmp_ge_u32 s23, s33
	s_cselect_b32 s56, -1, 0
	s_cmp_eq_u32 s39, 0
	s_cselect_b32 s56, s56, -1
	s_cmp_lg_u32 s56, 0
	s_cselect_b32 s39, s45, s39
	s_cselect_b32 s44, s44, s23
	s_cmp_ge_u32 s6, s33
	s_cselect_b32 s23, -1, 0
	s_cmp_eq_u32 s22, 0
	s_cselect_b32 s23, s23, -1
	s_cmp_lg_u32 s23, 0
	s_cselect_b32 s23, s39, s22
	s_cselect_b32 s22, s44, s6
	s_cbranch_execnz .LBB165_167
.LBB165_166:                            ;   in Loop: Header=BB165_31 Depth=1
	v_cvt_f32_u32_e32 v3, s33
	s_sub_i32 s22, 0, s33
	v_rcp_iflag_f32_e32 v3, v3
	v_mul_f32_e32 v3, 0x4f7ffffe, v3
	v_cvt_u32_f32_e32 v3, v3
	v_readfirstlane_b32 s6, v3
	s_mul_i32 s22, s22, s6
	s_mul_hi_u32 s22, s6, s22
	s_add_i32 s6, s6, s22
	s_mul_hi_u32 s6, s91, s6
	s_mul_i32 s6, s6, s33
	s_sub_i32 s6, s91, s6
	s_sub_i32 s22, s6, s33
	s_cmp_ge_u32 s6, s33
	s_cselect_b32 s6, s22, s6
	s_sub_i32 s22, s6, s33
	s_cmp_ge_u32 s6, s33
	s_cselect_b32 s56, s22, s6
	s_mov_b64 s[22:23], s[56:57]
.LBB165_167:                            ;   in Loop: Header=BB165_31 Depth=1
	s_sub_u32 s22, s91, s22
	s_subb_u32 s23, s59, s23
	s_mov_b32 s39, exec_lo
                                        ; implicit-def: $vgpr10_vgpr11
	v_cmpx_gt_u64_e64 s[22:23], v[0:1]
	s_cbranch_execz .LBB165_176
; %bb.168:                              ;   in Loop: Header=BB165_31 Depth=1
	v_mov_b32_e32 v41, v33
	v_mov_b32_e32 v43, v1
	;; [unrolled: 1-line block ×4, first 2 shown]
	s_mov_b32 s56, 0
                                        ; implicit-def: $sgpr58
	s_inst_prefetch 0x1
	s_branch .LBB165_171
	.p2align	6
.LBB165_169:                            ;   in Loop: Header=BB165_171 Depth=2
	s_or_b32 exec_lo, exec_lo, s6
	s_waitcnt lgkmcnt(0)
	s_barrier
	buffer_gl0_inv
	ds_read_b128 v[8:11], v19 offset:3072
	s_mov_b32 s6, -1
	s_mov_b32 s44, -1
	s_waitcnt lgkmcnt(0)
	s_barrier
	buffer_gl0_inv
	v_cmp_eq_u64_e32 vcc_lo, 0, v[8:9]
	s_cbranch_vccnz .LBB165_174
.LBB165_170:                            ;   in Loop: Header=BB165_171 Depth=2
	s_and_b32 s6, exec_lo, s6
	s_or_b32 s56, s6, s56
	s_andn2_b32 s6, s58, exec_lo
	s_and_b32 s44, s44, exec_lo
	s_or_b32 s58, s6, s44
	s_andn2_b32 exec_lo, exec_lo, s56
	s_cbranch_execz .LBB165_175
.LBB165_171:                            ;   Parent Loop BB165_31 Depth=1
                                        ; =>  This Inner Loop Header: Depth=2
	s_mov_b32 s6, exec_lo
	v_cmpx_gt_u64_e64 s[28:29], v[42:43]
	s_cbranch_execz .LBB165_169
; %bb.172:                              ;   in Loop: Header=BB165_171 Depth=2
	global_load_dwordx2 v[4:5], v[40:41], off
	s_waitcnt vmcnt(0)
	v_xor_b32_e32 v3, 0x80000000, v5
	v_and_b32_e32 v8, v4, v12
	v_and_b32_e32 v9, v3, v13
	v_cmp_eq_u64_e32 vcc_lo, v[8:9], v[14:15]
	s_and_b32 exec_lo, exec_lo, vcc_lo
	s_cbranch_execz .LBB165_169
; %bb.173:                              ;   in Loop: Header=BB165_171 Depth=2
	v_mov_b32_e32 v3, v19
	ds_write_b128 v19, v[2:5] offset:3072
	s_branch .LBB165_169
.LBB165_174:                            ;   in Loop: Header=BB165_171 Depth=2
	v_add_co_u32 v42, vcc_lo, v42, s33
	v_add_co_ci_u32_e64 v43, null, 0, v43, vcc_lo
	v_add_co_u32 v40, s6, v40, s36
	v_add_co_ci_u32_e64 v41, null, s37, v41, s6
	v_cmp_le_u64_e32 vcc_lo, s[22:23], v[42:43]
	s_mov_b32 s44, 0
	s_orn2_b32 s6, vcc_lo, exec_lo
	s_branch .LBB165_170
.LBB165_175:                            ;   in Loop: Header=BB165_31 Depth=1
	s_inst_prefetch 0x2
	s_or_b32 exec_lo, exec_lo, s56
	s_andn2_b32 s6, s38, exec_lo
	s_and_b32 s22, s58, exec_lo
	s_or_b32 s38, s6, s22
.LBB165_176:                            ;   in Loop: Header=BB165_31 Depth=1
	s_or_b32 exec_lo, exec_lo, s39
	s_mov_b32 s76, 0
	s_mov_b32 s77, -1
.LBB165_177:                            ;   in Loop: Header=BB165_31 Depth=1
	s_orn2_b32 s6, s38, exec_lo
.LBB165_178:                            ;   in Loop: Header=BB165_31 Depth=1
	s_or_b32 exec_lo, exec_lo, s62
	s_mov_b32 s22, 0
	s_and_saveexec_b32 s78, s6
	s_cbranch_execz .LBB165_287
; %bb.179:                              ;   in Loop: Header=BB165_31 Depth=1
	v_mov_b32_e32 v40, 1
	v_mov_b32_e32 v41, 0
	;; [unrolled: 1-line block ×3, first 2 shown]
	s_xor_b32 s22, s2, -1
	s_mov_b32 s6, 0
	s_and_saveexec_b32 s2, s22
	s_cbranch_execz .LBB165_188
; %bb.180:                              ;   in Loop: Header=BB165_31 Depth=1
	s_mov_b32 s6, exec_lo
	v_cmpx_ge_u64_e64 s[16:17], v[38:39]
	s_xor_b32 s6, exec_lo, s6
	s_cbranch_execz .LBB165_185
; %bb.181:                              ;   in Loop: Header=BB165_31 Depth=1
	ds_read_b64 v[3:4], v19 offset:5120
	v_and_b32_e32 v5, s15, v15
	v_and_b32_e32 v8, s14, v14
	s_lshl_b64 s[22:23], 1, s50
	v_or_b32_e32 v13, s13, v13
	v_or_b32_e32 v12, s12, v12
	;; [unrolled: 1-line block ×4, first 2 shown]
	s_waitcnt lgkmcnt(0)
	v_cmp_ne_u64_e32 vcc_lo, 0, v[3:4]
	s_cbranch_vccnz .LBB165_185
; %bb.182:                              ;   in Loop: Header=BB165_31 Depth=1
	s_and_saveexec_b32 s22, s3
; %bb.183:                              ;   in Loop: Header=BB165_31 Depth=1
	v_mov_b32_e32 v3, s16
	v_mov_b32_e32 v4, s17
	ds_write_b64 v19, v[3:4] offset:5128
; %bb.184:                              ;   in Loop: Header=BB165_31 Depth=1
	s_or_b32 exec_lo, exec_lo, s22
	s_waitcnt lgkmcnt(0)
	s_barrier
	buffer_gl0_inv
.LBB165_185:                            ;   in Loop: Header=BB165_31 Depth=1
	s_or_saveexec_b32 s6, s6
	v_mov_b32_e32 v44, 8
	s_mov_b32 s22, 0
	s_xor_b32 exec_lo, exec_lo, s6
; %bb.186:                              ;   in Loop: Header=BB165_31 Depth=1
	v_sub_co_u32 v38, vcc_lo, v38, s16
	v_subrev_co_ci_u32_e64 v39, null, s17, v39, vcc_lo
	v_mov_b32_e32 v44, 0
	s_mov_b32 s22, exec_lo
; %bb.187:                              ;   in Loop: Header=BB165_31 Depth=1
	s_or_b32 exec_lo, exec_lo, s6
	v_mov_b32_e32 v41, v39
	v_mov_b32_e32 v40, v38
	s_and_b32 s6, s22, exec_lo
.LBB165_188:                            ;   in Loop: Header=BB165_31 Depth=1
	s_or_b32 exec_lo, exec_lo, s2
	s_mov_b32 s2, -1
                                        ; implicit-def: $sgpr80
                                        ; implicit-def: $sgpr81
	s_and_saveexec_b32 s79, s6
	s_cbranch_execz .LBB165_286
; %bb.189:                              ;   in Loop: Header=BB165_31 Depth=1
	v_cmp_eq_u64_e32 vcc_lo, 1, v[40:41]
	s_cmp_eq_u64 s[18:19], 1
	s_mov_b32 s6, -1
	s_cselect_b32 s2, -1, 0
                                        ; implicit-def: $sgpr81
                                        ; implicit-def: $sgpr80
	s_and_b32 s62, s2, vcc_lo
	s_and_saveexec_b32 s2, s62
	s_cbranch_execz .LBB165_223
; %bb.190:                              ;   in Loop: Header=BB165_31 Depth=1
	ds_read_b64 v[3:4], v19 offset:5120
	s_waitcnt lgkmcnt(0)
	s_barrier
	buffer_gl0_inv
	v_readfirstlane_b32 s22, v3
	v_readfirstlane_b32 s23, v4
	s_and_saveexec_b32 s6, s8
; %bb.191:                              ;   in Loop: Header=BB165_31 Depth=1
	v_mov_b32_e32 v18, v19
	ds_write_b64 v49, v[18:19]
; %bb.192:                              ;   in Loop: Header=BB165_31 Depth=1
	s_or_b32 exec_lo, exec_lo, s6
	v_and_b32_e32 v3, s15, v15
	v_and_b32_e32 v4, s14, v14
	s_lshl_b64 s[38:39], 2, s50
	v_or_b32_e32 v13, s13, v13
	v_or_b32_e32 v12, s12, v12
	;; [unrolled: 1-line block ×4, first 2 shown]
	s_mov_b32 s80, -1
	s_mov_b32 s81, 0
	s_cmp_eq_u64 s[22:23], 0
	s_mov_b32 s38, 0
	s_mov_b32 s6, -1
	s_waitcnt lgkmcnt(0)
	s_barrier
	buffer_gl0_inv
                                        ; implicit-def: $vgpr10_vgpr11
	s_cbranch_scc1 .LBB165_208
; %bb.193:                              ;   in Loop: Header=BB165_31 Depth=1
	s_add_u32 s6, s22, s89
	s_addc_u32 s69, s23, s90
	s_mov_b32 s68, s57
	s_cmp_lg_u64 s[68:69], 0
	s_cbranch_scc0 .LBB165_240
; %bb.194:                              ;   in Loop: Header=BB165_31 Depth=1
	v_cvt_f32_u32_e32 v3, s33
	s_sub_u32 s44, 0, s33
	s_subb_u32 s45, 0, 0
	v_fmac_f32_e64 v3, 0x4f800000, 0
	v_rcp_f32_e32 v3, v3
	v_mul_f32_e32 v3, 0x5f7ffffc, v3
	v_mul_f32_e32 v4, 0x2f800000, v3
	v_trunc_f32_e32 v4, v4
	v_fmac_f32_e32 v3, 0xcf800000, v4
	v_cvt_u32_f32_e32 v4, v4
	v_cvt_u32_f32_e32 v3, v3
	v_readfirstlane_b32 s38, v4
	v_readfirstlane_b32 s39, v3
	s_mul_i32 s56, s44, s38
	s_mul_hi_u32 s63, s44, s39
	s_mul_i32 s58, s45, s39
	s_add_i32 s56, s63, s56
	s_mul_i32 s68, s44, s39
	s_add_i32 s56, s56, s58
	s_mul_hi_u32 s63, s39, s68
	s_mul_i32 s71, s39, s56
	s_mul_hi_u32 s70, s38, s68
	s_mul_i32 s58, s38, s68
	s_mul_hi_u32 s68, s39, s56
	s_add_u32 s63, s63, s71
	s_addc_u32 s68, 0, s68
	s_mul_hi_u32 vcc_lo, s38, s56
	s_add_u32 s58, s63, s58
	s_mul_i32 s56, s38, s56
	s_addc_u32 s58, s68, s70
	s_addc_u32 s63, vcc_lo, 0
	s_add_u32 s56, s58, s56
	s_addc_u32 s58, 0, s63
	s_add_u32 s39, s39, s56
	s_cselect_b32 s56, -1, 0
	s_mul_hi_u32 s63, s44, s39
	s_cmp_lg_u32 s56, 0
	s_mul_i32 s56, s44, s39
	s_addc_u32 s38, s38, s58
	s_mul_i32 s45, s45, s39
	s_mul_i32 s44, s44, s38
	s_mul_hi_u32 s58, s39, s56
	s_add_i32 s44, s63, s44
	s_mul_hi_u32 s63, s38, s56
	s_add_i32 s44, s44, s45
	s_mul_i32 s45, s38, s56
	s_mul_i32 s70, s39, s44
	s_mul_hi_u32 s68, s39, s44
	s_add_u32 s58, s58, s70
	s_addc_u32 s68, 0, s68
	s_mul_hi_u32 s56, s38, s44
	s_add_u32 s45, s58, s45
	s_mul_i32 s44, s38, s44
	s_addc_u32 s45, s68, s63
	s_addc_u32 s56, s56, 0
	s_add_u32 s44, s45, s44
	s_addc_u32 s45, 0, s56
	s_add_u32 s39, s39, s44
	s_cselect_b32 s44, -1, 0
	s_mul_hi_u32 s56, s6, s39
	s_cmp_lg_u32 s44, 0
	s_mul_hi_u32 s44, s69, s39
	s_addc_u32 s38, s38, s45
	s_mul_i32 s39, s69, s39
	s_mul_i32 s58, s6, s38
	s_mul_hi_u32 s45, s6, s38
	s_add_u32 s56, s56, s58
	s_addc_u32 s45, 0, s45
	s_mul_hi_u32 s63, s69, s38
	s_add_u32 s39, s56, s39
	s_mul_i32 s38, s69, s38
	s_addc_u32 s39, s45, s44
	s_addc_u32 s44, s63, 0
	s_add_u32 s38, s39, s38
	s_addc_u32 s39, 0, s44
	s_mul_hi_u32 s44, s33, s38
	s_mul_i32 s39, s33, s39
	s_mul_i32 s38, s33, s38
	s_add_i32 s44, s44, s39
	s_sub_u32 s38, s6, s38
	s_cselect_b32 s39, -1, 0
	s_cmp_lg_u32 s39, 0
	s_subb_u32 s39, s69, s44
	s_sub_u32 s44, s38, s33
	s_cselect_b32 s45, -1, 0
	s_cmp_lg_u32 s45, 0
	s_subb_u32 s45, s39, 0
	;; [unrolled: 4-line block ×3, first 2 shown]
	s_cmp_ge_u32 s44, s33
	s_cselect_b32 s63, -1, 0
	s_cmp_eq_u32 s45, 0
	s_cselect_b32 s63, s63, -1
	s_cmp_lg_u32 s63, 0
	s_cselect_b32 s45, s58, s45
	s_cselect_b32 s44, s56, s44
	s_cmp_ge_u32 s38, s33
	s_cselect_b32 s56, -1, 0
	s_cmp_eq_u32 s39, 0
	s_cselect_b32 s56, s56, -1
	s_cmp_lg_u32 s56, 0
	s_cselect_b32 s71, s45, s39
	s_cselect_b32 s70, s44, s38
	s_cbranch_execnz .LBB165_196
.LBB165_195:                            ;   in Loop: Header=BB165_31 Depth=1
	v_cvt_f32_u32_e32 v3, s33
	s_sub_i32 s39, 0, s33
	v_rcp_iflag_f32_e32 v3, v3
	v_mul_f32_e32 v3, 0x4f7ffffe, v3
	v_cvt_u32_f32_e32 v3, v3
	v_readfirstlane_b32 s38, v3
	s_mul_i32 s39, s39, s38
	s_mul_hi_u32 s39, s38, s39
	s_add_i32 s38, s38, s39
	s_mul_hi_u32 s38, s6, s38
	s_mul_i32 s38, s38, s33
	s_sub_i32 s38, s6, s38
	s_sub_i32 s39, s38, s33
	s_cmp_ge_u32 s38, s33
	s_cselect_b32 s38, s39, s38
	s_sub_i32 s39, s38, s33
	s_cmp_ge_u32 s38, s33
	s_cselect_b32 s56, s39, s38
	s_mov_b64 s[70:71], s[56:57]
.LBB165_196:                            ;   in Loop: Header=BB165_31 Depth=1
	s_sub_u32 s68, s6, s70
	s_subb_u32 s69, s69, s71
	s_mov_b32 s6, 0
	s_mov_b32 s38, 0
	s_mov_b32 s39, exec_lo
                                        ; implicit-def: $vgpr10_vgpr11
	v_cmpx_gt_u64_e64 s[68:69], v[0:1]
	s_cbranch_execz .LBB165_207
; %bb.197:                              ;   in Loop: Header=BB165_31 Depth=1
	v_mov_b32_e32 v39, v1
	v_mov_b32_e32 v18, v48
	v_mov_b32_e32 v38, v0
                                        ; implicit-def: $sgpr56
	s_inst_prefetch 0x1
	s_branch .LBB165_200
	.p2align	6
.LBB165_198:                            ;   in Loop: Header=BB165_200 Depth=2
	s_or_b32 exec_lo, exec_lo, s58
	s_waitcnt lgkmcnt(0)
	s_barrier
	buffer_gl0_inv
	ds_read_b128 v[8:11], v19 offset:3072
	s_mov_b32 s44, -1
	s_mov_b32 s45, -1
	s_waitcnt lgkmcnt(0)
	s_barrier
	buffer_gl0_inv
	v_cmp_ne_u64_e32 vcc_lo, 0, v[8:9]
	s_cbranch_vccz .LBB165_203
.LBB165_199:                            ;   in Loop: Header=BB165_200 Depth=2
	s_and_b32 s44, exec_lo, s44
	s_or_b32 s38, s44, s38
	s_andn2_b32 s44, s56, exec_lo
	s_and_b32 s45, s45, exec_lo
	s_or_b32 s56, s44, s45
	s_andn2_b32 exec_lo, exec_lo, s38
	s_cbranch_execz .LBB165_206
.LBB165_200:                            ;   Parent Loop BB165_31 Depth=1
                                        ; =>  This Inner Loop Header: Depth=2
	s_mov_b32 s58, exec_lo
	v_cmpx_gt_u64_e64 s[22:23], v[38:39]
	s_cbranch_execz .LBB165_198
; %bb.201:                              ;   in Loop: Header=BB165_200 Depth=2
	ds_read_b64 v[4:5], v18
	s_waitcnt lgkmcnt(0)
	v_xor_b32_e32 v3, 0x80000000, v5
	v_and_b32_e32 v8, v4, v12
	v_and_b32_e32 v9, v3, v13
	v_cmp_eq_u64_e32 vcc_lo, v[8:9], v[14:15]
	s_and_b32 exec_lo, exec_lo, vcc_lo
	s_cbranch_execz .LBB165_198
; %bb.202:                              ;   in Loop: Header=BB165_200 Depth=2
	v_mov_b32_e32 v3, v19
	ds_write_b128 v19, v[2:5] offset:3072
	s_branch .LBB165_198
.LBB165_203:                            ;   in Loop: Header=BB165_200 Depth=2
	v_add_co_u32 v38, vcc_lo, v38, s33
	v_add_co_ci_u32_e64 v39, null, 0, v39, vcc_lo
	v_add_nc_u32_e32 v18, s95, v18
	s_mov_b32 s45, 0
	v_cmp_le_u64_e32 vcc_lo, s[68:69], v[38:39]
	s_orn2_b32 s44, vcc_lo, exec_lo
	s_branch .LBB165_199
.LBB165_204:                            ;   in Loop: Header=BB165_31 Depth=1
                                        ; implicit-def: $sgpr70_sgpr71
	s_branch .LBB165_150
.LBB165_205:                            ;   in Loop: Header=BB165_31 Depth=1
                                        ; implicit-def: $sgpr22_sgpr23
	s_branch .LBB165_166
.LBB165_206:                            ;   in Loop: Header=BB165_31 Depth=1
	s_inst_prefetch 0x2
	s_or_b32 exec_lo, exec_lo, s38
	s_and_b32 s38, s56, exec_lo
.LBB165_207:                            ;   in Loop: Header=BB165_31 Depth=1
	s_or_b32 exec_lo, exec_lo, s39
.LBB165_208:                            ;   in Loop: Header=BB165_31 Depth=1
	s_and_b32 vcc_lo, exec_lo, s6
	s_cbranch_vccz .LBB165_222
; %bb.209:                              ;   in Loop: Header=BB165_31 Depth=1
	s_mov_b32 s58, s57
	s_cmp_lg_u64 s[58:59], 0
	s_cbranch_scc0 .LBB165_241
; %bb.210:                              ;   in Loop: Header=BB165_31 Depth=1
	v_cvt_f32_u32_e32 v3, s33
	s_sub_u32 s23, 0, s33
	s_subb_u32 s39, 0, 0
	v_fmac_f32_e64 v3, 0x4f800000, 0
	v_rcp_f32_e32 v3, v3
	v_mul_f32_e32 v3, 0x5f7ffffc, v3
	v_mul_f32_e32 v4, 0x2f800000, v3
	v_trunc_f32_e32 v4, v4
	v_fmac_f32_e32 v3, 0xcf800000, v4
	v_cvt_u32_f32_e32 v4, v4
	v_cvt_u32_f32_e32 v3, v3
	v_readfirstlane_b32 s6, v4
	v_readfirstlane_b32 s22, v3
	s_mul_i32 s44, s23, s6
	s_mul_hi_u32 s56, s23, s22
	s_mul_i32 s45, s39, s22
	s_add_i32 s44, s56, s44
	s_mul_i32 s58, s23, s22
	s_add_i32 s44, s44, s45
	s_mul_hi_u32 s56, s22, s58
	s_mul_i32 s68, s22, s44
	s_mul_hi_u32 s63, s6, s58
	s_mul_i32 s45, s6, s58
	s_mul_hi_u32 s58, s22, s44
	s_add_u32 s56, s56, s68
	s_addc_u32 s58, 0, s58
	s_mul_hi_u32 s69, s6, s44
	s_add_u32 s45, s56, s45
	s_mul_i32 s44, s6, s44
	s_addc_u32 s45, s58, s63
	s_addc_u32 s56, s69, 0
	s_add_u32 s44, s45, s44
	s_addc_u32 s45, 0, s56
	s_add_u32 s22, s22, s44
	s_cselect_b32 s44, -1, 0
	s_mul_hi_u32 s56, s23, s22
	s_cmp_lg_u32 s44, 0
	s_mul_i32 s44, s23, s22
	s_addc_u32 s6, s6, s45
	s_mul_i32 s39, s39, s22
	s_mul_i32 s23, s23, s6
	s_mul_hi_u32 s45, s22, s44
	s_add_i32 s23, s56, s23
	s_mul_hi_u32 s56, s6, s44
	s_add_i32 s23, s23, s39
	s_mul_i32 s39, s6, s44
	s_mul_i32 s63, s22, s23
	s_mul_hi_u32 s58, s22, s23
	s_add_u32 s45, s45, s63
	s_addc_u32 s58, 0, s58
	s_mul_hi_u32 s44, s6, s23
	s_add_u32 s39, s45, s39
	s_mul_i32 s23, s6, s23
	s_addc_u32 s39, s58, s56
	s_addc_u32 s44, s44, 0
	s_add_u32 s23, s39, s23
	s_addc_u32 s39, 0, s44
	s_add_u32 s22, s22, s23
	s_cselect_b32 s23, -1, 0
	s_mul_hi_u32 s44, s91, s22
	s_cmp_lg_u32 s23, 0
	s_mul_hi_u32 s23, s59, s22
	s_addc_u32 s6, s6, s39
	s_mul_i32 s22, s59, s22
	s_mul_i32 s45, s91, s6
	s_mul_hi_u32 s39, s91, s6
	s_add_u32 s44, s44, s45
	s_addc_u32 s39, 0, s39
	s_mul_hi_u32 s56, s59, s6
	s_add_u32 s22, s44, s22
	s_mul_i32 s6, s59, s6
	s_addc_u32 s22, s39, s23
	s_addc_u32 s23, s56, 0
	s_add_u32 s6, s22, s6
	s_addc_u32 s22, 0, s23
	s_mul_hi_u32 s23, s33, s6
	s_mul_i32 s22, s33, s22
	s_mul_i32 s6, s33, s6
	s_add_i32 s23, s23, s22
	s_sub_u32 s6, s91, s6
	s_cselect_b32 s22, -1, 0
	s_cmp_lg_u32 s22, 0
	s_subb_u32 s22, s59, s23
	s_sub_u32 s23, s6, s33
	s_cselect_b32 s39, -1, 0
	s_cmp_lg_u32 s39, 0
	s_subb_u32 s39, s22, 0
	;; [unrolled: 4-line block ×3, first 2 shown]
	s_cmp_ge_u32 s23, s33
	s_cselect_b32 s56, -1, 0
	s_cmp_eq_u32 s39, 0
	s_cselect_b32 s56, s56, -1
	s_cmp_lg_u32 s56, 0
	s_cselect_b32 s39, s45, s39
	s_cselect_b32 s44, s44, s23
	s_cmp_ge_u32 s6, s33
	s_cselect_b32 s23, -1, 0
	s_cmp_eq_u32 s22, 0
	s_cselect_b32 s23, s23, -1
	s_cmp_lg_u32 s23, 0
	s_cselect_b32 s23, s39, s22
	s_cselect_b32 s22, s44, s6
	s_cbranch_execnz .LBB165_212
.LBB165_211:                            ;   in Loop: Header=BB165_31 Depth=1
	v_cvt_f32_u32_e32 v3, s33
	s_sub_i32 s22, 0, s33
	v_rcp_iflag_f32_e32 v3, v3
	v_mul_f32_e32 v3, 0x4f7ffffe, v3
	v_cvt_u32_f32_e32 v3, v3
	v_readfirstlane_b32 s6, v3
	s_mul_i32 s22, s22, s6
	s_mul_hi_u32 s22, s6, s22
	s_add_i32 s6, s6, s22
	s_mul_hi_u32 s6, s91, s6
	s_mul_i32 s6, s6, s33
	s_sub_i32 s6, s91, s6
	s_sub_i32 s22, s6, s33
	s_cmp_ge_u32 s6, s33
	s_cselect_b32 s6, s22, s6
	s_sub_i32 s22, s6, s33
	s_cmp_ge_u32 s6, s33
	s_cselect_b32 s56, s22, s6
	s_mov_b64 s[22:23], s[56:57]
.LBB165_212:                            ;   in Loop: Header=BB165_31 Depth=1
	s_sub_u32 s22, s91, s22
	s_subb_u32 s23, s59, s23
	s_mov_b32 s39, exec_lo
                                        ; implicit-def: $vgpr10_vgpr11
	v_cmpx_gt_u64_e64 s[22:23], v[0:1]
	s_cbranch_execz .LBB165_221
; %bb.213:                              ;   in Loop: Header=BB165_31 Depth=1
	v_mov_b32_e32 v39, v33
	v_mov_b32_e32 v43, v1
	;; [unrolled: 1-line block ×4, first 2 shown]
	s_mov_b32 s56, 0
                                        ; implicit-def: $sgpr58
	s_inst_prefetch 0x1
	s_branch .LBB165_216
	.p2align	6
.LBB165_214:                            ;   in Loop: Header=BB165_216 Depth=2
	s_or_b32 exec_lo, exec_lo, s6
	s_waitcnt lgkmcnt(0)
	s_barrier
	buffer_gl0_inv
	ds_read_b128 v[8:11], v19 offset:3072
	s_mov_b32 s6, -1
	s_mov_b32 s44, -1
	s_waitcnt lgkmcnt(0)
	s_barrier
	buffer_gl0_inv
	v_cmp_eq_u64_e32 vcc_lo, 0, v[8:9]
	s_cbranch_vccnz .LBB165_219
.LBB165_215:                            ;   in Loop: Header=BB165_216 Depth=2
	s_and_b32 s6, exec_lo, s6
	s_or_b32 s56, s6, s56
	s_andn2_b32 s6, s58, exec_lo
	s_and_b32 s44, s44, exec_lo
	s_or_b32 s58, s6, s44
	s_andn2_b32 exec_lo, exec_lo, s56
	s_cbranch_execz .LBB165_220
.LBB165_216:                            ;   Parent Loop BB165_31 Depth=1
                                        ; =>  This Inner Loop Header: Depth=2
	s_mov_b32 s6, exec_lo
	v_cmpx_gt_u64_e64 s[28:29], v[42:43]
	s_cbranch_execz .LBB165_214
; %bb.217:                              ;   in Loop: Header=BB165_216 Depth=2
	global_load_dwordx2 v[4:5], v[38:39], off
	s_waitcnt vmcnt(0)
	v_xor_b32_e32 v3, 0x80000000, v5
	v_and_b32_e32 v8, v4, v12
	v_and_b32_e32 v9, v3, v13
	v_cmp_eq_u64_e32 vcc_lo, v[8:9], v[14:15]
	s_and_b32 exec_lo, exec_lo, vcc_lo
	s_cbranch_execz .LBB165_214
; %bb.218:                              ;   in Loop: Header=BB165_216 Depth=2
	v_mov_b32_e32 v3, v19
	ds_write_b128 v19, v[2:5] offset:3072
	s_branch .LBB165_214
.LBB165_219:                            ;   in Loop: Header=BB165_216 Depth=2
	v_add_co_u32 v42, vcc_lo, v42, s33
	v_add_co_ci_u32_e64 v43, null, 0, v43, vcc_lo
	v_add_co_u32 v38, s6, v38, s36
	v_add_co_ci_u32_e64 v39, null, s37, v39, s6
	v_cmp_le_u64_e32 vcc_lo, s[22:23], v[42:43]
	s_mov_b32 s44, 0
	s_orn2_b32 s6, vcc_lo, exec_lo
	s_branch .LBB165_215
.LBB165_220:                            ;   in Loop: Header=BB165_31 Depth=1
	s_inst_prefetch 0x2
	s_or_b32 exec_lo, exec_lo, s56
	s_andn2_b32 s6, s38, exec_lo
	s_and_b32 s22, s58, exec_lo
	s_or_b32 s38, s6, s22
.LBB165_221:                            ;   in Loop: Header=BB165_31 Depth=1
	s_or_b32 exec_lo, exec_lo, s39
	s_mov_b32 s80, 0
	s_mov_b32 s81, -1
.LBB165_222:                            ;   in Loop: Header=BB165_31 Depth=1
	s_orn2_b32 s6, s38, exec_lo
.LBB165_223:                            ;   in Loop: Header=BB165_31 Depth=1
	s_or_b32 exec_lo, exec_lo, s2
	s_mov_b32 s22, 0
	s_and_saveexec_b32 s2, s6
	s_cbranch_execz .LBB165_285
; %bb.224:                              ;   in Loop: Header=BB165_31 Depth=1
	v_mov_b32_e32 v38, 1
	v_mov_b32_e32 v39, 0
	;; [unrolled: 1-line block ×3, first 2 shown]
	s_xor_b32 s22, s62, -1
	s_mov_b32 s23, 0
	s_and_saveexec_b32 s6, s22
	s_cbranch_execz .LBB165_233
; %bb.225:                              ;   in Loop: Header=BB165_31 Depth=1
	s_mov_b32 s22, exec_lo
	v_cmpx_ge_u64_e64 s[18:19], v[40:41]
	s_xor_b32 s22, exec_lo, s22
	s_cbranch_execz .LBB165_230
; %bb.226:                              ;   in Loop: Header=BB165_31 Depth=1
	ds_read_b64 v[3:4], v19 offset:5120
	v_and_b32_e32 v5, s15, v15
	v_and_b32_e32 v8, s14, v14
	s_lshl_b64 s[38:39], 2, s50
	v_or_b32_e32 v13, s13, v13
	v_or_b32_e32 v12, s12, v12
	v_or_b32_e32 v15, s39, v5
	v_or_b32_e32 v14, s38, v8
	s_waitcnt lgkmcnt(0)
	v_cmp_ne_u64_e32 vcc_lo, 0, v[3:4]
	s_cbranch_vccnz .LBB165_230
; %bb.227:                              ;   in Loop: Header=BB165_31 Depth=1
	s_and_saveexec_b32 s23, s3
; %bb.228:                              ;   in Loop: Header=BB165_31 Depth=1
	v_mov_b32_e32 v3, s18
	v_mov_b32_e32 v4, s19
	ds_write_b64 v19, v[3:4] offset:5128
; %bb.229:                              ;   in Loop: Header=BB165_31 Depth=1
	s_or_b32 exec_lo, exec_lo, s23
	s_waitcnt lgkmcnt(0)
	s_barrier
	buffer_gl0_inv
.LBB165_230:                            ;   in Loop: Header=BB165_31 Depth=1
	s_or_saveexec_b32 s22, s22
	v_mov_b32_e32 v44, 8
	s_mov_b32 s23, 0
	s_xor_b32 exec_lo, exec_lo, s22
; %bb.231:                              ;   in Loop: Header=BB165_31 Depth=1
	v_sub_co_u32 v40, vcc_lo, v40, s18
	v_subrev_co_ci_u32_e64 v41, null, s19, v41, vcc_lo
	v_mov_b32_e32 v44, 0
	s_mov_b32 s23, exec_lo
; %bb.232:                              ;   in Loop: Header=BB165_31 Depth=1
	s_or_b32 exec_lo, exec_lo, s22
	v_mov_b32_e32 v38, v40
	v_mov_b32_e32 v39, v41
	s_and_b32 s23, s23, exec_lo
.LBB165_233:                            ;   in Loop: Header=BB165_31 Depth=1
	s_or_b32 exec_lo, exec_lo, s6
	s_mov_b32 s22, -1
                                        ; implicit-def: $sgpr39
                                        ; implicit-def: $sgpr6
	s_and_saveexec_b32 s62, s23
	s_cbranch_execz .LBB165_284
; %bb.234:                              ;   in Loop: Header=BB165_31 Depth=1
	v_cmp_eq_u64_e32 vcc_lo, 1, v[38:39]
	s_cmp_eq_u64 s[20:21], 1
	s_mov_b32 s23, -1
	s_cselect_b32 s6, -1, 0
                                        ; implicit-def: $sgpr39
	s_and_b32 s63, s6, vcc_lo
                                        ; implicit-def: $sgpr6
	s_and_saveexec_b32 s38, s63
	s_cbranch_execz .LBB165_272
; %bb.235:                              ;   in Loop: Header=BB165_31 Depth=1
	ds_read_b64 v[3:4], v19 offset:5120
	s_waitcnt lgkmcnt(0)
	s_barrier
	buffer_gl0_inv
	v_readfirstlane_b32 s22, v3
	v_readfirstlane_b32 s23, v4
	s_and_saveexec_b32 s6, s8
; %bb.236:                              ;   in Loop: Header=BB165_31 Depth=1
	v_mov_b32_e32 v18, v19
	ds_write_b64 v49, v[18:19]
; %bb.237:                              ;   in Loop: Header=BB165_31 Depth=1
	s_or_b32 exec_lo, exec_lo, s6
	v_or_b32_e32 v15, s13, v15
	v_or_b32_e32 v14, s12, v14
	;; [unrolled: 1-line block ×4, first 2 shown]
	s_mov_b32 s6, -1
	s_mov_b32 s39, 0
	s_cmp_eq_u64 s[22:23], 0
	s_mov_b32 s70, 0
	s_mov_b32 s56, -1
	s_waitcnt lgkmcnt(0)
	s_barrier
	buffer_gl0_inv
                                        ; implicit-def: $vgpr10_vgpr11
	s_cbranch_scc1 .LBB165_255
; %bb.238:                              ;   in Loop: Header=BB165_31 Depth=1
	v_writelane_b32 v55, s63, 13
	s_add_u32 s58, s22, s89
	s_addc_u32 s69, s23, s90
	s_mov_b32 s68, s57
	s_cmp_lg_u64 s[68:69], 0
	v_writelane_b32 v55, s94, 14
	s_cbranch_scc0 .LBB165_242
; %bb.239:                              ;   in Loop: Header=BB165_31 Depth=1
	v_cvt_f32_u32_e32 v3, s33
	s_sub_u32 s56, 0, s33
	s_subb_u32 s68, 0, 0
	v_fmac_f32_e64 v3, 0x4f800000, 0
	v_rcp_f32_e32 v3, v3
	v_mul_f32_e32 v3, 0x5f7ffffc, v3
	v_mul_f32_e32 v4, 0x2f800000, v3
	v_trunc_f32_e32 v4, v4
	v_fmac_f32_e32 v3, 0xcf800000, v4
	v_cvt_u32_f32_e32 v4, v4
	v_cvt_u32_f32_e32 v3, v3
	v_readfirstlane_b32 s44, v4
	v_readfirstlane_b32 s45, v3
	s_mul_i32 s70, s56, s44
	s_mul_hi_u32 vcc_lo, s56, s45
	s_mul_i32 s71, s68, s45
	s_add_i32 s70, vcc_lo, s70
	s_mul_i32 s92, s56, s45
	s_add_i32 s70, s70, s71
	s_mul_hi_u32 vcc_lo, s45, s92
	s_mul_i32 s93, s45, s70
	s_mul_hi_u32 s63, s44, s92
	s_mul_i32 s71, s44, s92
	s_mul_hi_u32 s92, s45, s70
	s_add_u32 s93, vcc_lo, s93
	s_addc_u32 s92, 0, s92
	s_mul_hi_u32 s94, s44, s70
	s_add_u32 s71, s93, s71
	s_mul_i32 s70, s44, s70
	s_addc_u32 s63, s92, s63
	s_addc_u32 s71, s94, 0
	s_add_u32 s63, s63, s70
	s_addc_u32 s70, 0, s71
	s_add_u32 s45, s45, s63
	s_cselect_b32 s63, -1, 0
	s_mul_hi_u32 s71, s56, s45
	s_cmp_lg_u32 s63, 0
	s_mul_i32 s63, s56, s45
	s_addc_u32 s44, s44, s70
	s_mul_i32 s68, s68, s45
	s_mul_i32 s56, s56, s44
	s_mul_hi_u32 s70, s45, s63
	s_add_i32 s56, s71, s56
	s_mul_hi_u32 s71, s44, s63
	s_add_i32 s56, s56, s68
	s_mul_i32 s63, s44, s63
	s_mul_i32 s93, s45, s56
	s_mul_hi_u32 s92, s45, s56
	s_add_u32 s70, s70, s93
	s_addc_u32 s92, 0, s92
	s_mul_hi_u32 s68, s44, s56
	s_add_u32 s63, s70, s63
	s_mul_i32 s56, s44, s56
	s_addc_u32 s63, s92, s71
	s_addc_u32 s68, s68, 0
	s_add_u32 s56, s63, s56
	s_addc_u32 s63, 0, s68
	s_add_u32 s45, s45, s56
	s_cselect_b32 s56, -1, 0
	s_mul_hi_u32 s68, s58, s45
	s_cmp_lg_u32 s56, 0
	s_mul_hi_u32 s56, s69, s45
	s_addc_u32 s44, s44, s63
	s_mul_i32 s45, s69, s45
	s_mul_i32 s70, s58, s44
	s_mul_hi_u32 s63, s58, s44
	s_add_u32 s68, s68, s70
	s_addc_u32 s63, 0, s63
	s_mul_hi_u32 s71, s69, s44
	s_add_u32 s45, s68, s45
	s_mul_i32 s44, s69, s44
	s_addc_u32 s45, s63, s56
	s_addc_u32 s56, s71, 0
	s_add_u32 s44, s45, s44
	s_addc_u32 s45, 0, s56
	s_mul_hi_u32 s56, s33, s44
	s_mul_i32 s45, s33, s45
	s_mul_i32 s44, s33, s44
	s_add_i32 s56, s56, s45
	s_sub_u32 s44, s58, s44
	s_cselect_b32 s45, -1, 0
	s_cmp_lg_u32 s45, 0
	s_subb_u32 s45, s69, s56
	s_sub_u32 s56, s44, s33
	s_cselect_b32 s63, -1, 0
	s_cmp_lg_u32 s63, 0
	s_subb_u32 s63, s45, 0
	;; [unrolled: 4-line block ×3, first 2 shown]
	s_cmp_ge_u32 s56, s33
	s_cselect_b32 s71, -1, 0
	s_cmp_eq_u32 s63, 0
	s_cselect_b32 s71, s71, -1
	s_cmp_lg_u32 s71, 0
	s_cselect_b32 s63, s70, s63
	s_cselect_b32 s56, s68, s56
	s_cmp_ge_u32 s44, s33
	s_cselect_b32 s68, -1, 0
	s_cmp_eq_u32 s45, 0
	s_cselect_b32 s68, s68, -1
	s_cmp_lg_u32 s68, 0
	s_cselect_b32 s71, s63, s45
	s_cselect_b32 s70, s56, s44
	s_mov_b32 s44, 0
	s_branch .LBB165_243
.LBB165_240:                            ;   in Loop: Header=BB165_31 Depth=1
                                        ; implicit-def: $sgpr70_sgpr71
	s_branch .LBB165_195
.LBB165_241:                            ;   in Loop: Header=BB165_31 Depth=1
                                        ; implicit-def: $sgpr22_sgpr23
	s_branch .LBB165_211
.LBB165_242:                            ;   in Loop: Header=BB165_31 Depth=1
	s_mov_b32 s44, -1
                                        ; implicit-def: $sgpr70_sgpr71
.LBB165_243:                            ;   in Loop: Header=BB165_31 Depth=1
	s_andn2_b32 vcc_lo, exec_lo, s44
	s_cbranch_vccnz .LBB165_245
; %bb.244:                              ;   in Loop: Header=BB165_31 Depth=1
	v_cvt_f32_u32_e32 v3, s33
	s_sub_i32 s45, 0, s33
	v_rcp_iflag_f32_e32 v3, v3
	v_mul_f32_e32 v3, 0x4f7ffffe, v3
	v_cvt_u32_f32_e32 v3, v3
	v_readfirstlane_b32 s44, v3
	s_mul_i32 s45, s45, s44
	s_mul_hi_u32 s45, s44, s45
	s_add_i32 s44, s44, s45
	s_mul_hi_u32 s44, s58, s44
	s_mul_i32 s44, s44, s33
	s_sub_i32 s44, s58, s44
	s_sub_i32 s45, s44, s33
	s_cmp_ge_u32 s44, s33
	s_cselect_b32 s44, s45, s44
	s_sub_i32 s45, s44, s33
	s_cmp_ge_u32 s44, s33
	s_cselect_b32 s56, s45, s44
	s_mov_b64 s[70:71], s[56:57]
.LBB165_245:                            ;   in Loop: Header=BB165_31 Depth=1
	s_sub_u32 s68, s58, s70
	s_subb_u32 s69, s69, s71
	s_mov_b32 s56, 0
	s_mov_b32 s70, 0
	s_mov_b32 s58, exec_lo
                                        ; implicit-def: $vgpr10_vgpr11
	v_cmpx_gt_u64_e64 s[68:69], v[0:1]
	s_load_dwordx2 s[92:93], s[4:5], 0x0
	v_readlane_b32 s94, v55, 14
	v_readlane_b32 s63, v55, 13
	s_cbranch_execz .LBB165_254
; %bb.246:                              ;   in Loop: Header=BB165_31 Depth=1
	v_mov_b32_e32 v41, v1
	v_mov_b32_e32 v18, v48
	;; [unrolled: 1-line block ×3, first 2 shown]
                                        ; implicit-def: $sgpr71
	s_inst_prefetch 0x1
	s_branch .LBB165_249
	.p2align	6
.LBB165_247:                            ;   in Loop: Header=BB165_249 Depth=2
	s_or_b32 exec_lo, exec_lo, s44
	s_waitcnt lgkmcnt(0)
	s_barrier
	buffer_gl0_inv
	ds_read_b128 v[8:11], v19 offset:3072
	s_mov_b32 s44, -1
	s_mov_b32 s45, -1
	s_waitcnt lgkmcnt(0)
	s_barrier
	buffer_gl0_inv
	v_cmp_ne_u64_e32 vcc_lo, 0, v[8:9]
	s_cbranch_vccz .LBB165_252
.LBB165_248:                            ;   in Loop: Header=BB165_249 Depth=2
	s_and_b32 s44, exec_lo, s44
	s_or_b32 s70, s44, s70
	s_andn2_b32 s44, s71, exec_lo
	s_and_b32 s45, s45, exec_lo
	s_or_b32 s71, s44, s45
	s_andn2_b32 exec_lo, exec_lo, s70
	s_cbranch_execz .LBB165_253
.LBB165_249:                            ;   Parent Loop BB165_31 Depth=1
                                        ; =>  This Inner Loop Header: Depth=2
	s_mov_b32 s44, exec_lo
	v_cmpx_gt_u64_e64 s[22:23], v[40:41]
	s_cbranch_execz .LBB165_247
; %bb.250:                              ;   in Loop: Header=BB165_249 Depth=2
	ds_read_b64 v[4:5], v18
	s_waitcnt lgkmcnt(0)
	v_xor_b32_e32 v3, 0x80000000, v5
	v_and_b32_e32 v8, v4, v12
	v_and_b32_e32 v9, v3, v13
	v_cmp_eq_u64_e32 vcc_lo, v[8:9], v[14:15]
	s_and_b32 exec_lo, exec_lo, vcc_lo
	s_cbranch_execz .LBB165_247
; %bb.251:                              ;   in Loop: Header=BB165_249 Depth=2
	v_mov_b32_e32 v3, v19
	ds_write_b128 v19, v[2:5] offset:3072
	s_branch .LBB165_247
.LBB165_252:                            ;   in Loop: Header=BB165_249 Depth=2
	v_add_co_u32 v40, vcc_lo, v40, s33
	v_add_co_ci_u32_e64 v41, null, 0, v41, vcc_lo
	v_add_nc_u32_e32 v18, s95, v18
	s_mov_b32 s45, 0
	v_cmp_le_u64_e32 vcc_lo, s[68:69], v[40:41]
	s_orn2_b32 s44, vcc_lo, exec_lo
	s_branch .LBB165_248
.LBB165_253:                            ;   in Loop: Header=BB165_31 Depth=1
	s_inst_prefetch 0x2
	s_or_b32 exec_lo, exec_lo, s70
	s_and_b32 s70, s71, exec_lo
.LBB165_254:                            ;   in Loop: Header=BB165_31 Depth=1
	s_or_b32 exec_lo, exec_lo, s58
.LBB165_255:                            ;   in Loop: Header=BB165_31 Depth=1
	s_and_b32 vcc_lo, exec_lo, s56
	s_cbranch_vccz .LBB165_271
; %bb.256:                              ;   in Loop: Header=BB165_31 Depth=1
	s_mov_b32 s58, s57
	s_cmp_lg_u64 s[58:59], 0
	s_cbranch_scc0 .LBB165_258
; %bb.257:                              ;   in Loop: Header=BB165_31 Depth=1
	v_cvt_f32_u32_e32 v3, s33
	s_sub_u32 s23, 0, s33
	s_subb_u32 s39, 0, 0
	s_mov_b32 s71, s63
	v_fmac_f32_e64 v3, 0x4f800000, 0
	v_rcp_f32_e32 v3, v3
	v_mul_f32_e32 v3, 0x5f7ffffc, v3
	v_mul_f32_e32 v4, 0x2f800000, v3
	v_trunc_f32_e32 v4, v4
	v_fmac_f32_e32 v3, 0xcf800000, v4
	v_cvt_u32_f32_e32 v4, v4
	v_cvt_u32_f32_e32 v3, v3
	v_readfirstlane_b32 s6, v4
	v_readfirstlane_b32 s22, v3
	s_mul_i32 s44, s23, s6
	s_mul_hi_u32 s56, s23, s22
	s_mul_i32 s45, s39, s22
	s_add_i32 s44, s56, s44
	s_mul_i32 s58, s23, s22
	s_add_i32 s44, s44, s45
	s_mul_hi_u32 s56, s22, s58
	s_mul_i32 s68, s22, s44
	s_mul_hi_u32 s63, s6, s58
	s_mul_i32 s45, s6, s58
	s_mul_hi_u32 s58, s22, s44
	s_add_u32 s56, s56, s68
	s_addc_u32 s58, 0, s58
	s_mul_hi_u32 s69, s6, s44
	s_add_u32 s45, s56, s45
	s_mul_i32 s44, s6, s44
	s_addc_u32 s45, s58, s63
	s_addc_u32 s56, s69, 0
	s_add_u32 s44, s45, s44
	s_addc_u32 s45, 0, s56
	s_add_u32 s22, s22, s44
	s_cselect_b32 s44, -1, 0
	s_mul_hi_u32 s56, s23, s22
	s_cmp_lg_u32 s44, 0
	s_mul_i32 s44, s23, s22
	s_addc_u32 s6, s6, s45
	s_mul_i32 s39, s39, s22
	s_mul_i32 s23, s23, s6
	s_mul_hi_u32 s45, s22, s44
	s_add_i32 s23, s56, s23
	s_mul_hi_u32 s56, s6, s44
	s_add_i32 s23, s23, s39
	s_mul_i32 s39, s6, s44
	s_mul_i32 s63, s22, s23
	s_mul_hi_u32 s58, s22, s23
	s_add_u32 s45, s45, s63
	s_addc_u32 s58, 0, s58
	s_mul_hi_u32 s44, s6, s23
	s_add_u32 s39, s45, s39
	s_mul_i32 s23, s6, s23
	s_addc_u32 s39, s58, s56
	s_addc_u32 s44, s44, 0
	s_add_u32 s23, s39, s23
	s_addc_u32 s39, 0, s44
	s_add_u32 s22, s22, s23
	s_cselect_b32 s23, -1, 0
	s_mul_hi_u32 s44, s91, s22
	s_cmp_lg_u32 s23, 0
	s_mul_hi_u32 s23, s59, s22
	s_addc_u32 s6, s6, s39
	s_mul_i32 s22, s59, s22
	s_mul_i32 s45, s91, s6
	s_mul_hi_u32 s39, s91, s6
	s_add_u32 s44, s44, s45
	s_addc_u32 s39, 0, s39
	s_mul_hi_u32 s56, s59, s6
	s_add_u32 s22, s44, s22
	s_mul_i32 s6, s59, s6
	s_addc_u32 s22, s39, s23
	s_addc_u32 s23, s56, 0
	s_add_u32 s6, s22, s6
	s_addc_u32 s22, 0, s23
	s_mul_hi_u32 s23, s33, s6
	s_mul_i32 s22, s33, s22
	s_mul_i32 s6, s33, s6
	s_add_i32 s23, s23, s22
	s_sub_u32 s6, s91, s6
	s_cselect_b32 s22, -1, 0
	s_mov_b32 s63, s71
	s_cmp_lg_u32 s22, 0
	s_subb_u32 s22, s59, s23
	s_sub_u32 s23, s6, s33
	s_cselect_b32 s39, -1, 0
	s_cmp_lg_u32 s39, 0
	s_subb_u32 s39, s22, 0
	s_sub_u32 s44, s23, s33
	s_cselect_b32 s45, -1, 0
	s_cmp_lg_u32 s45, 0
	s_subb_u32 s45, s39, 0
	s_cmp_ge_u32 s23, s33
	s_cselect_b32 s56, -1, 0
	s_cmp_eq_u32 s39, 0
	s_cselect_b32 s56, s56, -1
	s_cmp_lg_u32 s56, 0
	s_cselect_b32 s39, s45, s39
	s_cselect_b32 s44, s44, s23
	s_cmp_ge_u32 s6, s33
	s_cselect_b32 s23, -1, 0
	s_cmp_eq_u32 s22, 0
	s_cselect_b32 s23, s23, -1
	s_cmp_lg_u32 s23, 0
	s_cselect_b32 s23, s39, s22
	s_cselect_b32 s22, s44, s6
	s_mov_b32 s6, 0
	s_branch .LBB165_259
.LBB165_258:                            ;   in Loop: Header=BB165_31 Depth=1
	s_mov_b32 s6, -1
                                        ; implicit-def: $sgpr22_sgpr23
.LBB165_259:                            ;   in Loop: Header=BB165_31 Depth=1
	s_andn2_b32 vcc_lo, exec_lo, s6
	s_cbranch_vccnz .LBB165_261
; %bb.260:                              ;   in Loop: Header=BB165_31 Depth=1
	v_cvt_f32_u32_e32 v3, s33
	s_sub_i32 s22, 0, s33
	v_rcp_iflag_f32_e32 v3, v3
	v_mul_f32_e32 v3, 0x4f7ffffe, v3
	v_cvt_u32_f32_e32 v3, v3
	v_readfirstlane_b32 s6, v3
	s_mul_i32 s22, s22, s6
	s_mul_hi_u32 s22, s6, s22
	s_add_i32 s6, s6, s22
	s_mul_hi_u32 s6, s91, s6
	s_mul_i32 s6, s6, s33
	s_sub_i32 s6, s91, s6
	s_sub_i32 s22, s6, s33
	s_cmp_ge_u32 s6, s33
	s_cselect_b32 s6, s22, s6
	s_sub_i32 s22, s6, s33
	s_cmp_ge_u32 s6, s33
	s_cselect_b32 s56, s22, s6
	s_mov_b64 s[22:23], s[56:57]
.LBB165_261:                            ;   in Loop: Header=BB165_31 Depth=1
	s_sub_u32 s22, s91, s22
	s_subb_u32 s23, s59, s23
	s_mov_b32 s39, exec_lo
                                        ; implicit-def: $vgpr10_vgpr11
	v_cmpx_gt_u64_e64 s[22:23], v[0:1]
	s_cbranch_execz .LBB165_270
; %bb.262:                              ;   in Loop: Header=BB165_31 Depth=1
	v_mov_b32_e32 v41, v33
	v_mov_b32_e32 v43, v1
	;; [unrolled: 1-line block ×4, first 2 shown]
	s_mov_b32 s56, 0
                                        ; implicit-def: $sgpr58
	s_inst_prefetch 0x1
	s_branch .LBB165_265
	.p2align	6
.LBB165_263:                            ;   in Loop: Header=BB165_265 Depth=2
	s_or_b32 exec_lo, exec_lo, s6
	s_waitcnt lgkmcnt(0)
	s_barrier
	buffer_gl0_inv
	ds_read_b128 v[8:11], v19 offset:3072
	s_mov_b32 s6, -1
	s_mov_b32 s44, -1
	s_waitcnt lgkmcnt(0)
	s_barrier
	buffer_gl0_inv
	v_cmp_eq_u64_e32 vcc_lo, 0, v[8:9]
	s_cbranch_vccnz .LBB165_268
.LBB165_264:                            ;   in Loop: Header=BB165_265 Depth=2
	s_and_b32 s6, exec_lo, s6
	s_or_b32 s56, s6, s56
	s_andn2_b32 s6, s58, exec_lo
	s_and_b32 s44, s44, exec_lo
	s_or_b32 s58, s6, s44
	s_andn2_b32 exec_lo, exec_lo, s56
	s_cbranch_execz .LBB165_269
.LBB165_265:                            ;   Parent Loop BB165_31 Depth=1
                                        ; =>  This Inner Loop Header: Depth=2
	s_mov_b32 s6, exec_lo
	v_cmpx_gt_u64_e64 s[28:29], v[42:43]
	s_cbranch_execz .LBB165_263
; %bb.266:                              ;   in Loop: Header=BB165_265 Depth=2
	global_load_dwordx2 v[4:5], v[40:41], off
	s_waitcnt vmcnt(0)
	v_xor_b32_e32 v3, 0x80000000, v5
	v_and_b32_e32 v8, v4, v12
	v_and_b32_e32 v9, v3, v13
	v_cmp_eq_u64_e32 vcc_lo, v[8:9], v[14:15]
	s_and_b32 exec_lo, exec_lo, vcc_lo
	s_cbranch_execz .LBB165_263
; %bb.267:                              ;   in Loop: Header=BB165_265 Depth=2
	v_mov_b32_e32 v3, v19
	ds_write_b128 v19, v[2:5] offset:3072
	s_branch .LBB165_263
.LBB165_268:                            ;   in Loop: Header=BB165_265 Depth=2
	v_add_co_u32 v42, vcc_lo, v42, s33
	v_add_co_ci_u32_e64 v43, null, 0, v43, vcc_lo
	v_add_co_u32 v40, s6, v40, s36
	v_add_co_ci_u32_e64 v41, null, s37, v41, s6
	v_cmp_le_u64_e32 vcc_lo, s[22:23], v[42:43]
	s_mov_b32 s44, 0
	s_orn2_b32 s6, vcc_lo, exec_lo
	s_branch .LBB165_264
.LBB165_269:                            ;   in Loop: Header=BB165_31 Depth=1
	s_inst_prefetch 0x2
	s_or_b32 exec_lo, exec_lo, s56
	s_andn2_b32 s6, s70, exec_lo
	s_and_b32 s22, s58, exec_lo
	s_or_b32 s70, s6, s22
.LBB165_270:                            ;   in Loop: Header=BB165_31 Depth=1
	s_or_b32 exec_lo, exec_lo, s39
	s_mov_b32 s6, 0
	s_mov_b32 s39, -1
.LBB165_271:                            ;   in Loop: Header=BB165_31 Depth=1
	s_orn2_b32 s23, s70, exec_lo
.LBB165_272:                            ;   in Loop: Header=BB165_31 Depth=1
	s_or_b32 exec_lo, exec_lo, s38
	s_mov_b32 s38, 0
	s_and_saveexec_b32 s22, s23
	s_cbranch_execz .LBB165_283
; %bb.273:                              ;   in Loop: Header=BB165_31 Depth=1
	v_mov_b32_e32 v3, 1
	v_mov_b32_e32 v4, 0
	;; [unrolled: 1-line block ×3, first 2 shown]
	s_xor_b32 s38, s63, -1
	s_and_saveexec_b32 s23, s38
	s_cbranch_execz .LBB165_282
; %bb.274:                              ;   in Loop: Header=BB165_31 Depth=1
	s_mov_b32 s38, exec_lo
	v_cmpx_ge_u64_e64 s[20:21], v[38:39]
	s_xor_b32 s38, exec_lo, s38
	s_cbranch_execz .LBB165_279
; %bb.275:                              ;   in Loop: Header=BB165_31 Depth=1
	ds_read_b64 v[3:4], v19 offset:5120
	v_or_b32_e32 v15, s13, v15
	v_or_b32_e32 v14, s12, v14
	;; [unrolled: 1-line block ×4, first 2 shown]
	s_waitcnt lgkmcnt(0)
	v_cmp_ne_u64_e32 vcc_lo, 0, v[3:4]
	s_cbranch_vccnz .LBB165_279
; %bb.276:                              ;   in Loop: Header=BB165_31 Depth=1
	s_and_saveexec_b32 s44, s3
; %bb.277:                              ;   in Loop: Header=BB165_31 Depth=1
	v_mov_b32_e32 v3, s20
	v_mov_b32_e32 v4, s21
	ds_write_b64 v19, v[3:4] offset:5128
; %bb.278:                              ;   in Loop: Header=BB165_31 Depth=1
	s_or_b32 exec_lo, exec_lo, s44
	s_waitcnt lgkmcnt(0)
	s_barrier
	buffer_gl0_inv
.LBB165_279:                            ;   in Loop: Header=BB165_31 Depth=1
	s_andn2_saveexec_b32 s38, s38
; %bb.280:                              ;   in Loop: Header=BB165_31 Depth=1
	v_sub_co_u32 v38, vcc_lo, v38, s20
	v_subrev_co_ci_u32_e64 v39, null, s21, v39, vcc_lo
; %bb.281:                              ;   in Loop: Header=BB165_31 Depth=1
	s_or_b32 exec_lo, exec_lo, s38
	v_mov_b32_e32 v3, v38
	v_mov_b32_e32 v44, 8
	;; [unrolled: 1-line block ×3, first 2 shown]
.LBB165_282:                            ;   in Loop: Header=BB165_31 Depth=1
	s_or_b32 exec_lo, exec_lo, s23
	v_mov_b32_e32 v39, v4
	v_mov_b32_e32 v38, v3
	s_mov_b32 s38, exec_lo
.LBB165_283:                            ;   in Loop: Header=BB165_31 Depth=1
	s_or_b32 exec_lo, exec_lo, s22
	s_orn2_b32 s22, s38, exec_lo
.LBB165_284:                            ;   in Loop: Header=BB165_31 Depth=1
	s_or_b32 exec_lo, exec_lo, s62
	v_mov_b32_e32 v41, v39
	v_mov_b32_e32 v40, v38
	s_andn2_b32 s23, s81, exec_lo
	s_and_b32 s38, s39, exec_lo
	s_andn2_b32 s39, s80, exec_lo
	s_and_b32 s6, s6, exec_lo
	s_or_b32 s81, s23, s38
	s_or_b32 s80, s39, s6
	s_and_b32 s22, s22, exec_lo
.LBB165_285:                            ;   in Loop: Header=BB165_31 Depth=1
	s_or_b32 exec_lo, exec_lo, s2
	s_orn2_b32 s2, s22, exec_lo
.LBB165_286:                            ;   in Loop: Header=BB165_31 Depth=1
	s_or_b32 exec_lo, exec_lo, s79
	v_mov_b32_e32 v38, v40
	v_mov_b32_e32 v39, v41
	s_andn2_b32 s6, s77, exec_lo
	s_and_b32 s22, s81, exec_lo
	s_andn2_b32 s23, s76, exec_lo
	s_and_b32 s38, s80, exec_lo
	s_or_b32 s77, s6, s22
	s_or_b32 s76, s23, s38
	s_and_b32 s22, s2, exec_lo
.LBB165_287:                            ;   in Loop: Header=BB165_31 Depth=1
	s_or_b32 exec_lo, exec_lo, s78
	s_orn2_b32 s2, s22, exec_lo
.LBB165_288:                            ;   in Loop: Header=BB165_31 Depth=1
	s_or_b32 exec_lo, exec_lo, s53
	s_mov_b32 s6, 0
	s_mov_b32 s22, 0
	s_and_saveexec_b32 s23, s2
	s_xor_b32 s2, exec_lo, s23
; %bb.289:                              ;   in Loop: Header=BB165_31 Depth=1
	v_cmp_ne_u32_e32 vcc_lo, 8, v44
	v_cmp_eq_u32_e64 s6, 8, v44
	s_and_b32 s22, vcc_lo, exec_lo
	s_and_b32 s6, s6, exec_lo
; %bb.290:                              ;   in Loop: Header=BB165_31 Depth=1
	s_or_b32 exec_lo, exec_lo, s2
	s_andn2_b32 s2, s73, exec_lo
	s_and_b32 s23, s77, exec_lo
	s_andn2_b32 s38, s72, exec_lo
	s_and_b32 s39, s76, exec_lo
	s_or_b32 s73, s2, s23
	s_or_b32 s72, s38, s39
	s_and_b32 s53, s22, exec_lo
	s_and_b32 s70, s6, exec_lo
.LBB165_291:                            ;   in Loop: Header=BB165_31 Depth=1
	s_or_b32 exec_lo, exec_lo, s75
.LBB165_292:                            ;   in Loop: Header=BB165_31 Depth=1
	s_and_b32 vcc_lo, exec_lo, s74
	s_cbranch_vccz .LBB165_308
; %bb.293:                              ;   in Loop: Header=BB165_31 Depth=1
	s_cmp_eq_u64 s[20:21], 1
	s_mov_b32 s6, -1
	s_cselect_b32 s2, -1, 0
                                        ; implicit-def: $sgpr71
                                        ; implicit-def: $sgpr9
	s_and_b32 s2, s2, s7
	s_and_saveexec_b32 s38, s2
	s_cbranch_execz .LBB165_326
; %bb.294:                              ;   in Loop: Header=BB165_31 Depth=1
	ds_read_b64 v[3:4], v19 offset:5120
	s_waitcnt lgkmcnt(0)
	s_barrier
	buffer_gl0_inv
	v_readfirstlane_b32 s6, v3
	v_readfirstlane_b32 s7, v4
	s_and_saveexec_b32 s9, s8
; %bb.295:                              ;   in Loop: Header=BB165_31 Depth=1
	v_mov_b32_e32 v18, v19
	ds_write_b64 v49, v[18:19]
; %bb.296:                              ;   in Loop: Header=BB165_31 Depth=1
	s_or_b32 exec_lo, exec_lo, s9
	v_or_b32_e32 v31, s13, v31
	v_or_b32_e32 v30, s12, v30
	;; [unrolled: 1-line block ×4, first 2 shown]
	s_mov_b32 s9, -1
	s_mov_b32 s71, 0
	s_cmp_eq_u64 s[6:7], 0
	s_mov_b32 s39, 0
	s_mov_b32 s56, -1
	s_waitcnt lgkmcnt(0)
	s_barrier
	buffer_gl0_inv
                                        ; implicit-def: $vgpr6_vgpr7
	s_cbranch_scc1 .LBB165_311
; %bb.297:                              ;   in Loop: Header=BB165_31 Depth=1
	s_add_u32 s39, s6, s89
	s_addc_u32 s23, s7, s90
	s_mov_b32 s22, s57
	s_cmp_lg_u64 s[22:23], 0
	s_cbranch_scc0 .LBB165_352
; %bb.298:                              ;   in Loop: Header=BB165_31 Depth=1
	v_cvt_f32_u32_e32 v3, s33
	s_sub_u32 s45, 0, s33
	s_subb_u32 s56, 0, 0
	v_fmac_f32_e64 v3, 0x4f800000, 0
	v_rcp_f32_e32 v3, v3
	v_mul_f32_e32 v3, 0x5f7ffffc, v3
	v_mul_f32_e32 v4, 0x2f800000, v3
	v_trunc_f32_e32 v4, v4
	v_fmac_f32_e32 v3, 0xcf800000, v4
	v_cvt_u32_f32_e32 v4, v4
	v_cvt_u32_f32_e32 v3, v3
	v_readfirstlane_b32 s22, v4
	v_readfirstlane_b32 s44, v3
	s_mul_i32 s58, s45, s22
	s_mul_hi_u32 s63, s45, s44
	s_mul_i32 s62, s56, s44
	s_add_i32 s58, s63, s58
	s_mul_i32 s68, s45, s44
	s_add_i32 s58, s58, s62
	s_mul_hi_u32 s63, s44, s68
	s_mul_i32 s72, s44, s58
	s_mul_hi_u32 s69, s22, s68
	s_mul_i32 s62, s22, s68
	s_mul_hi_u32 s68, s44, s58
	s_add_u32 s63, s63, s72
	s_addc_u32 s68, 0, s68
	s_mul_hi_u32 s73, s22, s58
	s_add_u32 s62, s63, s62
	s_mul_i32 s58, s22, s58
	s_addc_u32 s62, s68, s69
	s_addc_u32 s63, s73, 0
	s_add_u32 s58, s62, s58
	s_addc_u32 s62, 0, s63
	s_add_u32 s44, s44, s58
	s_cselect_b32 s58, -1, 0
	s_mul_hi_u32 s63, s45, s44
	s_cmp_lg_u32 s58, 0
	s_mul_i32 s58, s45, s44
	s_addc_u32 s22, s22, s62
	s_mul_i32 s56, s56, s44
	s_mul_i32 s45, s45, s22
	s_mul_hi_u32 s62, s44, s58
	s_add_i32 s45, s63, s45
	s_mul_hi_u32 s63, s22, s58
	s_add_i32 s45, s45, s56
	s_mul_i32 s56, s22, s58
	s_mul_i32 s69, s44, s45
	s_mul_hi_u32 s68, s44, s45
	s_add_u32 s62, s62, s69
	s_addc_u32 s68, 0, s68
	s_mul_hi_u32 s58, s22, s45
	s_add_u32 s56, s62, s56
	s_mul_i32 s45, s22, s45
	s_addc_u32 s56, s68, s63
	s_addc_u32 s58, s58, 0
	s_add_u32 s45, s56, s45
	s_addc_u32 s56, 0, s58
	s_add_u32 s44, s44, s45
	s_cselect_b32 s45, -1, 0
	s_mul_hi_u32 s58, s39, s44
	s_cmp_lg_u32 s45, 0
	s_mul_hi_u32 s45, s23, s44
	s_addc_u32 s22, s22, s56
	s_mul_i32 s44, s23, s44
	s_mul_i32 s62, s39, s22
	s_mul_hi_u32 s56, s39, s22
	s_add_u32 s58, s58, s62
	s_addc_u32 s56, 0, s56
	s_mul_hi_u32 s63, s23, s22
	s_add_u32 s44, s58, s44
	s_mul_i32 s22, s23, s22
	s_addc_u32 s44, s56, s45
	s_addc_u32 s45, s63, 0
	s_add_u32 s22, s44, s22
	s_addc_u32 s44, 0, s45
	s_mul_hi_u32 s45, s33, s22
	s_mul_i32 s44, s33, s44
	s_mul_i32 s22, s33, s22
	s_add_i32 s45, s45, s44
	s_sub_u32 s22, s39, s22
	s_cselect_b32 s44, -1, 0
	s_cmp_lg_u32 s44, 0
	s_subb_u32 s44, s23, s45
	s_sub_u32 s45, s22, s33
	s_cselect_b32 s56, -1, 0
	s_cmp_lg_u32 s56, 0
	s_subb_u32 s56, s44, 0
	;; [unrolled: 4-line block ×3, first 2 shown]
	s_cmp_ge_u32 s45, s33
	s_cselect_b32 s63, -1, 0
	s_cmp_eq_u32 s56, 0
	s_cselect_b32 s63, s63, -1
	s_cmp_lg_u32 s63, 0
	s_cselect_b32 s56, s62, s56
	s_cselect_b32 s45, s58, s45
	s_cmp_ge_u32 s22, s33
	s_cselect_b32 s58, -1, 0
	s_cmp_eq_u32 s44, 0
	s_cselect_b32 s58, s58, -1
	s_cmp_lg_u32 s58, 0
	s_cselect_b32 s69, s56, s44
	s_cselect_b32 s68, s45, s22
	s_cbranch_execnz .LBB165_300
.LBB165_299:                            ;   in Loop: Header=BB165_31 Depth=1
	v_cvt_f32_u32_e32 v3, s33
	s_sub_i32 s44, 0, s33
	v_rcp_iflag_f32_e32 v3, v3
	v_mul_f32_e32 v3, 0x4f7ffffe, v3
	v_cvt_u32_f32_e32 v3, v3
	v_readfirstlane_b32 s22, v3
	s_mul_i32 s44, s44, s22
	s_mul_hi_u32 s44, s22, s44
	s_add_i32 s22, s22, s44
	s_mul_hi_u32 s22, s39, s22
	s_mul_i32 s22, s22, s33
	s_sub_i32 s22, s39, s22
	s_sub_i32 s44, s22, s33
	s_cmp_ge_u32 s22, s33
	s_cselect_b32 s22, s44, s22
	s_sub_i32 s44, s22, s33
	s_cmp_ge_u32 s22, s33
	s_cselect_b32 s56, s44, s22
	s_mov_b64 s[68:69], s[56:57]
.LBB165_300:                            ;   in Loop: Header=BB165_31 Depth=1
	s_sub_u32 s22, s39, s68
	s_subb_u32 s23, s23, s69
	s_mov_b32 s56, 0
	s_mov_b32 s39, 0
	s_mov_b32 s58, exec_lo
                                        ; implicit-def: $vgpr6_vgpr7
	v_cmpx_gt_u64_e64 s[22:23], v[0:1]
	s_cbranch_execz .LBB165_310
; %bb.301:                              ;   in Loop: Header=BB165_31 Depth=1
	v_mov_b32_e32 v9, v1
	v_mov_b32_e32 v10, v48
	;; [unrolled: 1-line block ×3, first 2 shown]
                                        ; implicit-def: $sgpr62
	s_inst_prefetch 0x1
	s_branch .LBB165_304
	.p2align	6
.LBB165_302:                            ;   in Loop: Header=BB165_304 Depth=2
	s_or_b32 exec_lo, exec_lo, s63
	s_waitcnt lgkmcnt(0)
	s_barrier
	buffer_gl0_inv
	ds_read_b128 v[4:7], v19 offset:3072
	s_mov_b32 s44, -1
	s_mov_b32 s45, -1
	s_waitcnt lgkmcnt(0)
	s_barrier
	buffer_gl0_inv
	v_cmp_ne_u64_e32 vcc_lo, 0, v[4:5]
	s_cbranch_vccz .LBB165_307
.LBB165_303:                            ;   in Loop: Header=BB165_304 Depth=2
	s_and_b32 s44, exec_lo, s44
	s_or_b32 s39, s44, s39
	s_andn2_b32 s44, s62, exec_lo
	s_and_b32 s45, s45, exec_lo
	s_or_b32 s62, s44, s45
	s_andn2_b32 exec_lo, exec_lo, s39
	s_cbranch_execz .LBB165_309
.LBB165_304:                            ;   Parent Loop BB165_31 Depth=1
                                        ; =>  This Inner Loop Header: Depth=2
	s_mov_b32 s63, exec_lo
	v_cmpx_gt_u64_e64 s[6:7], v[8:9]
	s_cbranch_execz .LBB165_302
; %bb.305:                              ;   in Loop: Header=BB165_304 Depth=2
	ds_read_b64 v[4:5], v10
	s_waitcnt lgkmcnt(0)
	v_xor_b32_e32 v3, 0x80000000, v5
	v_and_b32_e32 v6, v4, v34
	v_and_b32_e32 v7, v3, v35
	v_cmp_eq_u64_e32 vcc_lo, v[6:7], v[30:31]
	s_and_b32 exec_lo, exec_lo, vcc_lo
	s_cbranch_execz .LBB165_302
; %bb.306:                              ;   in Loop: Header=BB165_304 Depth=2
	v_mov_b32_e32 v3, v19
	ds_write_b128 v19, v[2:5] offset:3072
	s_branch .LBB165_302
.LBB165_307:                            ;   in Loop: Header=BB165_304 Depth=2
	v_add_co_u32 v8, vcc_lo, v8, s33
	v_add_co_ci_u32_e64 v9, null, 0, v9, vcc_lo
	v_add_nc_u32_e32 v10, s95, v10
	s_mov_b32 s45, 0
	v_cmp_le_u64_e32 vcc_lo, s[22:23], v[8:9]
	s_orn2_b32 s44, vcc_lo, exec_lo
	s_branch .LBB165_303
.LBB165_308:                            ;   in Loop: Header=BB165_31 Depth=1
	v_mov_b32_e32 v31, v15
	v_mov_b32_e32 v35, v13
	;; [unrolled: 1-line block ×6, first 2 shown]
	s_mov_b32 s71, 0
	s_and_saveexec_b32 s2, s70
	s_cbranch_execnz .LBB165_485
	s_branch .LBB165_486
.LBB165_309:                            ;   in Loop: Header=BB165_31 Depth=1
	s_inst_prefetch 0x2
	s_or_b32 exec_lo, exec_lo, s39
	s_and_b32 s39, s62, exec_lo
.LBB165_310:                            ;   in Loop: Header=BB165_31 Depth=1
	s_or_b32 exec_lo, exec_lo, s58
.LBB165_311:                            ;   in Loop: Header=BB165_31 Depth=1
	s_and_b32 vcc_lo, exec_lo, s56
	s_cbranch_vccz .LBB165_325
; %bb.312:                              ;   in Loop: Header=BB165_31 Depth=1
	s_mov_b32 s58, s57
	s_cmp_lg_u64 s[58:59], 0
	s_cbranch_scc0 .LBB165_353
; %bb.313:                              ;   in Loop: Header=BB165_31 Depth=1
	v_cvt_f32_u32_e32 v3, s33
	s_sub_u32 s9, 0, s33
	s_subb_u32 s22, 0, 0
	v_fmac_f32_e64 v3, 0x4f800000, 0
	v_rcp_f32_e32 v3, v3
	v_mul_f32_e32 v3, 0x5f7ffffc, v3
	v_mul_f32_e32 v4, 0x2f800000, v3
	v_trunc_f32_e32 v4, v4
	v_fmac_f32_e32 v3, 0xcf800000, v4
	v_cvt_u32_f32_e32 v4, v4
	v_cvt_u32_f32_e32 v3, v3
	v_readfirstlane_b32 s6, v4
	v_readfirstlane_b32 s7, v3
	s_mul_i32 s23, s9, s6
	s_mul_hi_u32 s45, s9, s7
	s_mul_i32 s44, s22, s7
	s_add_i32 s23, s45, s23
	s_mul_i32 s56, s9, s7
	s_add_i32 s23, s23, s44
	s_mul_hi_u32 s45, s7, s56
	s_mul_i32 s62, s7, s23
	s_mul_hi_u32 s58, s6, s56
	s_mul_i32 s44, s6, s56
	s_mul_hi_u32 s56, s7, s23
	s_add_u32 s45, s45, s62
	s_addc_u32 s56, 0, s56
	s_mul_hi_u32 s63, s6, s23
	s_add_u32 s44, s45, s44
	s_mul_i32 s23, s6, s23
	s_addc_u32 s44, s56, s58
	s_addc_u32 s45, s63, 0
	s_add_u32 s23, s44, s23
	s_addc_u32 s44, 0, s45
	s_add_u32 s7, s7, s23
	s_cselect_b32 s23, -1, 0
	s_mul_hi_u32 s45, s9, s7
	s_cmp_lg_u32 s23, 0
	s_mul_i32 s23, s9, s7
	s_addc_u32 s6, s6, s44
	s_mul_i32 s22, s22, s7
	s_mul_i32 s9, s9, s6
	s_mul_hi_u32 s44, s7, s23
	s_add_i32 s9, s45, s9
	s_mul_hi_u32 s45, s6, s23
	s_add_i32 s9, s9, s22
	s_mul_i32 s22, s6, s23
	s_mul_i32 s58, s7, s9
	s_mul_hi_u32 s56, s7, s9
	s_add_u32 s44, s44, s58
	s_addc_u32 s56, 0, s56
	s_mul_hi_u32 s23, s6, s9
	s_add_u32 s22, s44, s22
	s_mul_i32 s9, s6, s9
	s_addc_u32 s22, s56, s45
	s_addc_u32 s23, s23, 0
	s_add_u32 s9, s22, s9
	s_addc_u32 s22, 0, s23
	s_add_u32 s7, s7, s9
	s_cselect_b32 s9, -1, 0
	s_mul_hi_u32 s23, s91, s7
	s_cmp_lg_u32 s9, 0
	s_mul_hi_u32 s9, s59, s7
	s_addc_u32 s6, s6, s22
	s_mul_i32 s7, s59, s7
	s_mul_i32 s44, s91, s6
	s_mul_hi_u32 s22, s91, s6
	s_add_u32 s23, s23, s44
	s_addc_u32 s22, 0, s22
	s_mul_hi_u32 s45, s59, s6
	s_add_u32 s7, s23, s7
	s_mul_i32 s6, s59, s6
	s_addc_u32 s7, s22, s9
	s_addc_u32 s9, s45, 0
	s_add_u32 s6, s7, s6
	s_addc_u32 s7, 0, s9
	s_mul_hi_u32 s9, s33, s6
	s_mul_i32 s7, s33, s7
	s_mul_i32 s6, s33, s6
	s_add_i32 s9, s9, s7
	s_sub_u32 s6, s91, s6
	s_cselect_b32 s7, -1, 0
	s_cmp_lg_u32 s7, 0
	s_subb_u32 s7, s59, s9
	s_sub_u32 s9, s6, s33
	s_cselect_b32 s22, -1, 0
	s_cmp_lg_u32 s22, 0
	s_subb_u32 s22, s7, 0
	;; [unrolled: 4-line block ×3, first 2 shown]
	s_cmp_ge_u32 s9, s33
	s_cselect_b32 s45, -1, 0
	s_cmp_eq_u32 s22, 0
	s_cselect_b32 s45, s45, -1
	s_cmp_lg_u32 s45, 0
	s_cselect_b32 s22, s44, s22
	s_cselect_b32 s9, s23, s9
	s_cmp_ge_u32 s6, s33
	s_cselect_b32 s23, -1, 0
	s_cmp_eq_u32 s7, 0
	s_cselect_b32 s23, s23, -1
	s_cmp_lg_u32 s23, 0
	s_cselect_b32 s7, s22, s7
	s_cselect_b32 s6, s9, s6
	s_cbranch_execnz .LBB165_315
.LBB165_314:                            ;   in Loop: Header=BB165_31 Depth=1
	v_cvt_f32_u32_e32 v3, s33
	s_sub_i32 s7, 0, s33
	v_rcp_iflag_f32_e32 v3, v3
	v_mul_f32_e32 v3, 0x4f7ffffe, v3
	v_cvt_u32_f32_e32 v3, v3
	v_readfirstlane_b32 s6, v3
	s_mul_i32 s7, s7, s6
	s_mul_hi_u32 s7, s6, s7
	s_add_i32 s6, s6, s7
	s_mul_hi_u32 s6, s91, s6
	s_mul_i32 s6, s6, s33
	s_sub_i32 s6, s91, s6
	s_sub_i32 s7, s6, s33
	s_cmp_ge_u32 s6, s33
	s_cselect_b32 s6, s7, s6
	s_sub_i32 s7, s6, s33
	s_cmp_ge_u32 s6, s33
	s_cselect_b32 s56, s7, s6
	s_mov_b64 s[6:7], s[56:57]
.LBB165_315:                            ;   in Loop: Header=BB165_31 Depth=1
	s_sub_u32 s22, s91, s6
	s_subb_u32 s23, s59, s7
	s_mov_b32 s7, exec_lo
                                        ; implicit-def: $vgpr6_vgpr7
	v_cmpx_gt_u64_e64 s[22:23], v[0:1]
	s_cbranch_execz .LBB165_324
; %bb.316:                              ;   in Loop: Header=BB165_31 Depth=1
	v_mov_b32_e32 v8, v32
	v_mov_b32_e32 v11, v1
	;; [unrolled: 1-line block ×4, first 2 shown]
	s_mov_b32 s56, 0
                                        ; implicit-def: $sgpr9
	s_inst_prefetch 0x1
	s_branch .LBB165_319
	.p2align	6
.LBB165_317:                            ;   in Loop: Header=BB165_319 Depth=2
	s_or_b32 exec_lo, exec_lo, s6
	s_waitcnt lgkmcnt(0)
	s_barrier
	buffer_gl0_inv
	ds_read_b128 v[4:7], v19 offset:3072
	s_mov_b32 s6, -1
	s_mov_b32 s44, -1
	s_waitcnt lgkmcnt(0)
	s_barrier
	buffer_gl0_inv
	v_cmp_ne_u64_e32 vcc_lo, 0, v[4:5]
	s_cbranch_vccz .LBB165_322
.LBB165_318:                            ;   in Loop: Header=BB165_319 Depth=2
	s_and_b32 s6, exec_lo, s6
	s_or_b32 s56, s6, s56
	s_andn2_b32 s6, s9, exec_lo
	s_and_b32 s9, s44, exec_lo
	s_or_b32 s9, s6, s9
	s_andn2_b32 exec_lo, exec_lo, s56
	s_cbranch_execz .LBB165_323
.LBB165_319:                            ;   Parent Loop BB165_31 Depth=1
                                        ; =>  This Inner Loop Header: Depth=2
	s_mov_b32 s6, exec_lo
	v_cmpx_gt_u64_e64 s[28:29], v[10:11]
	s_cbranch_execz .LBB165_317
; %bb.320:                              ;   in Loop: Header=BB165_319 Depth=2
	global_load_dwordx2 v[4:5], v[8:9], off
	s_waitcnt vmcnt(0)
	v_xor_b32_e32 v3, 0x80000000, v5
	v_and_b32_e32 v6, v4, v34
	v_and_b32_e32 v7, v3, v35
	v_cmp_eq_u64_e32 vcc_lo, v[6:7], v[30:31]
	s_and_b32 exec_lo, exec_lo, vcc_lo
	s_cbranch_execz .LBB165_317
; %bb.321:                              ;   in Loop: Header=BB165_319 Depth=2
	v_mov_b32_e32 v3, v19
	ds_write_b128 v19, v[2:5] offset:3072
	s_branch .LBB165_317
.LBB165_322:                            ;   in Loop: Header=BB165_319 Depth=2
	v_add_co_u32 v10, vcc_lo, v10, s33
	v_add_co_ci_u32_e64 v11, null, 0, v11, vcc_lo
	v_add_co_u32 v8, s6, v8, s36
	v_add_co_ci_u32_e64 v9, null, s37, v9, s6
	v_cmp_le_u64_e32 vcc_lo, s[22:23], v[10:11]
	s_mov_b32 s44, 0
	s_orn2_b32 s6, vcc_lo, exec_lo
	s_branch .LBB165_318
.LBB165_323:                            ;   in Loop: Header=BB165_31 Depth=1
	s_inst_prefetch 0x2
	s_or_b32 exec_lo, exec_lo, s56
	s_andn2_b32 s6, s39, exec_lo
	s_and_b32 s9, s9, exec_lo
	s_or_b32 s39, s6, s9
.LBB165_324:                            ;   in Loop: Header=BB165_31 Depth=1
	s_or_b32 exec_lo, exec_lo, s7
	s_mov_b32 s9, 0
	s_mov_b32 s71, -1
.LBB165_325:                            ;   in Loop: Header=BB165_31 Depth=1
	s_orn2_b32 s6, s39, exec_lo
.LBB165_326:                            ;   in Loop: Header=BB165_31 Depth=1
	s_or_b32 exec_lo, exec_lo, s38
                                        ; implicit-def: $vgpr38_vgpr39
                                        ; implicit-def: $vgpr44
	s_and_saveexec_b32 s68, s6
	s_cbranch_execz .LBB165_484
; %bb.327:                              ;   in Loop: Header=BB165_31 Depth=1
	v_mov_b32_e32 v38, 1
	v_mov_b32_e32 v39, 0
	;; [unrolled: 1-line block ×3, first 2 shown]
	s_xor_b32 s7, s2, -1
	s_mov_b32 s6, 0
	s_and_saveexec_b32 s2, s7
	s_cbranch_execz .LBB165_336
; %bb.328:                              ;   in Loop: Header=BB165_31 Depth=1
	s_mov_b32 s6, exec_lo
	v_cmpx_ge_u64_e64 s[20:21], v[36:37]
	s_xor_b32 s6, exec_lo, s6
	s_cbranch_execz .LBB165_333
; %bb.329:                              ;   in Loop: Header=BB165_31 Depth=1
	ds_read_b64 v[3:4], v19 offset:5120
	v_or_b32_e32 v31, s13, v31
	v_or_b32_e32 v30, s12, v30
	;; [unrolled: 1-line block ×4, first 2 shown]
	s_waitcnt lgkmcnt(0)
	v_cmp_ne_u64_e32 vcc_lo, 0, v[3:4]
	s_cbranch_vccnz .LBB165_333
; %bb.330:                              ;   in Loop: Header=BB165_31 Depth=1
	s_and_saveexec_b32 s7, s3
; %bb.331:                              ;   in Loop: Header=BB165_31 Depth=1
	v_mov_b32_e32 v3, s20
	v_mov_b32_e32 v4, s21
	ds_write_b64 v19, v[3:4] offset:5128
; %bb.332:                              ;   in Loop: Header=BB165_31 Depth=1
	s_or_b32 exec_lo, exec_lo, s7
	s_waitcnt lgkmcnt(0)
	s_barrier
	buffer_gl0_inv
.LBB165_333:                            ;   in Loop: Header=BB165_31 Depth=1
	s_or_saveexec_b32 s6, s6
	v_mov_b32_e32 v44, 5
	s_mov_b32 s7, 0
	s_xor_b32 exec_lo, exec_lo, s6
; %bb.334:                              ;   in Loop: Header=BB165_31 Depth=1
	v_sub_co_u32 v36, vcc_lo, v36, s20
	v_subrev_co_ci_u32_e64 v37, null, s21, v37, vcc_lo
	v_mov_b32_e32 v44, 0
	s_mov_b32 s7, exec_lo
; %bb.335:                              ;   in Loop: Header=BB165_31 Depth=1
	s_or_b32 exec_lo, exec_lo, s6
	v_mov_b32_e32 v39, v37
	v_mov_b32_e32 v38, v36
	s_and_b32 s6, s7, exec_lo
.LBB165_336:                            ;   in Loop: Header=BB165_31 Depth=1
	s_or_b32 exec_lo, exec_lo, s2
	s_mov_b32 s2, -1
                                        ; implicit-def: $sgpr72
                                        ; implicit-def: $sgpr73
	s_and_saveexec_b32 s7, s6
	s_xor_b32 s69, exec_lo, s7
	s_cbranch_execz .LBB165_481
; %bb.337:                              ;   in Loop: Header=BB165_31 Depth=1
	v_cmp_eq_u64_e32 vcc_lo, 1, v[38:39]
	s_cmp_eq_u64 s[18:19], 1
	s_mov_b32 s6, -1
	s_cselect_b32 s2, -1, 0
                                        ; implicit-def: $sgpr73
                                        ; implicit-def: $sgpr72
	s_and_b32 s2, s2, vcc_lo
	s_and_saveexec_b32 s62, s2
	s_cbranch_execz .LBB165_371
; %bb.338:                              ;   in Loop: Header=BB165_31 Depth=1
	ds_read_b64 v[3:4], v19 offset:5120
	s_waitcnt lgkmcnt(0)
	s_barrier
	buffer_gl0_inv
	v_readfirstlane_b32 s6, v3
	v_readfirstlane_b32 s7, v4
	s_and_saveexec_b32 s20, s8
; %bb.339:                              ;   in Loop: Header=BB165_31 Depth=1
	v_mov_b32_e32 v18, v19
	ds_write_b64 v49, v[18:19]
; %bb.340:                              ;   in Loop: Header=BB165_31 Depth=1
	s_or_b32 exec_lo, exec_lo, s20
	v_and_b32_e32 v3, s15, v31
	v_and_b32_e32 v4, s14, v30
	s_lshl_b64 s[20:21], 2, s50
	v_or_b32_e32 v35, s13, v35
	v_or_b32_e32 v34, s12, v34
	;; [unrolled: 1-line block ×4, first 2 shown]
	s_mov_b32 s72, -1
	s_mov_b32 s73, 0
	s_cmp_eq_u64 s[6:7], 0
	s_mov_b32 s22, 0
	s_mov_b32 s23, -1
	s_waitcnt lgkmcnt(0)
	s_barrier
	buffer_gl0_inv
                                        ; implicit-def: $vgpr6_vgpr7
	s_cbranch_scc1 .LBB165_356
; %bb.341:                              ;   in Loop: Header=BB165_31 Depth=1
	s_add_u32 s38, s6, s89
	s_addc_u32 s21, s7, s90
	s_mov_b32 s20, s57
	s_cmp_lg_u64 s[20:21], 0
	s_cbranch_scc0 .LBB165_397
; %bb.342:                              ;   in Loop: Header=BB165_31 Depth=1
	v_cvt_f32_u32_e32 v3, s33
	s_sub_u32 s23, 0, s33
	s_subb_u32 s39, 0, 0
	v_fmac_f32_e64 v3, 0x4f800000, 0
	v_rcp_f32_e32 v3, v3
	v_mul_f32_e32 v3, 0x5f7ffffc, v3
	v_mul_f32_e32 v4, 0x2f800000, v3
	v_trunc_f32_e32 v4, v4
	v_fmac_f32_e32 v3, 0xcf800000, v4
	v_cvt_u32_f32_e32 v4, v4
	v_cvt_u32_f32_e32 v3, v3
	v_readfirstlane_b32 s20, v4
	v_readfirstlane_b32 s22, v3
	s_mul_i32 s44, s23, s20
	s_mul_hi_u32 s56, s23, s22
	s_mul_i32 s45, s39, s22
	s_add_i32 s44, s56, s44
	s_mul_i32 s58, s23, s22
	s_add_i32 s44, s44, s45
	s_mul_hi_u32 s56, s22, s58
	s_mul_i32 s74, s22, s44
	s_mul_hi_u32 s63, s20, s58
	s_mul_i32 s45, s20, s58
	s_mul_hi_u32 s58, s22, s44
	s_add_u32 s56, s56, s74
	s_addc_u32 s58, 0, s58
	s_mul_hi_u32 s75, s20, s44
	s_add_u32 s45, s56, s45
	s_mul_i32 s44, s20, s44
	s_addc_u32 s45, s58, s63
	s_addc_u32 s56, s75, 0
	s_add_u32 s44, s45, s44
	s_addc_u32 s45, 0, s56
	s_add_u32 s22, s22, s44
	s_cselect_b32 s44, -1, 0
	s_mul_hi_u32 s56, s23, s22
	s_cmp_lg_u32 s44, 0
	s_mul_i32 s44, s23, s22
	s_addc_u32 s20, s20, s45
	s_mul_i32 s39, s39, s22
	s_mul_i32 s23, s23, s20
	s_mul_hi_u32 s45, s22, s44
	s_add_i32 s23, s56, s23
	s_mul_hi_u32 s56, s20, s44
	s_add_i32 s23, s23, s39
	s_mul_i32 s39, s20, s44
	s_mul_i32 s63, s22, s23
	s_mul_hi_u32 s58, s22, s23
	s_add_u32 s45, s45, s63
	s_addc_u32 s58, 0, s58
	s_mul_hi_u32 s44, s20, s23
	s_add_u32 s39, s45, s39
	s_mul_i32 s23, s20, s23
	s_addc_u32 s39, s58, s56
	s_addc_u32 s44, s44, 0
	s_add_u32 s23, s39, s23
	s_addc_u32 s39, 0, s44
	s_add_u32 s22, s22, s23
	s_cselect_b32 s23, -1, 0
	s_mul_hi_u32 s44, s38, s22
	s_cmp_lg_u32 s23, 0
	s_mul_hi_u32 s23, s21, s22
	s_addc_u32 s20, s20, s39
	s_mul_i32 s22, s21, s22
	s_mul_i32 s45, s38, s20
	s_mul_hi_u32 s39, s38, s20
	s_add_u32 s44, s44, s45
	s_addc_u32 s39, 0, s39
	s_mul_hi_u32 s56, s21, s20
	s_add_u32 s22, s44, s22
	s_mul_i32 s20, s21, s20
	s_addc_u32 s22, s39, s23
	s_addc_u32 s23, s56, 0
	s_add_u32 s20, s22, s20
	s_addc_u32 s22, 0, s23
	s_mul_hi_u32 s23, s33, s20
	s_mul_i32 s22, s33, s22
	s_mul_i32 s20, s33, s20
	s_add_i32 s23, s23, s22
	s_sub_u32 s20, s38, s20
	s_cselect_b32 s22, -1, 0
	s_cmp_lg_u32 s22, 0
	s_subb_u32 s22, s21, s23
	s_sub_u32 s23, s20, s33
	s_cselect_b32 s39, -1, 0
	s_cmp_lg_u32 s39, 0
	s_subb_u32 s39, s22, 0
	;; [unrolled: 4-line block ×3, first 2 shown]
	s_cmp_ge_u32 s23, s33
	s_cselect_b32 s56, -1, 0
	s_cmp_eq_u32 s39, 0
	s_cselect_b32 s56, s56, -1
	s_cmp_lg_u32 s56, 0
	s_cselect_b32 s39, s45, s39
	s_cselect_b32 s44, s44, s23
	s_cmp_ge_u32 s20, s33
	s_cselect_b32 s23, -1, 0
	s_cmp_eq_u32 s22, 0
	s_cselect_b32 s23, s23, -1
	s_cmp_lg_u32 s23, 0
	s_cselect_b32 s23, s39, s22
	s_cselect_b32 s22, s44, s20
	s_cbranch_execnz .LBB165_344
.LBB165_343:                            ;   in Loop: Header=BB165_31 Depth=1
	v_cvt_f32_u32_e32 v3, s33
	s_sub_i32 s22, 0, s33
	v_rcp_iflag_f32_e32 v3, v3
	v_mul_f32_e32 v3, 0x4f7ffffe, v3
	v_cvt_u32_f32_e32 v3, v3
	v_readfirstlane_b32 s20, v3
	s_mul_i32 s22, s22, s20
	s_mul_hi_u32 s22, s20, s22
	s_add_i32 s20, s20, s22
	s_mul_hi_u32 s20, s38, s20
	s_mul_i32 s20, s20, s33
	s_sub_i32 s20, s38, s20
	s_sub_i32 s22, s20, s33
	s_cmp_ge_u32 s20, s33
	s_cselect_b32 s20, s22, s20
	s_sub_i32 s22, s20, s33
	s_cmp_ge_u32 s20, s33
	s_cselect_b32 s56, s22, s20
	s_mov_b64 s[22:23], s[56:57]
.LBB165_344:                            ;   in Loop: Header=BB165_31 Depth=1
	s_sub_u32 s20, s38, s22
	s_subb_u32 s21, s21, s23
	s_mov_b32 s23, 0
	s_mov_b32 s22, 0
	s_mov_b32 s38, exec_lo
                                        ; implicit-def: $vgpr6_vgpr7
	v_cmpx_gt_u64_e64 s[20:21], v[0:1]
	s_cbranch_execz .LBB165_355
; %bb.345:                              ;   in Loop: Header=BB165_31 Depth=1
	v_mov_b32_e32 v9, v1
	v_mov_b32_e32 v10, v48
	;; [unrolled: 1-line block ×3, first 2 shown]
                                        ; implicit-def: $sgpr39
	s_inst_prefetch 0x1
	s_branch .LBB165_348
	.p2align	6
.LBB165_346:                            ;   in Loop: Header=BB165_348 Depth=2
	s_or_b32 exec_lo, exec_lo, s56
	s_waitcnt lgkmcnt(0)
	s_barrier
	buffer_gl0_inv
	ds_read_b128 v[4:7], v19 offset:3072
	s_mov_b32 s44, -1
	s_mov_b32 s45, -1
	s_waitcnt lgkmcnt(0)
	s_barrier
	buffer_gl0_inv
	v_cmp_ne_u64_e32 vcc_lo, 0, v[4:5]
	s_cbranch_vccz .LBB165_351
.LBB165_347:                            ;   in Loop: Header=BB165_348 Depth=2
	s_and_b32 s44, exec_lo, s44
	s_or_b32 s22, s44, s22
	s_andn2_b32 s39, s39, exec_lo
	s_and_b32 s44, s45, exec_lo
	s_or_b32 s39, s39, s44
	s_andn2_b32 exec_lo, exec_lo, s22
	s_cbranch_execz .LBB165_354
.LBB165_348:                            ;   Parent Loop BB165_31 Depth=1
                                        ; =>  This Inner Loop Header: Depth=2
	s_mov_b32 s56, exec_lo
	v_cmpx_gt_u64_e64 s[6:7], v[8:9]
	s_cbranch_execz .LBB165_346
; %bb.349:                              ;   in Loop: Header=BB165_348 Depth=2
	ds_read_b64 v[4:5], v10
	s_waitcnt lgkmcnt(0)
	v_xor_b32_e32 v3, 0x80000000, v5
	v_and_b32_e32 v6, v4, v34
	v_and_b32_e32 v7, v3, v35
	v_cmp_eq_u64_e32 vcc_lo, v[6:7], v[30:31]
	s_and_b32 exec_lo, exec_lo, vcc_lo
	s_cbranch_execz .LBB165_346
; %bb.350:                              ;   in Loop: Header=BB165_348 Depth=2
	v_mov_b32_e32 v3, v19
	ds_write_b128 v19, v[2:5] offset:3072
	s_branch .LBB165_346
.LBB165_351:                            ;   in Loop: Header=BB165_348 Depth=2
	v_add_co_u32 v8, vcc_lo, v8, s33
	v_add_co_ci_u32_e64 v9, null, 0, v9, vcc_lo
	v_add_nc_u32_e32 v10, s95, v10
	s_mov_b32 s45, 0
	v_cmp_le_u64_e32 vcc_lo, s[20:21], v[8:9]
	s_orn2_b32 s44, vcc_lo, exec_lo
	s_branch .LBB165_347
.LBB165_352:                            ;   in Loop: Header=BB165_31 Depth=1
                                        ; implicit-def: $sgpr68_sgpr69
	s_branch .LBB165_299
.LBB165_353:                            ;   in Loop: Header=BB165_31 Depth=1
                                        ; implicit-def: $sgpr6_sgpr7
	s_branch .LBB165_314
.LBB165_354:                            ;   in Loop: Header=BB165_31 Depth=1
	s_inst_prefetch 0x2
	s_or_b32 exec_lo, exec_lo, s22
	s_and_b32 s22, s39, exec_lo
.LBB165_355:                            ;   in Loop: Header=BB165_31 Depth=1
	s_or_b32 exec_lo, exec_lo, s38
.LBB165_356:                            ;   in Loop: Header=BB165_31 Depth=1
	s_and_b32 vcc_lo, exec_lo, s23
	s_cbranch_vccz .LBB165_370
; %bb.357:                              ;   in Loop: Header=BB165_31 Depth=1
	s_mov_b32 s58, s57
	s_cmp_lg_u64 s[58:59], 0
	s_cbranch_scc0 .LBB165_398
; %bb.358:                              ;   in Loop: Header=BB165_31 Depth=1
	v_cvt_f32_u32_e32 v3, s33
	s_sub_u32 s20, 0, s33
	s_subb_u32 s21, 0, 0
	v_fmac_f32_e64 v3, 0x4f800000, 0
	v_rcp_f32_e32 v3, v3
	v_mul_f32_e32 v3, 0x5f7ffffc, v3
	v_mul_f32_e32 v4, 0x2f800000, v3
	v_trunc_f32_e32 v4, v4
	v_fmac_f32_e32 v3, 0xcf800000, v4
	v_cvt_u32_f32_e32 v4, v4
	v_cvt_u32_f32_e32 v3, v3
	v_readfirstlane_b32 s6, v4
	v_readfirstlane_b32 s7, v3
	s_mul_i32 s23, s20, s6
	s_mul_hi_u32 s39, s20, s7
	s_mul_i32 s38, s21, s7
	s_add_i32 s23, s39, s23
	s_mul_i32 s44, s20, s7
	s_add_i32 s23, s23, s38
	s_mul_hi_u32 s39, s7, s44
	s_mul_i32 s56, s7, s23
	s_mul_hi_u32 s45, s6, s44
	s_mul_i32 s38, s6, s44
	s_mul_hi_u32 s44, s7, s23
	s_add_u32 s39, s39, s56
	s_addc_u32 s44, 0, s44
	s_mul_hi_u32 s58, s6, s23
	s_add_u32 s38, s39, s38
	s_mul_i32 s23, s6, s23
	s_addc_u32 s38, s44, s45
	s_addc_u32 s39, s58, 0
	s_add_u32 s23, s38, s23
	s_addc_u32 s38, 0, s39
	s_add_u32 s7, s7, s23
	s_cselect_b32 s23, -1, 0
	s_mul_hi_u32 s39, s20, s7
	s_cmp_lg_u32 s23, 0
	s_mul_i32 s23, s20, s7
	s_addc_u32 s6, s6, s38
	s_mul_i32 s21, s21, s7
	s_mul_i32 s20, s20, s6
	s_mul_hi_u32 s38, s7, s23
	s_add_i32 s20, s39, s20
	s_mul_hi_u32 s39, s6, s23
	s_add_i32 s20, s20, s21
	s_mul_i32 s21, s6, s23
	s_mul_i32 s45, s7, s20
	s_mul_hi_u32 s44, s7, s20
	s_add_u32 s38, s38, s45
	s_addc_u32 s44, 0, s44
	s_mul_hi_u32 s23, s6, s20
	s_add_u32 s21, s38, s21
	s_mul_i32 s20, s6, s20
	s_addc_u32 s21, s44, s39
	s_addc_u32 s23, s23, 0
	s_add_u32 s20, s21, s20
	s_addc_u32 s21, 0, s23
	s_add_u32 s7, s7, s20
	s_cselect_b32 s20, -1, 0
	s_mul_hi_u32 s23, s91, s7
	s_cmp_lg_u32 s20, 0
	s_mul_hi_u32 s20, s59, s7
	s_addc_u32 s6, s6, s21
	s_mul_i32 s7, s59, s7
	s_mul_i32 s38, s91, s6
	s_mul_hi_u32 s21, s91, s6
	s_add_u32 s23, s23, s38
	s_addc_u32 s21, 0, s21
	s_mul_hi_u32 s39, s59, s6
	s_add_u32 s7, s23, s7
	s_mul_i32 s6, s59, s6
	s_addc_u32 s7, s21, s20
	s_addc_u32 s20, s39, 0
	s_add_u32 s6, s7, s6
	s_addc_u32 s7, 0, s20
	s_mul_hi_u32 s20, s33, s6
	s_mul_i32 s7, s33, s7
	s_mul_i32 s6, s33, s6
	s_add_i32 s20, s20, s7
	s_sub_u32 s6, s91, s6
	s_cselect_b32 s7, -1, 0
	s_cmp_lg_u32 s7, 0
	s_subb_u32 s7, s59, s20
	s_sub_u32 s20, s6, s33
	s_cselect_b32 s21, -1, 0
	s_cmp_lg_u32 s21, 0
	s_subb_u32 s21, s7, 0
	;; [unrolled: 4-line block ×3, first 2 shown]
	s_cmp_ge_u32 s20, s33
	s_cselect_b32 s39, -1, 0
	s_cmp_eq_u32 s21, 0
	s_cselect_b32 s39, s39, -1
	s_cmp_lg_u32 s39, 0
	s_cselect_b32 s21, s38, s21
	s_cselect_b32 s20, s23, s20
	s_cmp_ge_u32 s6, s33
	s_cselect_b32 s23, -1, 0
	s_cmp_eq_u32 s7, 0
	s_cselect_b32 s23, s23, -1
	s_cmp_lg_u32 s23, 0
	s_cselect_b32 s7, s21, s7
	s_cselect_b32 s6, s20, s6
	s_cbranch_execnz .LBB165_360
.LBB165_359:                            ;   in Loop: Header=BB165_31 Depth=1
	v_cvt_f32_u32_e32 v3, s33
	s_sub_i32 s7, 0, s33
	v_rcp_iflag_f32_e32 v3, v3
	v_mul_f32_e32 v3, 0x4f7ffffe, v3
	v_cvt_u32_f32_e32 v3, v3
	v_readfirstlane_b32 s6, v3
	s_mul_i32 s7, s7, s6
	s_mul_hi_u32 s7, s6, s7
	s_add_i32 s6, s6, s7
	s_mul_hi_u32 s6, s91, s6
	s_mul_i32 s6, s6, s33
	s_sub_i32 s6, s91, s6
	s_sub_i32 s7, s6, s33
	s_cmp_ge_u32 s6, s33
	s_cselect_b32 s6, s7, s6
	s_sub_i32 s7, s6, s33
	s_cmp_ge_u32 s6, s33
	s_cselect_b32 s56, s7, s6
	s_mov_b64 s[6:7], s[56:57]
.LBB165_360:                            ;   in Loop: Header=BB165_31 Depth=1
	s_sub_u32 s20, s91, s6
	s_subb_u32 s21, s59, s7
	s_mov_b32 s7, exec_lo
                                        ; implicit-def: $vgpr6_vgpr7
	v_cmpx_gt_u64_e64 s[20:21], v[0:1]
	s_cbranch_execz .LBB165_369
; %bb.361:                              ;   in Loop: Header=BB165_31 Depth=1
	v_mov_b32_e32 v8, v32
	v_mov_b32_e32 v11, v1
	;; [unrolled: 1-line block ×4, first 2 shown]
	s_mov_b32 s23, 0
                                        ; implicit-def: $sgpr38
	s_inst_prefetch 0x1
	s_branch .LBB165_364
	.p2align	6
.LBB165_362:                            ;   in Loop: Header=BB165_364 Depth=2
	s_or_b32 exec_lo, exec_lo, s6
	s_waitcnt lgkmcnt(0)
	s_barrier
	buffer_gl0_inv
	ds_read_b128 v[4:7], v19 offset:3072
	s_mov_b32 s6, -1
	s_mov_b32 s39, -1
	s_waitcnt lgkmcnt(0)
	s_barrier
	buffer_gl0_inv
	v_cmp_eq_u64_e32 vcc_lo, 0, v[4:5]
	s_cbranch_vccnz .LBB165_367
.LBB165_363:                            ;   in Loop: Header=BB165_364 Depth=2
	s_and_b32 s6, exec_lo, s6
	s_or_b32 s23, s6, s23
	s_andn2_b32 s6, s38, exec_lo
	s_and_b32 s38, s39, exec_lo
	s_or_b32 s38, s6, s38
	s_andn2_b32 exec_lo, exec_lo, s23
	s_cbranch_execz .LBB165_368
.LBB165_364:                            ;   Parent Loop BB165_31 Depth=1
                                        ; =>  This Inner Loop Header: Depth=2
	s_mov_b32 s6, exec_lo
	v_cmpx_gt_u64_e64 s[28:29], v[10:11]
	s_cbranch_execz .LBB165_362
; %bb.365:                              ;   in Loop: Header=BB165_364 Depth=2
	global_load_dwordx2 v[4:5], v[8:9], off
	s_waitcnt vmcnt(0)
	v_xor_b32_e32 v3, 0x80000000, v5
	v_and_b32_e32 v6, v4, v34
	v_and_b32_e32 v7, v3, v35
	v_cmp_eq_u64_e32 vcc_lo, v[6:7], v[30:31]
	s_and_b32 exec_lo, exec_lo, vcc_lo
	s_cbranch_execz .LBB165_362
; %bb.366:                              ;   in Loop: Header=BB165_364 Depth=2
	v_mov_b32_e32 v3, v19
	ds_write_b128 v19, v[2:5] offset:3072
	s_branch .LBB165_362
.LBB165_367:                            ;   in Loop: Header=BB165_364 Depth=2
	v_add_co_u32 v10, vcc_lo, v10, s33
	v_add_co_ci_u32_e64 v11, null, 0, v11, vcc_lo
	v_add_co_u32 v8, s6, v8, s36
	v_add_co_ci_u32_e64 v9, null, s37, v9, s6
	v_cmp_le_u64_e32 vcc_lo, s[20:21], v[10:11]
	s_mov_b32 s39, 0
	s_orn2_b32 s6, vcc_lo, exec_lo
	s_branch .LBB165_363
.LBB165_368:                            ;   in Loop: Header=BB165_31 Depth=1
	s_inst_prefetch 0x2
	s_or_b32 exec_lo, exec_lo, s23
	s_andn2_b32 s6, s22, exec_lo
	s_and_b32 s20, s38, exec_lo
	s_or_b32 s22, s6, s20
.LBB165_369:                            ;   in Loop: Header=BB165_31 Depth=1
	s_or_b32 exec_lo, exec_lo, s7
	s_mov_b32 s72, 0
	s_mov_b32 s73, -1
.LBB165_370:                            ;   in Loop: Header=BB165_31 Depth=1
	s_orn2_b32 s6, s22, exec_lo
.LBB165_371:                            ;   in Loop: Header=BB165_31 Depth=1
	s_or_b32 exec_lo, exec_lo, s62
	s_mov_b32 s7, 0
	s_and_saveexec_b32 s22, s6
	s_cbranch_execz .LBB165_480
; %bb.372:                              ;   in Loop: Header=BB165_31 Depth=1
	v_mov_b32_e32 v8, 1
	v_mov_b32_e32 v9, 0
	v_mov_b32_e32 v44, 1
	s_xor_b32 s7, s2, -1
	s_mov_b32 s6, 0
	s_and_saveexec_b32 s2, s7
	s_cbranch_execz .LBB165_381
; %bb.373:                              ;   in Loop: Header=BB165_31 Depth=1
	s_mov_b32 s6, exec_lo
	v_cmpx_ge_u64_e64 s[18:19], v[38:39]
	s_xor_b32 s6, exec_lo, s6
	s_cbranch_execz .LBB165_378
; %bb.374:                              ;   in Loop: Header=BB165_31 Depth=1
	ds_read_b64 v[3:4], v19 offset:5120
	v_and_b32_e32 v5, s15, v31
	v_and_b32_e32 v8, s14, v30
	s_lshl_b64 s[20:21], 2, s50
	v_or_b32_e32 v35, s13, v35
	v_or_b32_e32 v34, s12, v34
	;; [unrolled: 1-line block ×4, first 2 shown]
	s_waitcnt lgkmcnt(0)
	v_cmp_ne_u64_e32 vcc_lo, 0, v[3:4]
	s_cbranch_vccnz .LBB165_378
; %bb.375:                              ;   in Loop: Header=BB165_31 Depth=1
	s_and_saveexec_b32 s7, s3
; %bb.376:                              ;   in Loop: Header=BB165_31 Depth=1
	v_mov_b32_e32 v3, s18
	v_mov_b32_e32 v4, s19
	ds_write_b64 v19, v[3:4] offset:5128
; %bb.377:                              ;   in Loop: Header=BB165_31 Depth=1
	s_or_b32 exec_lo, exec_lo, s7
	s_waitcnt lgkmcnt(0)
	s_barrier
	buffer_gl0_inv
.LBB165_378:                            ;   in Loop: Header=BB165_31 Depth=1
	s_or_saveexec_b32 s6, s6
	v_mov_b32_e32 v44, 5
	s_mov_b32 s7, 0
	s_xor_b32 exec_lo, exec_lo, s6
; %bb.379:                              ;   in Loop: Header=BB165_31 Depth=1
	v_sub_co_u32 v38, vcc_lo, v38, s18
	v_subrev_co_ci_u32_e64 v39, null, s19, v39, vcc_lo
	v_mov_b32_e32 v44, 0
	s_mov_b32 s7, exec_lo
; %bb.380:                              ;   in Loop: Header=BB165_31 Depth=1
	s_or_b32 exec_lo, exec_lo, s6
	v_mov_b32_e32 v8, v38
	v_mov_b32_e32 v9, v39
	s_and_b32 s6, s7, exec_lo
.LBB165_381:                            ;   in Loop: Header=BB165_31 Depth=1
	s_or_b32 exec_lo, exec_lo, s2
	s_mov_b32 s2, -1
                                        ; implicit-def: $sgpr74
                                        ; implicit-def: $sgpr75
	s_and_saveexec_b32 s23, s6
	s_cbranch_execz .LBB165_479
; %bb.382:                              ;   in Loop: Header=BB165_31 Depth=1
	v_cmp_eq_u64_e32 vcc_lo, 1, v[8:9]
	s_cmp_eq_u64 s[16:17], 1
	s_mov_b32 s6, -1
	s_cselect_b32 s2, -1, 0
                                        ; implicit-def: $sgpr75
                                        ; implicit-def: $sgpr74
	s_and_b32 s62, s2, vcc_lo
	s_and_saveexec_b32 s2, s62
	s_cbranch_execz .LBB165_416
; %bb.383:                              ;   in Loop: Header=BB165_31 Depth=1
	ds_read_b64 v[3:4], v19 offset:5120
	s_waitcnt lgkmcnt(0)
	s_barrier
	buffer_gl0_inv
	v_readfirstlane_b32 s6, v3
	v_readfirstlane_b32 s7, v4
	s_and_saveexec_b32 s18, s8
; %bb.384:                              ;   in Loop: Header=BB165_31 Depth=1
	v_mov_b32_e32 v18, v19
	ds_write_b64 v49, v[18:19]
; %bb.385:                              ;   in Loop: Header=BB165_31 Depth=1
	s_or_b32 exec_lo, exec_lo, s18
	v_and_b32_e32 v3, s15, v31
	v_and_b32_e32 v4, s14, v30
	s_lshl_b64 s[18:19], 1, s50
	v_or_b32_e32 v35, s13, v35
	v_or_b32_e32 v34, s12, v34
	;; [unrolled: 1-line block ×4, first 2 shown]
	s_mov_b32 s74, -1
	s_mov_b32 s75, 0
	s_cmp_eq_u64 s[6:7], 0
	s_mov_b32 s20, 0
	s_mov_b32 s21, -1
	s_waitcnt lgkmcnt(0)
	s_barrier
	buffer_gl0_inv
                                        ; implicit-def: $vgpr6_vgpr7
	s_cbranch_scc1 .LBB165_401
; %bb.386:                              ;   in Loop: Header=BB165_31 Depth=1
	s_add_u32 s38, s6, s89
	s_addc_u32 s19, s7, s90
	s_mov_b32 s18, s57
	s_cmp_lg_u64 s[18:19], 0
	s_cbranch_scc0 .LBB165_433
; %bb.387:                              ;   in Loop: Header=BB165_31 Depth=1
	v_cvt_f32_u32_e32 v3, s33
	s_sub_u32 s21, 0, s33
	s_subb_u32 s39, 0, 0
	v_fmac_f32_e64 v3, 0x4f800000, 0
	v_rcp_f32_e32 v3, v3
	v_mul_f32_e32 v3, 0x5f7ffffc, v3
	v_mul_f32_e32 v4, 0x2f800000, v3
	v_trunc_f32_e32 v4, v4
	v_fmac_f32_e32 v3, 0xcf800000, v4
	v_cvt_u32_f32_e32 v4, v4
	v_cvt_u32_f32_e32 v3, v3
	v_readfirstlane_b32 s18, v4
	v_readfirstlane_b32 s20, v3
	s_mul_i32 s44, s21, s18
	s_mul_hi_u32 s56, s21, s20
	s_mul_i32 s45, s39, s20
	s_add_i32 s44, s56, s44
	s_mul_i32 s58, s21, s20
	s_add_i32 s44, s44, s45
	s_mul_hi_u32 s56, s20, s58
	s_mul_i32 s76, s20, s44
	s_mul_hi_u32 s63, s18, s58
	s_mul_i32 s45, s18, s58
	s_mul_hi_u32 s58, s20, s44
	s_add_u32 s56, s56, s76
	s_addc_u32 s58, 0, s58
	s_mul_hi_u32 s77, s18, s44
	s_add_u32 s45, s56, s45
	s_mul_i32 s44, s18, s44
	s_addc_u32 s45, s58, s63
	s_addc_u32 s56, s77, 0
	s_add_u32 s44, s45, s44
	s_addc_u32 s45, 0, s56
	s_add_u32 s20, s20, s44
	s_cselect_b32 s44, -1, 0
	s_mul_hi_u32 s56, s21, s20
	s_cmp_lg_u32 s44, 0
	s_mul_i32 s44, s21, s20
	s_addc_u32 s18, s18, s45
	s_mul_i32 s39, s39, s20
	s_mul_i32 s21, s21, s18
	s_mul_hi_u32 s45, s20, s44
	s_add_i32 s21, s56, s21
	s_mul_hi_u32 s56, s18, s44
	s_add_i32 s21, s21, s39
	s_mul_i32 s39, s18, s44
	s_mul_i32 s63, s20, s21
	s_mul_hi_u32 s58, s20, s21
	s_add_u32 s45, s45, s63
	s_addc_u32 s58, 0, s58
	s_mul_hi_u32 s44, s18, s21
	s_add_u32 s39, s45, s39
	s_mul_i32 s21, s18, s21
	s_addc_u32 s39, s58, s56
	s_addc_u32 s44, s44, 0
	s_add_u32 s21, s39, s21
	s_addc_u32 s39, 0, s44
	s_add_u32 s20, s20, s21
	s_cselect_b32 s21, -1, 0
	s_mul_hi_u32 s44, s38, s20
	s_cmp_lg_u32 s21, 0
	s_mul_hi_u32 s21, s19, s20
	s_addc_u32 s18, s18, s39
	s_mul_i32 s20, s19, s20
	s_mul_i32 s45, s38, s18
	s_mul_hi_u32 s39, s38, s18
	s_add_u32 s44, s44, s45
	s_addc_u32 s39, 0, s39
	s_mul_hi_u32 s56, s19, s18
	s_add_u32 s20, s44, s20
	s_mul_i32 s18, s19, s18
	s_addc_u32 s20, s39, s21
	s_addc_u32 s21, s56, 0
	s_add_u32 s18, s20, s18
	s_addc_u32 s20, 0, s21
	s_mul_hi_u32 s21, s33, s18
	s_mul_i32 s20, s33, s20
	s_mul_i32 s18, s33, s18
	s_add_i32 s21, s21, s20
	s_sub_u32 s18, s38, s18
	s_cselect_b32 s20, -1, 0
	s_cmp_lg_u32 s20, 0
	s_subb_u32 s20, s19, s21
	s_sub_u32 s21, s18, s33
	s_cselect_b32 s39, -1, 0
	s_cmp_lg_u32 s39, 0
	s_subb_u32 s39, s20, 0
	;; [unrolled: 4-line block ×3, first 2 shown]
	s_cmp_ge_u32 s21, s33
	s_cselect_b32 s56, -1, 0
	s_cmp_eq_u32 s39, 0
	s_cselect_b32 s56, s56, -1
	s_cmp_lg_u32 s56, 0
	s_cselect_b32 s39, s45, s39
	s_cselect_b32 s44, s44, s21
	s_cmp_ge_u32 s18, s33
	s_cselect_b32 s21, -1, 0
	s_cmp_eq_u32 s20, 0
	s_cselect_b32 s21, s21, -1
	s_cmp_lg_u32 s21, 0
	s_cselect_b32 s21, s39, s20
	s_cselect_b32 s20, s44, s18
	s_cbranch_execnz .LBB165_389
.LBB165_388:                            ;   in Loop: Header=BB165_31 Depth=1
	v_cvt_f32_u32_e32 v3, s33
	s_sub_i32 s20, 0, s33
	v_rcp_iflag_f32_e32 v3, v3
	v_mul_f32_e32 v3, 0x4f7ffffe, v3
	v_cvt_u32_f32_e32 v3, v3
	v_readfirstlane_b32 s18, v3
	s_mul_i32 s20, s20, s18
	s_mul_hi_u32 s20, s18, s20
	s_add_i32 s18, s18, s20
	s_mul_hi_u32 s18, s38, s18
	s_mul_i32 s18, s18, s33
	s_sub_i32 s18, s38, s18
	s_sub_i32 s20, s18, s33
	s_cmp_ge_u32 s18, s33
	s_cselect_b32 s18, s20, s18
	s_sub_i32 s20, s18, s33
	s_cmp_ge_u32 s18, s33
	s_cselect_b32 s56, s20, s18
	s_mov_b64 s[20:21], s[56:57]
.LBB165_389:                            ;   in Loop: Header=BB165_31 Depth=1
	s_sub_u32 s18, s38, s20
	s_subb_u32 s19, s19, s21
	s_mov_b32 s21, 0
	s_mov_b32 s20, 0
	s_mov_b32 s38, exec_lo
                                        ; implicit-def: $vgpr6_vgpr7
	v_cmpx_gt_u64_e64 s[18:19], v[0:1]
	s_cbranch_execz .LBB165_400
; %bb.390:                              ;   in Loop: Header=BB165_31 Depth=1
	v_mov_b32_e32 v11, v1
	v_mov_b32_e32 v12, v48
	;; [unrolled: 1-line block ×3, first 2 shown]
                                        ; implicit-def: $sgpr39
	s_inst_prefetch 0x1
	s_branch .LBB165_393
	.p2align	6
.LBB165_391:                            ;   in Loop: Header=BB165_393 Depth=2
	s_or_b32 exec_lo, exec_lo, s56
	s_waitcnt lgkmcnt(0)
	s_barrier
	buffer_gl0_inv
	ds_read_b128 v[4:7], v19 offset:3072
	s_mov_b32 s44, -1
	s_mov_b32 s45, -1
	s_waitcnt lgkmcnt(0)
	s_barrier
	buffer_gl0_inv
	v_cmp_ne_u64_e32 vcc_lo, 0, v[4:5]
	s_cbranch_vccz .LBB165_396
.LBB165_392:                            ;   in Loop: Header=BB165_393 Depth=2
	s_and_b32 s44, exec_lo, s44
	s_or_b32 s20, s44, s20
	s_andn2_b32 s39, s39, exec_lo
	s_and_b32 s44, s45, exec_lo
	s_or_b32 s39, s39, s44
	s_andn2_b32 exec_lo, exec_lo, s20
	s_cbranch_execz .LBB165_399
.LBB165_393:                            ;   Parent Loop BB165_31 Depth=1
                                        ; =>  This Inner Loop Header: Depth=2
	s_mov_b32 s56, exec_lo
	v_cmpx_gt_u64_e64 s[6:7], v[10:11]
	s_cbranch_execz .LBB165_391
; %bb.394:                              ;   in Loop: Header=BB165_393 Depth=2
	ds_read_b64 v[4:5], v12
	s_waitcnt lgkmcnt(0)
	v_xor_b32_e32 v3, 0x80000000, v5
	v_and_b32_e32 v6, v4, v34
	v_and_b32_e32 v7, v3, v35
	v_cmp_eq_u64_e32 vcc_lo, v[6:7], v[30:31]
	s_and_b32 exec_lo, exec_lo, vcc_lo
	s_cbranch_execz .LBB165_391
; %bb.395:                              ;   in Loop: Header=BB165_393 Depth=2
	v_mov_b32_e32 v3, v19
	ds_write_b128 v19, v[2:5] offset:3072
	s_branch .LBB165_391
.LBB165_396:                            ;   in Loop: Header=BB165_393 Depth=2
	v_add_co_u32 v10, vcc_lo, v10, s33
	v_add_co_ci_u32_e64 v11, null, 0, v11, vcc_lo
	v_add_nc_u32_e32 v12, s95, v12
	s_mov_b32 s45, 0
	v_cmp_le_u64_e32 vcc_lo, s[18:19], v[10:11]
	s_orn2_b32 s44, vcc_lo, exec_lo
	s_branch .LBB165_392
.LBB165_397:                            ;   in Loop: Header=BB165_31 Depth=1
                                        ; implicit-def: $sgpr22_sgpr23
	s_branch .LBB165_343
.LBB165_398:                            ;   in Loop: Header=BB165_31 Depth=1
                                        ; implicit-def: $sgpr6_sgpr7
	s_branch .LBB165_359
.LBB165_399:                            ;   in Loop: Header=BB165_31 Depth=1
	s_inst_prefetch 0x2
	s_or_b32 exec_lo, exec_lo, s20
	s_and_b32 s20, s39, exec_lo
.LBB165_400:                            ;   in Loop: Header=BB165_31 Depth=1
	s_or_b32 exec_lo, exec_lo, s38
.LBB165_401:                            ;   in Loop: Header=BB165_31 Depth=1
	s_and_b32 vcc_lo, exec_lo, s21
	s_cbranch_vccz .LBB165_415
; %bb.402:                              ;   in Loop: Header=BB165_31 Depth=1
	s_mov_b32 s58, s57
	s_cmp_lg_u64 s[58:59], 0
	s_cbranch_scc0 .LBB165_434
; %bb.403:                              ;   in Loop: Header=BB165_31 Depth=1
	v_cvt_f32_u32_e32 v3, s33
	s_sub_u32 s18, 0, s33
	s_subb_u32 s19, 0, 0
	v_fmac_f32_e64 v3, 0x4f800000, 0
	v_rcp_f32_e32 v3, v3
	v_mul_f32_e32 v3, 0x5f7ffffc, v3
	v_mul_f32_e32 v4, 0x2f800000, v3
	v_trunc_f32_e32 v4, v4
	v_fmac_f32_e32 v3, 0xcf800000, v4
	v_cvt_u32_f32_e32 v4, v4
	v_cvt_u32_f32_e32 v3, v3
	v_readfirstlane_b32 s6, v4
	v_readfirstlane_b32 s7, v3
	s_mul_i32 s21, s18, s6
	s_mul_hi_u32 s39, s18, s7
	s_mul_i32 s38, s19, s7
	s_add_i32 s21, s39, s21
	s_mul_i32 s44, s18, s7
	s_add_i32 s21, s21, s38
	s_mul_hi_u32 s39, s7, s44
	s_mul_i32 s56, s7, s21
	s_mul_hi_u32 s45, s6, s44
	s_mul_i32 s38, s6, s44
	s_mul_hi_u32 s44, s7, s21
	s_add_u32 s39, s39, s56
	s_addc_u32 s44, 0, s44
	s_mul_hi_u32 s58, s6, s21
	s_add_u32 s38, s39, s38
	s_mul_i32 s21, s6, s21
	s_addc_u32 s38, s44, s45
	s_addc_u32 s39, s58, 0
	s_add_u32 s21, s38, s21
	s_addc_u32 s38, 0, s39
	s_add_u32 s7, s7, s21
	s_cselect_b32 s21, -1, 0
	s_mul_hi_u32 s39, s18, s7
	s_cmp_lg_u32 s21, 0
	s_mul_i32 s21, s18, s7
	s_addc_u32 s6, s6, s38
	s_mul_i32 s19, s19, s7
	s_mul_i32 s18, s18, s6
	s_mul_hi_u32 s38, s7, s21
	s_add_i32 s18, s39, s18
	s_mul_hi_u32 s39, s6, s21
	s_add_i32 s18, s18, s19
	s_mul_i32 s19, s6, s21
	s_mul_i32 s45, s7, s18
	s_mul_hi_u32 s44, s7, s18
	s_add_u32 s38, s38, s45
	s_addc_u32 s44, 0, s44
	s_mul_hi_u32 s21, s6, s18
	s_add_u32 s19, s38, s19
	s_mul_i32 s18, s6, s18
	s_addc_u32 s19, s44, s39
	s_addc_u32 s21, s21, 0
	s_add_u32 s18, s19, s18
	s_addc_u32 s19, 0, s21
	s_add_u32 s7, s7, s18
	s_cselect_b32 s18, -1, 0
	s_mul_hi_u32 s21, s91, s7
	s_cmp_lg_u32 s18, 0
	s_mul_hi_u32 s18, s59, s7
	s_addc_u32 s6, s6, s19
	s_mul_i32 s7, s59, s7
	s_mul_i32 s38, s91, s6
	s_mul_hi_u32 s19, s91, s6
	s_add_u32 s21, s21, s38
	s_addc_u32 s19, 0, s19
	s_mul_hi_u32 s39, s59, s6
	s_add_u32 s7, s21, s7
	s_mul_i32 s6, s59, s6
	s_addc_u32 s7, s19, s18
	s_addc_u32 s18, s39, 0
	s_add_u32 s6, s7, s6
	s_addc_u32 s7, 0, s18
	s_mul_hi_u32 s18, s33, s6
	s_mul_i32 s7, s33, s7
	s_mul_i32 s6, s33, s6
	s_add_i32 s18, s18, s7
	s_sub_u32 s6, s91, s6
	s_cselect_b32 s7, -1, 0
	s_cmp_lg_u32 s7, 0
	s_subb_u32 s7, s59, s18
	s_sub_u32 s18, s6, s33
	s_cselect_b32 s19, -1, 0
	s_cmp_lg_u32 s19, 0
	s_subb_u32 s19, s7, 0
	;; [unrolled: 4-line block ×3, first 2 shown]
	s_cmp_ge_u32 s18, s33
	s_cselect_b32 s39, -1, 0
	s_cmp_eq_u32 s19, 0
	s_cselect_b32 s39, s39, -1
	s_cmp_lg_u32 s39, 0
	s_cselect_b32 s19, s38, s19
	s_cselect_b32 s18, s21, s18
	s_cmp_ge_u32 s6, s33
	s_cselect_b32 s21, -1, 0
	s_cmp_eq_u32 s7, 0
	s_cselect_b32 s21, s21, -1
	s_cmp_lg_u32 s21, 0
	s_cselect_b32 s7, s19, s7
	s_cselect_b32 s6, s18, s6
	s_cbranch_execnz .LBB165_405
.LBB165_404:                            ;   in Loop: Header=BB165_31 Depth=1
	v_cvt_f32_u32_e32 v3, s33
	s_sub_i32 s7, 0, s33
	v_rcp_iflag_f32_e32 v3, v3
	v_mul_f32_e32 v3, 0x4f7ffffe, v3
	v_cvt_u32_f32_e32 v3, v3
	v_readfirstlane_b32 s6, v3
	s_mul_i32 s7, s7, s6
	s_mul_hi_u32 s7, s6, s7
	s_add_i32 s6, s6, s7
	s_mul_hi_u32 s6, s91, s6
	s_mul_i32 s6, s6, s33
	s_sub_i32 s6, s91, s6
	s_sub_i32 s7, s6, s33
	s_cmp_ge_u32 s6, s33
	s_cselect_b32 s6, s7, s6
	s_sub_i32 s7, s6, s33
	s_cmp_ge_u32 s6, s33
	s_cselect_b32 s56, s7, s6
	s_mov_b64 s[6:7], s[56:57]
.LBB165_405:                            ;   in Loop: Header=BB165_31 Depth=1
	s_sub_u32 s18, s91, s6
	s_subb_u32 s19, s59, s7
	s_mov_b32 s7, exec_lo
                                        ; implicit-def: $vgpr6_vgpr7
	v_cmpx_gt_u64_e64 s[18:19], v[0:1]
	s_cbranch_execz .LBB165_414
; %bb.406:                              ;   in Loop: Header=BB165_31 Depth=1
	v_mov_b32_e32 v10, v32
	v_mov_b32_e32 v13, v1
	;; [unrolled: 1-line block ×4, first 2 shown]
	s_mov_b32 s21, 0
                                        ; implicit-def: $sgpr38
	s_inst_prefetch 0x1
	s_branch .LBB165_409
	.p2align	6
.LBB165_407:                            ;   in Loop: Header=BB165_409 Depth=2
	s_or_b32 exec_lo, exec_lo, s6
	s_waitcnt lgkmcnt(0)
	s_barrier
	buffer_gl0_inv
	ds_read_b128 v[4:7], v19 offset:3072
	s_mov_b32 s6, -1
	s_mov_b32 s39, -1
	s_waitcnt lgkmcnt(0)
	s_barrier
	buffer_gl0_inv
	v_cmp_eq_u64_e32 vcc_lo, 0, v[4:5]
	s_cbranch_vccnz .LBB165_412
.LBB165_408:                            ;   in Loop: Header=BB165_409 Depth=2
	s_and_b32 s6, exec_lo, s6
	s_or_b32 s21, s6, s21
	s_andn2_b32 s6, s38, exec_lo
	s_and_b32 s38, s39, exec_lo
	s_or_b32 s38, s6, s38
	s_andn2_b32 exec_lo, exec_lo, s21
	s_cbranch_execz .LBB165_413
.LBB165_409:                            ;   Parent Loop BB165_31 Depth=1
                                        ; =>  This Inner Loop Header: Depth=2
	s_mov_b32 s6, exec_lo
	v_cmpx_gt_u64_e64 s[28:29], v[12:13]
	s_cbranch_execz .LBB165_407
; %bb.410:                              ;   in Loop: Header=BB165_409 Depth=2
	global_load_dwordx2 v[4:5], v[10:11], off
	s_waitcnt vmcnt(0)
	v_xor_b32_e32 v3, 0x80000000, v5
	v_and_b32_e32 v6, v4, v34
	v_and_b32_e32 v7, v3, v35
	v_cmp_eq_u64_e32 vcc_lo, v[6:7], v[30:31]
	s_and_b32 exec_lo, exec_lo, vcc_lo
	s_cbranch_execz .LBB165_407
; %bb.411:                              ;   in Loop: Header=BB165_409 Depth=2
	v_mov_b32_e32 v3, v19
	ds_write_b128 v19, v[2:5] offset:3072
	s_branch .LBB165_407
.LBB165_412:                            ;   in Loop: Header=BB165_409 Depth=2
	v_add_co_u32 v12, vcc_lo, v12, s33
	v_add_co_ci_u32_e64 v13, null, 0, v13, vcc_lo
	v_add_co_u32 v10, s6, v10, s36
	v_add_co_ci_u32_e64 v11, null, s37, v11, s6
	v_cmp_le_u64_e32 vcc_lo, s[18:19], v[12:13]
	s_mov_b32 s39, 0
	s_orn2_b32 s6, vcc_lo, exec_lo
	s_branch .LBB165_408
.LBB165_413:                            ;   in Loop: Header=BB165_31 Depth=1
	s_inst_prefetch 0x2
	s_or_b32 exec_lo, exec_lo, s21
	s_andn2_b32 s6, s20, exec_lo
	s_and_b32 s18, s38, exec_lo
	s_or_b32 s20, s6, s18
.LBB165_414:                            ;   in Loop: Header=BB165_31 Depth=1
	s_or_b32 exec_lo, exec_lo, s7
	s_mov_b32 s74, 0
	s_mov_b32 s75, -1
.LBB165_415:                            ;   in Loop: Header=BB165_31 Depth=1
	s_orn2_b32 s6, s20, exec_lo
.LBB165_416:                            ;   in Loop: Header=BB165_31 Depth=1
	s_or_b32 exec_lo, exec_lo, s2
	s_mov_b32 s7, 0
	s_and_saveexec_b32 s2, s6
	s_cbranch_execz .LBB165_478
; %bb.417:                              ;   in Loop: Header=BB165_31 Depth=1
	v_mov_b32_e32 v10, 1
	v_mov_b32_e32 v11, 0
	;; [unrolled: 1-line block ×3, first 2 shown]
	s_xor_b32 s18, s62, -1
	s_and_saveexec_b32 s6, s18
	s_cbranch_execz .LBB165_426
; %bb.418:                              ;   in Loop: Header=BB165_31 Depth=1
	s_mov_b32 s7, exec_lo
	v_cmpx_ge_u64_e64 s[16:17], v[8:9]
	s_xor_b32 s7, exec_lo, s7
	s_cbranch_execz .LBB165_423
; %bb.419:                              ;   in Loop: Header=BB165_31 Depth=1
	ds_read_b64 v[3:4], v19 offset:5120
	v_and_b32_e32 v5, s15, v31
	v_and_b32_e32 v10, s14, v30
	s_lshl_b64 s[18:19], 1, s50
	v_or_b32_e32 v35, s13, v35
	v_or_b32_e32 v34, s12, v34
	v_or_b32_e32 v31, s19, v5
	v_or_b32_e32 v30, s18, v10
	s_waitcnt lgkmcnt(0)
	v_cmp_ne_u64_e32 vcc_lo, 0, v[3:4]
	s_cbranch_vccnz .LBB165_423
; %bb.420:                              ;   in Loop: Header=BB165_31 Depth=1
	s_and_saveexec_b32 s18, s3
; %bb.421:                              ;   in Loop: Header=BB165_31 Depth=1
	v_mov_b32_e32 v3, s16
	v_mov_b32_e32 v4, s17
	ds_write_b64 v19, v[3:4] offset:5128
; %bb.422:                              ;   in Loop: Header=BB165_31 Depth=1
	s_or_b32 exec_lo, exec_lo, s18
	s_waitcnt lgkmcnt(0)
	s_barrier
	buffer_gl0_inv
.LBB165_423:                            ;   in Loop: Header=BB165_31 Depth=1
	s_or_saveexec_b32 s7, s7
	v_mov_b32_e32 v44, 5
	s_mov_b32 s18, 0
	s_xor_b32 exec_lo, exec_lo, s7
; %bb.424:                              ;   in Loop: Header=BB165_31 Depth=1
	v_sub_co_u32 v8, vcc_lo, v8, s16
	v_subrev_co_ci_u32_e64 v9, null, s17, v9, vcc_lo
	v_mov_b32_e32 v44, 0
	s_mov_b32 s18, exec_lo
; %bb.425:                              ;   in Loop: Header=BB165_31 Depth=1
	s_or_b32 exec_lo, exec_lo, s7
	v_mov_b32_e32 v11, v9
	v_mov_b32_e32 v10, v8
	s_and_b32 s7, s18, exec_lo
.LBB165_426:                            ;   in Loop: Header=BB165_31 Depth=1
	s_or_b32 exec_lo, exec_lo, s6
	s_mov_b32 s6, -1
                                        ; implicit-def: $sgpr58
                                        ; implicit-def: $sgpr39
	s_and_saveexec_b32 s20, s7
	s_cbranch_execz .LBB165_477
; %bb.427:                              ;   in Loop: Header=BB165_31 Depth=1
	v_cmp_eq_u64_e32 vcc_lo, 1, v[10:11]
	s_cmp_eq_u64 s[10:11], 1
	s_mov_b32 s7, -1
	s_cselect_b32 s6, -1, 0
                                        ; implicit-def: $sgpr58
                                        ; implicit-def: $sgpr39
	s_and_b32 s21, s6, vcc_lo
	s_and_saveexec_b32 s38, s21
	s_cbranch_execz .LBB165_465
; %bb.428:                              ;   in Loop: Header=BB165_31 Depth=1
	ds_read_b64 v[3:4], v19 offset:5120
	s_waitcnt lgkmcnt(0)
	s_barrier
	buffer_gl0_inv
	v_readfirstlane_b32 s6, v3
	v_readfirstlane_b32 s7, v4
	s_and_saveexec_b32 s16, s8
; %bb.429:                              ;   in Loop: Header=BB165_31 Depth=1
	v_mov_b32_e32 v18, v19
	ds_write_b64 v49, v[18:19]
; %bb.430:                              ;   in Loop: Header=BB165_31 Depth=1
	s_or_b32 exec_lo, exec_lo, s16
	v_and_b32_e32 v31, s15, v31
	v_and_b32_e32 v30, s14, v30
	v_or_b32_e32 v35, s13, v35
	v_or_b32_e32 v34, s12, v34
	s_mov_b32 s39, -1
	s_mov_b32 s58, 0
	s_cmp_eq_u64 s[6:7], 0
	s_mov_b32 s18, 0
	s_mov_b32 s19, -1
	s_waitcnt lgkmcnt(0)
	s_barrier
	buffer_gl0_inv
                                        ; implicit-def: $vgpr6_vgpr7
	s_cbranch_scc1 .LBB165_448
; %bb.431:                              ;   in Loop: Header=BB165_31 Depth=1
	s_add_u32 s62, s6, s89
	s_addc_u32 s17, s7, s90
	s_mov_b32 s16, s57
	s_cmp_lg_u64 s[16:17], 0
	s_cbranch_scc0 .LBB165_435
; %bb.432:                              ;   in Loop: Header=BB165_31 Depth=1
	v_cvt_f32_u32_e32 v3, s33
	s_sub_u32 s19, 0, s33
	s_subb_u32 s44, 0, 0
	v_fmac_f32_e64 v3, 0x4f800000, 0
	v_rcp_f32_e32 v3, v3
	v_mul_f32_e32 v3, 0x5f7ffffc, v3
	v_mul_f32_e32 v4, 0x2f800000, v3
	v_trunc_f32_e32 v4, v4
	v_fmac_f32_e32 v3, 0xcf800000, v4
	v_cvt_u32_f32_e32 v4, v4
	v_cvt_u32_f32_e32 v3, v3
	v_readfirstlane_b32 s16, v4
	v_readfirstlane_b32 s18, v3
	s_mul_i32 s45, s19, s16
	s_mul_hi_u32 s63, s19, s18
	s_mul_i32 s56, s44, s18
	s_add_i32 s45, s63, s45
	s_mul_i32 s76, s19, s18
	s_add_i32 s45, s45, s56
	s_mul_hi_u32 s63, s18, s76
	s_mul_i32 s78, s18, s45
	s_mul_hi_u32 s77, s16, s76
	s_mul_i32 s56, s16, s76
	s_mul_hi_u32 s76, s18, s45
	s_add_u32 s63, s63, s78
	s_addc_u32 s76, 0, s76
	s_mul_hi_u32 s79, s16, s45
	s_add_u32 s56, s63, s56
	s_mul_i32 s45, s16, s45
	s_addc_u32 s56, s76, s77
	s_addc_u32 s63, s79, 0
	s_add_u32 s45, s56, s45
	s_addc_u32 s56, 0, s63
	s_add_u32 s18, s18, s45
	s_cselect_b32 s45, -1, 0
	s_mul_hi_u32 s63, s19, s18
	s_cmp_lg_u32 s45, 0
	s_mul_i32 s45, s19, s18
	s_addc_u32 s16, s16, s56
	s_mul_i32 s44, s44, s18
	s_mul_i32 s19, s19, s16
	s_mul_hi_u32 s56, s18, s45
	s_add_i32 s19, s63, s19
	s_mul_hi_u32 s63, s16, s45
	s_add_i32 s19, s19, s44
	s_mul_i32 s44, s16, s45
	s_mul_i32 s77, s18, s19
	s_mul_hi_u32 s76, s18, s19
	s_add_u32 s56, s56, s77
	s_addc_u32 s76, 0, s76
	s_mul_hi_u32 s45, s16, s19
	s_add_u32 s44, s56, s44
	s_mul_i32 s19, s16, s19
	s_addc_u32 s44, s76, s63
	s_addc_u32 s45, s45, 0
	s_add_u32 s19, s44, s19
	s_addc_u32 s44, 0, s45
	s_add_u32 s18, s18, s19
	s_cselect_b32 s19, -1, 0
	s_mul_hi_u32 s45, s62, s18
	s_cmp_lg_u32 s19, 0
	s_mul_hi_u32 s19, s17, s18
	s_addc_u32 s16, s16, s44
	s_mul_i32 s18, s17, s18
	s_mul_i32 s56, s62, s16
	s_mul_hi_u32 s44, s62, s16
	s_add_u32 s45, s45, s56
	s_addc_u32 s44, 0, s44
	s_mul_hi_u32 s63, s17, s16
	s_add_u32 s18, s45, s18
	s_mul_i32 s16, s17, s16
	s_addc_u32 s18, s44, s19
	s_addc_u32 s19, s63, 0
	s_add_u32 s16, s18, s16
	s_addc_u32 s18, 0, s19
	s_mul_hi_u32 s19, s33, s16
	s_mul_i32 s18, s33, s18
	s_mul_i32 s16, s33, s16
	s_add_i32 s19, s19, s18
	s_sub_u32 s16, s62, s16
	s_cselect_b32 s18, -1, 0
	s_cmp_lg_u32 s18, 0
	s_subb_u32 s18, s17, s19
	s_sub_u32 s19, s16, s33
	s_cselect_b32 s44, -1, 0
	s_cmp_lg_u32 s44, 0
	s_subb_u32 s44, s18, 0
	;; [unrolled: 4-line block ×3, first 2 shown]
	s_cmp_ge_u32 s19, s33
	s_cselect_b32 s63, -1, 0
	s_cmp_eq_u32 s44, 0
	s_cselect_b32 s63, s63, -1
	s_cmp_lg_u32 s63, 0
	s_cselect_b32 s44, s56, s44
	s_cselect_b32 s45, s45, s19
	s_cmp_ge_u32 s16, s33
	s_cselect_b32 s19, -1, 0
	s_cmp_eq_u32 s18, 0
	s_cselect_b32 s19, s19, -1
	s_cmp_lg_u32 s19, 0
	s_cselect_b32 s19, s44, s18
	s_cselect_b32 s18, s45, s16
	s_mov_b32 s16, 0
	s_branch .LBB165_436
.LBB165_433:                            ;   in Loop: Header=BB165_31 Depth=1
                                        ; implicit-def: $sgpr20_sgpr21
	s_branch .LBB165_388
.LBB165_434:                            ;   in Loop: Header=BB165_31 Depth=1
                                        ; implicit-def: $sgpr6_sgpr7
	s_branch .LBB165_404
.LBB165_435:                            ;   in Loop: Header=BB165_31 Depth=1
	s_mov_b32 s16, -1
                                        ; implicit-def: $sgpr18_sgpr19
.LBB165_436:                            ;   in Loop: Header=BB165_31 Depth=1
	s_andn2_b32 vcc_lo, exec_lo, s16
	s_cbranch_vccnz .LBB165_438
; %bb.437:                              ;   in Loop: Header=BB165_31 Depth=1
	v_cvt_f32_u32_e32 v3, s33
	s_sub_i32 s18, 0, s33
	v_rcp_iflag_f32_e32 v3, v3
	v_mul_f32_e32 v3, 0x4f7ffffe, v3
	v_cvt_u32_f32_e32 v3, v3
	v_readfirstlane_b32 s16, v3
	s_mul_i32 s18, s18, s16
	s_mul_hi_u32 s18, s16, s18
	s_add_i32 s16, s16, s18
	s_mul_hi_u32 s16, s62, s16
	s_mul_i32 s16, s16, s33
	s_sub_i32 s16, s62, s16
	s_sub_i32 s18, s16, s33
	s_cmp_ge_u32 s16, s33
	s_cselect_b32 s16, s18, s16
	s_sub_i32 s18, s16, s33
	s_cmp_ge_u32 s16, s33
	s_cselect_b32 s56, s18, s16
	s_mov_b64 s[18:19], s[56:57]
.LBB165_438:                            ;   in Loop: Header=BB165_31 Depth=1
	s_sub_u32 s16, s62, s18
	s_subb_u32 s17, s17, s19
	s_mov_b32 s19, 0
	s_mov_b32 s18, 0
	s_mov_b32 s56, exec_lo
                                        ; implicit-def: $vgpr6_vgpr7
	v_cmpx_gt_u64_e64 s[16:17], v[0:1]
	s_cbranch_execz .LBB165_447
; %bb.439:                              ;   in Loop: Header=BB165_31 Depth=1
	v_mov_b32_e32 v9, v1
	v_mov_b32_e32 v12, v48
	;; [unrolled: 1-line block ×3, first 2 shown]
                                        ; implicit-def: $sgpr62
	s_inst_prefetch 0x1
	s_branch .LBB165_442
	.p2align	6
.LBB165_440:                            ;   in Loop: Header=BB165_442 Depth=2
	s_or_b32 exec_lo, exec_lo, s63
	s_waitcnt lgkmcnt(0)
	s_barrier
	buffer_gl0_inv
	ds_read_b128 v[4:7], v19 offset:3072
	s_mov_b32 s44, -1
	s_mov_b32 s45, -1
	s_waitcnt lgkmcnt(0)
	s_barrier
	buffer_gl0_inv
	v_cmp_ne_u64_e32 vcc_lo, 0, v[4:5]
	s_cbranch_vccz .LBB165_445
.LBB165_441:                            ;   in Loop: Header=BB165_442 Depth=2
	s_and_b32 s44, exec_lo, s44
	s_or_b32 s18, s44, s18
	s_andn2_b32 s44, s62, exec_lo
	s_and_b32 s45, s45, exec_lo
	s_or_b32 s62, s44, s45
	s_andn2_b32 exec_lo, exec_lo, s18
	s_cbranch_execz .LBB165_446
.LBB165_442:                            ;   Parent Loop BB165_31 Depth=1
                                        ; =>  This Inner Loop Header: Depth=2
	s_mov_b32 s63, exec_lo
	v_cmpx_gt_u64_e64 s[6:7], v[8:9]
	s_cbranch_execz .LBB165_440
; %bb.443:                              ;   in Loop: Header=BB165_442 Depth=2
	ds_read_b64 v[4:5], v12
	s_waitcnt lgkmcnt(0)
	v_xor_b32_e32 v3, 0x80000000, v5
	v_and_b32_e32 v6, v4, v34
	v_and_b32_e32 v7, v3, v35
	v_cmp_eq_u64_e32 vcc_lo, v[6:7], v[30:31]
	s_and_b32 exec_lo, exec_lo, vcc_lo
	s_cbranch_execz .LBB165_440
; %bb.444:                              ;   in Loop: Header=BB165_442 Depth=2
	v_mov_b32_e32 v3, v19
	ds_write_b128 v19, v[2:5] offset:3072
	s_branch .LBB165_440
.LBB165_445:                            ;   in Loop: Header=BB165_442 Depth=2
	v_add_co_u32 v8, vcc_lo, v8, s33
	v_add_co_ci_u32_e64 v9, null, 0, v9, vcc_lo
	v_add_nc_u32_e32 v12, s95, v12
	s_mov_b32 s45, 0
	v_cmp_le_u64_e32 vcc_lo, s[16:17], v[8:9]
	s_orn2_b32 s44, vcc_lo, exec_lo
	s_branch .LBB165_441
.LBB165_446:                            ;   in Loop: Header=BB165_31 Depth=1
	s_inst_prefetch 0x2
	s_or_b32 exec_lo, exec_lo, s18
	s_and_b32 s18, s62, exec_lo
.LBB165_447:                            ;   in Loop: Header=BB165_31 Depth=1
	s_or_b32 exec_lo, exec_lo, s56
.LBB165_448:                            ;   in Loop: Header=BB165_31 Depth=1
	s_and_b32 vcc_lo, exec_lo, s19
	s_cbranch_vccz .LBB165_464
; %bb.449:                              ;   in Loop: Header=BB165_31 Depth=1
	s_mov_b32 s58, s57
	s_cmp_lg_u64 s[58:59], 0
	s_cbranch_scc0 .LBB165_451
; %bb.450:                              ;   in Loop: Header=BB165_31 Depth=1
	v_cvt_f32_u32_e32 v3, s33
	s_sub_u32 s16, 0, s33
	s_subb_u32 s17, 0, 0
	v_fmac_f32_e64 v3, 0x4f800000, 0
	v_rcp_f32_e32 v3, v3
	v_mul_f32_e32 v3, 0x5f7ffffc, v3
	v_mul_f32_e32 v4, 0x2f800000, v3
	v_trunc_f32_e32 v4, v4
	v_fmac_f32_e32 v3, 0xcf800000, v4
	v_cvt_u32_f32_e32 v4, v4
	v_cvt_u32_f32_e32 v3, v3
	v_readfirstlane_b32 s6, v4
	v_readfirstlane_b32 s7, v3
	s_mul_i32 s19, s16, s6
	s_mul_hi_u32 s44, s16, s7
	s_mul_i32 s39, s17, s7
	s_add_i32 s19, s44, s19
	s_mul_i32 s45, s16, s7
	s_add_i32 s19, s19, s39
	s_mul_hi_u32 s44, s7, s45
	s_mul_i32 s58, s7, s19
	s_mul_hi_u32 s56, s6, s45
	s_mul_i32 s39, s6, s45
	s_mul_hi_u32 s45, s7, s19
	s_add_u32 s44, s44, s58
	s_addc_u32 s45, 0, s45
	s_mul_hi_u32 s62, s6, s19
	s_add_u32 s39, s44, s39
	s_mul_i32 s19, s6, s19
	s_addc_u32 s39, s45, s56
	s_addc_u32 s44, s62, 0
	s_add_u32 s19, s39, s19
	s_addc_u32 s39, 0, s44
	s_add_u32 s7, s7, s19
	s_cselect_b32 s19, -1, 0
	s_mul_hi_u32 s44, s16, s7
	s_cmp_lg_u32 s19, 0
	s_mul_i32 s19, s16, s7
	s_addc_u32 s6, s6, s39
	s_mul_i32 s17, s17, s7
	s_mul_i32 s16, s16, s6
	s_mul_hi_u32 s39, s7, s19
	s_add_i32 s16, s44, s16
	s_mul_hi_u32 s44, s6, s19
	s_add_i32 s16, s16, s17
	s_mul_i32 s17, s6, s19
	s_mul_i32 s56, s7, s16
	s_mul_hi_u32 s45, s7, s16
	s_add_u32 s39, s39, s56
	s_addc_u32 s45, 0, s45
	s_mul_hi_u32 s19, s6, s16
	s_add_u32 s17, s39, s17
	s_mul_i32 s16, s6, s16
	s_addc_u32 s17, s45, s44
	s_addc_u32 s19, s19, 0
	s_add_u32 s16, s17, s16
	s_addc_u32 s17, 0, s19
	s_add_u32 s7, s7, s16
	s_cselect_b32 s16, -1, 0
	s_mul_hi_u32 s19, s91, s7
	s_cmp_lg_u32 s16, 0
	s_mul_hi_u32 s16, s59, s7
	s_addc_u32 s6, s6, s17
	s_mul_i32 s7, s59, s7
	s_mul_i32 s39, s91, s6
	s_mul_hi_u32 s17, s91, s6
	s_add_u32 s19, s19, s39
	s_addc_u32 s17, 0, s17
	s_mul_hi_u32 s44, s59, s6
	s_add_u32 s7, s19, s7
	s_mul_i32 s6, s59, s6
	s_addc_u32 s7, s17, s16
	s_addc_u32 s16, s44, 0
	s_add_u32 s6, s7, s6
	s_addc_u32 s7, 0, s16
	s_mul_hi_u32 s16, s33, s6
	s_mul_i32 s7, s33, s7
	s_mul_i32 s6, s33, s6
	s_add_i32 s16, s16, s7
	s_sub_u32 s6, s91, s6
	s_cselect_b32 s7, -1, 0
	s_cmp_lg_u32 s7, 0
	s_subb_u32 s7, s59, s16
	s_sub_u32 s16, s6, s33
	s_cselect_b32 s17, -1, 0
	s_cmp_lg_u32 s17, 0
	s_subb_u32 s17, s7, 0
	;; [unrolled: 4-line block ×3, first 2 shown]
	s_cmp_ge_u32 s16, s33
	s_cselect_b32 s44, -1, 0
	s_cmp_eq_u32 s17, 0
	s_cselect_b32 s44, s44, -1
	s_cmp_lg_u32 s44, 0
	s_cselect_b32 s17, s39, s17
	s_cselect_b32 s16, s19, s16
	s_cmp_ge_u32 s6, s33
	s_cselect_b32 s19, -1, 0
	s_cmp_eq_u32 s7, 0
	s_cselect_b32 s19, s19, -1
	s_cmp_lg_u32 s19, 0
	s_cselect_b32 s7, s17, s7
	s_cselect_b32 s6, s16, s6
	s_mov_b32 s16, 0
	s_branch .LBB165_452
.LBB165_451:                            ;   in Loop: Header=BB165_31 Depth=1
	s_mov_b32 s16, -1
                                        ; implicit-def: $sgpr6_sgpr7
.LBB165_452:                            ;   in Loop: Header=BB165_31 Depth=1
	s_andn2_b32 vcc_lo, exec_lo, s16
	s_cbranch_vccnz .LBB165_454
; %bb.453:                              ;   in Loop: Header=BB165_31 Depth=1
	v_cvt_f32_u32_e32 v3, s33
	s_sub_i32 s7, 0, s33
	v_rcp_iflag_f32_e32 v3, v3
	v_mul_f32_e32 v3, 0x4f7ffffe, v3
	v_cvt_u32_f32_e32 v3, v3
	v_readfirstlane_b32 s6, v3
	s_mul_i32 s7, s7, s6
	s_mul_hi_u32 s7, s6, s7
	s_add_i32 s6, s6, s7
	s_mul_hi_u32 s6, s91, s6
	s_mul_i32 s6, s6, s33
	s_sub_i32 s6, s91, s6
	s_sub_i32 s7, s6, s33
	s_cmp_ge_u32 s6, s33
	s_cselect_b32 s6, s7, s6
	s_sub_i32 s7, s6, s33
	s_cmp_ge_u32 s6, s33
	s_cselect_b32 s56, s7, s6
	s_mov_b64 s[6:7], s[56:57]
.LBB165_454:                            ;   in Loop: Header=BB165_31 Depth=1
	s_sub_u32 s16, s91, s6
	s_subb_u32 s17, s59, s7
	s_mov_b32 s7, exec_lo
                                        ; implicit-def: $vgpr6_vgpr7
	v_cmpx_gt_u64_e64 s[16:17], v[0:1]
	s_cbranch_execz .LBB165_463
; %bb.455:                              ;   in Loop: Header=BB165_31 Depth=1
	v_mov_b32_e32 v8, v32
	v_mov_b32_e32 v13, v1
	;; [unrolled: 1-line block ×4, first 2 shown]
	s_mov_b32 s19, 0
                                        ; implicit-def: $sgpr39
	s_inst_prefetch 0x1
	s_branch .LBB165_458
	.p2align	6
.LBB165_456:                            ;   in Loop: Header=BB165_458 Depth=2
	s_or_b32 exec_lo, exec_lo, s6
	s_waitcnt lgkmcnt(0)
	s_barrier
	buffer_gl0_inv
	ds_read_b128 v[4:7], v19 offset:3072
	s_mov_b32 s6, -1
	s_mov_b32 s44, -1
	s_waitcnt lgkmcnt(0)
	s_barrier
	buffer_gl0_inv
	v_cmp_eq_u64_e32 vcc_lo, 0, v[4:5]
	s_cbranch_vccnz .LBB165_461
.LBB165_457:                            ;   in Loop: Header=BB165_458 Depth=2
	s_and_b32 s6, exec_lo, s6
	s_or_b32 s19, s6, s19
	s_andn2_b32 s6, s39, exec_lo
	s_and_b32 s39, s44, exec_lo
	s_or_b32 s39, s6, s39
	s_andn2_b32 exec_lo, exec_lo, s19
	s_cbranch_execz .LBB165_462
.LBB165_458:                            ;   Parent Loop BB165_31 Depth=1
                                        ; =>  This Inner Loop Header: Depth=2
	s_mov_b32 s6, exec_lo
	v_cmpx_gt_u64_e64 s[28:29], v[12:13]
	s_cbranch_execz .LBB165_456
; %bb.459:                              ;   in Loop: Header=BB165_458 Depth=2
	global_load_dwordx2 v[4:5], v[8:9], off
	s_waitcnt vmcnt(0)
	v_xor_b32_e32 v3, 0x80000000, v5
	v_and_b32_e32 v6, v4, v34
	v_and_b32_e32 v7, v3, v35
	v_cmp_eq_u64_e32 vcc_lo, v[6:7], v[30:31]
	s_and_b32 exec_lo, exec_lo, vcc_lo
	s_cbranch_execz .LBB165_456
; %bb.460:                              ;   in Loop: Header=BB165_458 Depth=2
	v_mov_b32_e32 v3, v19
	ds_write_b128 v19, v[2:5] offset:3072
	s_branch .LBB165_456
.LBB165_461:                            ;   in Loop: Header=BB165_458 Depth=2
	v_add_co_u32 v12, vcc_lo, v12, s33
	v_add_co_ci_u32_e64 v13, null, 0, v13, vcc_lo
	v_add_co_u32 v8, s6, v8, s36
	v_add_co_ci_u32_e64 v9, null, s37, v9, s6
	v_cmp_le_u64_e32 vcc_lo, s[16:17], v[12:13]
	s_mov_b32 s44, 0
	s_orn2_b32 s6, vcc_lo, exec_lo
	s_branch .LBB165_457
.LBB165_462:                            ;   in Loop: Header=BB165_31 Depth=1
	s_inst_prefetch 0x2
	s_or_b32 exec_lo, exec_lo, s19
	s_andn2_b32 s6, s18, exec_lo
	s_and_b32 s16, s39, exec_lo
	s_or_b32 s18, s6, s16
.LBB165_463:                            ;   in Loop: Header=BB165_31 Depth=1
	s_or_b32 exec_lo, exec_lo, s7
	s_mov_b32 s39, 0
	s_mov_b32 s58, -1
.LBB165_464:                            ;   in Loop: Header=BB165_31 Depth=1
	s_orn2_b32 s7, s18, exec_lo
.LBB165_465:                            ;   in Loop: Header=BB165_31 Depth=1
	s_or_b32 exec_lo, exec_lo, s38
	s_mov_b32 s16, 0
	s_and_saveexec_b32 s6, s7
	s_cbranch_execz .LBB165_476
; %bb.466:                              ;   in Loop: Header=BB165_31 Depth=1
	v_mov_b32_e32 v3, 1
	v_mov_b32_e32 v4, 0
	;; [unrolled: 1-line block ×3, first 2 shown]
	s_xor_b32 s16, s21, -1
	s_and_saveexec_b32 s7, s16
	s_cbranch_execz .LBB165_475
; %bb.467:                              ;   in Loop: Header=BB165_31 Depth=1
	s_mov_b32 s16, exec_lo
	v_cmpx_ge_u64_e64 s[10:11], v[10:11]
	s_xor_b32 s16, exec_lo, s16
	s_cbranch_execz .LBB165_472
; %bb.468:                              ;   in Loop: Header=BB165_31 Depth=1
	ds_read_b64 v[3:4], v19 offset:5120
	v_and_b32_e32 v31, s15, v31
	v_and_b32_e32 v30, s14, v30
	v_or_b32_e32 v35, s13, v35
	v_or_b32_e32 v34, s12, v34
	s_waitcnt lgkmcnt(0)
	v_cmp_ne_u64_e32 vcc_lo, 0, v[3:4]
	s_cbranch_vccnz .LBB165_472
; %bb.469:                              ;   in Loop: Header=BB165_31 Depth=1
	s_and_saveexec_b32 s12, s3
; %bb.470:                              ;   in Loop: Header=BB165_31 Depth=1
	v_mov_b32_e32 v3, s10
	v_mov_b32_e32 v4, s11
	ds_write_b64 v19, v[3:4] offset:5128
; %bb.471:                              ;   in Loop: Header=BB165_31 Depth=1
	s_or_b32 exec_lo, exec_lo, s12
	s_waitcnt lgkmcnt(0)
	s_barrier
	buffer_gl0_inv
.LBB165_472:                            ;   in Loop: Header=BB165_31 Depth=1
	s_andn2_saveexec_b32 s12, s16
; %bb.473:                              ;   in Loop: Header=BB165_31 Depth=1
	v_sub_co_u32 v10, vcc_lo, v10, s10
	v_subrev_co_ci_u32_e64 v11, null, s11, v11, vcc_lo
; %bb.474:                              ;   in Loop: Header=BB165_31 Depth=1
	s_or_b32 exec_lo, exec_lo, s12
	v_mov_b32_e32 v3, v10
	v_mov_b32_e32 v44, 5
	;; [unrolled: 1-line block ×3, first 2 shown]
.LBB165_475:                            ;   in Loop: Header=BB165_31 Depth=1
	s_or_b32 exec_lo, exec_lo, s7
	v_mov_b32_e32 v11, v4
	v_mov_b32_e32 v10, v3
	s_mov_b32 s16, exec_lo
.LBB165_476:                            ;   in Loop: Header=BB165_31 Depth=1
	s_or_b32 exec_lo, exec_lo, s6
	s_orn2_b32 s6, s16, exec_lo
.LBB165_477:                            ;   in Loop: Header=BB165_31 Depth=1
	s_or_b32 exec_lo, exec_lo, s20
	v_mov_b32_e32 v8, v10
	v_mov_b32_e32 v9, v11
	s_andn2_b32 s7, s75, exec_lo
	s_and_b32 s10, s58, exec_lo
	s_andn2_b32 s11, s74, exec_lo
	s_and_b32 s12, s39, exec_lo
	s_or_b32 s75, s7, s10
	s_or_b32 s74, s11, s12
	s_and_b32 s7, s6, exec_lo
.LBB165_478:                            ;   in Loop: Header=BB165_31 Depth=1
	s_or_b32 exec_lo, exec_lo, s2
	s_orn2_b32 s2, s7, exec_lo
.LBB165_479:                            ;   in Loop: Header=BB165_31 Depth=1
	s_or_b32 exec_lo, exec_lo, s23
	v_mov_b32_e32 v39, v9
	v_mov_b32_e32 v38, v8
	s_andn2_b32 s6, s73, exec_lo
	s_and_b32 s7, s75, exec_lo
	s_andn2_b32 s10, s72, exec_lo
	s_and_b32 s11, s74, exec_lo
	s_or_b32 s73, s6, s7
	s_or_b32 s72, s10, s11
	s_and_b32 s7, s2, exec_lo
.LBB165_480:                            ;   in Loop: Header=BB165_31 Depth=1
	s_or_b32 exec_lo, exec_lo, s22
	s_orn2_b32 s2, s7, exec_lo
.LBB165_481:                            ;   in Loop: Header=BB165_31 Depth=1
	s_or_b32 exec_lo, exec_lo, s69
	s_mov_b32 s6, s70
	s_mov_b32 s7, s53
	s_and_saveexec_b32 s10, s2
; %bb.482:                              ;   in Loop: Header=BB165_31 Depth=1
	v_cmp_ne_u32_e32 vcc_lo, 5, v44
	v_cmp_eq_u32_e64 s6, 5, v44
	s_andn2_b32 s2, s53, exec_lo
	s_andn2_b32 s11, s70, exec_lo
	s_and_b32 s7, vcc_lo, exec_lo
	s_and_b32 s6, s6, exec_lo
	s_or_b32 s7, s2, s7
	s_or_b32 s6, s11, s6
; %bb.483:                              ;   in Loop: Header=BB165_31 Depth=1
	s_or_b32 exec_lo, exec_lo, s10
	s_andn2_b32 s2, s71, exec_lo
	s_and_b32 s10, s73, exec_lo
	s_andn2_b32 s9, s9, exec_lo
	s_and_b32 s11, s72, exec_lo
	s_or_b32 s71, s2, s10
	s_andn2_b32 s2, s53, exec_lo
	s_and_b32 s7, s7, exec_lo
	s_andn2_b32 s10, s70, exec_lo
	s_and_b32 s6, s6, exec_lo
	s_or_b32 s9, s9, s11
	s_or_b32 s53, s2, s7
	;; [unrolled: 1-line block ×3, first 2 shown]
.LBB165_484:                            ;   in Loop: Header=BB165_31 Depth=1
	s_or_b32 exec_lo, exec_lo, s68
	s_mov_b32 s72, 0
	s_mov_b32 s73, 0
	s_and_saveexec_b32 s2, s70
.LBB165_485:                            ;   in Loop: Header=BB165_31 Depth=1
	v_mov_b32_e32 v44, 0
	s_or_b32 s53, s53, exec_lo
.LBB165_486:                            ;   in Loop: Header=BB165_31 Depth=1
	s_or_b32 exec_lo, exec_lo, s2
	s_andn2_b32 s2, s42, exec_lo
	s_and_b32 s7, s71, exec_lo
	s_andn2_b32 s10, s54, exec_lo
	s_and_b32 s9, s9, exec_lo
	v_mov_b32_e32 v36, v38
	v_mov_b32_e32 v37, v39
	s_or_b32 s42, s2, s7
	s_or_b32 s54, s10, s9
	s_andn2_b32 s2, s52, exec_lo
	s_and_b32 s7, s73, exec_lo
	s_andn2_b32 s9, s43, exec_lo
	s_and_b32 s10, s72, exec_lo
	s_mov_b32 s6, -1
	s_andn2_b32 s55, s55, exec_lo
	s_or_b32 s52, s2, s7
	s_or_b32 s43, s9, s10
	s_and_saveexec_b32 s2, s53
	s_xor_b32 s2, exec_lo, s2
	s_cbranch_execz .LBB165_30
; %bb.487:                              ;   in Loop: Header=BB165_31 Depth=1
	s_mov_b32 s7, -1
	s_mov_b32 s9, exec_lo
	v_cmpx_eq_u32_e32 0, v44
	s_cbranch_execz .LBB165_29
; %bb.488:                              ;   in Loop: Header=BB165_31 Depth=1
	s_xor_b32 s98, s98, 1
	s_add_i32 s10, s50, -2
	s_cmp_eq_u32 s50, 0
	s_mov_b32 s50, s10
	s_cselect_b32 s6, -1, 0
	s_xor_b32 s7, exec_lo, -1
	s_orn2_b32 s6, s6, exec_lo
	s_branch .LBB165_29
.LBB165_489:
	s_or_b32 exec_lo, exec_lo, s96
	s_xor_b32 s7, s51, -1
	s_xor_b32 s9, s104, -1
	s_xor_b32 s10, vcc_hi, -1
	s_xor_b32 s2, s97, -1
	s_xor_b32 s6, s99, -1
	s_mov_b32 s8, 0
	s_and_saveexec_b32 s11, s2
	s_xor_b32 s2, exec_lo, s11
	s_cbranch_execnz .LBB165_494
; %bb.490:
	s_andn2_saveexec_b32 s0, s2
	s_cbranch_execnz .LBB165_513
.LBB165_491:
	s_or_b32 exec_lo, exec_lo, s0
	s_and_saveexec_b32 s0, s8
.LBB165_492:
	; divergent unreachable
.LBB165_493:
	s_endpgm
.LBB165_494:
	s_and_saveexec_b32 s11, s10
	s_xor_b32 s12, exec_lo, s11
	s_cbranch_execz .LBB165_511
; %bb.495:
	s_and_saveexec_b32 s10, s9
	s_xor_b32 s13, exec_lo, s10
	s_cbranch_execz .LBB165_509
; %bb.496:
	;; [unrolled: 4-line block ×3, first 2 shown]
	s_and_saveexec_b32 s7, s6
	s_xor_b32 s6, exec_lo, s7
; %bb.498:
	v_xor_b32_e32 v31, 0x80000000, v31
	v_mov_b32_e32 v6, v30
	v_mov_b32_e32 v7, v31
; %bb.499:
	s_or_b32 exec_lo, exec_lo, s6
	s_and_saveexec_b32 s6, s3
; %bb.500:
	v_mov_b32_e32 v2, 0
	v_mov_b32_e32 v3, v2
	ds_write_b64 v2, v[2:3] offset:5136
; %bb.501:
	s_or_b32 exec_lo, exec_lo, s6
	v_mov_b32_e32 v2, 0
	v_mov_b32_e32 v3, 0
	s_waitcnt lgkmcnt(0)
	s_barrier
	buffer_gl0_inv
	s_and_saveexec_b32 s3, s1
	s_cbranch_execz .LBB165_503
; %bb.502:
	global_load_dwordx2 v[2:3], v[16:17], off
.LBB165_503:
	s_or_b32 exec_lo, exec_lo, s3
	s_load_dwordx2 s[20:21], s[4:5], 0x440
	v_readlane_b32 s16, v55, 0
	v_readlane_b32 s17, v55, 1
	s_add_u32 s3, s28, 31
	s_addc_u32 s7, s29, 0
	s_and_b32 s6, s3, 0xffffffe0
	s_mul_i32 s8, s16, s35
	s_mul_hi_u32 s9, s16, s34
	v_cmp_gt_u64_e32 vcc_lo, s[6:7], v[0:1]
	s_add_i32 s3, s9, s8
	s_mul_i32 s8, s17, s34
	s_add_i32 s9, s3, s8
	s_mul_i32 s8, s16, s34
	s_lshl_b64 s[18:19], s[8:9], 3
	s_waitcnt lgkmcnt(0)
	s_mul_i32 s10, s20, s49
	s_mul_hi_u32 s11, s20, s48
	s_mul_i32 s16, s20, s48
	s_add_i32 s3, s11, s10
	s_mul_i32 s10, s21, s48
	s_mov_b32 s20, -1
	s_add_i32 s17, s3, s10
	s_clause 0x1
	s_load_dwordx2 s[8:9], s[4:5], 0x368
	s_load_dwordx2 s[10:11], s[4:5], 0x510
	v_readlane_b32 s4, v55, 2
	v_readlane_b32 s5, v55, 3
	s_add_u32 s3, s4, s18
	s_addc_u32 s4, s5, s19
	s_lshl_b64 s[18:19], s[24:25], 3
	s_add_u32 s5, s3, s18
	s_addc_u32 s15, s4, s19
	v_readlane_b32 s18, v55, 4
	v_readlane_b32 s19, v55, 5
	s_lshl_b64 s[16:17], s[16:17], 3
	s_add_u32 s3, s18, s16
	s_addc_u32 s4, s19, s17
	s_lshl_b64 s[16:17], s[40:41], 3
	s_mov_b32 s18, 0
	s_add_u32 s16, s3, s16
	s_addc_u32 s17, s4, s17
	s_mov_b32 s3, 0
	s_and_saveexec_b32 s19, vcc_lo
	s_cbranch_execnz .LBB165_514
; %bb.504:
	s_or_b32 exec_lo, exec_lo, s19
	s_and_saveexec_b32 s4, s20
	s_cbranch_execnz .LBB165_529
.LBB165_505:
	s_or_b32 exec_lo, exec_lo, s4
	s_and_saveexec_b32 s0, s3
	s_xor_b32 s0, exec_lo, s0
	s_cbranch_execnz .LBB165_552
.LBB165_506:
	s_or_b32 exec_lo, exec_lo, s0
	s_waitcnt lgkmcnt(0)
	s_and_b32 s8, s18, exec_lo
.LBB165_507:
	s_andn2_saveexec_b32 s0, s14
	s_cbranch_execnz .LBB165_554
.LBB165_508:
	s_or_b32 exec_lo, exec_lo, s0
	s_and_b32 s8, s8, exec_lo
.LBB165_509:
	s_andn2_saveexec_b32 s0, s13
	s_cbranch_execnz .LBB165_553
.LBB165_510:
	s_or_b32 exec_lo, exec_lo, s0
	s_and_b32 s8, s8, exec_lo
.LBB165_511:
	s_andn2_saveexec_b32 s0, s12
	s_cbranch_execnz .LBB165_548
.LBB165_512:
	s_or_b32 exec_lo, exec_lo, s0
	s_and_b32 s8, s8, exec_lo
	s_andn2_saveexec_b32 s0, s2
	s_cbranch_execz .LBB165_491
.LBB165_513:
	s_or_b32 s8, s8, exec_lo
	s_trap 2
	s_or_b32 exec_lo, exec_lo, s0
	s_and_saveexec_b32 s0, s8
	s_cbranch_execnz .LBB165_492
	s_branch .LBB165_493
.LBB165_514:
	v_add_nc_u32_e32 v5, s33, v0
	v_readlane_b32 s20, v55, 11
	v_readlane_b32 s21, v55, 12
	s_add_u32 s3, s92, s46
	s_addc_u32 s4, s93, s47
	v_mad_u64_u32 v[8:9], null, s26, v5, 0
	s_add_u32 s3, s3, s20
	s_addc_u32 s4, s4, s21
	v_mov_b32_e32 v21, v1
	v_mov_b32_e32 v20, v0
	s_mov_b32 s20, 0
                                        ; implicit-def: $sgpr21
                                        ; implicit-def: $vgpr18_vgpr19
	v_mov_b32_e32 v4, v9
	v_mad_u64_u32 v[4:5], null, s27, v5, v[4:5]
	v_xor_b32_e32 v5, 0x80000000, v7
	v_mov_b32_e32 v9, v4
	v_mov_b32_e32 v4, v6
	v_lshlrev_b64 v[10:11], 3, v[8:9]
	v_mov_b32_e32 v9, 0
	v_add_co_u32 v10, s3, s3, v10
	v_add_co_ci_u32_e64 v11, null, s4, v11, s3
	s_branch .LBB165_516
.LBB165_515:                            ;   in Loop: Header=BB165_516 Depth=1
	s_or_b32 exec_lo, exec_lo, s22
	s_xor_b32 s3, s23, -1
	s_and_b32 s4, exec_lo, s4
	v_mov_b32_e32 v2, v14
	v_mov_b32_e32 v21, v13
	;; [unrolled: 1-line block ×3, first 2 shown]
	s_or_b32 s20, s4, s20
	v_mov_b32_e32 v20, v12
	s_andn2_b32 s4, s21, exec_lo
	s_and_b32 s3, s3, exec_lo
	s_or_b32 s21, s4, s3
	s_andn2_b32 exec_lo, exec_lo, s20
	s_cbranch_execz .LBB165_528
.LBB165_516:                            ; =>This Inner Loop Header: Depth=1
	v_add_co_u32 v12, s3, v20, s33
	v_mov_b32_e32 v14, 0
	v_add_co_ci_u32_e64 v13, null, 0, v21, s3
	v_mov_b32_e32 v15, 0
	s_mov_b32 s4, exec_lo
	v_cmpx_gt_u64_e64 s[28:29], v[12:13]
	s_cbranch_execz .LBB165_518
; %bb.517:                              ;   in Loop: Header=BB165_516 Depth=1
	global_load_dwordx2 v[14:15], v[10:11], off
.LBB165_518:                            ;   in Loop: Header=BB165_516 Depth=1
	s_or_b32 exec_lo, exec_lo, s4
	s_waitcnt vmcnt(0)
	v_xor_b32_e32 v23, 0x80000000, v3
	v_mov_b32_e32 v22, v2
	v_cmp_gt_u64_e64 s3, v[22:23], v[4:5]
	v_cndmask_b32_e64 v8, 0, 1, s3
	v_cmp_lt_u64_e64 s3, v[22:23], v[4:5]
	v_cndmask_b32_e64 v22, 0, 1, s3
	v_cmp_gt_u64_e64 s3, s[28:29], v[20:21]
	v_cndmask_b32_e64 v8, v22, v8, s94
	v_and_b32_e32 v8, 1, v8
	v_cmp_eq_u32_e64 s4, 1, v8
	s_and_b32 s23, s3, s4
	v_cndmask_b32_e64 v8, 0, 1, s23
	v_cmp_ne_u32_e64 s3, 0, v8
	s_cmp_lg_u32 s3, 0
	s_cselect_b32 s4, -1, 0
	s_and_b32 s4, s0, s4
	s_and_saveexec_b32 s22, s4
	s_cbranch_execz .LBB165_522
; %bb.519:                              ;   in Loop: Header=BB165_516 Depth=1
	s_mov_b32 s34, exec_lo
	s_bcnt1_i32_b32 s24, s3
	v_mbcnt_lo_u32_b32 v22, s34, 0
	s_mov_b32 s25, exec_lo
                                        ; implicit-def: $vgpr18_vgpr19
	v_cmpx_eq_u32_e32 0, v22
	s_cbranch_execz .LBB165_521
; %bb.520:                              ;   in Loop: Header=BB165_516 Depth=1
	s_bcnt1_i32_b32 s4, s34
	s_mul_i32 s4, s24, s4
	v_mov_b32_e32 v8, s4
	s_waitcnt lgkmcnt(0)
	ds_add_rtn_u64 v[18:19], v9, v[8:9] offset:5136
.LBB165_521:                            ;   in Loop: Header=BB165_516 Depth=1
	s_or_b32 exec_lo, exec_lo, s25
	s_waitcnt lgkmcnt(0)
	v_readfirstlane_b32 s35, v19
	v_readfirstlane_b32 s34, v18
	v_mad_u64_u32 v[18:19], null, s24, v22, s[34:35]
.LBB165_522:                            ;   in Loop: Header=BB165_516 Depth=1
	s_or_b32 exec_lo, exec_lo, s22
	s_waitcnt lgkmcnt(0)
	ds_bpermute_b32 v18, v9, v18
	ds_bpermute_b32 v19, v9, v19
	s_mov_b32 s4, -1
	s_mov_b32 s24, -1
	s_and_saveexec_b32 s22, s23
	s_cbranch_execz .LBB165_526
; %bb.523:                              ;   in Loop: Header=BB165_516 Depth=1
	v_and_b32_e32 v8, s3, v46
	s_mov_b32 s23, 0
	s_mov_b32 s24, exec_lo
	v_bcnt_u32_b32 v8, v8, 0
	s_waitcnt lgkmcnt(0)
	v_add_co_u32 v22, s3, v18, v8
	v_add_co_ci_u32_e64 v23, null, 0, v19, s3
	v_cmpx_gt_u64_e64 s[30:31], v[22:23]
; %bb.524:                              ;   in Loop: Header=BB165_516 Depth=1
	v_mul_lo_u32 v8, v23, s8
	v_mul_lo_u32 v26, v22, s9
	v_mad_u64_u32 v[24:25], null, v22, s8, 0
	v_mul_lo_u32 v27, v23, s10
	v_mul_lo_u32 v28, v22, s11
	v_mad_u64_u32 v[22:23], null, v22, s10, 0
	s_mov_b32 s23, exec_lo
	v_add3_u32 v25, v25, v26, v8
	v_add3_u32 v23, v23, v28, v27
	v_lshlrev_b64 v[24:25], 3, v[24:25]
	v_lshlrev_b64 v[22:23], 3, v[22:23]
	v_add_co_u32 v24, s3, s5, v24
	v_add_co_ci_u32_e64 v25, null, s15, v25, s3
	v_add_co_u32 v22, s3, s16, v22
	v_add_co_ci_u32_e64 v23, null, s17, v23, s3
	global_store_dwordx2 v[24:25], v[2:3], off
	global_store_dwordx2 v[22:23], v[20:21], off
; %bb.525:                              ;   in Loop: Header=BB165_516 Depth=1
	s_or_b32 exec_lo, exec_lo, s24
	s_orn2_b32 s24, s23, exec_lo
.LBB165_526:                            ;   in Loop: Header=BB165_516 Depth=1
	s_or_b32 exec_lo, exec_lo, s22
	s_mov_b32 s23, -1
	s_and_saveexec_b32 s22, s24
	s_cbranch_execz .LBB165_515
; %bb.527:                              ;   in Loop: Header=BB165_516 Depth=1
	v_cmp_le_u64_e64 s3, s[6:7], v[12:13]
	v_add_co_u32 v10, s4, v10, s36
	v_add_co_ci_u32_e64 v11, null, s37, v11, s4
	s_xor_b32 s23, exec_lo, -1
	s_orn2_b32 s4, s3, exec_lo
	s_branch .LBB165_515
.LBB165_528:
	s_or_b32 exec_lo, exec_lo, s20
	s_mov_b32 s3, exec_lo
	s_orn2_b32 s20, s21, exec_lo
	s_or_b32 exec_lo, exec_lo, s19
	s_and_saveexec_b32 s4, s20
	s_cbranch_execz .LBB165_505
.LBB165_529:
	v_mov_b32_e32 v14, 0
	v_mov_b32_e32 v15, 0
	s_waitcnt vmcnt(0) lgkmcnt(0)
	s_waitcnt_vscnt null, 0x0
	s_barrier
	buffer_gl0_inv
	s_and_saveexec_b32 s18, s1
	s_cbranch_execz .LBB165_531
; %bb.530:
	global_load_dwordx2 v[14:15], v[16:17], off
.LBB165_531:
	s_or_b32 exec_lo, exec_lo, s18
	s_mov_b32 s1, 0
	s_and_saveexec_b32 s18, vcc_lo
	s_cbranch_execz .LBB165_551
; %bb.532:
	v_add_nc_u32_e32 v4, s33, v0
	v_readlane_b32 s20, v55, 11
	v_readlane_b32 s21, v55, 12
	s_add_u32 s1, s92, s46
	s_addc_u32 s19, s93, s47
	v_mad_u64_u32 v[2:3], null, s26, v4, 0
	s_add_u32 s1, s1, s20
	s_addc_u32 s19, s19, s21
	v_mov_b32_e32 v5, 0
                                        ; implicit-def: $sgpr20
                                        ; implicit-def: $vgpr12_vgpr13
	v_mad_u64_u32 v[3:4], null, s27, v4, v[3:4]
	v_lshlrev_b64 v[2:3], 3, v[2:3]
	v_add_co_u32 v2, vcc_lo, s1, v2
	v_add_co_ci_u32_e64 v3, null, s19, v3, vcc_lo
	s_mov_b32 s19, 0
	s_branch .LBB165_535
.LBB165_533:                            ;   in Loop: Header=BB165_535 Depth=1
	s_or_b32 exec_lo, exec_lo, s22
	s_orn2_b32 s24, s23, exec_lo
	s_orn2_b32 s23, s1, exec_lo
.LBB165_534:                            ;   in Loop: Header=BB165_535 Depth=1
	s_or_b32 exec_lo, exec_lo, s21
	s_xor_b32 s1, s24, -1
	s_and_b32 s21, exec_lo, s23
	v_mov_b32_e32 v0, v8
	v_mov_b32_e32 v15, v11
	v_mov_b32_e32 v1, v9
	s_or_b32 s19, s21, s19
	v_mov_b32_e32 v14, v10
	s_andn2_b32 s20, s20, exec_lo
	s_and_b32 s1, s1, exec_lo
	s_or_b32 s20, s20, s1
	s_andn2_b32 exec_lo, exec_lo, s19
	s_cbranch_execz .LBB165_549
.LBB165_535:                            ; =>This Inner Loop Header: Depth=1
	v_add_co_u32 v8, vcc_lo, v0, s33
	v_mov_b32_e32 v10, 0
	v_add_co_ci_u32_e64 v9, null, 0, v1, vcc_lo
	v_mov_b32_e32 v11, 0
	s_mov_b32 s1, exec_lo
	v_cmpx_gt_u64_e64 s[28:29], v[8:9]
	s_cbranch_execz .LBB165_537
; %bb.536:                              ;   in Loop: Header=BB165_535 Depth=1
	global_load_dwordx2 v[10:11], v[2:3], off
.LBB165_537:                            ;   in Loop: Header=BB165_535 Depth=1
	s_or_b32 exec_lo, exec_lo, s1
	v_cmp_gt_u64_e32 vcc_lo, s[28:29], v[0:1]
	s_waitcnt vmcnt(0)
	v_cmp_eq_u64_e64 s1, v[14:15], v[6:7]
	s_and_b32 s22, vcc_lo, s1
	v_cndmask_b32_e64 v4, 0, 1, s22
	v_cmp_ne_u32_e32 vcc_lo, 0, v4
	s_cmp_lg_u32 vcc_lo, 0
	s_cselect_b32 s1, -1, 0
	s_and_b32 s1, s0, s1
	s_and_saveexec_b32 s21, s1
	s_cbranch_execz .LBB165_541
; %bb.538:                              ;   in Loop: Header=BB165_535 Depth=1
	s_mov_b32 s25, exec_lo
	s_bcnt1_i32_b32 s23, vcc_lo
	v_mbcnt_lo_u32_b32 v14, s25, 0
	s_mov_b32 s24, exec_lo
                                        ; implicit-def: $vgpr12_vgpr13
	v_cmpx_eq_u32_e32 0, v14
; %bb.539:                              ;   in Loop: Header=BB165_535 Depth=1
	s_bcnt1_i32_b32 s1, s25
	s_mul_i32 s1, s23, s1
	v_mov_b32_e32 v4, s1
	ds_add_rtn_u64 v[12:13], v5, v[4:5] offset:5136
; %bb.540:                              ;   in Loop: Header=BB165_535 Depth=1
	s_or_b32 exec_lo, exec_lo, s24
	s_waitcnt lgkmcnt(0)
	v_readfirstlane_b32 s25, v13
	v_readfirstlane_b32 s24, v12
	v_mad_u64_u32 v[12:13], null, s23, v14, s[24:25]
.LBB165_541:                            ;   in Loop: Header=BB165_535 Depth=1
	s_or_b32 exec_lo, exec_lo, s21
	ds_bpermute_b32 v12, v5, v12
	ds_bpermute_b32 v13, v5, v13
	s_cmp_eq_u32 vcc_lo, 0
	s_mov_b32 s23, -1
	s_cselect_b32 s21, -1, 0
	s_mov_b32 s24, -1
	s_waitcnt lgkmcnt(0)
	v_cmp_gt_u64_e64 s1, s[30:31], v[12:13]
	s_or_b32 s1, s21, s1
	s_and_saveexec_b32 s21, s1
	s_cbranch_execz .LBB165_534
; %bb.542:                              ;   in Loop: Header=BB165_535 Depth=1
	v_and_b32_e32 v4, vcc_lo, v46
	v_sub_co_u32 v14, vcc_lo, s30, v12
	v_sub_co_ci_u32_e64 v15, null, s31, v13, vcc_lo
	v_bcnt_u32_b32 v4, v4, 0
	s_mov_b32 s1, -1
	v_bcnt_u32_b32 v4, 0, v4
	v_cmp_gt_u64_e32 vcc_lo, v[14:15], v[4:5]
	s_and_b32 s25, s22, vcc_lo
	s_and_saveexec_b32 s22, s25
	s_cbranch_execz .LBB165_546
; %bb.543:                              ;   in Loop: Header=BB165_535 Depth=1
	v_add_co_u32 v14, vcc_lo, v12, v4
	v_add_co_ci_u32_e64 v15, null, 0, v13, vcc_lo
	s_mov_b32 s24, 0
	s_mov_b32 s23, exec_lo
	v_cmpx_gt_u64_e64 s[30:31], v[14:15]
; %bb.544:                              ;   in Loop: Header=BB165_535 Depth=1
	v_mul_lo_u32 v4, v15, s8
	v_mul_lo_u32 v18, v14, s9
	v_mad_u64_u32 v[16:17], null, v14, s8, 0
	v_mul_lo_u32 v19, v15, s10
	v_mul_lo_u32 v20, v14, s11
	v_mad_u64_u32 v[14:15], null, v14, s10, 0
	s_mov_b32 s24, exec_lo
	v_add3_u32 v17, v17, v18, v4
	v_add3_u32 v15, v15, v20, v19
	v_lshlrev_b64 v[16:17], 3, v[16:17]
	v_lshlrev_b64 v[14:15], 3, v[14:15]
	v_add_co_u32 v16, vcc_lo, s5, v16
	v_add_co_ci_u32_e64 v17, null, s15, v17, vcc_lo
	v_add_co_u32 v14, vcc_lo, s16, v14
	v_add_co_ci_u32_e64 v15, null, s17, v15, vcc_lo
	global_store_dwordx2 v[16:17], v[6:7], off
	global_store_dwordx2 v[14:15], v[0:1], off
; %bb.545:                              ;   in Loop: Header=BB165_535 Depth=1
	s_or_b32 exec_lo, exec_lo, s23
	s_xor_b32 s23, exec_lo, -1
	s_orn2_b32 s24, s24, exec_lo
.LBB165_546:                            ;   in Loop: Header=BB165_535 Depth=1
	s_or_b32 exec_lo, exec_lo, s22
	s_and_saveexec_b32 s22, s24
	s_cbranch_execz .LBB165_533
; %bb.547:                              ;   in Loop: Header=BB165_535 Depth=1
	v_cmp_le_u64_e32 vcc_lo, s[6:7], v[8:9]
	v_add_co_u32 v2, s1, v2, s36
	v_add_co_ci_u32_e64 v3, null, s37, v3, s1
	s_or_b32 s23, s23, exec_lo
	s_orn2_b32 s1, vcc_lo, exec_lo
	s_branch .LBB165_533
.LBB165_548:
	s_or_b32 s8, s8, exec_lo
	s_trap 2
	s_branch .LBB165_512
.LBB165_549:
	s_or_b32 exec_lo, exec_lo, s19
	s_mov_b32 s0, 0
	s_and_saveexec_b32 s1, s20
	s_xor_b32 s1, exec_lo, s1
	s_cbranch_execnz .LBB165_555
.LBB165_550:
	s_or_b32 exec_lo, exec_lo, s1
	s_and_b32 s1, s0, exec_lo
.LBB165_551:
	s_or_b32 exec_lo, exec_lo, s18
	s_and_b32 s18, s1, exec_lo
	s_andn2_b32 s3, s3, exec_lo
	s_or_b32 exec_lo, exec_lo, s4
	s_and_saveexec_b32 s0, s3
	s_xor_b32 s0, exec_lo, s0
	s_cbranch_execz .LBB165_506
.LBB165_552:
	s_or_b32 s18, s18, exec_lo
	s_trap 2
	s_branch .LBB165_506
.LBB165_553:
	s_or_b32 s8, s8, exec_lo
	s_trap 2
	s_branch .LBB165_510
.LBB165_554:
	s_or_b32 s8, s8, exec_lo
	s_trap 2
	s_branch .LBB165_508
.LBB165_555:
	s_mov_b32 s0, exec_lo
	s_trap 2
	s_branch .LBB165_550
	.section	.rodata,"a",@progbits
	.p2align	6, 0x0
	.amdhsa_kernel _ZN2at6native6sbtopk10gatherTopKIlmLin1ELb0EEEvNS_4cuda6detail10TensorInfoIKT_T0_EES8_S8_bS8_S8_NS5_IS6_S8_EES8_NS5_IlS8_EES8_PS6_
		.amdhsa_group_segment_fixed_size 5152
		.amdhsa_private_segment_fixed_size 0
		.amdhsa_kernarg_size 1568
		.amdhsa_user_sgpr_count 6
		.amdhsa_user_sgpr_private_segment_buffer 1
		.amdhsa_user_sgpr_dispatch_ptr 0
		.amdhsa_user_sgpr_queue_ptr 0
		.amdhsa_user_sgpr_kernarg_segment_ptr 1
		.amdhsa_user_sgpr_dispatch_id 0
		.amdhsa_user_sgpr_flat_scratch_init 0
		.amdhsa_user_sgpr_private_segment_size 0
		.amdhsa_wavefront_size32 1
		.amdhsa_uses_dynamic_stack 0
		.amdhsa_system_sgpr_private_segment_wavefront_offset 0
		.amdhsa_system_sgpr_workgroup_id_x 1
		.amdhsa_system_sgpr_workgroup_id_y 1
		.amdhsa_system_sgpr_workgroup_id_z 1
		.amdhsa_system_sgpr_workgroup_info 0
		.amdhsa_system_vgpr_workitem_id 0
		.amdhsa_next_free_vgpr 56
		.amdhsa_next_free_sgpr 105
		.amdhsa_reserve_vcc 1
		.amdhsa_reserve_flat_scratch 0
		.amdhsa_float_round_mode_32 0
		.amdhsa_float_round_mode_16_64 0
		.amdhsa_float_denorm_mode_32 3
		.amdhsa_float_denorm_mode_16_64 3
		.amdhsa_dx10_clamp 1
		.amdhsa_ieee_mode 1
		.amdhsa_fp16_overflow 0
		.amdhsa_workgroup_processor_mode 1
		.amdhsa_memory_ordered 1
		.amdhsa_forward_progress 1
		.amdhsa_shared_vgpr_count 0
		.amdhsa_exception_fp_ieee_invalid_op 0
		.amdhsa_exception_fp_denorm_src 0
		.amdhsa_exception_fp_ieee_div_zero 0
		.amdhsa_exception_fp_ieee_overflow 0
		.amdhsa_exception_fp_ieee_underflow 0
		.amdhsa_exception_fp_ieee_inexact 0
		.amdhsa_exception_int_div_zero 0
	.end_amdhsa_kernel
	.section	.text._ZN2at6native6sbtopk10gatherTopKIlmLin1ELb0EEEvNS_4cuda6detail10TensorInfoIKT_T0_EES8_S8_bS8_S8_NS5_IS6_S8_EES8_NS5_IlS8_EES8_PS6_,"axG",@progbits,_ZN2at6native6sbtopk10gatherTopKIlmLin1ELb0EEEvNS_4cuda6detail10TensorInfoIKT_T0_EES8_S8_bS8_S8_NS5_IS6_S8_EES8_NS5_IlS8_EES8_PS6_,comdat
.Lfunc_end165:
	.size	_ZN2at6native6sbtopk10gatherTopKIlmLin1ELb0EEEvNS_4cuda6detail10TensorInfoIKT_T0_EES8_S8_bS8_S8_NS5_IS6_S8_EES8_NS5_IlS8_EES8_PS6_, .Lfunc_end165-_ZN2at6native6sbtopk10gatherTopKIlmLin1ELb0EEEvNS_4cuda6detail10TensorInfoIKT_T0_EES8_S8_bS8_S8_NS5_IS6_S8_EES8_NS5_IlS8_EES8_PS6_
                                        ; -- End function
	.set _ZN2at6native6sbtopk10gatherTopKIlmLin1ELb0EEEvNS_4cuda6detail10TensorInfoIKT_T0_EES8_S8_bS8_S8_NS5_IS6_S8_EES8_NS5_IlS8_EES8_PS6_.num_vgpr, 56
	.set _ZN2at6native6sbtopk10gatherTopKIlmLin1ELb0EEEvNS_4cuda6detail10TensorInfoIKT_T0_EES8_S8_bS8_S8_NS5_IS6_S8_EES8_NS5_IlS8_EES8_PS6_.num_agpr, 0
	.set _ZN2at6native6sbtopk10gatherTopKIlmLin1ELb0EEEvNS_4cuda6detail10TensorInfoIKT_T0_EES8_S8_bS8_S8_NS5_IS6_S8_EES8_NS5_IlS8_EES8_PS6_.numbered_sgpr, 105
	.set _ZN2at6native6sbtopk10gatherTopKIlmLin1ELb0EEEvNS_4cuda6detail10TensorInfoIKT_T0_EES8_S8_bS8_S8_NS5_IS6_S8_EES8_NS5_IlS8_EES8_PS6_.num_named_barrier, 0
	.set _ZN2at6native6sbtopk10gatherTopKIlmLin1ELb0EEEvNS_4cuda6detail10TensorInfoIKT_T0_EES8_S8_bS8_S8_NS5_IS6_S8_EES8_NS5_IlS8_EES8_PS6_.private_seg_size, 0
	.set _ZN2at6native6sbtopk10gatherTopKIlmLin1ELb0EEEvNS_4cuda6detail10TensorInfoIKT_T0_EES8_S8_bS8_S8_NS5_IS6_S8_EES8_NS5_IlS8_EES8_PS6_.uses_vcc, 1
	.set _ZN2at6native6sbtopk10gatherTopKIlmLin1ELb0EEEvNS_4cuda6detail10TensorInfoIKT_T0_EES8_S8_bS8_S8_NS5_IS6_S8_EES8_NS5_IlS8_EES8_PS6_.uses_flat_scratch, 0
	.set _ZN2at6native6sbtopk10gatherTopKIlmLin1ELb0EEEvNS_4cuda6detail10TensorInfoIKT_T0_EES8_S8_bS8_S8_NS5_IS6_S8_EES8_NS5_IlS8_EES8_PS6_.has_dyn_sized_stack, 0
	.set _ZN2at6native6sbtopk10gatherTopKIlmLin1ELb0EEEvNS_4cuda6detail10TensorInfoIKT_T0_EES8_S8_bS8_S8_NS5_IS6_S8_EES8_NS5_IlS8_EES8_PS6_.has_recursion, 0
	.set _ZN2at6native6sbtopk10gatherTopKIlmLin1ELb0EEEvNS_4cuda6detail10TensorInfoIKT_T0_EES8_S8_bS8_S8_NS5_IS6_S8_EES8_NS5_IlS8_EES8_PS6_.has_indirect_call, 0
	.section	.AMDGPU.csdata,"",@progbits
; Kernel info:
; codeLenInByte = 27704
; TotalNumSgprs: 107
; NumVgprs: 56
; ScratchSize: 0
; MemoryBound: 0
; FloatMode: 240
; IeeeMode: 1
; LDSByteSize: 5152 bytes/workgroup (compile time only)
; SGPRBlocks: 0
; VGPRBlocks: 6
; NumSGPRsForWavesPerEU: 107
; NumVGPRsForWavesPerEU: 56
; Occupancy: 16
; WaveLimiterHint : 1
; COMPUTE_PGM_RSRC2:SCRATCH_EN: 0
; COMPUTE_PGM_RSRC2:USER_SGPR: 6
; COMPUTE_PGM_RSRC2:TRAP_HANDLER: 0
; COMPUTE_PGM_RSRC2:TGID_X_EN: 1
; COMPUTE_PGM_RSRC2:TGID_Y_EN: 1
; COMPUTE_PGM_RSRC2:TGID_Z_EN: 1
; COMPUTE_PGM_RSRC2:TIDIG_COMP_CNT: 0
	.section	.text._ZN2at6native6mbtopk23computeBlockDigitCountsIsmjLi1EEEvNS_4cuda6detail10TensorInfoIKT_T0_EEjPjjS8_iijT1_PSB_Ps,"axG",@progbits,_ZN2at6native6mbtopk23computeBlockDigitCountsIsmjLi1EEEvNS_4cuda6detail10TensorInfoIKT_T0_EEjPjjS8_iijT1_PSB_Ps,comdat
	.protected	_ZN2at6native6mbtopk23computeBlockDigitCountsIsmjLi1EEEvNS_4cuda6detail10TensorInfoIKT_T0_EEjPjjS8_iijT1_PSB_Ps ; -- Begin function _ZN2at6native6mbtopk23computeBlockDigitCountsIsmjLi1EEEvNS_4cuda6detail10TensorInfoIKT_T0_EEjPjjS8_iijT1_PSB_Ps
	.globl	_ZN2at6native6mbtopk23computeBlockDigitCountsIsmjLi1EEEvNS_4cuda6detail10TensorInfoIKT_T0_EEjPjjS8_iijT1_PSB_Ps
	.p2align	8
	.type	_ZN2at6native6mbtopk23computeBlockDigitCountsIsmjLi1EEEvNS_4cuda6detail10TensorInfoIKT_T0_EEjPjjS8_iijT1_PSB_Ps,@function
_ZN2at6native6mbtopk23computeBlockDigitCountsIsmjLi1EEEvNS_4cuda6detail10TensorInfoIKT_T0_EEjPjjS8_iijT1_PSB_Ps: ; @_ZN2at6native6mbtopk23computeBlockDigitCountsIsmjLi1EEEvNS_4cuda6detail10TensorInfoIKT_T0_EEjPjjS8_iijT1_PSB_Ps
; %bb.0:
	s_clause 0x2
	s_load_dwordx4 s[12:15], s[4:5], 0x1c0
	s_load_dword s3, s[4:5], 0x1b0
	s_load_dwordx2 s[0:1], s[4:5], 0x1e0
	s_mov_b32 s9, 0
	s_waitcnt lgkmcnt(0)
	v_cvt_f32_u32_e32 v1, s14
	s_mul_i32 s1, s1, s8
	s_sub_i32 s8, 0, s14
	s_add_i32 s1, s1, s7
	v_rcp_iflag_f32_e32 v1, v1
	s_mul_i32 s10, s1, s0
	s_add_i32 s10, s10, s6
	v_mul_f32_e32 v1, 0x4f7ffffe, v1
	v_cvt_u32_f32_e32 v1, v1
	v_readfirstlane_b32 s2, v1
	s_mul_i32 s8, s8, s2
	s_mul_hi_u32 s0, s2, s8
	s_add_i32 s2, s2, s0
	s_mul_hi_u32 s0, s10, s2
	s_mul_i32 s1, s0, s14
	s_add_i32 s2, s0, 1
	s_sub_i32 s1, s10, s1
	s_sub_i32 s6, s1, s14
	s_cmp_ge_u32 s1, s14
	s_cselect_b32 s0, s2, s0
	s_cselect_b32 s1, s6, s1
	s_add_i32 s2, s0, 1
	s_cmp_ge_u32 s1, s14
	s_cselect_b32 s8, s2, s0
	s_cmp_ge_u32 s8, s3
	s_cbranch_scc1 .LBB166_21
; %bb.1:
	s_load_dwordx4 s[0:3], s[4:5], 0x1d0
	s_lshl_b64 s[6:7], s[8:9], 2
	v_cmp_gt_u32_e32 vcc_lo, 0x100, v0
	v_lshlrev_b32_e32 v1, 2, v0
	s_waitcnt lgkmcnt(0)
	s_add_u32 s0, s0, s6
	s_addc_u32 s1, s1, s7
	s_and_saveexec_b32 s6, vcc_lo
; %bb.2:
	v_mov_b32_e32 v2, 0
	ds_write_b32 v1, v2
; %bb.3:
	s_or_b32 exec_lo, exec_lo, s6
	s_load_dword s9, s[4:5], 0x1a0
	s_mul_i32 s6, s8, s14
	s_waitcnt lgkmcnt(0)
	s_sub_i32 s6, s10, s6
	s_barrier
	s_mul_i32 s7, s13, s6
	s_add_i32 s11, s6, 1
	s_lshl_b32 s16, s7, 8
	buffer_gl0_inv
	s_sub_i32 s7, s9, s16
	s_add_u32 s6, s7, 0xff
	s_addc_u32 s7, 0, 0
	s_lshr_b64 s[6:7], s[6:7], 8
	s_cmp_lt_u32 s11, s14
	s_cselect_b32 s11, s13, s6
	s_mov_b32 s13, 0
	s_cmp_lt_i32 s11, 1
	s_cbranch_scc1 .LBB166_19
; %bb.4:
	s_clause 0x2
	s_load_dwordx2 s[18:19], s[4:5], 0xd0
	s_load_dwordx2 s[6:7], s[4:5], 0x1b8
	;; [unrolled: 1-line block ×3, first 2 shown]
	s_load_dword s1, s[0:1], 0x0
	v_add_nc_u32_e32 v2, s16, v0
	s_waitcnt lgkmcnt(0)
	s_mul_i32 s0, s19, s8
	s_mul_hi_u32 s5, s18, s8
	s_mul_i32 s4, s18, s8
	s_add_i32 s5, s5, s0
	s_lshl_b64 s[18:19], s[4:5], 1
	s_add_u32 s5, s20, s18
	s_addc_u32 s8, s21, s19
	s_and_b32 s4, s12, 0xff
	s_cmp_eq_u32 s11, 1
	s_cbranch_scc1 .LBB166_14
; %bb.5:
	v_mov_b32_e32 v3, 1
	v_mov_b32_e32 v4, v2
	s_and_b32 s12, s11, 0x7ffffffe
	s_branch .LBB166_7
.LBB166_6:                              ;   in Loop: Header=BB166_7 Depth=1
	s_or_b32 exec_lo, exec_lo, s14
	v_add_nc_u32_e32 v4, 0x200, v4
	s_add_i32 s13, s13, 2
	s_cmp_eq_u32 s12, s13
	s_cbranch_scc1 .LBB166_13
.LBB166_7:                              ; =>This Inner Loop Header: Depth=1
	s_mov_b32 s14, exec_lo
	v_cmpx_gt_u32_e64 s9, v4
	s_cbranch_execz .LBB166_10
; %bb.8:                                ;   in Loop: Header=BB166_7 Depth=1
	v_mad_u64_u32 v[5:6], null, s6, v4, 0
	v_mad_u64_u32 v[6:7], null, s7, v4, v[6:7]
	v_lshlrev_b64 v[5:6], 1, v[5:6]
	v_add_co_u32 v5, s0, s5, v5
	v_add_co_ci_u32_e64 v6, null, s8, v6, s0
	global_load_sshort v5, v[5:6], off
	s_waitcnt vmcnt(0)
	v_add_nc_u32_e32 v5, 0x8000, v5
	v_xor_b32_e32 v6, s1, v5
	v_and_b32_e32 v6, s15, v6
	v_cmp_eq_u32_e64 s0, 0, v6
	s_and_b32 exec_lo, exec_lo, s0
; %bb.9:                                ;   in Loop: Header=BB166_7 Depth=1
	v_bfe_u32 v5, v5, s4, 8
	v_lshlrev_b32_e32 v5, 2, v5
	ds_add_u32 v5, v3
.LBB166_10:                             ;   in Loop: Header=BB166_7 Depth=1
	s_or_b32 exec_lo, exec_lo, s14
	v_add_nc_u32_e32 v5, 0x100, v4
	s_mov_b32 s14, exec_lo
	v_cmpx_gt_u32_e64 s9, v5
	s_cbranch_execz .LBB166_6
; %bb.11:                               ;   in Loop: Header=BB166_7 Depth=1
	v_mad_u64_u32 v[6:7], null, s6, v5, 0
	v_mad_u64_u32 v[7:8], null, s7, v5, v[7:8]
	v_lshlrev_b64 v[5:6], 1, v[6:7]
	v_add_co_u32 v5, s0, s5, v5
	v_add_co_ci_u32_e64 v6, null, s8, v6, s0
	global_load_sshort v5, v[5:6], off
	s_waitcnt vmcnt(0)
	v_add_nc_u32_e32 v5, 0x8000, v5
	v_xor_b32_e32 v6, s1, v5
	v_and_b32_e32 v6, s15, v6
	v_cmp_eq_u32_e64 s0, 0, v6
	s_and_b32 exec_lo, exec_lo, s0
	s_cbranch_execz .LBB166_6
; %bb.12:                               ;   in Loop: Header=BB166_7 Depth=1
	v_bfe_u32 v5, v5, s4, 8
	v_lshlrev_b32_e32 v5, 2, v5
	ds_add_u32 v5, v3
	s_branch .LBB166_6
.LBB166_13:
	s_lshl_b32 s13, s12, 8
.LBB166_14:
	s_bitcmp0_b32 s11, 0
	s_cbranch_scc1 .LBB166_19
; %bb.15:
	v_add_nc_u32_e32 v2, s13, v2
	v_cmp_gt_u32_e64 s0, s9, v2
	s_and_saveexec_b32 s9, s0
	s_cbranch_execz .LBB166_18
; %bb.16:
	v_mad_u64_u32 v[3:4], null, s6, v2, 0
	v_mad_u64_u32 v[4:5], null, s7, v2, v[4:5]
	v_lshlrev_b64 v[2:3], 1, v[3:4]
	v_add_co_u32 v2, s0, s5, v2
	v_add_co_ci_u32_e64 v3, null, s8, v3, s0
	global_load_sshort v2, v[2:3], off
	s_waitcnt vmcnt(0)
	v_add_nc_u32_e32 v2, 0x8000, v2
	v_xor_b32_e32 v3, s1, v2
	v_and_b32_e32 v3, s15, v3
	v_cmp_eq_u32_e64 s0, 0, v3
	s_and_b32 exec_lo, exec_lo, s0
	s_cbranch_execz .LBB166_18
; %bb.17:
	v_bfe_u32 v2, v2, s4, 8
	v_mov_b32_e32 v3, 1
	v_lshlrev_b32_e32 v2, 2, v2
	ds_add_u32 v2, v3
.LBB166_18:
	s_or_b32 exec_lo, exec_lo, s9
.LBB166_19:
	s_waitcnt lgkmcnt(0)
	s_barrier
	buffer_gl0_inv
	s_and_saveexec_b32 s0, vcc_lo
	s_cbranch_execz .LBB166_21
; %bb.20:
	ds_read_b32 v2, v1
	v_lshl_or_b32 v0, s10, 8, v0
	v_mov_b32_e32 v1, 0
	v_lshlrev_b64 v[0:1], 1, v[0:1]
	v_add_co_u32 v0, vcc_lo, s2, v0
	v_add_co_ci_u32_e64 v1, null, s3, v1, vcc_lo
	s_waitcnt lgkmcnt(0)
	global_store_short v[0:1], v2, off
.LBB166_21:
	s_endpgm
	.section	.rodata,"a",@progbits
	.p2align	6, 0x0
	.amdhsa_kernel _ZN2at6native6mbtopk23computeBlockDigitCountsIsmjLi1EEEvNS_4cuda6detail10TensorInfoIKT_T0_EEjPjjS8_iijT1_PSB_Ps
		.amdhsa_group_segment_fixed_size 1024
		.amdhsa_private_segment_fixed_size 0
		.amdhsa_kernarg_size 736
		.amdhsa_user_sgpr_count 6
		.amdhsa_user_sgpr_private_segment_buffer 1
		.amdhsa_user_sgpr_dispatch_ptr 0
		.amdhsa_user_sgpr_queue_ptr 0
		.amdhsa_user_sgpr_kernarg_segment_ptr 1
		.amdhsa_user_sgpr_dispatch_id 0
		.amdhsa_user_sgpr_flat_scratch_init 0
		.amdhsa_user_sgpr_private_segment_size 0
		.amdhsa_wavefront_size32 1
		.amdhsa_uses_dynamic_stack 0
		.amdhsa_system_sgpr_private_segment_wavefront_offset 0
		.amdhsa_system_sgpr_workgroup_id_x 1
		.amdhsa_system_sgpr_workgroup_id_y 1
		.amdhsa_system_sgpr_workgroup_id_z 1
		.amdhsa_system_sgpr_workgroup_info 0
		.amdhsa_system_vgpr_workitem_id 0
		.amdhsa_next_free_vgpr 9
		.amdhsa_next_free_sgpr 22
		.amdhsa_reserve_vcc 1
		.amdhsa_reserve_flat_scratch 0
		.amdhsa_float_round_mode_32 0
		.amdhsa_float_round_mode_16_64 0
		.amdhsa_float_denorm_mode_32 3
		.amdhsa_float_denorm_mode_16_64 3
		.amdhsa_dx10_clamp 1
		.amdhsa_ieee_mode 1
		.amdhsa_fp16_overflow 0
		.amdhsa_workgroup_processor_mode 1
		.amdhsa_memory_ordered 1
		.amdhsa_forward_progress 1
		.amdhsa_shared_vgpr_count 0
		.amdhsa_exception_fp_ieee_invalid_op 0
		.amdhsa_exception_fp_denorm_src 0
		.amdhsa_exception_fp_ieee_div_zero 0
		.amdhsa_exception_fp_ieee_overflow 0
		.amdhsa_exception_fp_ieee_underflow 0
		.amdhsa_exception_fp_ieee_inexact 0
		.amdhsa_exception_int_div_zero 0
	.end_amdhsa_kernel
	.section	.text._ZN2at6native6mbtopk23computeBlockDigitCountsIsmjLi1EEEvNS_4cuda6detail10TensorInfoIKT_T0_EEjPjjS8_iijT1_PSB_Ps,"axG",@progbits,_ZN2at6native6mbtopk23computeBlockDigitCountsIsmjLi1EEEvNS_4cuda6detail10TensorInfoIKT_T0_EEjPjjS8_iijT1_PSB_Ps,comdat
.Lfunc_end166:
	.size	_ZN2at6native6mbtopk23computeBlockDigitCountsIsmjLi1EEEvNS_4cuda6detail10TensorInfoIKT_T0_EEjPjjS8_iijT1_PSB_Ps, .Lfunc_end166-_ZN2at6native6mbtopk23computeBlockDigitCountsIsmjLi1EEEvNS_4cuda6detail10TensorInfoIKT_T0_EEjPjjS8_iijT1_PSB_Ps
                                        ; -- End function
	.set _ZN2at6native6mbtopk23computeBlockDigitCountsIsmjLi1EEEvNS_4cuda6detail10TensorInfoIKT_T0_EEjPjjS8_iijT1_PSB_Ps.num_vgpr, 9
	.set _ZN2at6native6mbtopk23computeBlockDigitCountsIsmjLi1EEEvNS_4cuda6detail10TensorInfoIKT_T0_EEjPjjS8_iijT1_PSB_Ps.num_agpr, 0
	.set _ZN2at6native6mbtopk23computeBlockDigitCountsIsmjLi1EEEvNS_4cuda6detail10TensorInfoIKT_T0_EEjPjjS8_iijT1_PSB_Ps.numbered_sgpr, 22
	.set _ZN2at6native6mbtopk23computeBlockDigitCountsIsmjLi1EEEvNS_4cuda6detail10TensorInfoIKT_T0_EEjPjjS8_iijT1_PSB_Ps.num_named_barrier, 0
	.set _ZN2at6native6mbtopk23computeBlockDigitCountsIsmjLi1EEEvNS_4cuda6detail10TensorInfoIKT_T0_EEjPjjS8_iijT1_PSB_Ps.private_seg_size, 0
	.set _ZN2at6native6mbtopk23computeBlockDigitCountsIsmjLi1EEEvNS_4cuda6detail10TensorInfoIKT_T0_EEjPjjS8_iijT1_PSB_Ps.uses_vcc, 1
	.set _ZN2at6native6mbtopk23computeBlockDigitCountsIsmjLi1EEEvNS_4cuda6detail10TensorInfoIKT_T0_EEjPjjS8_iijT1_PSB_Ps.uses_flat_scratch, 0
	.set _ZN2at6native6mbtopk23computeBlockDigitCountsIsmjLi1EEEvNS_4cuda6detail10TensorInfoIKT_T0_EEjPjjS8_iijT1_PSB_Ps.has_dyn_sized_stack, 0
	.set _ZN2at6native6mbtopk23computeBlockDigitCountsIsmjLi1EEEvNS_4cuda6detail10TensorInfoIKT_T0_EEjPjjS8_iijT1_PSB_Ps.has_recursion, 0
	.set _ZN2at6native6mbtopk23computeBlockDigitCountsIsmjLi1EEEvNS_4cuda6detail10TensorInfoIKT_T0_EEjPjjS8_iijT1_PSB_Ps.has_indirect_call, 0
	.section	.AMDGPU.csdata,"",@progbits
; Kernel info:
; codeLenInByte = 896
; TotalNumSgprs: 24
; NumVgprs: 9
; ScratchSize: 0
; MemoryBound: 0
; FloatMode: 240
; IeeeMode: 1
; LDSByteSize: 1024 bytes/workgroup (compile time only)
; SGPRBlocks: 0
; VGPRBlocks: 1
; NumSGPRsForWavesPerEU: 24
; NumVGPRsForWavesPerEU: 9
; Occupancy: 16
; WaveLimiterHint : 1
; COMPUTE_PGM_RSRC2:SCRATCH_EN: 0
; COMPUTE_PGM_RSRC2:USER_SGPR: 6
; COMPUTE_PGM_RSRC2:TRAP_HANDLER: 0
; COMPUTE_PGM_RSRC2:TGID_X_EN: 1
; COMPUTE_PGM_RSRC2:TGID_Y_EN: 1
; COMPUTE_PGM_RSRC2:TGID_Z_EN: 1
; COMPUTE_PGM_RSRC2:TIDIG_COMP_CNT: 0
	.section	.text._ZN2at6native6mbtopk10gatherTopKIsmLi1EEEvNS_4cuda6detail10TensorInfoIKT_T0_EES8_S8_bjS8_NS5_IS6_S8_EES8_NS5_IlS8_EES8_jjPS6_PjSD_j,"axG",@progbits,_ZN2at6native6mbtopk10gatherTopKIsmLi1EEEvNS_4cuda6detail10TensorInfoIKT_T0_EES8_S8_bjS8_NS5_IS6_S8_EES8_NS5_IlS8_EES8_jjPS6_PjSD_j,comdat
	.protected	_ZN2at6native6mbtopk10gatherTopKIsmLi1EEEvNS_4cuda6detail10TensorInfoIKT_T0_EES8_S8_bjS8_NS5_IS6_S8_EES8_NS5_IlS8_EES8_jjPS6_PjSD_j ; -- Begin function _ZN2at6native6mbtopk10gatherTopKIsmLi1EEEvNS_4cuda6detail10TensorInfoIKT_T0_EES8_S8_bjS8_NS5_IS6_S8_EES8_NS5_IlS8_EES8_jjPS6_PjSD_j
	.globl	_ZN2at6native6mbtopk10gatherTopKIsmLi1EEEvNS_4cuda6detail10TensorInfoIKT_T0_EES8_S8_bjS8_NS5_IS6_S8_EES8_NS5_IlS8_EES8_jjPS6_PjSD_j
	.p2align	8
	.type	_ZN2at6native6mbtopk10gatherTopKIsmLi1EEEvNS_4cuda6detail10TensorInfoIKT_T0_EES8_S8_bjS8_NS5_IS6_S8_EES8_NS5_IlS8_EES8_jjPS6_PjSD_j,@function
_ZN2at6native6mbtopk10gatherTopKIsmLi1EEEvNS_4cuda6detail10TensorInfoIKT_T0_EES8_S8_bjS8_NS5_IS6_S8_EES8_NS5_IlS8_EES8_jjPS6_PjSD_j: ; @_ZN2at6native6mbtopk10gatherTopKIsmLi1EEEvNS_4cuda6detail10TensorInfoIKT_T0_EES8_S8_bjS8_NS5_IS6_S8_EES8_NS5_IlS8_EES8_jjPS6_PjSD_j
; %bb.0:
	s_clause 0x1
	s_load_dwordx2 s[0:1], s[4:5], 0x538
	s_load_dword s2, s[4:5], 0x530
	s_waitcnt lgkmcnt(0)
	s_mul_i32 s1, s1, s8
	s_add_i32 s1, s1, s7
	s_mul_i32 s0, s1, s0
	s_add_i32 s0, s0, s6
	s_cmp_ge_u32 s0, s2
	s_cbranch_scc1 .LBB167_42
; %bb.1:
	s_clause 0x1
	s_load_dwordx2 s[6:7], s[4:5], 0x510
	s_load_dwordx4 s[8:11], s[4:5], 0x1a0
	s_mov_b32 s21, 0
	s_waitcnt lgkmcnt(0)
	v_cvt_f32_u32_e32 v1, s7
	s_sub_i32 s2, 0, s7
	s_lshl_b32 s33, s6, 8
	v_rcp_iflag_f32_e32 v1, v1
	v_mul_f32_e32 v1, 0x4f7ffffe, v1
	v_cvt_u32_f32_e32 v1, v1
	v_readfirstlane_b32 s1, v1
	s_mul_i32 s2, s2, s1
	s_mul_hi_u32 s2, s1, s2
	s_add_i32 s1, s1, s2
	s_mul_hi_u32 s1, s0, s1
	s_mul_i32 s2, s1, s7
	s_add_i32 s3, s1, 1
	s_sub_i32 s2, s0, s2
	s_sub_i32 s12, s2, s7
	s_cmp_ge_u32 s2, s7
	s_cselect_b32 s1, s3, s1
	s_cselect_b32 s2, s12, s2
	s_add_i32 s3, s1, 1
	s_cmp_ge_u32 s2, s7
	s_cselect_b32 s20, s3, s1
	s_mul_i32 s16, s20, s7
	s_sub_i32 s36, s0, s16
	s_add_i32 s0, s36, 1
	s_cmp_lt_u32 s0, s7
	s_cbranch_scc1 .LBB167_3
; %bb.2:
	s_mul_i32 s0, s36, s33
	s_sub_u32 s0, s8, s0
	s_subb_u32 s1, s9, 0
	s_add_u32 s0, s0, 0xff
	s_addc_u32 s1, s1, 0
	s_ashr_i32 s2, s1, 31
	s_lshr_b32 s2, s2, 24
	s_add_u32 s0, s0, s2
	s_addc_u32 s1, s1, 0
	s_lshr_b64 s[0:1], s[0:1], 8
	s_mov_b32 s6, s0
.LBB167_3:
	s_load_dwordx4 s[0:3], s[4:5], 0x518
	s_lshl_b64 s[12:13], s[20:21], 1
	v_mov_b32_e32 v1, 0
	s_waitcnt lgkmcnt(0)
	s_add_u32 s0, s0, s12
	s_addc_u32 s1, s1, s13
	global_load_ushort v8, v1, s[0:1]
	s_clause 0x3
	s_load_dwordx2 s[22:23], s[4:5], 0x0
	s_load_dwordx2 s[28:29], s[4:5], 0xd0
	s_load_dwordx2 s[26:27], s[4:5], 0x290
	s_load_dwordx2 s[24:25], s[4:5], 0x438
	v_cmp_ne_u32_e64 s0, 0, v0
	v_cmp_eq_u32_e64 s1, 0, v0
	s_and_saveexec_b32 s21, s1
	s_cbranch_execz .LBB167_19
; %bb.4:
	s_load_dwordx2 s[18:19], s[4:5], 0x528
	s_mov_b32 s17, 0
	s_mov_b32 s37, 0
	s_lshl_b64 s[30:31], s[16:17], 2
	s_mov_b32 s16, 0
	s_add_u32 s12, s2, s30
	s_addc_u32 s13, s3, s31
	s_waitcnt lgkmcnt(0)
	s_add_u32 s14, s18, s30
	s_addc_u32 s15, s19, s31
	s_cmp_lt_u32 s7, 4
	s_cbranch_scc1 .LBB167_16
; %bb.5:
	s_mov_b32 s38, 0
.LBB167_6:                              ; =>This Inner Loop Header: Depth=1
	s_add_u32 s12, s2, s30
	s_addc_u32 s13, s3, s31
	s_add_u32 s34, s18, s30
	s_load_dwordx4 s[12:15], s[12:13], 0x0
	s_addc_u32 s35, s19, s31
	s_cmp_ge_u32 s38, s36
	s_cbranch_scc0 .LBB167_13
; %bb.7:                                ;   in Loop: Header=BB167_6 Depth=1
	s_add_i32 s39, s38, 1
	s_cmp_ge_u32 s39, s36
	s_cbranch_scc0 .LBB167_14
.LBB167_8:                              ;   in Loop: Header=BB167_6 Depth=1
	s_add_i32 s39, s39, 1
	s_cmp_ge_u32 s39, s36
	s_cbranch_scc0 .LBB167_15
.LBB167_9:                              ;   in Loop: Header=BB167_6 Depth=1
	s_add_i32 s39, s39, 1
	s_cmp_ge_u32 s39, s36
	s_cbranch_scc1 .LBB167_11
.LBB167_10:                             ;   in Loop: Header=BB167_6 Depth=1
	s_load_dword s34, s[34:35], 0xc
	s_waitcnt lgkmcnt(0)
	s_add_i32 s17, s17, s15
	s_add_i32 s16, s34, s16
.LBB167_11:                             ;   in Loop: Header=BB167_6 Depth=1
	s_waitcnt lgkmcnt(0)
	s_add_i32 s12, s12, s37
	s_add_i32 s12, s12, s13
	;; [unrolled: 1-line block ×4, first 2 shown]
	s_add_u32 s2, s2, 16
	s_addc_u32 s3, s3, 0
	s_add_u32 s18, s18, 16
	s_addc_u32 s19, s19, 0
	s_add_i32 s35, s39, 4
	s_add_u32 s14, s18, s30
	s_addc_u32 s15, s19, s31
	s_add_u32 s12, s2, s30
	s_addc_u32 s13, s3, s31
	s_add_i32 s34, s39, 1
	s_cmp_ge_u32 s35, s7
	s_cbranch_scc1 .LBB167_17
; %bb.12:                               ;   in Loop: Header=BB167_6 Depth=1
	s_mov_b32 s38, s34
	s_branch .LBB167_6
.LBB167_13:                             ;   in Loop: Header=BB167_6 Depth=1
	s_load_dword s39, s[34:35], 0x0
	s_waitcnt lgkmcnt(0)
	s_add_i32 s17, s12, s17
	s_add_i32 s16, s39, s16
	;; [unrolled: 1-line block ×3, first 2 shown]
	s_cmp_ge_u32 s39, s36
	s_cbranch_scc1 .LBB167_8
.LBB167_14:                             ;   in Loop: Header=BB167_6 Depth=1
	s_load_dword s40, s[34:35], 0x4
	s_waitcnt lgkmcnt(0)
	s_add_i32 s17, s17, s13
	s_add_i32 s16, s40, s16
	;; [unrolled: 1-line block ×3, first 2 shown]
	s_cmp_ge_u32 s39, s36
	s_cbranch_scc1 .LBB167_9
.LBB167_15:                             ;   in Loop: Header=BB167_6 Depth=1
	s_load_dword s40, s[34:35], 0x8
	s_waitcnt lgkmcnt(0)
	s_add_i32 s17, s17, s14
	s_add_i32 s16, s40, s16
	;; [unrolled: 1-line block ×3, first 2 shown]
	s_cmp_ge_u32 s39, s36
	s_cbranch_scc0 .LBB167_10
	s_branch .LBB167_11
.LBB167_16:
	s_mov_b32 s2, 0
	s_cmp_ge_u32 s2, s7
	s_cbranch_scc0 .LBB167_40
	s_branch .LBB167_18
.LBB167_17:
	s_add_i32 s2, s38, 4
	s_cmp_ge_u32 s2, s7
	s_cbranch_scc0 .LBB167_40
.LBB167_18:
	v_mov_b32_e32 v1, s16
	v_mov_b32_e32 v2, s37
	;; [unrolled: 1-line block ×4, first 2 shown]
	ds_write_b96 v4, v[1:3] offset:1056
.LBB167_19:
	s_or_b32 exec_lo, exec_lo, s21
	s_clause 0x1
	s_load_dwordx4 s[12:15], s[4:5], 0x1b8
	s_load_dwordx4 s[16:19], s[4:5], 0x360
	s_cmp_eq_u32 s6, 0
	s_waitcnt vmcnt(0) lgkmcnt(0)
	s_barrier
	buffer_gl0_inv
	s_cbranch_scc1 .LBB167_42
; %bb.20:
	v_mov_b32_e32 v5, 0
	s_mul_i32 s2, s29, s20
	s_mul_hi_u32 s3, s28, s20
	s_mul_i32 s7, s27, s20
	s_mul_hi_u32 s21, s26, s20
	ds_read_b96 v[1:3], v5 offset:1056
	s_add_i32 s3, s3, s2
	s_mul_i32 s2, s28, s20
	s_add_i32 s27, s21, s7
	s_mul_i32 s7, s25, s20
	s_mul_hi_u32 s21, s24, s20
	s_lshl_b64 s[2:3], s[2:3], 1
	s_mul_i32 s26, s26, s20
	s_add_i32 s25, s21, s7
	s_add_u32 s7, s22, s2
	s_addc_u32 s21, s23, s3
	s_lshl_b64 s[2:3], s[26:27], 1
	s_mul_i32 s24, s24, s20
	s_add_u32 s14, s14, s2
	s_addc_u32 s15, s15, s3
	s_lshl_b64 s[2:3], s[24:25], 3
	v_add_nc_u32_e32 v4, -1, v0
	s_add_u32 s18, s18, s2
	s_addc_u32 s19, s19, s3
	s_clause 0x1
	s_load_dword s3, s[4:5], 0x1b0
	s_load_dwordx2 s[4:5], s[4:5], 0x508
	v_lshrrev_b32_e32 v6, 3, v0
	v_lshrrev_b32_e32 v7, 3, v4
	s_waitcnt lgkmcnt(0)
	v_add_nc_u32_e32 v1, v1, v2
	v_mov_b32_e32 v9, 0x8000
	v_and_b32_e32 v13, 0xfc, v0
	v_and_b32_e32 v2, 28, v6
	;; [unrolled: 1-line block ×3, first 2 shown]
	v_mad_u64_u32 v[6:7], null, s36, s33, v[0:1]
	v_lshlrev_b32_e32 v14, 5, v0
	v_mbcnt_lo_u32_b32 v11, -1, 0
	v_add_nc_u32_sdwa v10, sext(v8), v9 dst_sel:DWORD dst_unused:UNUSED_PAD src0_sel:WORD_0 src1_sel:DWORD
	v_lshl_add_u32 v12, v0, 2, v2
	v_cmp_gt_u32_e64 s2, 32, v0
	v_lshl_add_u32 v0, v4, 2, v15
	v_add_nc_u32_e32 v13, v13, v14
	v_and_b32_e32 v14, 15, v11
	v_bfe_i32 v15, v11, 4, 1
	v_add_nc_u32_e32 v16, -1, v11
	v_mov_b32_e32 v4, v6
	s_bitcmp1_b32 s3, 0
                                        ; implicit-def: $vgpr17
	s_cselect_b32 s3, -1, 0
	s_branch .LBB167_23
.LBB167_21:                             ;   in Loop: Header=BB167_23 Depth=1
	s_or_b32 exec_lo, exec_lo, s20
	v_add_nc_u32_e32 v1, v2, v1
.LBB167_22:                             ;   in Loop: Header=BB167_23 Depth=1
	v_add_nc_u32_e32 v3, v18, v3
	v_add_nc_u32_e32 v4, 0x100, v4
	s_add_i32 s6, s6, -1
	s_cmp_lg_u32 s6, 0
	s_cbranch_scc0 .LBB167_42
.LBB167_23:                             ; =>This Inner Loop Header: Depth=1
	v_mov_b32_e32 v2, v5
	v_mov_b32_e32 v6, v5
	s_mov_b32 s20, exec_lo
	v_cmpx_gt_u64_e64 s[8:9], v[4:5]
	s_cbranch_execz .LBB167_25
; %bb.24:                               ;   in Loop: Header=BB167_23 Depth=1
	v_mad_u64_u32 v[6:7], null, s12, v4, 0
	v_mov_b32_e32 v2, v7
	v_mad_u64_u32 v[17:18], null, s13, v4, v[2:3]
	v_mov_b32_e32 v7, v17
	v_lshlrev_b64 v[6:7], 1, v[6:7]
	v_add_co_u32 v6, vcc_lo, s7, v6
	v_add_co_ci_u32_e64 v7, null, s21, v7, vcc_lo
	global_load_ushort v17, v[6:7], off
	s_waitcnt vmcnt(0)
	v_add_nc_u32_sdwa v2, sext(v17), v9 dst_sel:DWORD dst_unused:UNUSED_PAD src0_sel:WORD_0 src1_sel:DWORD
	v_cmp_gt_u32_e32 vcc_lo, v2, v10
	v_cndmask_b32_e64 v6, 0, 1, vcc_lo
	v_cmp_lt_u32_e32 vcc_lo, v2, v10
	v_cndmask_b32_e64 v2, 0, 1, vcc_lo
	v_cmp_eq_u16_e32 vcc_lo, v17, v8
	v_cndmask_b32_e64 v2, v2, v6, s3
	v_cndmask_b32_e64 v6, 0, 1, vcc_lo
	v_and_b32_e32 v2, 1, v2
.LBB167_25:                             ;   in Loop: Header=BB167_23 Depth=1
	s_or_b32 exec_lo, exec_lo, s20
	ds_write_b32 v12, v2
	s_waitcnt lgkmcnt(0)
	s_barrier
	buffer_gl0_inv
	s_and_saveexec_b32 s20, s2
	s_cbranch_execz .LBB167_27
; %bb.26:                               ;   in Loop: Header=BB167_23 Depth=1
	ds_read2_b32 v[18:19], v13 offset1:1
	ds_read2_b32 v[20:21], v13 offset0:2 offset1:3
	ds_read2_b32 v[22:23], v13 offset0:4 offset1:5
	;; [unrolled: 1-line block ×3, first 2 shown]
	v_cmp_ne_u32_e32 vcc_lo, 0, v14
	; wave barrier
	s_waitcnt lgkmcnt(3)
	v_add_nc_u32_e32 v7, v19, v18
	s_waitcnt lgkmcnt(2)
	v_add3_u32 v7, v7, v20, v21
	s_waitcnt lgkmcnt(1)
	v_add3_u32 v7, v7, v22, v23
	;; [unrolled: 2-line block ×3, first 2 shown]
	v_mov_b32_dpp v19, v7 row_shr:1 row_mask:0xf bank_mask:0xf
	v_cndmask_b32_e32 v19, 0, v19, vcc_lo
	v_cmp_lt_u32_e32 vcc_lo, 1, v14
	v_add_nc_u32_e32 v7, v19, v7
	v_mov_b32_dpp v19, v7 row_shr:2 row_mask:0xf bank_mask:0xf
	v_cndmask_b32_e32 v19, 0, v19, vcc_lo
	v_cmp_lt_u32_e32 vcc_lo, 3, v14
	v_add_nc_u32_e32 v7, v7, v19
	;; [unrolled: 4-line block ×3, first 2 shown]
	v_mov_b32_dpp v19, v7 row_shr:8 row_mask:0xf bank_mask:0xf
	v_cndmask_b32_e32 v19, 0, v19, vcc_lo
	v_cmp_gt_i32_e32 vcc_lo, 0, v16
	v_add_nc_u32_e32 v7, v7, v19
	v_cndmask_b32_e32 v20, v16, v11, vcc_lo
	ds_swizzle_b32 v19, v7 offset:swizzle(BROADCAST,32,15)
	v_lshlrev_b32_e32 v20, 2, v20
	s_waitcnt lgkmcnt(0)
	v_and_b32_e32 v19, v15, v19
	v_add_nc_u32_e32 v7, v7, v19
	ds_bpermute_b32 v7, v20, v7
	s_waitcnt lgkmcnt(0)
	v_add_nc_u32_e32 v7, v7, v18
	v_cndmask_b32_e64 v7, v7, v2, s1
	ds_write_b32 v13, v7
	; wave barrier
	ds_read2_b32 v[18:19], v13 offset0:1 offset1:2
	ds_read2_b32 v[20:21], v13 offset0:3 offset1:4
	;; [unrolled: 1-line block ×3, first 2 shown]
	ds_read_b32 v24, v13 offset:28
	s_waitcnt lgkmcnt(3)
	v_add_nc_u32_e32 v7, v18, v7
	v_add_nc_u32_e32 v18, v19, v7
	s_waitcnt lgkmcnt(2)
	v_add_nc_u32_e32 v19, v20, v18
	v_add_nc_u32_e32 v20, v21, v19
	;; [unrolled: 3-line block ×3, first 2 shown]
	s_waitcnt lgkmcnt(0)
	v_add_nc_u32_e32 v23, v24, v22
	ds_write2_b32 v13, v7, v18 offset0:1 offset1:2
	ds_write2_b32 v13, v19, v20 offset0:3 offset1:4
	;; [unrolled: 1-line block ×3, first 2 shown]
	ds_write_b32 v13, v23 offset:28
.LBB167_27:                             ;   in Loop: Header=BB167_23 Depth=1
	s_or_b32 exec_lo, exec_lo, s20
	v_mov_b32_e32 v7, 0
	s_waitcnt lgkmcnt(0)
	s_barrier
	buffer_gl0_inv
	s_and_saveexec_b32 s20, s0
; %bb.28:                               ;   in Loop: Header=BB167_23 Depth=1
	ds_read_b32 v7, v0
; %bb.29:                               ;   in Loop: Header=BB167_23 Depth=1
	s_or_b32 exec_lo, exec_lo, s20
	ds_read_b32 v18, v5 offset:1048
	s_mov_b32 s20, exec_lo
	s_waitcnt lgkmcnt(0)
	s_barrier
	buffer_gl0_inv
	v_cmpx_ne_u32_e32 0, v2
	s_cbranch_execz .LBB167_31
; %bb.30:                               ;   in Loop: Header=BB167_23 Depth=1
	v_add_nc_u32_e32 v24, v7, v3
	v_mad_u64_u32 v[19:20], null, s16, v24, 0
	v_mad_u64_u32 v[21:22], null, s4, v24, 0
	v_mov_b32_e32 v2, v20
	v_mov_b32_e32 v7, v22
	v_mad_u64_u32 v[22:23], null, s17, v24, v[2:3]
	v_mad_u64_u32 v[23:24], null, s5, v24, v[7:8]
	v_mov_b32_e32 v20, v22
	v_mov_b32_e32 v22, v23
	v_lshlrev_b64 v[19:20], 1, v[19:20]
	v_lshlrev_b64 v[21:22], 3, v[21:22]
	v_add_co_u32 v19, vcc_lo, s14, v19
	v_add_co_ci_u32_e64 v20, null, s15, v20, vcc_lo
	v_add_co_u32 v21, vcc_lo, s18, v21
	v_add_co_ci_u32_e64 v22, null, s19, v22, vcc_lo
	global_store_short v[19:20], v17, off
	global_store_dwordx2 v[21:22], v[4:5], off
.LBB167_31:                             ;   in Loop: Header=BB167_23 Depth=1
	s_or_b32 exec_lo, exec_lo, s20
	v_mov_b32_e32 v2, v5
	v_cmp_le_u64_e32 vcc_lo, s[10:11], v[1:2]
	s_cbranch_vccnz .LBB167_22
; %bb.32:                               ;   in Loop: Header=BB167_23 Depth=1
	ds_write_b32 v12, v6
	s_waitcnt lgkmcnt(0)
	s_waitcnt_vscnt null, 0x0
	s_barrier
	buffer_gl0_inv
	s_and_saveexec_b32 s20, s2
	s_cbranch_execz .LBB167_34
; %bb.33:                               ;   in Loop: Header=BB167_23 Depth=1
	ds_read2_b32 v[19:20], v13 offset1:1
	ds_read2_b32 v[21:22], v13 offset0:2 offset1:3
	ds_read2_b32 v[23:24], v13 offset0:4 offset1:5
	;; [unrolled: 1-line block ×3, first 2 shown]
	v_cmp_ne_u32_e32 vcc_lo, 0, v14
	; wave barrier
	s_waitcnt lgkmcnt(3)
	v_add_nc_u32_e32 v2, v20, v19
	s_waitcnt lgkmcnt(2)
	v_add3_u32 v2, v2, v21, v22
	s_waitcnt lgkmcnt(1)
	v_add3_u32 v2, v2, v23, v24
	;; [unrolled: 2-line block ×3, first 2 shown]
	v_mov_b32_dpp v7, v2 row_shr:1 row_mask:0xf bank_mask:0xf
	v_cndmask_b32_e32 v7, 0, v7, vcc_lo
	v_cmp_lt_u32_e32 vcc_lo, 1, v14
	v_add_nc_u32_e32 v2, v7, v2
	v_mov_b32_dpp v7, v2 row_shr:2 row_mask:0xf bank_mask:0xf
	v_cndmask_b32_e32 v7, 0, v7, vcc_lo
	v_cmp_lt_u32_e32 vcc_lo, 3, v14
	v_add_nc_u32_e32 v2, v2, v7
	v_mov_b32_dpp v7, v2 row_shr:4 row_mask:0xf bank_mask:0xf
	v_cndmask_b32_e32 v7, 0, v7, vcc_lo
	v_cmp_lt_u32_e32 vcc_lo, 7, v14
	v_add_nc_u32_e32 v2, v2, v7
	v_mov_b32_dpp v7, v2 row_shr:8 row_mask:0xf bank_mask:0xf
	v_cndmask_b32_e32 v7, 0, v7, vcc_lo
	v_cmp_gt_i32_e32 vcc_lo, 0, v16
	v_add_nc_u32_e32 v2, v2, v7
	v_cndmask_b32_e32 v20, v16, v11, vcc_lo
	ds_swizzle_b32 v7, v2 offset:swizzle(BROADCAST,32,15)
	v_lshlrev_b32_e32 v20, 2, v20
	s_waitcnt lgkmcnt(0)
	v_and_b32_e32 v7, v15, v7
	v_add_nc_u32_e32 v2, v2, v7
	ds_bpermute_b32 v2, v20, v2
	s_waitcnt lgkmcnt(0)
	v_add_nc_u32_e32 v2, v2, v19
	v_cndmask_b32_e64 v2, v2, v6, s1
	ds_write_b32 v13, v2
	; wave barrier
	ds_read2_b32 v[19:20], v13 offset0:1 offset1:2
	ds_read2_b32 v[21:22], v13 offset0:3 offset1:4
	;; [unrolled: 1-line block ×3, first 2 shown]
	ds_read_b32 v7, v13 offset:28
	s_waitcnt lgkmcnt(3)
	v_add_nc_u32_e32 v2, v19, v2
	v_add_nc_u32_e32 v19, v20, v2
	s_waitcnt lgkmcnt(2)
	v_add_nc_u32_e32 v20, v21, v19
	v_add_nc_u32_e32 v21, v22, v20
	;; [unrolled: 3-line block ×3, first 2 shown]
	s_waitcnt lgkmcnt(0)
	v_add_nc_u32_e32 v7, v7, v23
	ds_write2_b32 v13, v2, v19 offset0:1 offset1:2
	ds_write2_b32 v13, v20, v21 offset0:3 offset1:4
	;; [unrolled: 1-line block ×3, first 2 shown]
	ds_write_b32 v13, v7 offset:28
.LBB167_34:                             ;   in Loop: Header=BB167_23 Depth=1
	s_or_b32 exec_lo, exec_lo, s20
	v_mov_b32_e32 v7, 0
	s_waitcnt lgkmcnt(0)
	s_barrier
	buffer_gl0_inv
	s_and_saveexec_b32 s20, s0
; %bb.35:                               ;   in Loop: Header=BB167_23 Depth=1
	ds_read_b32 v7, v0
; %bb.36:                               ;   in Loop: Header=BB167_23 Depth=1
	s_or_b32 exec_lo, exec_lo, s20
	ds_read_b32 v2, v5 offset:1048
	s_mov_b32 s20, exec_lo
	s_waitcnt lgkmcnt(0)
	s_barrier
	buffer_gl0_inv
	v_cmpx_ne_u32_e32 0, v6
	s_cbranch_execz .LBB167_21
; %bb.37:                               ;   in Loop: Header=BB167_23 Depth=1
	v_add_nc_u32_e32 v6, v7, v1
	v_mov_b32_e32 v7, v5
	v_cmp_gt_u64_e32 vcc_lo, s[10:11], v[6:7]
	s_and_b32 exec_lo, exec_lo, vcc_lo
	s_cbranch_execz .LBB167_21
; %bb.38:                               ;   in Loop: Header=BB167_23 Depth=1
	v_mad_u64_u32 v[19:20], null, s16, v6, 0
	v_mad_u64_u32 v[21:22], null, s4, v6, 0
	v_mov_b32_e32 v7, v20
	v_mov_b32_e32 v20, v22
	v_mad_u64_u32 v[22:23], null, s17, v6, v[7:8]
	v_mad_u64_u32 v[6:7], null, s5, v6, v[20:21]
	v_mov_b32_e32 v20, v22
	v_mov_b32_e32 v22, v6
	v_lshlrev_b64 v[6:7], 1, v[19:20]
	v_lshlrev_b64 v[19:20], 3, v[21:22]
	v_add_co_u32 v6, vcc_lo, s14, v6
	v_add_co_ci_u32_e64 v7, null, s15, v7, vcc_lo
	v_add_co_u32 v19, vcc_lo, s18, v19
	v_add_co_ci_u32_e64 v20, null, s19, v20, vcc_lo
	global_store_short v[6:7], v17, off
	global_store_dwordx2 v[19:20], v[4:5], off
	s_branch .LBB167_21
	.p2align	6
.LBB167_39:                             ;   in Loop: Header=BB167_40 Depth=1
	s_add_u32 s12, s12, 4
	s_addc_u32 s13, s13, 0
	s_waitcnt lgkmcnt(0)
	s_add_i32 s37, s3, s37
	s_add_u32 s14, s14, 4
	s_addc_u32 s15, s15, 0
	s_add_i32 s2, s2, 1
	s_cmp_lt_u32 s2, s7
	s_cbranch_scc0 .LBB167_18
.LBB167_40:                             ; =>This Inner Loop Header: Depth=1
	s_load_dword s3, s[12:13], 0x0
	s_cmp_ge_u32 s2, s36
	s_cbranch_scc1 .LBB167_39
; %bb.41:                               ;   in Loop: Header=BB167_40 Depth=1
	s_load_dword s18, s[14:15], 0x0
	s_waitcnt lgkmcnt(0)
	s_add_i32 s17, s3, s17
	s_add_i32 s16, s18, s16
	s_branch .LBB167_39
.LBB167_42:
	s_endpgm
	.section	.rodata,"a",@progbits
	.p2align	6, 0x0
	.amdhsa_kernel _ZN2at6native6mbtopk10gatherTopKIsmLi1EEEvNS_4cuda6detail10TensorInfoIKT_T0_EES8_S8_bjS8_NS5_IS6_S8_EES8_NS5_IlS8_EES8_jjPS6_PjSD_j
		.amdhsa_group_segment_fixed_size 1068
		.amdhsa_private_segment_fixed_size 0
		.amdhsa_kernarg_size 1592
		.amdhsa_user_sgpr_count 6
		.amdhsa_user_sgpr_private_segment_buffer 1
		.amdhsa_user_sgpr_dispatch_ptr 0
		.amdhsa_user_sgpr_queue_ptr 0
		.amdhsa_user_sgpr_kernarg_segment_ptr 1
		.amdhsa_user_sgpr_dispatch_id 0
		.amdhsa_user_sgpr_flat_scratch_init 0
		.amdhsa_user_sgpr_private_segment_size 0
		.amdhsa_wavefront_size32 1
		.amdhsa_uses_dynamic_stack 0
		.amdhsa_system_sgpr_private_segment_wavefront_offset 0
		.amdhsa_system_sgpr_workgroup_id_x 1
		.amdhsa_system_sgpr_workgroup_id_y 1
		.amdhsa_system_sgpr_workgroup_id_z 1
		.amdhsa_system_sgpr_workgroup_info 0
		.amdhsa_system_vgpr_workitem_id 0
		.amdhsa_next_free_vgpr 27
		.amdhsa_next_free_sgpr 41
		.amdhsa_reserve_vcc 1
		.amdhsa_reserve_flat_scratch 0
		.amdhsa_float_round_mode_32 0
		.amdhsa_float_round_mode_16_64 0
		.amdhsa_float_denorm_mode_32 3
		.amdhsa_float_denorm_mode_16_64 3
		.amdhsa_dx10_clamp 1
		.amdhsa_ieee_mode 1
		.amdhsa_fp16_overflow 0
		.amdhsa_workgroup_processor_mode 1
		.amdhsa_memory_ordered 1
		.amdhsa_forward_progress 1
		.amdhsa_shared_vgpr_count 0
		.amdhsa_exception_fp_ieee_invalid_op 0
		.amdhsa_exception_fp_denorm_src 0
		.amdhsa_exception_fp_ieee_div_zero 0
		.amdhsa_exception_fp_ieee_overflow 0
		.amdhsa_exception_fp_ieee_underflow 0
		.amdhsa_exception_fp_ieee_inexact 0
		.amdhsa_exception_int_div_zero 0
	.end_amdhsa_kernel
	.section	.text._ZN2at6native6mbtopk10gatherTopKIsmLi1EEEvNS_4cuda6detail10TensorInfoIKT_T0_EES8_S8_bjS8_NS5_IS6_S8_EES8_NS5_IlS8_EES8_jjPS6_PjSD_j,"axG",@progbits,_ZN2at6native6mbtopk10gatherTopKIsmLi1EEEvNS_4cuda6detail10TensorInfoIKT_T0_EES8_S8_bjS8_NS5_IS6_S8_EES8_NS5_IlS8_EES8_jjPS6_PjSD_j,comdat
.Lfunc_end167:
	.size	_ZN2at6native6mbtopk10gatherTopKIsmLi1EEEvNS_4cuda6detail10TensorInfoIKT_T0_EES8_S8_bjS8_NS5_IS6_S8_EES8_NS5_IlS8_EES8_jjPS6_PjSD_j, .Lfunc_end167-_ZN2at6native6mbtopk10gatherTopKIsmLi1EEEvNS_4cuda6detail10TensorInfoIKT_T0_EES8_S8_bjS8_NS5_IS6_S8_EES8_NS5_IlS8_EES8_jjPS6_PjSD_j
                                        ; -- End function
	.set _ZN2at6native6mbtopk10gatherTopKIsmLi1EEEvNS_4cuda6detail10TensorInfoIKT_T0_EES8_S8_bjS8_NS5_IS6_S8_EES8_NS5_IlS8_EES8_jjPS6_PjSD_j.num_vgpr, 27
	.set _ZN2at6native6mbtopk10gatherTopKIsmLi1EEEvNS_4cuda6detail10TensorInfoIKT_T0_EES8_S8_bjS8_NS5_IS6_S8_EES8_NS5_IlS8_EES8_jjPS6_PjSD_j.num_agpr, 0
	.set _ZN2at6native6mbtopk10gatherTopKIsmLi1EEEvNS_4cuda6detail10TensorInfoIKT_T0_EES8_S8_bjS8_NS5_IS6_S8_EES8_NS5_IlS8_EES8_jjPS6_PjSD_j.numbered_sgpr, 41
	.set _ZN2at6native6mbtopk10gatherTopKIsmLi1EEEvNS_4cuda6detail10TensorInfoIKT_T0_EES8_S8_bjS8_NS5_IS6_S8_EES8_NS5_IlS8_EES8_jjPS6_PjSD_j.num_named_barrier, 0
	.set _ZN2at6native6mbtopk10gatherTopKIsmLi1EEEvNS_4cuda6detail10TensorInfoIKT_T0_EES8_S8_bjS8_NS5_IS6_S8_EES8_NS5_IlS8_EES8_jjPS6_PjSD_j.private_seg_size, 0
	.set _ZN2at6native6mbtopk10gatherTopKIsmLi1EEEvNS_4cuda6detail10TensorInfoIKT_T0_EES8_S8_bjS8_NS5_IS6_S8_EES8_NS5_IlS8_EES8_jjPS6_PjSD_j.uses_vcc, 1
	.set _ZN2at6native6mbtopk10gatherTopKIsmLi1EEEvNS_4cuda6detail10TensorInfoIKT_T0_EES8_S8_bjS8_NS5_IS6_S8_EES8_NS5_IlS8_EES8_jjPS6_PjSD_j.uses_flat_scratch, 0
	.set _ZN2at6native6mbtopk10gatherTopKIsmLi1EEEvNS_4cuda6detail10TensorInfoIKT_T0_EES8_S8_bjS8_NS5_IS6_S8_EES8_NS5_IlS8_EES8_jjPS6_PjSD_j.has_dyn_sized_stack, 0
	.set _ZN2at6native6mbtopk10gatherTopKIsmLi1EEEvNS_4cuda6detail10TensorInfoIKT_T0_EES8_S8_bjS8_NS5_IS6_S8_EES8_NS5_IlS8_EES8_jjPS6_PjSD_j.has_recursion, 0
	.set _ZN2at6native6mbtopk10gatherTopKIsmLi1EEEvNS_4cuda6detail10TensorInfoIKT_T0_EES8_S8_bjS8_NS5_IS6_S8_EES8_NS5_IlS8_EES8_jjPS6_PjSD_j.has_indirect_call, 0
	.section	.AMDGPU.csdata,"",@progbits
; Kernel info:
; codeLenInByte = 2448
; TotalNumSgprs: 43
; NumVgprs: 27
; ScratchSize: 0
; MemoryBound: 0
; FloatMode: 240
; IeeeMode: 1
; LDSByteSize: 1068 bytes/workgroup (compile time only)
; SGPRBlocks: 0
; VGPRBlocks: 3
; NumSGPRsForWavesPerEU: 43
; NumVGPRsForWavesPerEU: 27
; Occupancy: 16
; WaveLimiterHint : 1
; COMPUTE_PGM_RSRC2:SCRATCH_EN: 0
; COMPUTE_PGM_RSRC2:USER_SGPR: 6
; COMPUTE_PGM_RSRC2:TRAP_HANDLER: 0
; COMPUTE_PGM_RSRC2:TGID_X_EN: 1
; COMPUTE_PGM_RSRC2:TGID_Y_EN: 1
; COMPUTE_PGM_RSRC2:TGID_Z_EN: 1
; COMPUTE_PGM_RSRC2:TIDIG_COMP_CNT: 0
	.section	.text._ZN2at6native6sbtopk10gatherTopKIsmLi1ELb0EEEvNS_4cuda6detail10TensorInfoIKT_T0_EES8_S8_bS8_S8_NS5_IS6_S8_EES8_NS5_IlS8_EES8_PS6_,"axG",@progbits,_ZN2at6native6sbtopk10gatherTopKIsmLi1ELb0EEEvNS_4cuda6detail10TensorInfoIKT_T0_EES8_S8_bS8_S8_NS5_IS6_S8_EES8_NS5_IlS8_EES8_PS6_,comdat
	.protected	_ZN2at6native6sbtopk10gatherTopKIsmLi1ELb0EEEvNS_4cuda6detail10TensorInfoIKT_T0_EES8_S8_bS8_S8_NS5_IS6_S8_EES8_NS5_IlS8_EES8_PS6_ ; -- Begin function _ZN2at6native6sbtopk10gatherTopKIsmLi1ELb0EEEvNS_4cuda6detail10TensorInfoIKT_T0_EES8_S8_bS8_S8_NS5_IS6_S8_EES8_NS5_IlS8_EES8_PS6_
	.globl	_ZN2at6native6sbtopk10gatherTopKIsmLi1ELb0EEEvNS_4cuda6detail10TensorInfoIKT_T0_EES8_S8_bS8_S8_NS5_IS6_S8_EES8_NS5_IlS8_EES8_PS6_
	.p2align	8
	.type	_ZN2at6native6sbtopk10gatherTopKIsmLi1ELb0EEEvNS_4cuda6detail10TensorInfoIKT_T0_EES8_S8_bS8_S8_NS5_IS6_S8_EES8_NS5_IlS8_EES8_PS6_,@function
_ZN2at6native6sbtopk10gatherTopKIsmLi1ELb0EEEvNS_4cuda6detail10TensorInfoIKT_T0_EES8_S8_bS8_S8_NS5_IS6_S8_EES8_NS5_IlS8_EES8_PS6_: ; @_ZN2at6native6sbtopk10gatherTopKIsmLi1ELb0EEEvNS_4cuda6detail10TensorInfoIKT_T0_EES8_S8_bS8_S8_NS5_IS6_S8_EES8_NS5_IlS8_EES8_PS6_
; %bb.0:
	s_clause 0x1
	s_load_dwordx2 s[14:15], s[4:5], 0x520
	s_load_dwordx4 s[36:39], s[4:5], 0x1b8
	s_add_u32 s12, s4, 0x520
	s_addc_u32 s13, s5, 0
	s_mov_b32 s43, 0
	s_waitcnt lgkmcnt(0)
	s_mul_i32 s0, s15, s8
	s_add_i32 s0, s0, s7
	s_mul_i32 s0, s0, s14
	s_add_i32 s42, s0, s6
	v_cmp_le_u64_e64 s0, s[36:37], s[42:43]
	s_and_b32 vcc_lo, exec_lo, s0
	s_cbranch_vccnz .LBB168_472
; %bb.1:
	s_load_dwordx2 s[0:1], s[4:5], 0x440
                                        ; implicit-def: $vgpr50 : SGPR spill to VGPR lane
	v_cmp_eq_u32_e64 s3, 0, v0
	s_waitcnt lgkmcnt(0)
	v_writelane_b32 v50, s0, 0
	v_writelane_b32 v50, s1, 1
	s_load_dwordx2 s[0:1], s[4:5], 0x370
	s_waitcnt lgkmcnt(0)
	v_writelane_b32 v50, s0, 2
	v_writelane_b32 v50, s1, 3
	s_clause 0x1
	s_load_dwordx4 s[28:31], s[4:5], 0x1a0
	s_load_dwordx2 s[0:1], s[4:5], 0x1c8
	s_waitcnt lgkmcnt(0)
	v_writelane_b32 v50, s0, 4
	v_writelane_b32 v50, s1, 5
	s_clause 0x1
	s_load_dwordx2 s[0:1], s[4:5], 0xd0
	s_load_dwordx2 s[36:37], s[4:5], 0x0
	s_and_saveexec_b32 s2, s3
	s_cbranch_execz .LBB168_3
; %bb.2:
	v_mov_b32_e32 v1, 0
	v_mov_b32_e32 v3, s28
	;; [unrolled: 1-line block ×4, first 2 shown]
	ds_write_b32 v1, v1 offset:5144
	ds_write_b128 v1, v[1:4] offset:5120
.LBB168_3:
	s_or_b32 exec_lo, exec_lo, s2
	v_mad_u64_u32 v[4:5], null, s38, v0, 0
	s_load_dword s7, s[4:5], 0x1b0
	s_waitcnt lgkmcnt(0)
	s_mul_i32 s1, s1, s42
	s_mul_hi_u32 s2, s0, s42
	v_mbcnt_lo_u32_b32 v31, -1, 0
	s_mul_i32 s0, s0, s42
	s_add_i32 s1, s2, s1
	v_mov_b32_e32 v1, v5
	s_lshl_b64 s[40:41], s[0:1], 1
	v_cmp_gt_u32_e32 vcc_lo, 32, v0
	v_cmp_gt_i32_e64 s1, 4, v31
	s_add_u32 s54, s36, s40
	v_mad_u64_u32 v[1:2], null, s39, v0, v[1:2]
	v_mov_b32_e32 v3, 0
	s_addc_u32 s55, s37, s41
	v_add_nc_u32_e32 v2, 2, v0
	s_barrier
	buffer_gl0_inv
	v_mov_b32_e32 v5, v1
	s_bitcmp1_b32 s7, 0
	s_load_dword s8, s[12:13], 0xc
	s_cselect_b32 s2, -1, 0
	s_and_b32 s78, vcc_lo, s1
	v_lshlrev_b64 v[6:7], 1, v[4:5]
	v_lshlrev_b32_e32 v35, 3, v0
	s_xor_b32 s79, s2, -1
	v_mov_b32_e32 v1, v3
	v_lshlrev_b32_e32 v32, 1, v0
	v_cmp_lt_u64_e64 s43, 0x600, s[28:29]
	v_add_co_u32 v12, vcc_lo, s54, v6
	v_add_co_ci_u32_e64 v13, null, s55, v7, vcc_lo
	v_lshlrev_b64 v[6:7], v31, -1
	v_cmp_gt_u64_e32 vcc_lo, s[28:29], v[2:3]
	v_or_b32_e32 v10, 6, v35
	v_or_b32_e32 v25, 4, v35
	v_or_b32_e32 v26, 2, v35
	v_cmp_gt_u64_e64 s1, s[28:29], v[0:1]
	v_not_b32_e32 v30, v6
	v_cndmask_b32_e64 v2, v2, s28, vcc_lo
	v_not_b32_e32 v6, v0
	v_cndmask_b32_e64 v7, 0, s29, vcc_lo
	v_mad_u64_u32 v[19:20], null, s38, v10, 0
	s_waitcnt lgkmcnt(0)
	s_and_b32 s33, s8, 0xffff
	v_add_co_u32 v6, vcc_lo, v2, v6
	v_add_co_ci_u32_e64 v7, null, -1, v7, vcc_lo
	s_bfe_u32 s7, s33, 0x80008
	v_and_b32_e32 v16, -2, v6
	s_lshl_b32 s80, s7, 3
	s_bfe_u32 s8, s8, 0xb0005
	s_cmp_gt_u32 s33, 31
	v_mad_u64_u32 v[21:22], null, s38, v25, 0
	v_add_co_u32 v18, vcc_lo, v16, v0
	v_add_co_ci_u32_e64 v2, null, 0, v7, vcc_lo
	v_mad_u64_u32 v[23:24], null, s38, v26, 0
	s_cselect_b32 s81, -1, 0
	s_add_u32 s82, s33, -1
	v_mov_b32_e32 v2, v20
	s_addc_u32 s83, 0, -1
	s_add_u32 s84, s82, s28
	s_addc_u32 s57, s83, s29
	s_cmp_lt_u32 s6, s14
	s_movk_i32 s6, 0x3e0
	v_mad_u64_u32 v[10:11], null, s39, v10, v[2:3]
	v_and_or_b32 v34, v0, s6, 0xc00
	v_cmp_lt_u64_e64 s6, 1, v[6:7]
	s_cselect_b32 s7, 12, 18
	v_mov_b32_e32 v8, v22
	v_mov_b32_e32 v9, v24
	s_add_u32 s58, s12, s7
	v_mov_b32_e32 v17, v7
	s_addc_u32 s59, s13, 0
	s_add_i32 s8, s8, -1
	v_writelane_b32 v50, s6, 6
	s_and_b32 s6, s8, 0xffff
	v_mad_u64_u32 v[24:25], null, s39, v25, v[8:9]
	s_bfe_u32 s87, s33, 0x30005
	v_mad_u64_u32 v[8:9], null, s39, v26, v[9:10]
	s_cmp_gt_u32 s6, 6
	v_cmp_ne_u64_e64 s6, v[6:7], v[16:17]
	s_cselect_b32 s88, -1, 0
	s_cmp_lg_u32 s87, 0
	v_mov_b32_e32 v36, v24
	v_lshlrev_b64 v[24:25], 3, v[4:5]
	s_mul_hi_u32 s9, s38, s33
	v_writelane_b32 v50, s6, 7
	s_mul_i32 s6, s39, s33
	v_mov_b32_e32 v26, s30
	v_cmp_eq_u32_e64 s0, 0, v31
	v_lshlrev_b32_e32 v14, 2, v0
	v_mov_b32_e32 v15, v3
	v_cmp_gt_u32_e64 s10, 2, v0
	v_add_nc_u32_e32 v33, 0xc00, v32
	v_mov_b32_e32 v22, v10
	v_mov_b32_e32 v37, v8
	v_lshl_or_b32 v38, v31, 3, 0xc00
	v_mov_b32_e32 v27, s31
	v_mov_b32_e32 v39, 0x8000
	v_mov_b32_e32 v41, 0
	v_mov_b32_e32 v20, 0
	v_mov_b32_e32 v40, 0
	s_cselect_b32 s89, -1, 0
	s_add_i32 s13, s9, s6
	s_mul_i32 s12, s38, s33
	s_mov_b32 s53, 0
	s_mov_b32 s85, s38
	;; [unrolled: 1-line block ×3, first 2 shown]
	s_lshl_b64 s[60:61], s[38:39], 1
	s_lshl_b64 s[62:63], s[38:39], 3
	s_lshl_b32 s90, s33, 1
	s_lshl_b64 s[34:35], s[12:13], 1
	s_mov_b32 s97, 14
	s_mov_b32 s91, 0
	;; [unrolled: 1-line block ×3, first 2 shown]
                                        ; implicit-def: $sgpr92
                                        ; implicit-def: $sgpr96
                                        ; implicit-def: $sgpr95
                                        ; implicit-def: $sgpr98
                                        ; implicit-def: $sgpr94
                                        ; implicit-def: $sgpr44
                                        ; implicit-def: $sgpr45
                                        ; implicit-def: $sgpr99
                                        ; implicit-def: $vcc_hi
                                        ; implicit-def: $sgpr104
	s_branch .LBB168_6
.LBB168_4:                              ;   in Loop: Header=BB168_6 Depth=1
	s_or_b32 exec_lo, exec_lo, s12
	v_mov_b32_e32 v27, v5
	v_mov_b32_e32 v26, v4
	s_andn2_b32 s7, s104, exec_lo
	s_and_b32 s8, s11, exec_lo
	s_andn2_b32 vcc_hi, vcc_hi, exec_lo
	s_or_b32 s104, s7, s8
	s_andn2_b32 s99, s99, exec_lo
	s_andn2_b32 s45, s45, exec_lo
	;; [unrolled: 1-line block ×3, first 2 shown]
	s_orn2_b32 s11, s9, exec_lo
.LBB168_5:                              ;   in Loop: Header=BB168_6 Depth=1
	s_or_b32 exec_lo, exec_lo, s6
	s_and_b32 s6, exec_lo, s11
	s_or_b32 s91, s6, s91
	s_andn2_b32 s6, s94, exec_lo
	s_and_b32 s9, s104, exec_lo
	s_andn2_b32 s11, s98, exec_lo
	s_or_b32 s94, s6, s9
	s_and_b32 s6, vcc_hi, exec_lo
	s_andn2_b32 s9, s95, exec_lo
	s_and_b32 s12, s99, exec_lo
	s_or_b32 s98, s11, s6
	s_or_b32 s95, s9, s12
	s_andn2_b32 s6, s96, exec_lo
	s_and_b32 s9, s45, exec_lo
	s_andn2_b32 s11, s92, exec_lo
	s_and_b32 s12, s44, exec_lo
	s_or_b32 s96, s6, s9
	s_or_b32 s92, s11, s12
	s_andn2_b32 exec_lo, exec_lo, s91
	s_cbranch_execz .LBB168_468
.LBB168_6:                              ; =>This Loop Header: Depth=1
                                        ;     Child Loop BB168_11 Depth 2
                                        ;     Child Loop BB168_25 Depth 2
	;; [unrolled: 1-line block ×25, first 2 shown]
	ds_read_b128 v[4:7], v3 offset:5120
	s_waitcnt lgkmcnt(0)
	v_readfirstlane_b32 s65, v5
	v_readfirstlane_b32 s64, v4
	s_cmp_lg_u64 s[64:65], 0
	s_cbranch_scc1 .LBB168_38
; %bb.7:                                ;   in Loop: Header=BB168_6 Depth=1
	s_and_b32 vcc_lo, exec_lo, s43
	s_cbranch_vccz .LBB168_19
; %bb.8:                                ;   in Loop: Header=BB168_6 Depth=1
	v_cmp_gt_u64_e32 vcc_lo, 0x601, v[6:7]
	s_mov_b32 s11, 0
	s_mov_b32 s6, 0
	s_cbranch_vccz .LBB168_20
; %bb.9:                                ;   in Loop: Header=BB168_6 Depth=1
	global_load_ushort v4, v3, s[58:59]
	global_load_ushort v8, v[12:13], off
	s_mov_b32 s13, 0
	s_waitcnt vmcnt(1)
	v_and_b32_e32 v2, 0xffff, v4
	v_add_co_u32 v5, s6, v0, v2
	v_add_co_ci_u32_e64 v6, null, 0, 0, s6
	v_readfirstlane_b32 s6, v4
	v_mul_lo_u32 v7, s61, v5
	v_mad_u64_u32 v[4:5], null, s60, v5, s[54:55]
	v_mul_lo_u32 v6, s60, v6
	s_and_b32 s6, 0xffff, s6
	s_mul_i32 s9, s61, s6
	s_mul_hi_u32 s12, s60, s6
	s_mul_i32 s14, s60, s6
	s_add_i32 s12, s12, s9
	v_add3_u32 v5, v7, v5, v6
	v_mov_b32_e32 v7, v1
	v_mov_b32_e32 v6, v0
	s_branch .LBB168_11
.LBB168_10:                             ;   in Loop: Header=BB168_11 Depth=2
	s_or_b32 exec_lo, exec_lo, s9
	v_add_co_u32 v4, vcc_lo, v4, s14
	v_add_co_ci_u32_e64 v5, null, s12, v5, vcc_lo
	v_mov_b32_e32 v8, v9
	s_andn2_b32 exec_lo, exec_lo, s13
	s_cbranch_execz .LBB168_92
.LBB168_11:                             ;   Parent Loop BB168_6 Depth=1
                                        ; =>  This Inner Loop Header: Depth=2
	v_add_co_u32 v6, vcc_lo, v6, v2
	v_add_co_ci_u32_e64 v7, null, 0, v7, vcc_lo
	s_waitcnt lgkmcnt(0)
	v_mov_b32_e32 v10, 0
	v_mov_b32_e32 v9, 0
	s_mov_b32 s9, exec_lo
	v_cmp_le_u64_e32 vcc_lo, s[28:29], v[6:7]
	v_cmpx_gt_u64_e64 s[28:29], v[6:7]
	s_cbranch_execz .LBB168_13
; %bb.12:                               ;   in Loop: Header=BB168_11 Depth=2
	global_load_ushort v9, v[4:5], off
.LBB168_13:                             ;   in Loop: Header=BB168_11 Depth=2
	s_or_b32 exec_lo, exec_lo, s9
	s_waitcnt vmcnt(0)
	v_add_nc_u32_sdwa v11, sext(v8), v39 dst_sel:DWORD dst_unused:UNUSED_PAD src0_sel:WORD_0 src1_sel:DWORD
	v_and_b32_e32 v11, v11, v40
	v_cmp_eq_u32_e64 s6, v11, v20
	s_cmp_lg_u32 s6, 0
	s_cselect_b32 s9, -1, 0
	s_and_b32 s9, s0, s9
	s_and_saveexec_b32 s15, s9
	s_cbranch_execz .LBB168_17
; %bb.14:                               ;   in Loop: Header=BB168_11 Depth=2
	s_mov_b32 s18, exec_lo
	s_bcnt1_i32_b32 s16, s6
	v_mbcnt_lo_u32_b32 v10, s18, 0
	s_mov_b32 s17, exec_lo
                                        ; implicit-def: $vgpr11
	v_cmpx_eq_u32_e32 0, v10
; %bb.15:                               ;   in Loop: Header=BB168_11 Depth=2
	s_bcnt1_i32_b32 s9, s18
	s_mul_i32 s9, s16, s9
	v_mov_b32_e32 v11, s9
	ds_add_rtn_u32 v11, v3, v11 offset:5144
; %bb.16:                               ;   in Loop: Header=BB168_11 Depth=2
	s_or_b32 exec_lo, exec_lo, s17
	s_waitcnt lgkmcnt(0)
	v_readfirstlane_b32 s9, v11
	v_mad_u32_u24 v10, s16, v10, s9
.LBB168_17:                             ;   in Loop: Header=BB168_11 Depth=2
	s_or_b32 exec_lo, exec_lo, s15
	ds_bpermute_b32 v10, v3, v10
	s_and_b32 s9, exec_lo, vcc_lo
	s_or_b32 s13, s9, s13
	s_and_saveexec_b32 s9, s6
	s_cbranch_execz .LBB168_10
; %bb.18:                               ;   in Loop: Header=BB168_11 Depth=2
	v_and_b32_e32 v11, s6, v30
	v_bcnt_u32_b32 v11, v11, 0
	v_lshlrev_b32_e32 v11, 1, v11
	s_waitcnt lgkmcnt(0)
	v_lshl_add_u32 v10, v10, 1, v11
	ds_write_b16 v10, v8
	s_branch .LBB168_10
.LBB168_19:                             ;   in Loop: Header=BB168_6 Depth=1
	s_mov_b32 s11, -1
	s_mov_b32 s6, 0
.LBB168_20:                             ;   in Loop: Header=BB168_6 Depth=1
	s_and_b32 vcc_lo, exec_lo, s11
	s_cbranch_vccz .LBB168_36
.LBB168_21:                             ;   in Loop: Header=BB168_6 Depth=1
	s_and_saveexec_b32 s9, s1
	s_cbranch_execz .LBB168_33
; %bb.22:                               ;   in Loop: Header=BB168_6 Depth=1
	global_load_ushort v4, v3, s[58:59]
	global_load_ushort v11, v[12:13], off
	v_mov_b32_e32 v8, v0
	s_mov_b32 s11, exec_lo
	s_waitcnt vmcnt(1)
	v_add_nc_u32_sdwa v2, v4, v0 dst_sel:DWORD dst_unused:UNUSED_PAD src0_sel:WORD_0 src1_sel:DWORD
	v_readfirstlane_b32 s6, v4
	v_cmpx_gt_u64_e64 s[28:29], v[2:3]
	s_cbranch_execz .LBB168_32
; %bb.23:                               ;   in Loop: Header=BB168_6 Depth=1
	s_and_b32 s12, s6, 0xffff
	v_readlane_b32 s7, v50, 6
	v_mov_b32_e32 v7, v1
	s_cmp_eq_u32 s12, 1
	v_mov_b32_e32 v5, v3
	v_mov_b32_e32 v6, v0
	;; [unrolled: 1-line block ×3, first 2 shown]
	s_cselect_b32 s6, -1, 0
                                        ; implicit-def: $vgpr8_vgpr9
	s_and_b32 s14, s7, s6
	s_mov_b32 s6, -1
	s_and_saveexec_b32 s13, s14
	s_cbranch_execz .LBB168_27
; %bb.24:                               ;   in Loop: Header=BB168_6 Depth=1
	v_add_co_u32 v4, s6, v2, 1
	v_add_co_ci_u32_e64 v5, null, 0, 0, s6
	v_mov_b32_e32 v8, v16
	s_waitcnt vmcnt(0)
	v_lshlrev_b32_e32 v28, 16, v11
	v_mov_b32_e32 v9, v17
	v_mov_b32_e32 v7, v5
	;; [unrolled: 1-line block ×6, first 2 shown]
	s_mov_b32 s14, 0
.LBB168_25:                             ;   Parent Loop BB168_6 Depth=1
                                        ; =>  This Inner Loop Header: Depth=2
	v_mul_lo_u32 v11, v5, s85
	v_mul_lo_u32 v29, v4, s86
	v_mad_u64_u32 v[42:43], null, v4, s85, 0
	v_mul_lo_u32 v46, v7, s38
	v_mul_lo_u32 v47, v6, s39
	v_mad_u64_u32 v[44:45], null, v6, s38, 0
	v_add3_u32 v43, v43, v29, v11
	v_add3_u32 v45, v45, v47, v46
	v_lshlrev_b64 v[42:43], 1, v[42:43]
	v_lshlrev_b64 v[44:45], 1, v[44:45]
	v_add_co_u32 v42, vcc_lo, s54, v42
	v_add_co_ci_u32_e64 v43, null, s55, v43, vcc_lo
	v_add_co_u32 v44, vcc_lo, s54, v44
	v_add_co_ci_u32_e64 v45, null, s55, v45, vcc_lo
	s_clause 0x1
	global_load_ushort v29, v[42:43], off
	global_load_ushort v11, v[44:45], off
	v_add_co_u32 v8, vcc_lo, v8, -2
	v_add_co_ci_u32_e64 v9, null, -1, v9, vcc_lo
	v_add_co_u32 v6, vcc_lo, v6, 2
	v_add_co_ci_u32_e64 v7, null, 0, v7, vcc_lo
	v_cmp_eq_u64_e64 s6, 0, v[8:9]
	v_add_co_u32 v4, vcc_lo, v4, 2
	v_add_co_ci_u32_e64 v5, null, 0, v5, vcc_lo
	s_or_b32 s14, s6, s14
	s_waitcnt vmcnt(1)
	v_alignbit_b32 v28, v29, v28, 16
	s_waitcnt vmcnt(0)
	v_perm_b32 v29, v11, v29, 0x5040100
	ds_write_b32 v10, v28
	v_add_nc_u32_e32 v10, 4, v10
	v_mov_b32_e32 v28, v29
	s_andn2_b32 exec_lo, exec_lo, s14
	s_cbranch_execnz .LBB168_25
; %bb.26:                               ;   in Loop: Header=BB168_6 Depth=1
	s_or_b32 exec_lo, exec_lo, s14
	v_add_co_u32 v4, vcc_lo, v2, v16
	v_readlane_b32 s6, v50, 7
	v_add_co_ci_u32_e64 v5, null, 0, v17, vcc_lo
	v_add_co_u32 v8, vcc_lo, v4, -1
	v_mov_b32_e32 v6, v18
	s_orn2_b32 s6, s6, exec_lo
	v_add_co_ci_u32_e64 v2, null, -1, v5, vcc_lo
	v_mov_b32_e32 v7, v19
.LBB168_27:                             ;   in Loop: Header=BB168_6 Depth=1
	s_or_b32 exec_lo, exec_lo, s13
	s_and_saveexec_b32 s13, s6
	s_cbranch_execz .LBB168_31
; %bb.28:                               ;   in Loop: Header=BB168_6 Depth=1
	v_mad_u64_u32 v[9:10], null, s60, v4, s[54:55]
	v_mul_lo_u32 v2, s60, v5
	v_mul_lo_u32 v7, s61, v4
	s_mul_i32 s6, s61, s12
	s_mul_hi_u32 s16, s60, s12
	s_sub_u32 s14, 0, s12
	s_subb_u32 s15, 0, 0
	s_add_i32 s16, s16, s6
	s_mul_i32 s17, s60, s12
	s_mov_b32 s18, 0
	v_add3_u32 v10, v7, v10, v2
	.p2align	6
.LBB168_29:                             ;   Parent Loop BB168_6 Depth=1
                                        ; =>  This Inner Loop Header: Depth=2
	global_load_ushort v2, v[9:10], off
	v_mov_b32_e32 v8, v5
	v_mov_b32_e32 v7, v4
	v_lshlrev_b32_e32 v6, 1, v6
	v_add_co_u32 v9, vcc_lo, v9, s17
	v_add_co_ci_u32_e64 v10, null, s16, v10, vcc_lo
	v_add_co_u32 v4, s6, v7, s12
	v_add_co_ci_u32_e64 v5, null, 0, v8, s6
	s_waitcnt vmcnt(1)
	ds_write_b16 v6, v11
	v_mov_b32_e32 v6, v7
	v_mov_b32_e32 v7, v8
	v_cmp_le_u64_e32 vcc_lo, s[28:29], v[4:5]
	v_add_co_u32 v8, s6, s14, v4
	v_add_co_ci_u32_e64 v7, null, s15, v5, s6
	s_or_b32 s18, vcc_lo, s18
	s_waitcnt vmcnt(0)
	v_mov_b32_e32 v11, v2
	s_andn2_b32 exec_lo, exec_lo, s18
	s_cbranch_execnz .LBB168_29
; %bb.30:                               ;   in Loop: Header=BB168_6 Depth=1
	s_or_b32 exec_lo, exec_lo, s18
	v_mov_b32_e32 v11, v2
.LBB168_31:                             ;   in Loop: Header=BB168_6 Depth=1
	s_or_b32 exec_lo, exec_lo, s13
.LBB168_32:                             ;   in Loop: Header=BB168_6 Depth=1
	s_or_b32 exec_lo, exec_lo, s11
	v_lshlrev_b32_e32 v2, 1, v8
	s_waitcnt vmcnt(0)
	ds_write_b16 v2, v11
.LBB168_33:                             ;   in Loop: Header=BB168_6 Depth=1
	s_or_b32 exec_lo, exec_lo, s9
	s_waitcnt lgkmcnt(0)
	s_barrier
	buffer_gl0_inv
	s_and_saveexec_b32 s6, s3
; %bb.34:                               ;   in Loop: Header=BB168_6 Depth=1
	v_mov_b32_e32 v4, s28
	v_mov_b32_e32 v5, s29
	ds_write_b64 v3, v[4:5] offset:5120
; %bb.35:                               ;   in Loop: Header=BB168_6 Depth=1
	s_or_b32 exec_lo, exec_lo, s6
	s_mov_b32 s6, -1
	s_waitcnt lgkmcnt(0)
	s_barrier
.LBB168_36:                             ;   in Loop: Header=BB168_6 Depth=1
	s_and_b32 vcc_lo, exec_lo, s6
	s_mov_b64 s[64:65], 0
	s_cbranch_vccz .LBB168_38
; %bb.37:                               ;   in Loop: Header=BB168_6 Depth=1
	buffer_gl0_inv
	ds_read_b64 v[4:5], v3 offset:5120
	s_waitcnt lgkmcnt(0)
	v_readfirstlane_b32 s64, v4
.LBB168_38:                             ;   in Loop: Header=BB168_6 Depth=1
	s_cmp_lt_i32 s64, 1
	s_mov_b32 s6, -1
                                        ; implicit-def: $vgpr4_vgpr5
                                        ; implicit-def: $vgpr8_vgpr9
	s_cbranch_scc1 .LBB168_48
; %bb.39:                               ;   in Loop: Header=BB168_6 Depth=1
	s_and_b32 vcc_lo, exec_lo, s6
	s_cbranch_vccnz .LBB168_62
.LBB168_40:                             ;   in Loop: Header=BB168_6 Depth=1
	s_lshl_b32 s6, s93, 7
	s_and_saveexec_b32 s9, s0
	s_cbranch_execz .LBB168_42
.LBB168_41:                             ;   in Loop: Header=BB168_6 Depth=1
	v_lshl_add_u32 v2, s6, 3, v34
	ds_write_b128 v2, v[4:7]
	ds_write_b128 v2, v[8:11] offset:16
.LBB168_42:                             ;   in Loop: Header=BB168_6 Depth=1
	s_or_b32 exec_lo, exec_lo, s9
	s_waitcnt lgkmcnt(0)
	s_barrier
	buffer_gl0_inv
	s_and_saveexec_b32 s9, s78
	s_cbranch_execz .LBB168_76
; %bb.43:                               ;   in Loop: Header=BB168_6 Depth=1
	v_mov_b32_e32 v4, 0
	v_mov_b32_e32 v5, 0
	s_andn2_b32 vcc_lo, exec_lo, s81
	s_cbranch_vccnz .LBB168_75
; %bb.44:                               ;   in Loop: Header=BB168_6 Depth=1
	v_mov_b32_e32 v4, 0
	v_mov_b32_e32 v5, 0
	s_andn2_b32 vcc_lo, exec_lo, s88
	s_cbranch_vccnz .LBB168_72
; %bb.45:                               ;   in Loop: Header=BB168_6 Depth=1
	v_lshl_add_u32 v2, s93, 10, v38
	s_mov_b32 s11, 0
	s_inst_prefetch 0x1
	.p2align	6
.LBB168_46:                             ;   Parent Loop BB168_6 Depth=1
                                        ; =>  This Inner Loop Header: Depth=2
	ds_read2_b64 v[6:9], v2 offset1:4
	ds_read2_b64 v[42:45], v2 offset0:8 offset1:12
	ds_read2_b64 v[46:49], v2 offset0:16 offset1:20
	s_add_i32 s11, s11, 8
	s_cmp_eq_u32 s80, s11
	s_waitcnt lgkmcnt(2)
	v_add_co_u32 v4, vcc_lo, v6, v4
	v_add_co_ci_u32_e64 v5, null, v7, v5, vcc_lo
	v_add_co_u32 v8, vcc_lo, v8, v4
	v_add_co_ci_u32_e64 v9, null, v9, v5, vcc_lo
	ds_read2_b64 v[4:7], v2 offset0:24 offset1:28
	s_waitcnt lgkmcnt(2)
	v_add_co_u32 v8, vcc_lo, v42, v8
	v_add_co_ci_u32_e64 v9, null, v43, v9, vcc_lo
	v_add_nc_u32_e32 v2, 0x100, v2
	v_add_co_u32 v8, vcc_lo, v44, v8
	v_add_co_ci_u32_e64 v9, null, v45, v9, vcc_lo
	s_waitcnt lgkmcnt(1)
	v_add_co_u32 v8, vcc_lo, v46, v8
	v_add_co_ci_u32_e64 v9, null, v47, v9, vcc_lo
	v_add_co_u32 v8, vcc_lo, v48, v8
	v_add_co_ci_u32_e64 v9, null, v49, v9, vcc_lo
	s_waitcnt lgkmcnt(0)
	v_add_co_u32 v4, vcc_lo, v4, v8
	v_add_co_ci_u32_e64 v5, null, v5, v9, vcc_lo
	v_add_co_u32 v4, vcc_lo, v6, v4
	v_add_co_ci_u32_e64 v5, null, v7, v5, vcc_lo
	s_cbranch_scc0 .LBB168_46
; %bb.47:                               ;   in Loop: Header=BB168_6 Depth=1
	s_inst_prefetch 0x2
	s_mov_b32 s11, s80
	s_andn2_b32 vcc_lo, exec_lo, s89
	s_cbranch_vccz .LBB168_73
	s_branch .LBB168_75
.LBB168_48:                             ;   in Loop: Header=BB168_6 Depth=1
	global_load_ushort v2, v3, s[58:59]
	s_mov_b32 s12, s53
	s_mov_b32 s13, s29
	s_waitcnt vmcnt(0)
	v_readfirstlane_b32 s6, v2
	s_and_b32 s56, s6, 0xffff
	s_lshl_b32 s48, s56, 2
	s_cmp_lg_u64 s[12:13], 0
	s_cbranch_scc0 .LBB168_71
; %bb.49:                               ;   in Loop: Header=BB168_6 Depth=1
	v_cvt_f32_u32_e32 v2, s48
	s_sub_u32 s11, 0, s48
	s_subb_u32 s12, 0, 0
	v_fmac_f32_e64 v2, 0x4f800000, 0
	v_rcp_f32_e32 v2, v2
	v_mul_f32_e32 v2, 0x5f7ffffc, v2
	v_mul_f32_e32 v4, 0x2f800000, v2
	v_trunc_f32_e32 v4, v4
	v_fmac_f32_e32 v2, 0xcf800000, v4
	v_cvt_u32_f32_e32 v4, v4
	v_cvt_u32_f32_e32 v2, v2
	v_readfirstlane_b32 s6, v4
	v_readfirstlane_b32 s9, v2
	s_mul_i32 s13, s11, s6
	s_mul_hi_u32 s15, s11, s9
	s_mul_i32 s14, s12, s9
	s_add_i32 s13, s15, s13
	s_mul_i32 s16, s11, s9
	s_add_i32 s13, s13, s14
	s_mul_hi_u32 s15, s9, s16
	s_mul_i32 s18, s9, s13
	s_mul_hi_u32 s17, s6, s16
	s_mul_i32 s14, s6, s16
	s_mul_hi_u32 s16, s9, s13
	s_add_u32 s15, s15, s18
	s_addc_u32 s16, 0, s16
	s_mul_hi_u32 s19, s6, s13
	s_add_u32 s14, s15, s14
	s_mul_i32 s13, s6, s13
	s_addc_u32 s14, s16, s17
	s_addc_u32 s15, s19, 0
	s_add_u32 s13, s14, s13
	s_addc_u32 s14, 0, s15
	s_add_u32 s9, s9, s13
	s_cselect_b32 s13, -1, 0
	s_mul_hi_u32 s15, s11, s9
	s_cmp_lg_u32 s13, 0
	s_mul_i32 s13, s11, s9
	s_addc_u32 s6, s6, s14
	s_mul_i32 s12, s12, s9
	s_mul_i32 s11, s11, s6
	s_mul_hi_u32 s14, s9, s13
	s_add_i32 s11, s15, s11
	s_mul_hi_u32 s15, s6, s13
	s_add_i32 s11, s11, s12
	s_mul_i32 s12, s6, s13
	s_mul_i32 s17, s9, s11
	s_mul_hi_u32 s16, s9, s11
	s_add_u32 s14, s14, s17
	s_addc_u32 s16, 0, s16
	s_mul_hi_u32 s13, s6, s11
	s_add_u32 s12, s14, s12
	s_mul_i32 s11, s6, s11
	s_addc_u32 s12, s16, s15
	s_addc_u32 s13, s13, 0
	s_add_u32 s11, s12, s11
	s_addc_u32 s12, 0, s13
	s_add_u32 s9, s9, s11
	s_cselect_b32 s11, -1, 0
	s_mul_hi_u32 s13, s28, s9
	s_cmp_lg_u32 s11, 0
	s_mul_hi_u32 s11, s29, s9
	s_addc_u32 s6, s6, s12
	s_mul_i32 s9, s29, s9
	s_mul_i32 s14, s28, s6
	s_mul_hi_u32 s12, s28, s6
	s_add_u32 s13, s13, s14
	s_addc_u32 s12, 0, s12
	s_mul_hi_u32 s15, s29, s6
	s_add_u32 s9, s13, s9
	s_mul_i32 s6, s29, s6
	s_addc_u32 s9, s12, s11
	s_addc_u32 s11, s15, 0
	s_add_u32 s6, s9, s6
	s_addc_u32 s9, 0, s11
	s_mul_hi_u32 s11, s48, s6
	s_mul_i32 s9, s48, s9
	s_mul_i32 s6, s48, s6
	s_add_i32 s11, s11, s9
	s_sub_u32 s6, s28, s6
	s_cselect_b32 s9, -1, 0
	s_cmp_lg_u32 s9, 0
	s_subb_u32 s9, s29, s11
	s_sub_u32 s11, s6, s48
	s_cselect_b32 s12, -1, 0
	s_cmp_lg_u32 s12, 0
	s_subb_u32 s12, s9, 0
	;; [unrolled: 4-line block ×3, first 2 shown]
	s_cmp_ge_u32 s11, s48
	s_cselect_b32 s15, -1, 0
	s_cmp_eq_u32 s12, 0
	s_cselect_b32 s15, s15, -1
	s_cmp_lg_u32 s15, 0
	s_cselect_b32 s12, s14, s12
	s_cselect_b32 s11, s13, s11
	s_cmp_ge_u32 s6, s48
	s_cselect_b32 s13, -1, 0
	s_cmp_eq_u32 s9, 0
	s_cselect_b32 s13, s13, -1
	s_cmp_lg_u32 s13, 0
	s_cselect_b32 s13, s12, s9
	s_cselect_b32 s12, s11, s6
	s_cbranch_execnz .LBB168_51
.LBB168_50:                             ;   in Loop: Header=BB168_6 Depth=1
	v_cvt_f32_u32_e32 v2, s48
	s_sub_i32 s9, 0, s48
	v_rcp_iflag_f32_e32 v2, v2
	v_mul_f32_e32 v2, 0x4f7ffffe, v2
	v_cvt_u32_f32_e32 v2, v2
	v_readfirstlane_b32 s6, v2
	s_mul_i32 s9, s9, s6
	s_mul_hi_u32 s9, s6, s9
	s_add_i32 s6, s6, s9
	s_mul_hi_u32 s6, s28, s6
	s_mul_i32 s6, s6, s48
	s_sub_i32 s6, s28, s6
	s_sub_i32 s9, s6, s48
	s_cmp_ge_u32 s6, s48
	s_cselect_b32 s6, s9, s6
	s_sub_i32 s9, s6, s48
	s_cmp_ge_u32 s6, s48
	s_cselect_b32 s52, s9, s6
	s_mov_b64 s[12:13], s[52:53]
.LBB168_51:                             ;   in Loop: Header=BB168_6 Depth=1
	v_mov_b32_e32 v4, 0
	v_mov_b32_e32 v6, 0
	;; [unrolled: 1-line block ×8, first 2 shown]
	s_sub_u32 s66, s28, s12
	s_subb_u32 s67, s29, s13
	s_mov_b32 s49, exec_lo
	v_cmpx_gt_u64_e64 s[66:67], v[14:15]
	s_cbranch_execz .LBB168_55
; %bb.52:                               ;   in Loop: Header=BB168_6 Depth=1
	v_mov_b32_e32 v29, v15
	v_mov_b32_e32 v28, v14
	s_mul_i32 s6, s63, s56
	s_mul_hi_u32 s9, s62, s56
	s_mov_b64 s[68:69], 0
	s_add_i32 s52, s9, s6
	s_mov_b32 s65, 0
	s_mov_b64 s[70:71], s[54:55]
	s_mov_b64 s[72:73], 0
	;; [unrolled: 1-line block ×4, first 2 shown]
.LBB168_53:                             ;   Parent Loop BB168_6 Depth=1
                                        ; =>  This Inner Loop Header: Depth=2
	v_add_co_u32 v4, vcc_lo, s70, v24
	v_add_co_ci_u32_e64 v5, null, s71, v25, vcc_lo
	global_load_sshort v2, v[4:5], off
	v_add_co_u32 v4, vcc_lo, s70, v23
	v_add_co_ci_u32_e64 v5, null, s71, v37, vcc_lo
	global_load_sshort v6, v[4:5], off
	v_add_co_u32 v4, vcc_lo, s70, v21
	v_add_co_ci_u32_e64 v5, null, s71, v36, vcc_lo
	global_load_sshort v7, v[4:5], off
	v_add_co_u32 v4, vcc_lo, s70, v19
	v_add_co_ci_u32_e64 v5, null, s71, v22, vcc_lo
	global_load_sshort v4, v[4:5], off
	s_waitcnt vmcnt(3)
	v_add_nc_u32_e32 v2, 0x8000, v2
	v_and_b32_e32 v5, v2, v40
	v_bfe_u32 v2, v2, s97, 2
	v_cmp_eq_u32_e32 vcc_lo, v5, v20
	s_waitcnt vmcnt(2)
	v_add_nc_u32_e32 v5, 0x8000, v6
	v_cmp_eq_u32_e64 s12, 0, v2
	v_cmp_eq_u32_e64 s13, 1, v2
	;; [unrolled: 1-line block ×4, first 2 shown]
	v_and_b32_e32 v6, v5, v40
	v_bfe_u32 v2, v5, s97, 2
	s_and_b32 s12, vcc_lo, s12
	v_cmp_eq_u32_e64 s6, v6, v20
	s_waitcnt vmcnt(1)
	v_add_nc_u32_e32 v6, 0x8000, v7
	v_cmp_eq_u32_e64 s16, 0, v2
	s_waitcnt vmcnt(0)
	v_add_nc_u32_e32 v4, 0x8000, v4
	v_cmp_eq_u32_e64 s17, 1, v2
	v_cmp_eq_u32_e64 s18, 2, v2
	;; [unrolled: 1-line block ×3, first 2 shown]
	v_bfe_u32 v2, v6, s97, 2
	v_and_b32_e32 v7, v6, v40
	s_and_b32 s16, s6, s16
	v_cmp_eq_u32_e64 s20, 0, v2
	v_cmp_eq_u32_e64 s21, 1, v2
	v_cmp_eq_u32_e64 s22, 2, v2
	v_cmp_eq_u32_e64 s23, 3, v2
	v_bfe_u32 v2, v4, s97, 2
	v_cmp_eq_u32_e64 s9, v7, v20
	v_and_b32_e32 v7, v4, v40
	v_cmp_eq_u32_e64 s24, 0, v2
	v_cmp_eq_u32_e64 s25, 1, v2
	;; [unrolled: 1-line block ×4, first 2 shown]
	v_cndmask_b32_e64 v2, 0, 1, s12
	v_cmp_eq_u32_e64 s11, v7, v20
	s_and_b32 s20, s9, s20
	v_cmp_ne_u32_e64 s12, 0, v2
	v_cndmask_b32_e64 v2, 0, 1, s16
	s_and_b32 s24, s11, s24
	s_bcnt1_i32_b32 s12, s12
	v_cmp_ne_u32_e64 s16, 0, v2
	v_cndmask_b32_e64 v2, 0, 1, s20
	s_bcnt1_i32_b32 s16, s16
	v_cmp_ne_u32_e64 s20, 0, v2
	v_cndmask_b32_e64 v2, 0, 1, s24
	s_add_i32 s12, s16, s12
	s_bcnt1_i32_b32 s20, s20
	v_cmp_ne_u32_e64 s24, 0, v2
	s_add_i32 s12, s12, s20
	s_bcnt1_i32_b32 s24, s24
	s_add_i32 s12, s12, s24
	s_add_u32 s76, s76, s12
	s_addc_u32 s77, s77, 0
	s_and_b32 s12, vcc_lo, s13
	s_and_b32 s13, s6, s17
	v_cndmask_b32_e64 v2, 0, 1, s12
	s_and_b32 s16, s9, s21
	s_and_b32 s17, s11, s25
	v_mov_b32_e32 v4, s76
	v_mov_b32_e32 v5, s77
	v_cmp_ne_u32_e64 s12, 0, v2
	v_cndmask_b32_e64 v2, 0, 1, s13
	s_bcnt1_i32_b32 s12, s12
	v_cmp_ne_u32_e64 s13, 0, v2
	v_cndmask_b32_e64 v2, 0, 1, s16
	s_bcnt1_i32_b32 s13, s13
	v_cmp_ne_u32_e64 s16, 0, v2
	v_cndmask_b32_e64 v2, 0, 1, s17
	s_add_i32 s12, s13, s12
	s_bcnt1_i32_b32 s16, s16
	v_cmp_ne_u32_e64 s17, 0, v2
	s_add_i32 s12, s12, s16
	s_bcnt1_i32_b32 s17, s17
	s_add_i32 s12, s12, s17
	s_add_u32 s74, s74, s12
	s_addc_u32 s75, s75, 0
	s_and_b32 s12, vcc_lo, s14
	s_and_b32 s13, s6, s18
	v_cndmask_b32_e64 v2, 0, 1, s12
	s_and_b32 s14, s9, s22
	s_and_b32 s16, s11, s26
	v_mov_b32_e32 v6, s74
	v_mov_b32_e32 v7, s75
	v_cmp_ne_u32_e64 s12, 0, v2
	v_cndmask_b32_e64 v2, 0, 1, s13
	s_bcnt1_i32_b32 s12, s12
	v_cmp_ne_u32_e64 s13, 0, v2
	v_cndmask_b32_e64 v2, 0, 1, s14
	s_bcnt1_i32_b32 s13, s13
	v_cmp_ne_u32_e64 s14, 0, v2
	v_cndmask_b32_e64 v2, 0, 1, s16
	s_add_i32 s12, s13, s12
	s_mul_i32 s13, s62, s56
	s_bcnt1_i32_b32 s14, s14
	v_cmp_ne_u32_e64 s16, 0, v2
	s_add_i32 s12, s12, s14
	s_bcnt1_i32_b32 s16, s16
	s_add_i32 s12, s12, s16
	s_add_u32 s72, s72, s12
	s_addc_u32 s73, s73, 0
	s_and_b32 s12, vcc_lo, s15
	s_and_b32 s6, s6, s19
	v_cndmask_b32_e64 v2, 0, 1, s12
	s_and_b32 s9, s9, s23
	s_and_b32 s11, s11, s27
	v_add_co_u32 v28, s12, v28, s48
	v_cmp_ne_u32_e32 vcc_lo, 0, v2
	v_cndmask_b32_e64 v2, 0, 1, s6
	v_add_co_ci_u32_e64 v29, null, 0, v29, s12
	v_mov_b32_e32 v8, s72
	s_bcnt1_i32_b32 s14, vcc_lo
	v_cmp_ne_u32_e64 s6, 0, v2
	v_cndmask_b32_e64 v2, 0, 1, s9
	v_cmp_le_u64_e64 s12, s[66:67], v[28:29]
	v_mov_b32_e32 v9, s73
	s_bcnt1_i32_b32 s6, s6
	v_cmp_ne_u32_e64 s9, 0, v2
	v_cndmask_b32_e64 v2, 0, 1, s11
	s_add_i32 s6, s6, s14
	s_bcnt1_i32_b32 s9, s9
	v_cmp_ne_u32_e64 s11, 0, v2
	s_add_i32 s6, s6, s9
	s_bcnt1_i32_b32 s11, s11
	s_add_i32 s6, s6, s11
	s_add_u32 s68, s68, s6
	s_addc_u32 s69, s69, 0
	v_mov_b32_e32 v10, s68
	v_mov_b32_e32 v11, s69
	s_add_u32 s70, s70, s13
	s_addc_u32 s71, s71, s52
	s_or_b32 s65, s12, s65
	s_andn2_b32 exec_lo, exec_lo, s65
	s_cbranch_execnz .LBB168_53
; %bb.54:                               ;   in Loop: Header=BB168_6 Depth=1
	s_or_b32 exec_lo, exec_lo, s65
.LBB168_55:                             ;   in Loop: Header=BB168_6 Depth=1
	s_or_b32 exec_lo, exec_lo, s49
	v_add_co_u32 v28, s6, s66, v0
	v_add_co_ci_u32_e64 v29, null, s67, 0, s6
	s_mov_b32 s12, exec_lo
	v_cmpx_gt_u64_e64 s[28:29], v[28:29]
	s_cbranch_execz .LBB168_61
; %bb.56:                               ;   in Loop: Header=BB168_6 Depth=1
	v_mul_lo_u32 v2, v29, s38
	v_mul_lo_u32 v44, v28, s39
	v_mad_u64_u32 v[42:43], null, v28, s38, 0
	s_mov_b32 s13, 0
	v_add3_u32 v43, v43, v44, v2
	v_lshlrev_b64 v[42:43], 1, v[42:43]
	v_add_co_u32 v42, vcc_lo, s54, v42
	v_add_co_ci_u32_e64 v43, null, s55, v43, vcc_lo
	global_load_ushort v42, v[42:43], off
	s_branch .LBB168_58
.LBB168_57:                             ;   in Loop: Header=BB168_58 Depth=2
	s_or_b32 exec_lo, exec_lo, s9
	s_waitcnt vmcnt(0)
	v_add_nc_u32_sdwa v42, sext(v42), v39 dst_sel:DWORD dst_unused:UNUSED_PAD src0_sel:WORD_0 src1_sel:DWORD
	s_and_b32 s11, exec_lo, vcc_lo
	s_or_b32 s13, s11, s13
	v_and_b32_e32 v43, v42, v40
	v_bfe_u32 v42, v42, s97, 2
	v_cmp_eq_u32_e64 s6, v43, v20
	v_cmp_eq_u32_e64 s9, 0, v42
	v_cmp_eq_u32_e32 vcc_lo, 1, v42
	v_cmp_eq_u32_e64 s11, 2, v42
	s_and_b32 s9, s6, s9
	v_cndmask_b32_e64 v43, 0, 1, s9
	s_and_b32 s9, s6, vcc_lo
	v_cmp_eq_u32_e32 vcc_lo, 3, v42
	v_cndmask_b32_e64 v44, 0, 1, s9
	s_and_b32 s9, s6, s11
	v_cndmask_b32_e64 v42, 0, 1, s9
	v_cmp_ne_u32_e64 s9, 0, v43
	v_cmp_ne_u32_e64 s11, 0, v44
	s_and_b32 s6, s6, vcc_lo
	v_cndmask_b32_e64 v43, 0, 1, s6
	s_bcnt1_i32_b32 s6, s9
	v_cmp_ne_u32_e32 vcc_lo, 0, v42
	s_bcnt1_i32_b32 s9, s11
	v_add_co_u32 v4, s6, v4, s6
	v_add_co_ci_u32_e64 v5, null, 0, v5, s6
	v_add_co_u32 v6, s6, v6, s9
	v_add_co_ci_u32_e64 v7, null, 0, v7, s6
	s_bcnt1_i32_b32 s6, vcc_lo
	v_cmp_ne_u32_e32 vcc_lo, 0, v43
	v_add_co_u32 v8, s6, v8, s6
	v_add_co_ci_u32_e64 v9, null, 0, v9, s6
	s_bcnt1_i32_b32 s6, vcc_lo
	v_mov_b32_e32 v42, v2
	v_add_co_u32 v10, vcc_lo, v10, s6
	v_add_co_ci_u32_e64 v11, null, 0, v11, vcc_lo
	s_andn2_b32 exec_lo, exec_lo, s13
	s_cbranch_execz .LBB168_60
.LBB168_58:                             ;   Parent Loop BB168_6 Depth=1
                                        ; =>  This Inner Loop Header: Depth=2
	v_add_co_u32 v28, vcc_lo, v28, s56
	v_add_co_ci_u32_e64 v29, null, 0, v29, vcc_lo
	v_mov_b32_e32 v2, 0
	s_mov_b32 s9, exec_lo
	v_cmp_le_u64_e32 vcc_lo, s[28:29], v[28:29]
	v_cmpx_gt_u64_e64 s[28:29], v[28:29]
	s_cbranch_execz .LBB168_57
; %bb.59:                               ;   in Loop: Header=BB168_58 Depth=2
	v_mul_lo_u32 v2, v29, s38
	v_mul_lo_u32 v45, v28, s39
	v_mad_u64_u32 v[43:44], null, v28, s38, 0
	v_add3_u32 v44, v44, v45, v2
	v_lshlrev_b64 v[43:44], 1, v[43:44]
	v_add_co_u32 v43, s6, s54, v43
	v_add_co_ci_u32_e64 v44, null, s55, v44, s6
	global_load_ushort v2, v[43:44], off
	s_branch .LBB168_57
.LBB168_60:                             ;   in Loop: Header=BB168_6 Depth=1
	s_or_b32 exec_lo, exec_lo, s13
.LBB168_61:                             ;   in Loop: Header=BB168_6 Depth=1
	s_or_b32 exec_lo, exec_lo, s12
	s_branch .LBB168_40
.LBB168_62:                             ;   in Loop: Header=BB168_6 Depth=1
	global_load_ushort v2, v3, s[58:59]
	v_mov_b32_e32 v6, 0
	v_mov_b32_e32 v8, 0
	;; [unrolled: 1-line block ×6, first 2 shown]
	s_mov_b32 s52, exec_lo
	s_waitcnt vmcnt(0)
	v_readfirstlane_b32 s6, v2
	s_and_b32 s48, 0xffff, s6
	s_lshl_b32 s49, s48, 2
	v_cvt_f32_u32_e32 v4, s49
	s_sub_i32 s9, 0, s49
	v_rcp_iflag_f32_e32 v4, v4
	v_mul_f32_e32 v4, 0x4f7ffffe, v4
	v_cvt_u32_f32_e32 v4, v4
	v_readfirstlane_b32 s6, v4
	v_mov_b32_e32 v4, 0
	v_mov_b32_e32 v5, 0
	s_mul_i32 s9, s9, s6
	s_mul_hi_u32 s9, s6, s9
	s_add_i32 s6, s6, s9
	s_mul_hi_u32 s6, s64, s6
	s_mul_i32 s9, s6, s49
	s_add_i32 s11, s6, 1
	s_sub_i32 s9, s64, s9
	s_sub_i32 s12, s9, s49
	s_cmp_ge_u32 s9, s49
	s_cselect_b32 s6, s11, s6
	s_cselect_b32 s9, s12, s9
	s_add_i32 s11, s6, 1
	s_cmp_ge_u32 s9, s49
	s_cselect_b32 s6, s11, s6
	s_mul_hi_u32 s67, s48, s6
	s_mul_i32 s66, s48, s6
	s_lshl_b64 s[68:69], s[66:67], 2
	v_cmpx_gt_u64_e64 s[68:69], v[14:15]
	s_cbranch_execz .LBB168_66
; %bb.63:                               ;   in Loop: Header=BB168_6 Depth=1
	v_mov_b32_e32 v29, v15
	v_mov_b32_e32 v42, v35
	;; [unrolled: 1-line block ×3, first 2 shown]
	s_lshl_b32 s56, s48, 3
	s_mov_b64 s[70:71], 0
	s_mov_b32 s65, 0
	s_mov_b64 s[72:73], 0
	s_mov_b64 s[74:75], 0
	s_mov_b64 s[76:77], 0
.LBB168_64:                             ;   Parent Loop BB168_6 Depth=1
                                        ; =>  This Inner Loop Header: Depth=2
	ds_read_b64 v[4:5], v42
	v_add_nc_u32_e32 v42, s56, v42
	s_waitcnt lgkmcnt(0)
	v_add_nc_u32_sdwa v6, sext(v4), v39 dst_sel:DWORD dst_unused:UNUSED_PAD src0_sel:WORD_0 src1_sel:DWORD
	v_add_nc_u32_sdwa v4, sext(v4), v39 dst_sel:DWORD dst_unused:UNUSED_PAD src0_sel:WORD_1 src1_sel:DWORD
	v_add_nc_u32_sdwa v7, sext(v5), v39 dst_sel:DWORD dst_unused:UNUSED_PAD src0_sel:WORD_0 src1_sel:DWORD
	v_add_nc_u32_sdwa v5, sext(v5), v39 dst_sel:DWORD dst_unused:UNUSED_PAD src0_sel:WORD_1 src1_sel:DWORD
	v_and_b32_e32 v8, v6, v40
	v_bfe_u32 v6, v6, s97, 2
	v_cmp_eq_u32_e32 vcc_lo, v8, v20
	v_and_b32_e32 v8, v4, v40
	v_bfe_u32 v4, v4, s97, 2
	v_cmp_eq_u32_e64 s12, 0, v6
	v_cmp_eq_u32_e64 s13, 1, v6
	;; [unrolled: 1-line block ×8, first 2 shown]
	v_bfe_u32 v4, v7, s97, 2
	v_and_b32_e32 v8, v7, v40
	s_and_b32 s12, vcc_lo, s12
	s_and_b32 s16, s6, s16
	v_cmp_eq_u32_e64 s15, 3, v6
	v_cmp_eq_u32_e64 s20, 0, v4
	v_cmp_eq_u32_e64 s21, 1, v4
	v_cmp_eq_u32_e64 s22, 2, v4
	v_cmp_eq_u32_e64 s23, 3, v4
	v_bfe_u32 v4, v5, s97, 2
	v_cmp_eq_u32_e64 s9, v8, v20
	v_and_b32_e32 v8, v5, v40
	v_cmp_eq_u32_e64 s24, 0, v4
	v_cmp_eq_u32_e64 s25, 1, v4
	;; [unrolled: 1-line block ×4, first 2 shown]
	v_cndmask_b32_e64 v4, 0, 1, s12
	v_cmp_eq_u32_e64 s11, v8, v20
	s_and_b32 s20, s9, s20
	v_cmp_ne_u32_e64 s12, 0, v4
	v_cndmask_b32_e64 v4, 0, 1, s16
	s_and_b32 s24, s11, s24
	s_bcnt1_i32_b32 s12, s12
	v_cmp_ne_u32_e64 s16, 0, v4
	v_cndmask_b32_e64 v4, 0, 1, s20
	s_bcnt1_i32_b32 s16, s16
	v_cmp_ne_u32_e64 s20, 0, v4
	v_cndmask_b32_e64 v4, 0, 1, s24
	s_add_i32 s12, s16, s12
	s_bcnt1_i32_b32 s20, s20
	v_cmp_ne_u32_e64 s24, 0, v4
	s_add_i32 s12, s12, s20
	s_bcnt1_i32_b32 s24, s24
	s_add_i32 s12, s12, s24
	s_add_u32 s76, s76, s12
	s_addc_u32 s77, s77, 0
	s_and_b32 s12, vcc_lo, s13
	s_and_b32 s13, s6, s17
	v_cndmask_b32_e64 v4, 0, 1, s12
	s_and_b32 s16, s9, s21
	s_and_b32 s17, s11, s25
	v_cmp_ne_u32_e64 s12, 0, v4
	v_cndmask_b32_e64 v4, 0, 1, s13
	s_bcnt1_i32_b32 s12, s12
	v_cmp_ne_u32_e64 s13, 0, v4
	v_cndmask_b32_e64 v4, 0, 1, s16
	s_bcnt1_i32_b32 s13, s13
	v_cmp_ne_u32_e64 s16, 0, v4
	v_cndmask_b32_e64 v4, 0, 1, s17
	s_add_i32 s12, s13, s12
	s_bcnt1_i32_b32 s16, s16
	v_cmp_ne_u32_e64 s17, 0, v4
	s_add_i32 s12, s12, s16
	s_bcnt1_i32_b32 s17, s17
	s_add_i32 s12, s12, s17
	s_add_u32 s74, s74, s12
	s_addc_u32 s75, s75, 0
	s_and_b32 s12, vcc_lo, s14
	s_and_b32 s13, s6, s18
	v_cndmask_b32_e64 v4, 0, 1, s12
	s_and_b32 s14, s9, s22
	s_and_b32 s16, s11, s26
	v_mov_b32_e32 v6, s74
	v_mov_b32_e32 v7, s75
	v_cmp_ne_u32_e64 s12, 0, v4
	v_cndmask_b32_e64 v4, 0, 1, s13
	s_bcnt1_i32_b32 s12, s12
	v_cmp_ne_u32_e64 s13, 0, v4
	v_cndmask_b32_e64 v4, 0, 1, s14
	s_bcnt1_i32_b32 s13, s13
	v_cmp_ne_u32_e64 s14, 0, v4
	v_cndmask_b32_e64 v4, 0, 1, s16
	s_add_i32 s12, s13, s12
	s_bcnt1_i32_b32 s14, s14
	v_cmp_ne_u32_e64 s16, 0, v4
	s_add_i32 s12, s12, s14
	s_bcnt1_i32_b32 s16, s16
	s_add_i32 s12, s12, s16
	s_add_u32 s72, s72, s12
	s_addc_u32 s73, s73, 0
	s_and_b32 s12, vcc_lo, s15
	s_and_b32 s6, s6, s19
	v_cndmask_b32_e64 v4, 0, 1, s12
	s_and_b32 s9, s9, s23
	s_and_b32 s11, s11, s27
	v_add_co_u32 v28, s12, v28, s49
	v_cmp_ne_u32_e32 vcc_lo, 0, v4
	v_cndmask_b32_e64 v4, 0, 1, s6
	v_add_co_ci_u32_e64 v29, null, 0, v29, s12
	v_mov_b32_e32 v8, s72
	s_bcnt1_i32_b32 s13, vcc_lo
	v_cmp_ne_u32_e64 s6, 0, v4
	v_cndmask_b32_e64 v4, 0, 1, s9
	v_cmp_le_u64_e64 s12, s[68:69], v[28:29]
	v_mov_b32_e32 v9, s73
	s_bcnt1_i32_b32 s6, s6
	v_cmp_ne_u32_e64 s9, 0, v4
	v_cndmask_b32_e64 v4, 0, 1, s11
	s_add_i32 s6, s6, s13
	s_bcnt1_i32_b32 s9, s9
	v_cmp_ne_u32_e64 s11, 0, v4
	s_add_i32 s6, s6, s9
	v_mov_b32_e32 v4, s76
	v_mov_b32_e32 v5, s77
	s_bcnt1_i32_b32 s11, s11
	s_add_i32 s6, s6, s11
	s_add_u32 s70, s70, s6
	s_addc_u32 s71, s71, 0
	v_mov_b32_e32 v10, s70
	v_mov_b32_e32 v11, s71
	s_or_b32 s65, s12, s65
	s_andn2_b32 exec_lo, exec_lo, s65
	s_cbranch_execnz .LBB168_64
; %bb.65:                               ;   in Loop: Header=BB168_6 Depth=1
	s_or_b32 exec_lo, exec_lo, s65
.LBB168_66:                             ;   in Loop: Header=BB168_6 Depth=1
	s_or_b32 exec_lo, exec_lo, s52
	v_add_co_u32 v28, s6, s68, v0
	v_and_b32_e32 v2, 0xffff, v2
	v_add_co_ci_u32_e64 v29, null, s69, 0, s6
	s_and_b32 s52, s64, 0x7fffffff
	s_mov_b32 s14, exec_lo
	v_cmpx_gt_u64_e64 s[52:53], v[28:29]
	s_cbranch_execz .LBB168_70
; %bb.67:                               ;   in Loop: Header=BB168_6 Depth=1
	v_lshl_add_u32 v42, s66, 3, v32
	s_lshl_b32 s16, s48, 1
	s_mov_b32 s15, 0
.LBB168_68:                             ;   Parent Loop BB168_6 Depth=1
                                        ; =>  This Inner Loop Header: Depth=2
	ds_read_i16 v43, v42
	v_add_co_u32 v28, vcc_lo, v28, v2
	v_add_co_ci_u32_e64 v29, null, 0, v29, vcc_lo
	v_add_nc_u32_e32 v42, s16, v42
	v_cmp_le_u64_e32 vcc_lo, s[52:53], v[28:29]
	s_waitcnt lgkmcnt(0)
	v_add_nc_u32_e32 v43, 0x8000, v43
	v_and_b32_e32 v44, v43, v40
	v_bfe_u32 v43, v43, s97, 2
	v_cmp_eq_u32_e64 s6, v44, v20
	v_cmp_eq_u32_e64 s9, 0, v43
	v_cmp_eq_u32_e64 s11, 1, v43
	v_cmp_eq_u32_e64 s12, 2, v43
	v_cmp_eq_u32_e64 s13, 3, v43
	s_and_b32 s9, s6, s9
	v_cndmask_b32_e64 v43, 0, 1, s9
	s_and_b32 s9, s6, s11
	v_cndmask_b32_e64 v44, 0, 1, s9
	s_and_b32 s9, s6, s12
	s_and_b32 s6, s6, s13
	v_cndmask_b32_e64 v45, 0, 1, s9
	v_cndmask_b32_e64 v46, 0, 1, s6
	v_cmp_ne_u32_e64 s6, 0, v43
	v_cmp_ne_u32_e64 s9, 0, v44
	;; [unrolled: 1-line block ×4, first 2 shown]
	s_bcnt1_i32_b32 s6, s6
	s_bcnt1_i32_b32 s9, s9
	v_add_co_u32 v4, s6, v4, s6
	s_bcnt1_i32_b32 s11, s11
	v_add_co_ci_u32_e64 v5, null, 0, v5, s6
	v_add_co_u32 v6, s6, v6, s9
	s_bcnt1_i32_b32 s12, s12
	v_add_co_ci_u32_e64 v7, null, 0, v7, s6
	v_add_co_u32 v8, s6, v8, s11
	v_add_co_ci_u32_e64 v9, null, 0, v9, s6
	v_add_co_u32 v10, s6, v10, s12
	v_add_co_ci_u32_e64 v11, null, 0, v11, s6
	s_or_b32 s15, vcc_lo, s15
	s_andn2_b32 exec_lo, exec_lo, s15
	s_cbranch_execnz .LBB168_68
; %bb.69:                               ;   in Loop: Header=BB168_6 Depth=1
	s_or_b32 exec_lo, exec_lo, s15
.LBB168_70:                             ;   in Loop: Header=BB168_6 Depth=1
	s_or_b32 exec_lo, exec_lo, s14
	s_lshl_b32 s6, s93, 7
	s_and_saveexec_b32 s9, s0
	s_cbranch_execnz .LBB168_41
	s_branch .LBB168_42
.LBB168_71:                             ;   in Loop: Header=BB168_6 Depth=1
                                        ; implicit-def: $sgpr12_sgpr13
	s_branch .LBB168_50
.LBB168_72:                             ;   in Loop: Header=BB168_6 Depth=1
	s_mov_b32 s11, 0
	s_andn2_b32 vcc_lo, exec_lo, s89
	s_cbranch_vccnz .LBB168_75
.LBB168_73:                             ;   in Loop: Header=BB168_6 Depth=1
	s_lshl_b32 s12, s93, 10
	s_lshl_b32 s11, s11, 5
	v_add3_u32 v2, s12, s11, v38
	s_mov_b32 s11, s87
.LBB168_74:                             ;   Parent Loop BB168_6 Depth=1
                                        ; =>  This Inner Loop Header: Depth=2
	ds_read_b64 v[6:7], v2
	v_add_nc_u32_e32 v2, 32, v2
	s_add_i32 s11, s11, -1
	s_cmp_lg_u32 s11, 0
	s_waitcnt lgkmcnt(0)
	v_add_co_u32 v4, vcc_lo, v6, v4
	v_add_co_ci_u32_e64 v5, null, v7, v5, vcc_lo
	s_cbranch_scc1 .LBB168_74
.LBB168_75:                             ;   in Loop: Header=BB168_6 Depth=1
	v_add_lshl_u32 v2, s6, v31, 3
	ds_write_b64 v2, v[4:5] offset:3072
.LBB168_76:                             ;   in Loop: Header=BB168_6 Depth=1
	s_or_b32 exec_lo, exec_lo, s9
	s_lshl_b32 s6, s6, 3
	s_waitcnt lgkmcnt(0)
	v_mov_b32_e32 v2, s6
	s_barrier
	buffer_gl0_inv
	v_cmp_eq_u64_e64 s9, 1, v[26:27]
	s_lshl_b32 s11, 3, s97
	ds_read_b128 v[4:7], v2 offset:3072
	ds_read_b128 v[8:11], v2 offset:3088
	s_mov_b32 s68, -1
	s_not_b32 s26, s11
	s_mov_b32 s27, 0
	s_andn2_b32 vcc_lo, exec_lo, s79
	s_mov_b32 s65, 0
	s_mov_b32 s64, 0
                                        ; implicit-def: $sgpr66
                                        ; implicit-def: $sgpr67
                                        ; implicit-def: $vgpr2
	s_waitcnt lgkmcnt(1)
	v_readfirstlane_b32 s13, v5
	v_readfirstlane_b32 s12, v4
	;; [unrolled: 1-line block ×4, first 2 shown]
	s_waitcnt lgkmcnt(0)
	v_readfirstlane_b32 s17, v9
	v_readfirstlane_b32 s16, v8
	;; [unrolled: 1-line block ×4, first 2 shown]
                                        ; implicit-def: $vgpr4_vgpr5
                                        ; implicit-def: $vgpr10
                                        ; implicit-def: $vgpr11
                                        ; implicit-def: $vgpr8
	s_cbranch_vccnz .LBB168_271
; %bb.77:                               ;   in Loop: Header=BB168_6 Depth=1
	s_cmp_eq_u64 s[12:13], 1
	v_mov_b32_e32 v10, v20
	v_mov_b32_e32 v11, v40
	;; [unrolled: 1-line block ×3, first 2 shown]
	s_cselect_b32 s6, -1, 0
                                        ; implicit-def: $sgpr67
                                        ; implicit-def: $sgpr66
	s_and_b32 s70, s6, s9
	s_mov_b32 s6, -1
	s_and_saveexec_b32 s64, s70
	s_cbranch_execz .LBB168_112
; %bb.78:                               ;   in Loop: Header=BB168_6 Depth=1
	ds_read_b64 v[4:5], v3 offset:5120
	s_waitcnt lgkmcnt(0)
	s_barrier
	buffer_gl0_inv
	v_readfirstlane_b32 s20, v4
	v_readfirstlane_b32 s21, v5
	s_and_saveexec_b32 s6, s10
; %bb.79:                               ;   in Loop: Header=BB168_6 Depth=1
	ds_write_b16 v33, v3
; %bb.80:                               ;   in Loop: Header=BB168_6 Depth=1
	s_or_b32 exec_lo, exec_lo, s6
	v_and_b32_e32 v10, s26, v20
	v_or_b32_e32 v11, s11, v40
	s_mov_b32 s66, -1
	s_mov_b32 s67, 0
	s_cmp_eq_u64 s[20:21], 0
	s_mov_b32 s24, 0
	s_mov_b32 s6, -1
	s_waitcnt lgkmcnt(0)
	s_barrier
	buffer_gl0_inv
                                        ; implicit-def: $vgpr8
	s_cbranch_scc1 .LBB168_97
; %bb.81:                               ;   in Loop: Header=BB168_6 Depth=1
	s_add_u32 s6, s20, s82
	s_addc_u32 s23, s21, s83
	s_mov_b32 s22, s53
	s_cmp_lg_u64 s[22:23], 0
	s_cbranch_scc0 .LBB168_138
; %bb.82:                               ;   in Loop: Header=BB168_6 Depth=1
	v_cvt_f32_u32_e32 v2, s33
	s_sub_u32 s22, 0, s33
	s_subb_u32 s24, 0, 0
	v_fmac_f32_e64 v2, 0x4f800000, 0
	v_rcp_f32_e32 v2, v2
	v_mul_f32_e32 v2, 0x5f7ffffc, v2
	v_mul_f32_e32 v4, 0x2f800000, v2
	v_trunc_f32_e32 v4, v4
	v_fmac_f32_e32 v2, 0xcf800000, v4
	v_cvt_u32_f32_e32 v4, v4
	v_cvt_u32_f32_e32 v2, v2
	v_readfirstlane_b32 s7, v4
	v_readfirstlane_b32 s8, v2
	s_mul_i32 s25, s22, s7
	s_mul_hi_u32 s47, s22, s8
	s_mul_i32 s46, s24, s8
	s_add_i32 s25, s47, s25
	s_mul_i32 s48, s22, s8
	s_add_i32 s25, s25, s46
	s_mul_hi_u32 s47, s8, s48
	s_mul_i32 s50, s8, s25
	s_mul_hi_u32 s49, s7, s48
	s_mul_i32 s46, s7, s48
	s_mul_hi_u32 s48, s8, s25
	s_add_u32 s47, s47, s50
	s_addc_u32 s48, 0, s48
	s_mul_hi_u32 s51, s7, s25
	s_add_u32 s46, s47, s46
	s_mul_i32 s25, s7, s25
	s_addc_u32 s46, s48, s49
	s_addc_u32 s47, s51, 0
	s_add_u32 s25, s46, s25
	s_addc_u32 s46, 0, s47
	s_add_u32 s8, s8, s25
	s_cselect_b32 s25, -1, 0
	s_mul_hi_u32 s47, s22, s8
	s_cmp_lg_u32 s25, 0
	s_mul_i32 s25, s22, s8
	s_addc_u32 s7, s7, s46
	s_mul_i32 s24, s24, s8
	s_mul_i32 s22, s22, s7
	s_mul_hi_u32 s46, s8, s25
	s_add_i32 s22, s47, s22
	s_mul_hi_u32 s47, s7, s25
	s_add_i32 s22, s22, s24
	s_mul_i32 s24, s7, s25
	s_mul_i32 s49, s8, s22
	s_mul_hi_u32 s48, s8, s22
	s_add_u32 s46, s46, s49
	s_addc_u32 s48, 0, s48
	s_mul_hi_u32 s25, s7, s22
	s_add_u32 s24, s46, s24
	s_mul_i32 s22, s7, s22
	s_addc_u32 s24, s48, s47
	s_addc_u32 s25, s25, 0
	s_add_u32 s22, s24, s22
	s_addc_u32 s24, 0, s25
	s_add_u32 s8, s8, s22
	s_cselect_b32 s22, -1, 0
	s_mul_hi_u32 s25, s6, s8
	s_cmp_lg_u32 s22, 0
	s_mul_hi_u32 s22, s23, s8
	s_addc_u32 s7, s7, s24
	s_mul_i32 s8, s23, s8
	s_mul_i32 s46, s6, s7
	s_mul_hi_u32 s24, s6, s7
	s_add_u32 s25, s25, s46
	s_addc_u32 s24, 0, s24
	s_mul_hi_u32 s47, s23, s7
	s_add_u32 s8, s25, s8
	s_mul_i32 s7, s23, s7
	s_addc_u32 s8, s24, s22
	s_addc_u32 s22, s47, 0
	s_add_u32 s7, s8, s7
	s_addc_u32 s8, 0, s22
	s_mul_hi_u32 s22, s33, s7
	s_mul_i32 s8, s33, s8
	s_mul_i32 s7, s33, s7
	s_add_i32 s22, s22, s8
	s_sub_u32 s7, s6, s7
	s_cselect_b32 s8, -1, 0
	s_cmp_lg_u32 s8, 0
	s_subb_u32 s8, s23, s22
	s_sub_u32 s22, s7, s33
	s_cselect_b32 s24, -1, 0
	s_cmp_lg_u32 s24, 0
	s_subb_u32 s24, s8, 0
	;; [unrolled: 4-line block ×3, first 2 shown]
	s_cmp_ge_u32 s22, s33
	s_cselect_b32 s47, -1, 0
	s_cmp_eq_u32 s24, 0
	s_cselect_b32 s47, s47, -1
	s_cmp_lg_u32 s47, 0
	s_cselect_b32 s24, s46, s24
	s_cselect_b32 s22, s25, s22
	s_cmp_ge_u32 s7, s33
	s_cselect_b32 s25, -1, 0
	s_cmp_eq_u32 s8, 0
	s_cselect_b32 s25, s25, -1
	s_cmp_lg_u32 s25, 0
	s_cselect_b32 s25, s24, s8
	s_cselect_b32 s24, s22, s7
	s_cbranch_execnz .LBB168_84
.LBB168_83:                             ;   in Loop: Header=BB168_6 Depth=1
	v_cvt_f32_u32_e32 v2, s33
	s_sub_i32 s8, 0, s33
	v_rcp_iflag_f32_e32 v2, v2
	v_mul_f32_e32 v2, 0x4f7ffffe, v2
	v_cvt_u32_f32_e32 v2, v2
	v_readfirstlane_b32 s7, v2
	s_mul_i32 s8, s8, s7
	s_mul_hi_u32 s8, s7, s8
	s_add_i32 s7, s7, s8
	s_mul_hi_u32 s7, s6, s7
	s_mul_i32 s7, s7, s33
	s_sub_i32 s7, s6, s7
	s_sub_i32 s8, s7, s33
	s_cmp_ge_u32 s7, s33
	s_cselect_b32 s7, s8, s7
	s_sub_i32 s8, s7, s33
	s_cmp_ge_u32 s7, s33
	s_cselect_b32 s52, s8, s7
	s_mov_b64 s[24:25], s[52:53]
.LBB168_84:                             ;   in Loop: Header=BB168_6 Depth=1
	s_sub_u32 s22, s6, s24
	s_subb_u32 s23, s23, s25
	s_mov_b32 s6, 0
	s_mov_b32 s24, 0
	s_mov_b32 s25, exec_lo
                                        ; implicit-def: $vgpr8
	v_cmpx_gt_u64_e64 s[22:23], v[0:1]
	s_cbranch_execz .LBB168_96
; %bb.85:                               ;   in Loop: Header=BB168_6 Depth=1
	v_mov_b32_e32 v5, v1
	v_mov_b32_e32 v2, v32
	;; [unrolled: 1-line block ×3, first 2 shown]
                                        ; implicit-def: $sgpr48
	s_inst_prefetch 0x1
	s_branch .LBB168_88
	.p2align	6
.LBB168_86:                             ;   in Loop: Header=BB168_88 Depth=2
	s_or_b32 exec_lo, exec_lo, s46
	s_waitcnt lgkmcnt(0)
	s_barrier
	buffer_gl0_inv
	ds_read_b32 v6, v3 offset:3072
	s_mov_b32 s46, -1
	s_mov_b32 s47, -1
	s_waitcnt lgkmcnt(0)
	s_barrier
	buffer_gl0_inv
	v_cmp_ne_u32_sdwa s7, v6, v3 src0_sel:WORD_0 src1_sel:DWORD
	s_and_b32 vcc_lo, exec_lo, s7
	s_cbranch_vccz .LBB168_91
.LBB168_87:                             ;   in Loop: Header=BB168_88 Depth=2
	s_and_b32 s7, exec_lo, s46
	s_or_b32 s24, s7, s24
	s_andn2_b32 s7, s48, exec_lo
	s_and_b32 s8, s47, exec_lo
	s_or_b32 s48, s7, s8
	s_andn2_b32 exec_lo, exec_lo, s24
	s_cbranch_execz .LBB168_95
.LBB168_88:                             ;   Parent Loop BB168_6 Depth=1
                                        ; =>  This Inner Loop Header: Depth=2
	s_mov_b32 s46, exec_lo
	v_cmpx_gt_u64_e64 s[20:21], v[4:5]
	s_cbranch_execz .LBB168_86
; %bb.89:                               ;   in Loop: Header=BB168_88 Depth=2
	ds_read_u16 v6, v2
	s_waitcnt lgkmcnt(0)
	v_add_nc_u32_sdwa v7, sext(v6), v39 dst_sel:DWORD dst_unused:UNUSED_PAD src0_sel:WORD_0 src1_sel:DWORD
	v_and_b32_e32 v7, v7, v11
	v_cmp_eq_u32_e32 vcc_lo, v7, v10
	s_and_b32 exec_lo, exec_lo, vcc_lo
	s_cbranch_execz .LBB168_86
; %bb.90:                               ;   in Loop: Header=BB168_88 Depth=2
	v_perm_b32 v6, v6, 1, 0x5040100
	ds_write_b32 v3, v6 offset:3072
	s_branch .LBB168_86
.LBB168_91:                             ;   in Loop: Header=BB168_88 Depth=2
	v_add_co_u32 v4, vcc_lo, v4, s33
	v_add_co_ci_u32_e64 v5, null, 0, v5, vcc_lo
	v_add_nc_u32_e32 v2, s90, v2
	s_mov_b32 s47, 0
	v_cmp_le_u64_e32 vcc_lo, s[22:23], v[4:5]
	s_orn2_b32 s46, vcc_lo, exec_lo
	s_branch .LBB168_87
.LBB168_92:                             ;   in Loop: Header=BB168_6 Depth=1
	s_or_b32 exec_lo, exec_lo, s13
	s_waitcnt lgkmcnt(0)
	s_barrier
	buffer_gl0_inv
	s_and_saveexec_b32 s6, s3
	s_cbranch_execz .LBB168_94
; %bb.93:                               ;   in Loop: Header=BB168_6 Depth=1
	ds_read_b32 v4, v3 offset:5144
	s_waitcnt lgkmcnt(0)
	v_ashrrev_i32_e32 v5, 31, v4
	ds_write_b64 v3, v[4:5] offset:5120
.LBB168_94:                             ;   in Loop: Header=BB168_6 Depth=1
	s_or_b32 exec_lo, exec_lo, s6
	s_waitcnt lgkmcnt(0)
	s_mov_b32 s6, -1
	s_barrier
	s_and_b32 vcc_lo, exec_lo, s11
	s_cbranch_vccnz .LBB168_21
	s_branch .LBB168_36
.LBB168_95:                             ;   in Loop: Header=BB168_6 Depth=1
	s_inst_prefetch 0x2
	s_or_b32 exec_lo, exec_lo, s24
	v_lshrrev_b32_e32 v8, 16, v6
	s_and_b32 s24, s48, exec_lo
.LBB168_96:                             ;   in Loop: Header=BB168_6 Depth=1
	s_or_b32 exec_lo, exec_lo, s25
.LBB168_97:                             ;   in Loop: Header=BB168_6 Depth=1
	s_and_b32 vcc_lo, exec_lo, s6
	s_cbranch_vccz .LBB168_111
; %bb.98:                               ;   in Loop: Header=BB168_6 Depth=1
	s_mov_b32 s56, s53
	s_cmp_lg_u64 s[56:57], 0
	s_cbranch_scc0 .LBB168_139
; %bb.99:                               ;   in Loop: Header=BB168_6 Depth=1
	v_cvt_f32_u32_e32 v2, s33
	s_sub_u32 s8, 0, s33
	s_subb_u32 s20, 0, 0
	v_fmac_f32_e64 v2, 0x4f800000, 0
	v_rcp_f32_e32 v2, v2
	v_mul_f32_e32 v2, 0x5f7ffffc, v2
	v_mul_f32_e32 v4, 0x2f800000, v2
	v_trunc_f32_e32 v4, v4
	v_fmac_f32_e32 v2, 0xcf800000, v4
	v_cvt_u32_f32_e32 v4, v4
	v_cvt_u32_f32_e32 v2, v2
	v_readfirstlane_b32 s6, v4
	v_readfirstlane_b32 s7, v2
	s_mul_i32 s21, s8, s6
	s_mul_hi_u32 s23, s8, s7
	s_mul_i32 s22, s20, s7
	s_add_i32 s21, s23, s21
	s_mul_i32 s25, s8, s7
	s_add_i32 s21, s21, s22
	s_mul_hi_u32 s23, s7, s25
	s_mul_i32 s47, s7, s21
	s_mul_hi_u32 s46, s6, s25
	s_mul_i32 s22, s6, s25
	s_mul_hi_u32 s25, s7, s21
	s_add_u32 s23, s23, s47
	s_addc_u32 s25, 0, s25
	s_mul_hi_u32 s48, s6, s21
	s_add_u32 s22, s23, s22
	s_mul_i32 s21, s6, s21
	s_addc_u32 s22, s25, s46
	s_addc_u32 s23, s48, 0
	s_add_u32 s21, s22, s21
	s_addc_u32 s22, 0, s23
	s_add_u32 s7, s7, s21
	s_cselect_b32 s21, -1, 0
	s_mul_hi_u32 s23, s8, s7
	s_cmp_lg_u32 s21, 0
	s_mul_i32 s21, s8, s7
	s_addc_u32 s6, s6, s22
	s_mul_i32 s20, s20, s7
	s_mul_i32 s8, s8, s6
	s_mul_hi_u32 s22, s7, s21
	s_add_i32 s8, s23, s8
	s_mul_hi_u32 s23, s6, s21
	s_add_i32 s8, s8, s20
	s_mul_i32 s20, s6, s21
	s_mul_i32 s46, s7, s8
	s_mul_hi_u32 s25, s7, s8
	s_add_u32 s22, s22, s46
	s_addc_u32 s25, 0, s25
	s_mul_hi_u32 s21, s6, s8
	s_add_u32 s20, s22, s20
	s_mul_i32 s8, s6, s8
	s_addc_u32 s20, s25, s23
	s_addc_u32 s21, s21, 0
	s_add_u32 s8, s20, s8
	s_addc_u32 s20, 0, s21
	s_add_u32 s7, s7, s8
	s_cselect_b32 s8, -1, 0
	s_mul_hi_u32 s21, s84, s7
	s_cmp_lg_u32 s8, 0
	s_mul_hi_u32 s8, s57, s7
	s_addc_u32 s6, s6, s20
	s_mul_i32 s7, s57, s7
	s_mul_i32 s22, s84, s6
	s_mul_hi_u32 s20, s84, s6
	s_add_u32 s21, s21, s22
	s_addc_u32 s20, 0, s20
	s_mul_hi_u32 s23, s57, s6
	s_add_u32 s7, s21, s7
	s_mul_i32 s6, s57, s6
	s_addc_u32 s7, s20, s8
	s_addc_u32 s8, s23, 0
	s_add_u32 s6, s7, s6
	s_addc_u32 s7, 0, s8
	s_mul_hi_u32 s8, s33, s6
	s_mul_i32 s7, s33, s7
	s_mul_i32 s6, s33, s6
	s_add_i32 s8, s8, s7
	s_sub_u32 s6, s84, s6
	s_cselect_b32 s7, -1, 0
	s_cmp_lg_u32 s7, 0
	s_subb_u32 s7, s57, s8
	s_sub_u32 s8, s6, s33
	s_cselect_b32 s20, -1, 0
	s_cmp_lg_u32 s20, 0
	s_subb_u32 s20, s7, 0
	;; [unrolled: 4-line block ×3, first 2 shown]
	s_cmp_ge_u32 s8, s33
	s_cselect_b32 s23, -1, 0
	s_cmp_eq_u32 s20, 0
	s_cselect_b32 s23, s23, -1
	s_cmp_lg_u32 s23, 0
	s_cselect_b32 s20, s22, s20
	s_cselect_b32 s8, s21, s8
	s_cmp_ge_u32 s6, s33
	s_cselect_b32 s21, -1, 0
	s_cmp_eq_u32 s7, 0
	s_cselect_b32 s21, s21, -1
	s_cmp_lg_u32 s21, 0
	s_cselect_b32 s21, s20, s7
	s_cselect_b32 s20, s8, s6
	s_cbranch_execnz .LBB168_101
.LBB168_100:                            ;   in Loop: Header=BB168_6 Depth=1
	v_cvt_f32_u32_e32 v2, s33
	s_sub_i32 s7, 0, s33
	v_rcp_iflag_f32_e32 v2, v2
	v_mul_f32_e32 v2, 0x4f7ffffe, v2
	v_cvt_u32_f32_e32 v2, v2
	v_readfirstlane_b32 s6, v2
	s_mul_i32 s7, s7, s6
	s_mul_hi_u32 s7, s6, s7
	s_add_i32 s6, s6, s7
	s_mul_hi_u32 s6, s84, s6
	s_mul_i32 s6, s6, s33
	s_sub_i32 s6, s84, s6
	s_sub_i32 s7, s6, s33
	s_cmp_ge_u32 s6, s33
	s_cselect_b32 s6, s7, s6
	s_sub_i32 s7, s6, s33
	s_cmp_ge_u32 s6, s33
	s_cselect_b32 s52, s7, s6
	s_mov_b64 s[20:21], s[52:53]
.LBB168_101:                            ;   in Loop: Header=BB168_6 Depth=1
	s_sub_u32 s20, s84, s20
	s_subb_u32 s21, s57, s21
	s_mov_b32 s22, exec_lo
                                        ; implicit-def: $vgpr8
	v_cmpx_gt_u64_e64 s[20:21], v[0:1]
	s_cbranch_execz .LBB168_110
; %bb.102:                              ;   in Loop: Header=BB168_6 Depth=1
	v_mov_b32_e32 v4, v12
	v_mov_b32_e32 v7, v1
	;; [unrolled: 1-line block ×4, first 2 shown]
	s_mov_b32 s23, 0
                                        ; implicit-def: $sgpr25
	s_inst_prefetch 0x1
	s_branch .LBB168_105
	.p2align	6
.LBB168_103:                            ;   in Loop: Header=BB168_105 Depth=2
	s_or_b32 exec_lo, exec_lo, s6
	s_waitcnt lgkmcnt(0)
	s_barrier
	buffer_gl0_inv
	ds_read_b32 v2, v3 offset:3072
	s_mov_b32 s6, -1
	s_mov_b32 s46, -1
	s_waitcnt lgkmcnt(0)
	s_barrier
	buffer_gl0_inv
	v_cmp_ne_u32_sdwa s7, v2, v3 src0_sel:WORD_0 src1_sel:DWORD
	s_and_b32 vcc_lo, exec_lo, s7
	s_cbranch_vccz .LBB168_108
.LBB168_104:                            ;   in Loop: Header=BB168_105 Depth=2
	s_and_b32 s6, exec_lo, s6
	s_or_b32 s23, s6, s23
	s_andn2_b32 s6, s25, exec_lo
	s_and_b32 s7, s46, exec_lo
	s_or_b32 s25, s6, s7
	s_andn2_b32 exec_lo, exec_lo, s23
	s_cbranch_execz .LBB168_109
.LBB168_105:                            ;   Parent Loop BB168_6 Depth=1
                                        ; =>  This Inner Loop Header: Depth=2
	s_mov_b32 s6, exec_lo
	v_cmpx_gt_u64_e64 s[28:29], v[6:7]
	s_cbranch_execz .LBB168_103
; %bb.106:                              ;   in Loop: Header=BB168_105 Depth=2
	global_load_ushort v2, v[4:5], off
	s_waitcnt vmcnt(0)
	v_add_nc_u32_sdwa v8, sext(v2), v39 dst_sel:DWORD dst_unused:UNUSED_PAD src0_sel:WORD_0 src1_sel:DWORD
	v_and_b32_e32 v8, v8, v11
	v_cmp_eq_u32_e32 vcc_lo, v8, v10
	s_and_b32 exec_lo, exec_lo, vcc_lo
	s_cbranch_execz .LBB168_103
; %bb.107:                              ;   in Loop: Header=BB168_105 Depth=2
	v_perm_b32 v2, v2, 1, 0x5040100
	ds_write_b32 v3, v2 offset:3072
	s_branch .LBB168_103
.LBB168_108:                            ;   in Loop: Header=BB168_105 Depth=2
	v_add_co_u32 v6, vcc_lo, v6, s33
	v_add_co_ci_u32_e64 v7, null, 0, v7, vcc_lo
	v_add_co_u32 v4, s6, v4, s34
	v_add_co_ci_u32_e64 v5, null, s35, v5, s6
	v_cmp_le_u64_e32 vcc_lo, s[20:21], v[6:7]
	s_mov_b32 s46, 0
	s_orn2_b32 s6, vcc_lo, exec_lo
	s_branch .LBB168_104
.LBB168_109:                            ;   in Loop: Header=BB168_6 Depth=1
	s_inst_prefetch 0x2
	s_or_b32 exec_lo, exec_lo, s23
	v_lshrrev_b32_e32 v8, 16, v2
	s_andn2_b32 s6, s24, exec_lo
	s_and_b32 s7, s25, exec_lo
	s_or_b32 s24, s6, s7
.LBB168_110:                            ;   in Loop: Header=BB168_6 Depth=1
	s_or_b32 exec_lo, exec_lo, s22
	s_mov_b32 s66, 0
	s_mov_b32 s67, -1
.LBB168_111:                            ;   in Loop: Header=BB168_6 Depth=1
	s_orn2_b32 s6, s24, exec_lo
.LBB168_112:                            ;   in Loop: Header=BB168_6 Depth=1
	s_or_b32 exec_lo, exec_lo, s64
	s_mov_b32 s68, 0
	s_mov_b32 s65, 0
	;; [unrolled: 1-line block ×3, first 2 shown]
                                        ; implicit-def: $vgpr4_vgpr5
                                        ; implicit-def: $vgpr2
	s_and_saveexec_b32 s69, s6
	s_cbranch_execz .LBB168_270
; %bb.113:                              ;   in Loop: Header=BB168_6 Depth=1
	v_mov_b32_e32 v4, 1
	v_mov_b32_e32 v5, 0
	v_mov_b32_e32 v2, 1
	s_xor_b32 s7, s70, -1
	s_mov_b32 s20, 0
	s_and_saveexec_b32 s6, s7
	s_cbranch_execz .LBB168_122
; %bb.114:                              ;   in Loop: Header=BB168_6 Depth=1
	s_mov_b32 s7, exec_lo
	v_cmpx_ge_u64_e64 s[12:13], v[26:27]
	s_xor_b32 s20, exec_lo, s7
	s_cbranch_execz .LBB168_119
; %bb.115:                              ;   in Loop: Header=BB168_6 Depth=1
	ds_read_b64 v[4:5], v3 offset:5120
	v_and_b32_e32 v10, s26, v10
	v_or_b32_e32 v11, s11, v11
	s_waitcnt lgkmcnt(0)
	v_cmp_ne_u64_e32 vcc_lo, 0, v[4:5]
	s_cbranch_vccnz .LBB168_119
; %bb.116:                              ;   in Loop: Header=BB168_6 Depth=1
	s_and_saveexec_b32 s21, s3
; %bb.117:                              ;   in Loop: Header=BB168_6 Depth=1
	v_mov_b32_e32 v4, s12
	v_mov_b32_e32 v5, s13
	ds_write_b64 v3, v[4:5] offset:5128
; %bb.118:                              ;   in Loop: Header=BB168_6 Depth=1
	s_or_b32 exec_lo, exec_lo, s21
	s_waitcnt lgkmcnt(0)
	s_barrier
	buffer_gl0_inv
.LBB168_119:                            ;   in Loop: Header=BB168_6 Depth=1
	s_or_saveexec_b32 s20, s20
	v_mov_b32_e32 v4, v26
	v_mov_b32_e32 v2, 8
	;; [unrolled: 1-line block ×3, first 2 shown]
	s_mov_b32 s21, 0
	s_xor_b32 exec_lo, exec_lo, s20
; %bb.120:                              ;   in Loop: Header=BB168_6 Depth=1
	v_sub_co_u32 v4, vcc_lo, v26, s12
	v_subrev_co_ci_u32_e64 v5, null, s13, v27, vcc_lo
	v_mov_b32_e32 v2, 0
	s_mov_b32 s21, exec_lo
; %bb.121:                              ;   in Loop: Header=BB168_6 Depth=1
	s_or_b32 exec_lo, exec_lo, s20
	s_and_b32 s20, s21, exec_lo
.LBB168_122:                            ;   in Loop: Header=BB168_6 Depth=1
	s_or_b32 exec_lo, exec_lo, s6
	s_mov_b32 s6, -1
                                        ; implicit-def: $sgpr65
                                        ; implicit-def: $sgpr70
	s_and_saveexec_b32 s7, s20
	s_xor_b32 s64, exec_lo, s7
	s_cbranch_execz .LBB168_267
; %bb.123:                              ;   in Loop: Header=BB168_6 Depth=1
	v_cmp_eq_u64_e32 vcc_lo, 1, v[4:5]
	s_cmp_eq_u64 s[14:15], 1
                                        ; implicit-def: $sgpr70
                                        ; implicit-def: $sgpr65
	s_cselect_b32 s6, -1, 0
	s_and_b32 s72, s6, vcc_lo
	s_mov_b32 s6, -1
	s_and_saveexec_b32 s71, s72
	s_cbranch_execz .LBB168_157
; %bb.124:                              ;   in Loop: Header=BB168_6 Depth=1
	ds_read_b64 v[6:7], v3 offset:5120
	s_waitcnt lgkmcnt(0)
	s_barrier
	buffer_gl0_inv
	v_readfirstlane_b32 s20, v6
	v_readfirstlane_b32 s21, v7
	s_and_saveexec_b32 s6, s10
; %bb.125:                              ;   in Loop: Header=BB168_6 Depth=1
	ds_write_b16 v33, v3
; %bb.126:                              ;   in Loop: Header=BB168_6 Depth=1
	s_or_b32 exec_lo, exec_lo, s6
	s_lshl_b32 s6, 1, s97
	v_or_b32_e32 v11, s11, v11
	v_and_or_b32 v10, v10, s26, s6
	s_mov_b32 s65, -1
	s_mov_b32 s70, 0
	s_cmp_eq_u64 s[20:21], 0
	s_mov_b32 s24, 0
	s_mov_b32 s6, -1
	s_waitcnt lgkmcnt(0)
	s_barrier
	buffer_gl0_inv
                                        ; implicit-def: $vgpr8
	s_cbranch_scc1 .LBB168_142
; %bb.127:                              ;   in Loop: Header=BB168_6 Depth=1
	s_add_u32 s6, s20, s82
	s_addc_u32 s23, s21, s83
	s_mov_b32 s22, s53
	s_cmp_lg_u64 s[22:23], 0
	s_cbranch_scc0 .LBB168_183
; %bb.128:                              ;   in Loop: Header=BB168_6 Depth=1
	v_cvt_f32_u32_e32 v6, s33
	s_sub_u32 s25, 0, s33
	s_subb_u32 s46, 0, 0
	v_fmac_f32_e64 v6, 0x4f800000, 0
	v_rcp_f32_e32 v6, v6
	v_mul_f32_e32 v6, 0x5f7ffffc, v6
	v_mul_f32_e32 v7, 0x2f800000, v6
	v_trunc_f32_e32 v7, v7
	v_fmac_f32_e32 v6, 0xcf800000, v7
	v_cvt_u32_f32_e32 v7, v7
	v_cvt_u32_f32_e32 v6, v6
	v_readfirstlane_b32 s22, v7
	v_readfirstlane_b32 s24, v6
	s_mul_i32 s47, s25, s22
	s_mul_hi_u32 s49, s25, s24
	s_mul_i32 s48, s46, s24
	s_add_i32 s47, s49, s47
	s_mul_i32 s52, s25, s24
	s_add_i32 s47, s47, s48
	s_mul_hi_u32 s49, s24, s52
	s_mul_i32 s73, s24, s47
	s_mul_hi_u32 s56, s22, s52
	s_mul_i32 s48, s22, s52
	s_mul_hi_u32 s52, s24, s47
	s_add_u32 s49, s49, s73
	s_addc_u32 s52, 0, s52
	s_mul_hi_u32 s74, s22, s47
	s_add_u32 s48, s49, s48
	s_mul_i32 s47, s22, s47
	s_addc_u32 s48, s52, s56
	s_addc_u32 s49, s74, 0
	s_add_u32 s47, s48, s47
	s_addc_u32 s48, 0, s49
	s_add_u32 s24, s24, s47
	s_cselect_b32 s47, -1, 0
	s_mul_hi_u32 s49, s25, s24
	s_cmp_lg_u32 s47, 0
	s_mul_i32 s47, s25, s24
	s_addc_u32 s22, s22, s48
	s_mul_i32 s46, s46, s24
	s_mul_i32 s25, s25, s22
	s_mul_hi_u32 s48, s24, s47
	s_add_i32 s25, s49, s25
	s_mul_hi_u32 s49, s22, s47
	s_add_i32 s25, s25, s46
	s_mul_i32 s46, s22, s47
	s_mul_i32 s56, s24, s25
	s_mul_hi_u32 s52, s24, s25
	s_add_u32 s48, s48, s56
	s_addc_u32 s52, 0, s52
	s_mul_hi_u32 s47, s22, s25
	s_add_u32 s46, s48, s46
	s_mul_i32 s25, s22, s25
	s_addc_u32 s46, s52, s49
	s_addc_u32 s47, s47, 0
	s_add_u32 s25, s46, s25
	s_addc_u32 s46, 0, s47
	s_add_u32 s24, s24, s25
	s_cselect_b32 s25, -1, 0
	s_mul_hi_u32 s47, s6, s24
	s_cmp_lg_u32 s25, 0
	s_mul_hi_u32 s25, s23, s24
	s_addc_u32 s22, s22, s46
	s_mul_i32 s24, s23, s24
	s_mul_i32 s48, s6, s22
	s_mul_hi_u32 s46, s6, s22
	s_add_u32 s47, s47, s48
	s_addc_u32 s46, 0, s46
	s_mul_hi_u32 s49, s23, s22
	s_add_u32 s24, s47, s24
	s_mul_i32 s22, s23, s22
	s_addc_u32 s24, s46, s25
	s_addc_u32 s25, s49, 0
	s_add_u32 s22, s24, s22
	s_addc_u32 s24, 0, s25
	s_mul_hi_u32 s25, s33, s22
	s_mul_i32 s24, s33, s24
	s_mul_i32 s22, s33, s22
	s_add_i32 s25, s25, s24
	s_sub_u32 s22, s6, s22
	s_cselect_b32 s24, -1, 0
	s_cmp_lg_u32 s24, 0
	s_subb_u32 s24, s23, s25
	s_sub_u32 s25, s22, s33
	s_cselect_b32 s46, -1, 0
	s_cmp_lg_u32 s46, 0
	s_subb_u32 s46, s24, 0
	;; [unrolled: 4-line block ×3, first 2 shown]
	s_cmp_ge_u32 s25, s33
	s_cselect_b32 s49, -1, 0
	s_cmp_eq_u32 s46, 0
	s_cselect_b32 s49, s49, -1
	s_cmp_lg_u32 s49, 0
	s_cselect_b32 s46, s48, s46
	s_cselect_b32 s47, s47, s25
	s_cmp_ge_u32 s22, s33
	s_cselect_b32 s25, -1, 0
	s_cmp_eq_u32 s24, 0
	s_cselect_b32 s25, s25, -1
	s_cmp_lg_u32 s25, 0
	s_cselect_b32 s25, s46, s24
	s_cselect_b32 s24, s47, s22
	s_cbranch_execnz .LBB168_130
.LBB168_129:                            ;   in Loop: Header=BB168_6 Depth=1
	v_cvt_f32_u32_e32 v6, s33
	s_sub_i32 s24, 0, s33
	v_rcp_iflag_f32_e32 v6, v6
	v_mul_f32_e32 v6, 0x4f7ffffe, v6
	v_cvt_u32_f32_e32 v6, v6
	v_readfirstlane_b32 s22, v6
	s_mul_i32 s24, s24, s22
	s_mul_hi_u32 s24, s22, s24
	s_add_i32 s22, s22, s24
	s_mul_hi_u32 s22, s6, s22
	s_mul_i32 s22, s22, s33
	s_sub_i32 s22, s6, s22
	s_sub_i32 s24, s22, s33
	s_cmp_ge_u32 s22, s33
	s_cselect_b32 s22, s24, s22
	s_sub_i32 s24, s22, s33
	s_cmp_ge_u32 s22, s33
	s_cselect_b32 s52, s24, s22
	s_mov_b64 s[24:25], s[52:53]
.LBB168_130:                            ;   in Loop: Header=BB168_6 Depth=1
	s_sub_u32 s22, s6, s24
	s_subb_u32 s23, s23, s25
	s_mov_b32 s6, 0
	s_mov_b32 s24, 0
	s_mov_b32 s25, exec_lo
                                        ; implicit-def: $vgpr8
	v_cmpx_gt_u64_e64 s[22:23], v[0:1]
	s_cbranch_execz .LBB168_141
; %bb.131:                              ;   in Loop: Header=BB168_6 Depth=1
	v_mov_b32_e32 v7, v1
	v_mov_b32_e32 v8, v32
	;; [unrolled: 1-line block ×3, first 2 shown]
                                        ; implicit-def: $sgpr48
	s_inst_prefetch 0x1
	s_branch .LBB168_134
	.p2align	6
.LBB168_132:                            ;   in Loop: Header=BB168_134 Depth=2
	s_or_b32 exec_lo, exec_lo, s49
	s_waitcnt lgkmcnt(0)
	s_barrier
	buffer_gl0_inv
	ds_read_b32 v9, v3 offset:3072
	s_mov_b32 s46, -1
	s_waitcnt lgkmcnt(0)
	s_barrier
	buffer_gl0_inv
	v_cmp_ne_u32_sdwa s47, v9, v3 src0_sel:WORD_0 src1_sel:DWORD
	s_and_b32 vcc_lo, exec_lo, s47
	s_mov_b32 s47, -1
	s_cbranch_vccz .LBB168_137
.LBB168_133:                            ;   in Loop: Header=BB168_134 Depth=2
	s_and_b32 s7, exec_lo, s46
	s_or_b32 s24, s7, s24
	s_andn2_b32 s7, s48, exec_lo
	s_and_b32 s8, s47, exec_lo
	s_or_b32 s48, s7, s8
	s_andn2_b32 exec_lo, exec_lo, s24
	s_cbranch_execz .LBB168_140
.LBB168_134:                            ;   Parent Loop BB168_6 Depth=1
                                        ; =>  This Inner Loop Header: Depth=2
	s_mov_b32 s49, exec_lo
	v_cmpx_gt_u64_e64 s[20:21], v[6:7]
	s_cbranch_execz .LBB168_132
; %bb.135:                              ;   in Loop: Header=BB168_134 Depth=2
	ds_read_u16 v9, v8
	s_waitcnt lgkmcnt(0)
	v_add_nc_u32_sdwa v28, sext(v9), v39 dst_sel:DWORD dst_unused:UNUSED_PAD src0_sel:WORD_0 src1_sel:DWORD
	v_and_b32_e32 v28, v28, v11
	v_cmp_eq_u32_e32 vcc_lo, v28, v10
	s_and_b32 exec_lo, exec_lo, vcc_lo
	s_cbranch_execz .LBB168_132
; %bb.136:                              ;   in Loop: Header=BB168_134 Depth=2
	v_perm_b32 v9, v9, 1, 0x5040100
	ds_write_b32 v3, v9 offset:3072
	s_branch .LBB168_132
.LBB168_137:                            ;   in Loop: Header=BB168_134 Depth=2
	v_add_co_u32 v6, vcc_lo, v6, s33
	v_add_co_ci_u32_e64 v7, null, 0, v7, vcc_lo
	v_add_nc_u32_e32 v8, s90, v8
	s_mov_b32 s47, 0
	v_cmp_le_u64_e32 vcc_lo, s[22:23], v[6:7]
	s_orn2_b32 s46, vcc_lo, exec_lo
	s_branch .LBB168_133
.LBB168_138:                            ;   in Loop: Header=BB168_6 Depth=1
                                        ; implicit-def: $sgpr24_sgpr25
	s_branch .LBB168_83
.LBB168_139:                            ;   in Loop: Header=BB168_6 Depth=1
                                        ; implicit-def: $sgpr20_sgpr21
	s_branch .LBB168_100
.LBB168_140:                            ;   in Loop: Header=BB168_6 Depth=1
	s_inst_prefetch 0x2
	s_or_b32 exec_lo, exec_lo, s24
	v_lshrrev_b32_e32 v8, 16, v9
	s_and_b32 s24, s48, exec_lo
.LBB168_141:                            ;   in Loop: Header=BB168_6 Depth=1
	s_or_b32 exec_lo, exec_lo, s25
.LBB168_142:                            ;   in Loop: Header=BB168_6 Depth=1
	s_and_b32 vcc_lo, exec_lo, s6
	s_cbranch_vccz .LBB168_156
; %bb.143:                              ;   in Loop: Header=BB168_6 Depth=1
	s_mov_b32 s56, s53
	s_cmp_lg_u64 s[56:57], 0
	s_cbranch_scc0 .LBB168_184
; %bb.144:                              ;   in Loop: Header=BB168_6 Depth=1
	v_cvt_f32_u32_e32 v6, s33
	s_sub_u32 s21, 0, s33
	s_subb_u32 s22, 0, 0
	v_fmac_f32_e64 v6, 0x4f800000, 0
	v_rcp_f32_e32 v6, v6
	v_mul_f32_e32 v6, 0x5f7ffffc, v6
	v_mul_f32_e32 v7, 0x2f800000, v6
	v_trunc_f32_e32 v7, v7
	v_fmac_f32_e32 v6, 0xcf800000, v7
	v_cvt_u32_f32_e32 v7, v7
	v_cvt_u32_f32_e32 v6, v6
	v_readfirstlane_b32 s6, v7
	v_readfirstlane_b32 s20, v6
	s_mul_i32 s23, s21, s6
	s_mul_hi_u32 s46, s21, s20
	s_mul_i32 s25, s22, s20
	s_add_i32 s23, s46, s23
	s_mul_i32 s47, s21, s20
	s_add_i32 s23, s23, s25
	s_mul_hi_u32 s46, s20, s47
	s_mul_i32 s49, s20, s23
	s_mul_hi_u32 s48, s6, s47
	s_mul_i32 s25, s6, s47
	s_mul_hi_u32 s47, s20, s23
	s_add_u32 s46, s46, s49
	s_addc_u32 s47, 0, s47
	s_mul_hi_u32 s52, s6, s23
	s_add_u32 s25, s46, s25
	s_mul_i32 s23, s6, s23
	s_addc_u32 s25, s47, s48
	s_addc_u32 s46, s52, 0
	s_add_u32 s23, s25, s23
	s_addc_u32 s25, 0, s46
	s_add_u32 s20, s20, s23
	s_cselect_b32 s23, -1, 0
	s_mul_hi_u32 s46, s21, s20
	s_cmp_lg_u32 s23, 0
	s_mul_i32 s23, s21, s20
	s_addc_u32 s6, s6, s25
	s_mul_i32 s22, s22, s20
	s_mul_i32 s21, s21, s6
	s_mul_hi_u32 s25, s20, s23
	s_add_i32 s21, s46, s21
	s_mul_hi_u32 s46, s6, s23
	s_add_i32 s21, s21, s22
	s_mul_i32 s22, s6, s23
	s_mul_i32 s48, s20, s21
	s_mul_hi_u32 s47, s20, s21
	s_add_u32 s25, s25, s48
	s_addc_u32 s47, 0, s47
	s_mul_hi_u32 s23, s6, s21
	s_add_u32 s22, s25, s22
	s_mul_i32 s21, s6, s21
	s_addc_u32 s22, s47, s46
	s_addc_u32 s23, s23, 0
	s_add_u32 s21, s22, s21
	s_addc_u32 s22, 0, s23
	s_add_u32 s20, s20, s21
	s_cselect_b32 s21, -1, 0
	s_mul_hi_u32 s23, s84, s20
	s_cmp_lg_u32 s21, 0
	s_mul_hi_u32 s21, s57, s20
	s_addc_u32 s6, s6, s22
	s_mul_i32 s20, s57, s20
	s_mul_i32 s25, s84, s6
	s_mul_hi_u32 s22, s84, s6
	s_add_u32 s23, s23, s25
	s_addc_u32 s22, 0, s22
	s_mul_hi_u32 s46, s57, s6
	s_add_u32 s20, s23, s20
	s_mul_i32 s6, s57, s6
	s_addc_u32 s20, s22, s21
	s_addc_u32 s21, s46, 0
	s_add_u32 s6, s20, s6
	s_addc_u32 s20, 0, s21
	s_mul_hi_u32 s21, s33, s6
	s_mul_i32 s20, s33, s20
	s_mul_i32 s6, s33, s6
	s_add_i32 s21, s21, s20
	s_sub_u32 s6, s84, s6
	s_cselect_b32 s20, -1, 0
	s_cmp_lg_u32 s20, 0
	s_subb_u32 s20, s57, s21
	s_sub_u32 s21, s6, s33
	s_cselect_b32 s22, -1, 0
	s_cmp_lg_u32 s22, 0
	s_subb_u32 s22, s20, 0
	;; [unrolled: 4-line block ×3, first 2 shown]
	s_cmp_ge_u32 s21, s33
	s_cselect_b32 s46, -1, 0
	s_cmp_eq_u32 s22, 0
	s_cselect_b32 s46, s46, -1
	s_cmp_lg_u32 s46, 0
	s_cselect_b32 s22, s25, s22
	s_cselect_b32 s23, s23, s21
	s_cmp_ge_u32 s6, s33
	s_cselect_b32 s21, -1, 0
	s_cmp_eq_u32 s20, 0
	s_cselect_b32 s21, s21, -1
	s_cmp_lg_u32 s21, 0
	s_cselect_b32 s21, s22, s20
	s_cselect_b32 s20, s23, s6
	s_cbranch_execnz .LBB168_146
.LBB168_145:                            ;   in Loop: Header=BB168_6 Depth=1
	v_cvt_f32_u32_e32 v6, s33
	s_sub_i32 s20, 0, s33
	v_rcp_iflag_f32_e32 v6, v6
	v_mul_f32_e32 v6, 0x4f7ffffe, v6
	v_cvt_u32_f32_e32 v6, v6
	v_readfirstlane_b32 s6, v6
	s_mul_i32 s20, s20, s6
	s_mul_hi_u32 s20, s6, s20
	s_add_i32 s6, s6, s20
	s_mul_hi_u32 s6, s84, s6
	s_mul_i32 s6, s6, s33
	s_sub_i32 s6, s84, s6
	s_sub_i32 s20, s6, s33
	s_cmp_ge_u32 s6, s33
	s_cselect_b32 s6, s20, s6
	s_sub_i32 s20, s6, s33
	s_cmp_ge_u32 s6, s33
	s_cselect_b32 s52, s20, s6
	s_mov_b64 s[20:21], s[52:53]
.LBB168_146:                            ;   in Loop: Header=BB168_6 Depth=1
	s_sub_u32 s20, s84, s20
	s_subb_u32 s21, s57, s21
	s_mov_b32 s22, exec_lo
                                        ; implicit-def: $vgpr8
	v_cmpx_gt_u64_e64 s[20:21], v[0:1]
	s_cbranch_execz .LBB168_155
; %bb.147:                              ;   in Loop: Header=BB168_6 Depth=1
	v_mov_b32_e32 v6, v12
	v_mov_b32_e32 v9, v1
	;; [unrolled: 1-line block ×4, first 2 shown]
	s_mov_b32 s23, 0
                                        ; implicit-def: $sgpr25
	s_inst_prefetch 0x1
	s_branch .LBB168_150
	.p2align	6
.LBB168_148:                            ;   in Loop: Header=BB168_150 Depth=2
	s_or_b32 exec_lo, exec_lo, s6
	s_waitcnt lgkmcnt(0)
	s_barrier
	buffer_gl0_inv
	ds_read_b32 v28, v3 offset:3072
	s_mov_b32 s6, -1
	s_waitcnt lgkmcnt(0)
	s_barrier
	buffer_gl0_inv
	v_cmp_eq_u32_sdwa s46, v28, v3 src0_sel:WORD_0 src1_sel:DWORD
	s_and_b32 vcc_lo, exec_lo, s46
	s_mov_b32 s46, -1
	s_cbranch_vccnz .LBB168_153
.LBB168_149:                            ;   in Loop: Header=BB168_150 Depth=2
	s_and_b32 s6, exec_lo, s6
	s_or_b32 s23, s6, s23
	s_andn2_b32 s6, s25, exec_lo
	s_and_b32 s7, s46, exec_lo
	s_or_b32 s25, s6, s7
	s_andn2_b32 exec_lo, exec_lo, s23
	s_cbranch_execz .LBB168_154
.LBB168_150:                            ;   Parent Loop BB168_6 Depth=1
                                        ; =>  This Inner Loop Header: Depth=2
	s_mov_b32 s6, exec_lo
	v_cmpx_gt_u64_e64 s[28:29], v[8:9]
	s_cbranch_execz .LBB168_148
; %bb.151:                              ;   in Loop: Header=BB168_150 Depth=2
	global_load_ushort v28, v[6:7], off
	s_waitcnt vmcnt(0)
	v_add_nc_u32_sdwa v29, sext(v28), v39 dst_sel:DWORD dst_unused:UNUSED_PAD src0_sel:WORD_0 src1_sel:DWORD
	v_and_b32_e32 v29, v29, v11
	v_cmp_eq_u32_e32 vcc_lo, v29, v10
	s_and_b32 exec_lo, exec_lo, vcc_lo
	s_cbranch_execz .LBB168_148
; %bb.152:                              ;   in Loop: Header=BB168_150 Depth=2
	v_perm_b32 v28, v28, 1, 0x5040100
	ds_write_b32 v3, v28 offset:3072
	s_branch .LBB168_148
.LBB168_153:                            ;   in Loop: Header=BB168_150 Depth=2
	v_add_co_u32 v8, vcc_lo, v8, s33
	v_add_co_ci_u32_e64 v9, null, 0, v9, vcc_lo
	v_add_co_u32 v6, s6, v6, s34
	v_add_co_ci_u32_e64 v7, null, s35, v7, s6
	v_cmp_le_u64_e32 vcc_lo, s[20:21], v[8:9]
	s_mov_b32 s46, 0
	s_orn2_b32 s6, vcc_lo, exec_lo
	s_branch .LBB168_149
.LBB168_154:                            ;   in Loop: Header=BB168_6 Depth=1
	s_inst_prefetch 0x2
	s_or_b32 exec_lo, exec_lo, s23
	v_lshrrev_b32_e32 v8, 16, v28
	s_andn2_b32 s6, s24, exec_lo
	s_and_b32 s7, s25, exec_lo
	s_or_b32 s24, s6, s7
.LBB168_155:                            ;   in Loop: Header=BB168_6 Depth=1
	s_or_b32 exec_lo, exec_lo, s22
	s_mov_b32 s65, 0
	s_mov_b32 s70, -1
.LBB168_156:                            ;   in Loop: Header=BB168_6 Depth=1
	s_orn2_b32 s6, s24, exec_lo
.LBB168_157:                            ;   in Loop: Header=BB168_6 Depth=1
	s_or_b32 exec_lo, exec_lo, s71
	s_mov_b32 s20, 0
	s_and_saveexec_b32 s71, s6
	s_cbranch_execz .LBB168_266
; %bb.158:                              ;   in Loop: Header=BB168_6 Depth=1
	v_mov_b32_e32 v6, 1
	v_mov_b32_e32 v7, 0
	;; [unrolled: 1-line block ×3, first 2 shown]
	s_xor_b32 s21, s72, -1
	s_and_saveexec_b32 s6, s21
	s_cbranch_execz .LBB168_167
; %bb.159:                              ;   in Loop: Header=BB168_6 Depth=1
	s_mov_b32 s20, exec_lo
	v_cmpx_ge_u64_e64 s[14:15], v[4:5]
	s_xor_b32 s20, exec_lo, s20
	s_cbranch_execz .LBB168_164
; %bb.160:                              ;   in Loop: Header=BB168_6 Depth=1
	ds_read_b64 v[6:7], v3 offset:5120
	s_lshl_b32 s21, 1, s97
	v_or_b32_e32 v11, s11, v11
	v_and_or_b32 v10, v10, s26, s21
	s_waitcnt lgkmcnt(0)
	v_cmp_ne_u64_e32 vcc_lo, 0, v[6:7]
	s_cbranch_vccnz .LBB168_164
; %bb.161:                              ;   in Loop: Header=BB168_6 Depth=1
	s_and_saveexec_b32 s21, s3
; %bb.162:                              ;   in Loop: Header=BB168_6 Depth=1
	v_mov_b32_e32 v6, s14
	v_mov_b32_e32 v7, s15
	ds_write_b64 v3, v[6:7] offset:5128
; %bb.163:                              ;   in Loop: Header=BB168_6 Depth=1
	s_or_b32 exec_lo, exec_lo, s21
	s_waitcnt lgkmcnt(0)
	s_barrier
	buffer_gl0_inv
.LBB168_164:                            ;   in Loop: Header=BB168_6 Depth=1
	s_or_saveexec_b32 s20, s20
	v_mov_b32_e32 v2, 8
	s_mov_b32 s21, 0
	s_xor_b32 exec_lo, exec_lo, s20
; %bb.165:                              ;   in Loop: Header=BB168_6 Depth=1
	v_sub_co_u32 v4, vcc_lo, v4, s14
	v_subrev_co_ci_u32_e64 v5, null, s15, v5, vcc_lo
	v_mov_b32_e32 v2, 0
	s_mov_b32 s21, exec_lo
; %bb.166:                              ;   in Loop: Header=BB168_6 Depth=1
	s_or_b32 exec_lo, exec_lo, s20
	v_mov_b32_e32 v7, v5
	v_mov_b32_e32 v6, v4
	s_and_b32 s20, s21, exec_lo
.LBB168_167:                            ;   in Loop: Header=BB168_6 Depth=1
	s_or_b32 exec_lo, exec_lo, s6
	s_mov_b32 s6, -1
                                        ; implicit-def: $sgpr73
                                        ; implicit-def: $sgpr74
	s_and_saveexec_b32 s72, s20
	s_cbranch_execz .LBB168_265
; %bb.168:                              ;   in Loop: Header=BB168_6 Depth=1
	v_cmp_eq_u64_e32 vcc_lo, 1, v[6:7]
	s_cmp_eq_u64 s[16:17], 1
                                        ; implicit-def: $sgpr74
                                        ; implicit-def: $sgpr73
	s_cselect_b32 s6, -1, 0
	s_and_b32 s76, s6, vcc_lo
	s_mov_b32 s6, -1
	s_and_saveexec_b32 s75, s76
	s_cbranch_execz .LBB168_202
; %bb.169:                              ;   in Loop: Header=BB168_6 Depth=1
	ds_read_b64 v[4:5], v3 offset:5120
	s_waitcnt lgkmcnt(0)
	s_barrier
	buffer_gl0_inv
	v_readfirstlane_b32 s20, v4
	v_readfirstlane_b32 s21, v5
	s_and_saveexec_b32 s6, s10
; %bb.170:                              ;   in Loop: Header=BB168_6 Depth=1
	ds_write_b16 v33, v3
; %bb.171:                              ;   in Loop: Header=BB168_6 Depth=1
	s_or_b32 exec_lo, exec_lo, s6
	s_lshl_b32 s6, 2, s97
	v_or_b32_e32 v11, s11, v11
	v_and_or_b32 v10, v10, s26, s6
	s_mov_b32 s73, -1
	s_mov_b32 s74, 0
	s_cmp_eq_u64 s[20:21], 0
	s_mov_b32 s24, 0
	s_mov_b32 s6, -1
	s_waitcnt lgkmcnt(0)
	s_barrier
	buffer_gl0_inv
                                        ; implicit-def: $vgpr8
	s_cbranch_scc1 .LBB168_187
; %bb.172:                              ;   in Loop: Header=BB168_6 Depth=1
	s_add_u32 s6, s20, s82
	s_addc_u32 s23, s21, s83
	s_mov_b32 s22, s53
	s_cmp_lg_u64 s[22:23], 0
	s_cbranch_scc0 .LBB168_219
; %bb.173:                              ;   in Loop: Header=BB168_6 Depth=1
	v_cvt_f32_u32_e32 v4, s33
	s_sub_u32 s25, 0, s33
	s_subb_u32 s46, 0, 0
	v_fmac_f32_e64 v4, 0x4f800000, 0
	v_rcp_f32_e32 v4, v4
	v_mul_f32_e32 v4, 0x5f7ffffc, v4
	v_mul_f32_e32 v5, 0x2f800000, v4
	v_trunc_f32_e32 v5, v5
	v_fmac_f32_e32 v4, 0xcf800000, v5
	v_cvt_u32_f32_e32 v5, v5
	v_cvt_u32_f32_e32 v4, v4
	v_readfirstlane_b32 s22, v5
	v_readfirstlane_b32 s24, v4
	s_mul_i32 s47, s25, s22
	s_mul_hi_u32 s49, s25, s24
	s_mul_i32 s48, s46, s24
	s_add_i32 s47, s49, s47
	s_mul_i32 s52, s25, s24
	s_add_i32 s47, s47, s48
	s_mul_hi_u32 s49, s24, s52
	s_mul_i32 s77, s24, s47
	s_mul_hi_u32 s56, s22, s52
	s_mul_i32 s48, s22, s52
	s_mul_hi_u32 s52, s24, s47
	s_add_u32 s49, s49, s77
	s_addc_u32 s52, 0, s52
	s_mul_hi_u32 vcc_lo, s22, s47
	s_add_u32 s48, s49, s48
	s_mul_i32 s47, s22, s47
	s_addc_u32 s48, s52, s56
	s_addc_u32 s49, vcc_lo, 0
	s_add_u32 s47, s48, s47
	s_addc_u32 s48, 0, s49
	s_add_u32 s24, s24, s47
	s_cselect_b32 s47, -1, 0
	s_mul_hi_u32 s49, s25, s24
	s_cmp_lg_u32 s47, 0
	s_mul_i32 s47, s25, s24
	s_addc_u32 s22, s22, s48
	s_mul_i32 s46, s46, s24
	s_mul_i32 s25, s25, s22
	s_mul_hi_u32 s48, s24, s47
	s_add_i32 s25, s49, s25
	s_mul_hi_u32 s49, s22, s47
	s_add_i32 s25, s25, s46
	s_mul_i32 s46, s22, s47
	s_mul_i32 s56, s24, s25
	s_mul_hi_u32 s52, s24, s25
	s_add_u32 s48, s48, s56
	s_addc_u32 s52, 0, s52
	s_mul_hi_u32 s47, s22, s25
	s_add_u32 s46, s48, s46
	s_mul_i32 s25, s22, s25
	s_addc_u32 s46, s52, s49
	s_addc_u32 s47, s47, 0
	s_add_u32 s25, s46, s25
	s_addc_u32 s46, 0, s47
	s_add_u32 s24, s24, s25
	s_cselect_b32 s25, -1, 0
	s_mul_hi_u32 s47, s6, s24
	s_cmp_lg_u32 s25, 0
	s_mul_hi_u32 s25, s23, s24
	s_addc_u32 s22, s22, s46
	s_mul_i32 s24, s23, s24
	s_mul_i32 s48, s6, s22
	s_mul_hi_u32 s46, s6, s22
	s_add_u32 s47, s47, s48
	s_addc_u32 s46, 0, s46
	s_mul_hi_u32 s49, s23, s22
	s_add_u32 s24, s47, s24
	s_mul_i32 s22, s23, s22
	s_addc_u32 s24, s46, s25
	s_addc_u32 s25, s49, 0
	s_add_u32 s22, s24, s22
	s_addc_u32 s24, 0, s25
	s_mul_hi_u32 s25, s33, s22
	s_mul_i32 s24, s33, s24
	s_mul_i32 s22, s33, s22
	s_add_i32 s25, s25, s24
	s_sub_u32 s22, s6, s22
	s_cselect_b32 s24, -1, 0
	s_cmp_lg_u32 s24, 0
	s_subb_u32 s24, s23, s25
	s_sub_u32 s25, s22, s33
	s_cselect_b32 s46, -1, 0
	s_cmp_lg_u32 s46, 0
	s_subb_u32 s46, s24, 0
	;; [unrolled: 4-line block ×3, first 2 shown]
	s_cmp_ge_u32 s25, s33
	s_cselect_b32 s49, -1, 0
	s_cmp_eq_u32 s46, 0
	s_cselect_b32 s49, s49, -1
	s_cmp_lg_u32 s49, 0
	s_cselect_b32 s46, s48, s46
	s_cselect_b32 s47, s47, s25
	s_cmp_ge_u32 s22, s33
	s_cselect_b32 s25, -1, 0
	s_cmp_eq_u32 s24, 0
	s_cselect_b32 s25, s25, -1
	s_cmp_lg_u32 s25, 0
	s_cselect_b32 s25, s46, s24
	s_cselect_b32 s24, s47, s22
	s_cbranch_execnz .LBB168_175
.LBB168_174:                            ;   in Loop: Header=BB168_6 Depth=1
	v_cvt_f32_u32_e32 v4, s33
	s_sub_i32 s24, 0, s33
	v_rcp_iflag_f32_e32 v4, v4
	v_mul_f32_e32 v4, 0x4f7ffffe, v4
	v_cvt_u32_f32_e32 v4, v4
	v_readfirstlane_b32 s22, v4
	s_mul_i32 s24, s24, s22
	s_mul_hi_u32 s24, s22, s24
	s_add_i32 s22, s22, s24
	s_mul_hi_u32 s22, s6, s22
	s_mul_i32 s22, s22, s33
	s_sub_i32 s22, s6, s22
	s_sub_i32 s24, s22, s33
	s_cmp_ge_u32 s22, s33
	s_cselect_b32 s22, s24, s22
	s_sub_i32 s24, s22, s33
	s_cmp_ge_u32 s22, s33
	s_cselect_b32 s52, s24, s22
	s_mov_b64 s[24:25], s[52:53]
.LBB168_175:                            ;   in Loop: Header=BB168_6 Depth=1
	s_sub_u32 s22, s6, s24
	s_subb_u32 s23, s23, s25
	s_mov_b32 s6, 0
	s_mov_b32 s24, 0
	s_mov_b32 s25, exec_lo
                                        ; implicit-def: $vgpr8
	v_cmpx_gt_u64_e64 s[22:23], v[0:1]
	s_cbranch_execz .LBB168_186
; %bb.176:                              ;   in Loop: Header=BB168_6 Depth=1
	v_mov_b32_e32 v5, v1
	v_mov_b32_e32 v8, v32
	;; [unrolled: 1-line block ×3, first 2 shown]
                                        ; implicit-def: $sgpr48
	s_inst_prefetch 0x1
	s_branch .LBB168_179
	.p2align	6
.LBB168_177:                            ;   in Loop: Header=BB168_179 Depth=2
	s_or_b32 exec_lo, exec_lo, s49
	s_waitcnt lgkmcnt(0)
	s_barrier
	buffer_gl0_inv
	ds_read_b32 v9, v3 offset:3072
	s_mov_b32 s46, -1
	s_waitcnt lgkmcnt(0)
	s_barrier
	buffer_gl0_inv
	v_cmp_ne_u32_sdwa s47, v9, v3 src0_sel:WORD_0 src1_sel:DWORD
	s_and_b32 vcc_lo, exec_lo, s47
	s_mov_b32 s47, -1
	s_cbranch_vccz .LBB168_182
.LBB168_178:                            ;   in Loop: Header=BB168_179 Depth=2
	s_and_b32 s7, exec_lo, s46
	s_or_b32 s24, s7, s24
	s_andn2_b32 s7, s48, exec_lo
	s_and_b32 s8, s47, exec_lo
	s_or_b32 s48, s7, s8
	s_andn2_b32 exec_lo, exec_lo, s24
	s_cbranch_execz .LBB168_185
.LBB168_179:                            ;   Parent Loop BB168_6 Depth=1
                                        ; =>  This Inner Loop Header: Depth=2
	s_mov_b32 s49, exec_lo
	v_cmpx_gt_u64_e64 s[20:21], v[4:5]
	s_cbranch_execz .LBB168_177
; %bb.180:                              ;   in Loop: Header=BB168_179 Depth=2
	ds_read_u16 v9, v8
	s_waitcnt lgkmcnt(0)
	v_add_nc_u32_sdwa v28, sext(v9), v39 dst_sel:DWORD dst_unused:UNUSED_PAD src0_sel:WORD_0 src1_sel:DWORD
	v_and_b32_e32 v28, v28, v11
	v_cmp_eq_u32_e32 vcc_lo, v28, v10
	s_and_b32 exec_lo, exec_lo, vcc_lo
	s_cbranch_execz .LBB168_177
; %bb.181:                              ;   in Loop: Header=BB168_179 Depth=2
	v_perm_b32 v9, v9, 1, 0x5040100
	ds_write_b32 v3, v9 offset:3072
	s_branch .LBB168_177
.LBB168_182:                            ;   in Loop: Header=BB168_179 Depth=2
	v_add_co_u32 v4, vcc_lo, v4, s33
	v_add_co_ci_u32_e64 v5, null, 0, v5, vcc_lo
	v_add_nc_u32_e32 v8, s90, v8
	s_mov_b32 s47, 0
	v_cmp_le_u64_e32 vcc_lo, s[22:23], v[4:5]
	s_orn2_b32 s46, vcc_lo, exec_lo
	s_branch .LBB168_178
.LBB168_183:                            ;   in Loop: Header=BB168_6 Depth=1
                                        ; implicit-def: $sgpr24_sgpr25
	s_branch .LBB168_129
.LBB168_184:                            ;   in Loop: Header=BB168_6 Depth=1
                                        ; implicit-def: $sgpr20_sgpr21
	s_branch .LBB168_145
.LBB168_185:                            ;   in Loop: Header=BB168_6 Depth=1
	s_inst_prefetch 0x2
	s_or_b32 exec_lo, exec_lo, s24
	v_lshrrev_b32_e32 v8, 16, v9
	s_and_b32 s24, s48, exec_lo
.LBB168_186:                            ;   in Loop: Header=BB168_6 Depth=1
	s_or_b32 exec_lo, exec_lo, s25
.LBB168_187:                            ;   in Loop: Header=BB168_6 Depth=1
	s_and_b32 vcc_lo, exec_lo, s6
	s_cbranch_vccz .LBB168_201
; %bb.188:                              ;   in Loop: Header=BB168_6 Depth=1
	s_mov_b32 s56, s53
	s_cmp_lg_u64 s[56:57], 0
	s_cbranch_scc0 .LBB168_220
; %bb.189:                              ;   in Loop: Header=BB168_6 Depth=1
	v_cvt_f32_u32_e32 v4, s33
	s_sub_u32 s21, 0, s33
	s_subb_u32 s22, 0, 0
	v_fmac_f32_e64 v4, 0x4f800000, 0
	v_rcp_f32_e32 v4, v4
	v_mul_f32_e32 v4, 0x5f7ffffc, v4
	v_mul_f32_e32 v5, 0x2f800000, v4
	v_trunc_f32_e32 v5, v5
	v_fmac_f32_e32 v4, 0xcf800000, v5
	v_cvt_u32_f32_e32 v5, v5
	v_cvt_u32_f32_e32 v4, v4
	v_readfirstlane_b32 s6, v5
	v_readfirstlane_b32 s20, v4
	s_mul_i32 s23, s21, s6
	s_mul_hi_u32 s46, s21, s20
	s_mul_i32 s25, s22, s20
	s_add_i32 s23, s46, s23
	s_mul_i32 s47, s21, s20
	s_add_i32 s23, s23, s25
	s_mul_hi_u32 s46, s20, s47
	s_mul_i32 s49, s20, s23
	s_mul_hi_u32 s48, s6, s47
	s_mul_i32 s25, s6, s47
	s_mul_hi_u32 s47, s20, s23
	s_add_u32 s46, s46, s49
	s_addc_u32 s47, 0, s47
	s_mul_hi_u32 s52, s6, s23
	s_add_u32 s25, s46, s25
	s_mul_i32 s23, s6, s23
	s_addc_u32 s25, s47, s48
	s_addc_u32 s46, s52, 0
	s_add_u32 s23, s25, s23
	s_addc_u32 s25, 0, s46
	s_add_u32 s20, s20, s23
	s_cselect_b32 s23, -1, 0
	s_mul_hi_u32 s46, s21, s20
	s_cmp_lg_u32 s23, 0
	s_mul_i32 s23, s21, s20
	s_addc_u32 s6, s6, s25
	s_mul_i32 s22, s22, s20
	s_mul_i32 s21, s21, s6
	s_mul_hi_u32 s25, s20, s23
	s_add_i32 s21, s46, s21
	s_mul_hi_u32 s46, s6, s23
	s_add_i32 s21, s21, s22
	s_mul_i32 s22, s6, s23
	s_mul_i32 s48, s20, s21
	s_mul_hi_u32 s47, s20, s21
	s_add_u32 s25, s25, s48
	s_addc_u32 s47, 0, s47
	s_mul_hi_u32 s23, s6, s21
	s_add_u32 s22, s25, s22
	s_mul_i32 s21, s6, s21
	s_addc_u32 s22, s47, s46
	s_addc_u32 s23, s23, 0
	s_add_u32 s21, s22, s21
	s_addc_u32 s22, 0, s23
	s_add_u32 s20, s20, s21
	s_cselect_b32 s21, -1, 0
	s_mul_hi_u32 s23, s84, s20
	s_cmp_lg_u32 s21, 0
	s_mul_hi_u32 s21, s57, s20
	s_addc_u32 s6, s6, s22
	s_mul_i32 s20, s57, s20
	s_mul_i32 s25, s84, s6
	s_mul_hi_u32 s22, s84, s6
	s_add_u32 s23, s23, s25
	s_addc_u32 s22, 0, s22
	s_mul_hi_u32 s46, s57, s6
	s_add_u32 s20, s23, s20
	s_mul_i32 s6, s57, s6
	s_addc_u32 s20, s22, s21
	s_addc_u32 s21, s46, 0
	s_add_u32 s6, s20, s6
	s_addc_u32 s20, 0, s21
	s_mul_hi_u32 s21, s33, s6
	s_mul_i32 s20, s33, s20
	s_mul_i32 s6, s33, s6
	s_add_i32 s21, s21, s20
	s_sub_u32 s6, s84, s6
	s_cselect_b32 s20, -1, 0
	s_cmp_lg_u32 s20, 0
	s_subb_u32 s20, s57, s21
	s_sub_u32 s21, s6, s33
	s_cselect_b32 s22, -1, 0
	s_cmp_lg_u32 s22, 0
	s_subb_u32 s22, s20, 0
	;; [unrolled: 4-line block ×3, first 2 shown]
	s_cmp_ge_u32 s21, s33
	s_cselect_b32 s46, -1, 0
	s_cmp_eq_u32 s22, 0
	s_cselect_b32 s46, s46, -1
	s_cmp_lg_u32 s46, 0
	s_cselect_b32 s22, s25, s22
	s_cselect_b32 s23, s23, s21
	s_cmp_ge_u32 s6, s33
	s_cselect_b32 s21, -1, 0
	s_cmp_eq_u32 s20, 0
	s_cselect_b32 s21, s21, -1
	s_cmp_lg_u32 s21, 0
	s_cselect_b32 s21, s22, s20
	s_cselect_b32 s20, s23, s6
	s_cbranch_execnz .LBB168_191
.LBB168_190:                            ;   in Loop: Header=BB168_6 Depth=1
	v_cvt_f32_u32_e32 v4, s33
	s_sub_i32 s20, 0, s33
	v_rcp_iflag_f32_e32 v4, v4
	v_mul_f32_e32 v4, 0x4f7ffffe, v4
	v_cvt_u32_f32_e32 v4, v4
	v_readfirstlane_b32 s6, v4
	s_mul_i32 s20, s20, s6
	s_mul_hi_u32 s20, s6, s20
	s_add_i32 s6, s6, s20
	s_mul_hi_u32 s6, s84, s6
	s_mul_i32 s6, s6, s33
	s_sub_i32 s6, s84, s6
	s_sub_i32 s20, s6, s33
	s_cmp_ge_u32 s6, s33
	s_cselect_b32 s6, s20, s6
	s_sub_i32 s20, s6, s33
	s_cmp_ge_u32 s6, s33
	s_cselect_b32 s52, s20, s6
	s_mov_b64 s[20:21], s[52:53]
.LBB168_191:                            ;   in Loop: Header=BB168_6 Depth=1
	s_sub_u32 s20, s84, s20
	s_subb_u32 s21, s57, s21
	s_mov_b32 s22, exec_lo
                                        ; implicit-def: $vgpr8
	v_cmpx_gt_u64_e64 s[20:21], v[0:1]
	s_cbranch_execz .LBB168_200
; %bb.192:                              ;   in Loop: Header=BB168_6 Depth=1
	v_mov_b32_e32 v4, v12
	v_mov_b32_e32 v9, v1
	;; [unrolled: 1-line block ×4, first 2 shown]
	s_mov_b32 s23, 0
                                        ; implicit-def: $sgpr25
	s_inst_prefetch 0x1
	s_branch .LBB168_195
	.p2align	6
.LBB168_193:                            ;   in Loop: Header=BB168_195 Depth=2
	s_or_b32 exec_lo, exec_lo, s6
	s_waitcnt lgkmcnt(0)
	s_barrier
	buffer_gl0_inv
	ds_read_b32 v28, v3 offset:3072
	s_mov_b32 s6, -1
	s_waitcnt lgkmcnt(0)
	s_barrier
	buffer_gl0_inv
	v_cmp_eq_u32_sdwa s46, v28, v3 src0_sel:WORD_0 src1_sel:DWORD
	s_and_b32 vcc_lo, exec_lo, s46
	s_mov_b32 s46, -1
	s_cbranch_vccnz .LBB168_198
.LBB168_194:                            ;   in Loop: Header=BB168_195 Depth=2
	s_and_b32 s6, exec_lo, s6
	s_or_b32 s23, s6, s23
	s_andn2_b32 s6, s25, exec_lo
	s_and_b32 s7, s46, exec_lo
	s_or_b32 s25, s6, s7
	s_andn2_b32 exec_lo, exec_lo, s23
	s_cbranch_execz .LBB168_199
.LBB168_195:                            ;   Parent Loop BB168_6 Depth=1
                                        ; =>  This Inner Loop Header: Depth=2
	s_mov_b32 s6, exec_lo
	v_cmpx_gt_u64_e64 s[28:29], v[8:9]
	s_cbranch_execz .LBB168_193
; %bb.196:                              ;   in Loop: Header=BB168_195 Depth=2
	global_load_ushort v28, v[4:5], off
	s_waitcnt vmcnt(0)
	v_add_nc_u32_sdwa v29, sext(v28), v39 dst_sel:DWORD dst_unused:UNUSED_PAD src0_sel:WORD_0 src1_sel:DWORD
	v_and_b32_e32 v29, v29, v11
	v_cmp_eq_u32_e32 vcc_lo, v29, v10
	s_and_b32 exec_lo, exec_lo, vcc_lo
	s_cbranch_execz .LBB168_193
; %bb.197:                              ;   in Loop: Header=BB168_195 Depth=2
	v_perm_b32 v28, v28, 1, 0x5040100
	ds_write_b32 v3, v28 offset:3072
	s_branch .LBB168_193
.LBB168_198:                            ;   in Loop: Header=BB168_195 Depth=2
	v_add_co_u32 v8, vcc_lo, v8, s33
	v_add_co_ci_u32_e64 v9, null, 0, v9, vcc_lo
	v_add_co_u32 v4, s6, v4, s34
	v_add_co_ci_u32_e64 v5, null, s35, v5, s6
	v_cmp_le_u64_e32 vcc_lo, s[20:21], v[8:9]
	s_mov_b32 s46, 0
	s_orn2_b32 s6, vcc_lo, exec_lo
	s_branch .LBB168_194
.LBB168_199:                            ;   in Loop: Header=BB168_6 Depth=1
	s_inst_prefetch 0x2
	s_or_b32 exec_lo, exec_lo, s23
	v_lshrrev_b32_e32 v8, 16, v28
	s_andn2_b32 s6, s24, exec_lo
	s_and_b32 s7, s25, exec_lo
	s_or_b32 s24, s6, s7
.LBB168_200:                            ;   in Loop: Header=BB168_6 Depth=1
	s_or_b32 exec_lo, exec_lo, s22
	s_mov_b32 s73, 0
	s_mov_b32 s74, -1
.LBB168_201:                            ;   in Loop: Header=BB168_6 Depth=1
	s_orn2_b32 s6, s24, exec_lo
.LBB168_202:                            ;   in Loop: Header=BB168_6 Depth=1
	s_or_b32 exec_lo, exec_lo, s75
	s_mov_b32 s20, 0
	s_and_saveexec_b32 s75, s6
	s_cbranch_execz .LBB168_264
; %bb.203:                              ;   in Loop: Header=BB168_6 Depth=1
	v_mov_b32_e32 v4, 1
	v_mov_b32_e32 v5, 0
	v_mov_b32_e32 v2, 1
	s_xor_b32 s20, s76, -1
	s_mov_b32 s21, 0
	s_and_saveexec_b32 s6, s20
	s_cbranch_execz .LBB168_212
; %bb.204:                              ;   in Loop: Header=BB168_6 Depth=1
	s_mov_b32 s20, exec_lo
	v_cmpx_ge_u64_e64 s[16:17], v[6:7]
	s_xor_b32 s20, exec_lo, s20
	s_cbranch_execz .LBB168_209
; %bb.205:                              ;   in Loop: Header=BB168_6 Depth=1
	ds_read_b64 v[4:5], v3 offset:5120
	s_lshl_b32 s21, 2, s97
	v_or_b32_e32 v11, s11, v11
	v_and_or_b32 v10, v10, s26, s21
	s_waitcnt lgkmcnt(0)
	v_cmp_ne_u64_e32 vcc_lo, 0, v[4:5]
	s_cbranch_vccnz .LBB168_209
; %bb.206:                              ;   in Loop: Header=BB168_6 Depth=1
	s_and_saveexec_b32 s21, s3
; %bb.207:                              ;   in Loop: Header=BB168_6 Depth=1
	v_mov_b32_e32 v4, s16
	v_mov_b32_e32 v5, s17
	ds_write_b64 v3, v[4:5] offset:5128
; %bb.208:                              ;   in Loop: Header=BB168_6 Depth=1
	s_or_b32 exec_lo, exec_lo, s21
	s_waitcnt lgkmcnt(0)
	s_barrier
	buffer_gl0_inv
.LBB168_209:                            ;   in Loop: Header=BB168_6 Depth=1
	s_or_saveexec_b32 s20, s20
	v_mov_b32_e32 v2, 8
	s_mov_b32 s21, 0
	s_xor_b32 exec_lo, exec_lo, s20
; %bb.210:                              ;   in Loop: Header=BB168_6 Depth=1
	v_sub_co_u32 v6, vcc_lo, v6, s16
	v_subrev_co_ci_u32_e64 v7, null, s17, v7, vcc_lo
	v_mov_b32_e32 v2, 0
	s_mov_b32 s21, exec_lo
; %bb.211:                              ;   in Loop: Header=BB168_6 Depth=1
	s_or_b32 exec_lo, exec_lo, s20
	v_mov_b32_e32 v4, v6
	v_mov_b32_e32 v5, v7
	s_and_b32 s21, s21, exec_lo
.LBB168_212:                            ;   in Loop: Header=BB168_6 Depth=1
	s_or_b32 exec_lo, exec_lo, s6
	s_mov_b32 s20, -1
                                        ; implicit-def: $sgpr49
                                        ; implicit-def: $sgpr6
	s_and_saveexec_b32 s76, s21
	s_cbranch_execz .LBB168_263
; %bb.213:                              ;   in Loop: Header=BB168_6 Depth=1
	v_cmp_eq_u64_e32 vcc_lo, 1, v[4:5]
	s_cmp_eq_u64 s[18:19], 1
	s_mov_b32 s21, -1
	s_cselect_b32 s6, -1, 0
                                        ; implicit-def: $sgpr49
	s_and_b32 s77, s6, vcc_lo
                                        ; implicit-def: $sgpr6
	s_and_saveexec_b32 s48, s77
	s_cbranch_execz .LBB168_251
; %bb.214:                              ;   in Loop: Header=BB168_6 Depth=1
	ds_read_b64 v[6:7], v3 offset:5120
	s_waitcnt lgkmcnt(0)
	s_barrier
	buffer_gl0_inv
	v_readfirstlane_b32 s20, v6
	v_readfirstlane_b32 s21, v7
	s_and_saveexec_b32 s6, s10
; %bb.215:                              ;   in Loop: Header=BB168_6 Depth=1
	ds_write_b16 v33, v3
; %bb.216:                              ;   in Loop: Header=BB168_6 Depth=1
	s_or_b32 exec_lo, exec_lo, s6
	v_or_b32_e32 v10, s11, v10
	v_or_b32_e32 v11, s11, v11
	s_mov_b32 s6, -1
	s_mov_b32 s49, 0
	s_cmp_eq_u64 s[20:21], 0
	s_mov_b32 s24, 0
	s_mov_b32 s25, -1
	s_waitcnt lgkmcnt(0)
	s_barrier
	buffer_gl0_inv
                                        ; implicit-def: $vgpr8
	s_cbranch_scc1 .LBB168_234
; %bb.217:                              ;   in Loop: Header=BB168_6 Depth=1
	s_add_u32 s56, s20, s82
	s_addc_u32 s23, s21, s83
	s_mov_b32 s22, s53
	s_cmp_lg_u64 s[22:23], 0
	s_cbranch_scc0 .LBB168_221
; %bb.218:                              ;   in Loop: Header=BB168_6 Depth=1
	v_cvt_f32_u32_e32 v6, s33
	s_sub_u32 s25, 0, s33
	s_subb_u32 s46, 0, 0
	v_fmac_f32_e64 v6, 0x4f800000, 0
	v_rcp_f32_e32 v6, v6
	v_mul_f32_e32 v6, 0x5f7ffffc, v6
	v_mul_f32_e32 v7, 0x2f800000, v6
	v_trunc_f32_e32 v7, v7
	v_fmac_f32_e32 v6, 0xcf800000, v7
	v_cvt_u32_f32_e32 v7, v7
	v_cvt_u32_f32_e32 v6, v6
	v_readfirstlane_b32 s22, v7
	v_readfirstlane_b32 s24, v6
	s_mul_i32 s47, s25, s22
	s_mul_hi_u32 vcc_lo, s25, s24
	s_mul_i32 s52, s46, s24
	s_add_i32 s47, vcc_lo, s47
	s_mul_i32 s50, s25, s24
	s_add_i32 s47, s47, s52
	s_mul_hi_u32 s51, s24, s50
	s_mul_i32 s8, s24, s47
	s_mul_hi_u32 s52, s24, s47
	s_mul_hi_u32 vcc_lo, s22, s50
	s_mul_i32 s50, s22, s50
	s_add_u32 s8, s51, s8
	s_addc_u32 s51, 0, s52
	s_mul_hi_u32 s7, s22, s47
	s_add_u32 s8, s8, s50
	s_mul_i32 s47, s22, s47
	s_addc_u32 s8, s51, vcc_lo
	s_addc_u32 s7, s7, 0
	s_add_u32 s8, s8, s47
	s_addc_u32 s7, 0, s7
	s_add_u32 s8, s24, s8
	s_cselect_b32 s24, -1, 0
	s_mul_hi_u32 s47, s25, s8
	s_cmp_lg_u32 s24, 0
	s_mul_i32 s46, s46, s8
	s_addc_u32 s7, s22, s7
	s_mul_i32 s22, s25, s8
	s_mul_i32 s25, s25, s7
	s_mul_hi_u32 s24, s8, s22
	s_add_i32 s25, s47, s25
	s_mul_hi_u32 s47, s7, s22
	s_add_i32 s25, s25, s46
	s_mul_i32 s22, s7, s22
	s_mul_i32 s51, s8, s25
	s_mul_hi_u32 s50, s8, s25
	s_add_u32 s24, s24, s51
	s_addc_u32 s50, 0, s50
	s_mul_hi_u32 s46, s7, s25
	s_add_u32 s22, s24, s22
	s_mul_i32 s25, s7, s25
	s_addc_u32 s22, s50, s47
	s_addc_u32 s24, s46, 0
	s_add_u32 s22, s22, s25
	s_addc_u32 s24, 0, s24
	s_add_u32 s8, s8, s22
	s_cselect_b32 s22, -1, 0
	s_mul_hi_u32 s25, s56, s8
	s_cmp_lg_u32 s22, 0
	s_mul_hi_u32 s22, s23, s8
	s_addc_u32 s7, s7, s24
	s_mul_i32 s8, s23, s8
	s_mul_i32 s46, s56, s7
	s_mul_hi_u32 s24, s56, s7
	s_add_u32 s25, s25, s46
	s_addc_u32 s24, 0, s24
	s_mul_hi_u32 s47, s23, s7
	s_add_u32 s8, s25, s8
	s_mul_i32 s7, s23, s7
	s_addc_u32 s8, s24, s22
	s_addc_u32 s22, s47, 0
	s_add_u32 s7, s8, s7
	s_addc_u32 s8, 0, s22
	s_mul_hi_u32 s22, s33, s7
	s_mul_i32 s8, s33, s8
	s_mul_i32 s7, s33, s7
	s_add_i32 s22, s22, s8
	s_sub_u32 s7, s56, s7
	s_cselect_b32 s8, -1, 0
	s_cmp_lg_u32 s8, 0
	s_subb_u32 s8, s23, s22
	s_sub_u32 s22, s7, s33
	s_cselect_b32 s24, -1, 0
	s_cmp_lg_u32 s24, 0
	s_subb_u32 s24, s8, 0
	;; [unrolled: 4-line block ×3, first 2 shown]
	s_cmp_ge_u32 s22, s33
	s_cselect_b32 s47, -1, 0
	s_cmp_eq_u32 s24, 0
	s_cselect_b32 s47, s47, -1
	s_cmp_lg_u32 s47, 0
	s_cselect_b32 s24, s46, s24
	s_cselect_b32 s22, s25, s22
	s_cmp_ge_u32 s7, s33
	s_cselect_b32 s25, -1, 0
	s_cmp_eq_u32 s8, 0
	s_cselect_b32 s25, s25, -1
	s_cmp_lg_u32 s25, 0
	s_cselect_b32 s25, s24, s8
	s_cselect_b32 s24, s22, s7
	s_mov_b32 s22, 0
	s_branch .LBB168_222
.LBB168_219:                            ;   in Loop: Header=BB168_6 Depth=1
                                        ; implicit-def: $sgpr24_sgpr25
	s_branch .LBB168_174
.LBB168_220:                            ;   in Loop: Header=BB168_6 Depth=1
                                        ; implicit-def: $sgpr20_sgpr21
	s_branch .LBB168_190
.LBB168_221:                            ;   in Loop: Header=BB168_6 Depth=1
	s_mov_b32 s22, -1
                                        ; implicit-def: $sgpr24_sgpr25
.LBB168_222:                            ;   in Loop: Header=BB168_6 Depth=1
	s_andn2_b32 vcc_lo, exec_lo, s22
	s_cbranch_vccnz .LBB168_224
; %bb.223:                              ;   in Loop: Header=BB168_6 Depth=1
	v_cvt_f32_u32_e32 v6, s33
	s_sub_i32 s24, 0, s33
	v_rcp_iflag_f32_e32 v6, v6
	v_mul_f32_e32 v6, 0x4f7ffffe, v6
	v_cvt_u32_f32_e32 v6, v6
	v_readfirstlane_b32 s22, v6
	s_mul_i32 s24, s24, s22
	s_mul_hi_u32 s24, s22, s24
	s_add_i32 s22, s22, s24
	s_mul_hi_u32 s22, s56, s22
	s_mul_i32 s22, s22, s33
	s_sub_i32 s22, s56, s22
	s_sub_i32 s24, s22, s33
	s_cmp_ge_u32 s22, s33
	s_cselect_b32 s22, s24, s22
	s_sub_i32 s24, s22, s33
	s_cmp_ge_u32 s22, s33
	s_cselect_b32 s52, s24, s22
	s_mov_b64 s[24:25], s[52:53]
.LBB168_224:                            ;   in Loop: Header=BB168_6 Depth=1
	s_sub_u32 s22, s56, s24
	s_subb_u32 s23, s23, s25
	s_mov_b32 s25, 0
	s_mov_b32 s24, 0
	s_mov_b32 s52, exec_lo
                                        ; implicit-def: $vgpr8
	v_cmpx_gt_u64_e64 s[22:23], v[0:1]
	s_cbranch_execz .LBB168_233
; %bb.225:                              ;   in Loop: Header=BB168_6 Depth=1
	v_mov_b32_e32 v7, v1
	v_mov_b32_e32 v8, v32
	;; [unrolled: 1-line block ×3, first 2 shown]
                                        ; implicit-def: $sgpr56
	s_inst_prefetch 0x1
	s_branch .LBB168_228
	.p2align	6
.LBB168_226:                            ;   in Loop: Header=BB168_228 Depth=2
	s_or_b32 exec_lo, exec_lo, s46
	s_waitcnt lgkmcnt(0)
	s_barrier
	buffer_gl0_inv
	ds_read_b32 v9, v3 offset:3072
	s_mov_b32 s46, -1
	s_mov_b32 s47, -1
	s_waitcnt lgkmcnt(0)
	s_barrier
	buffer_gl0_inv
	v_cmp_ne_u32_sdwa s7, v9, v3 src0_sel:WORD_0 src1_sel:DWORD
	s_and_b32 vcc_lo, exec_lo, s7
	s_cbranch_vccz .LBB168_231
.LBB168_227:                            ;   in Loop: Header=BB168_228 Depth=2
	s_and_b32 s7, exec_lo, s46
	s_or_b32 s24, s7, s24
	s_andn2_b32 s7, s56, exec_lo
	s_and_b32 s8, s47, exec_lo
	s_or_b32 s56, s7, s8
	s_andn2_b32 exec_lo, exec_lo, s24
	s_cbranch_execz .LBB168_232
.LBB168_228:                            ;   Parent Loop BB168_6 Depth=1
                                        ; =>  This Inner Loop Header: Depth=2
	s_mov_b32 s46, exec_lo
	v_cmpx_gt_u64_e64 s[20:21], v[6:7]
	s_cbranch_execz .LBB168_226
; %bb.229:                              ;   in Loop: Header=BB168_228 Depth=2
	ds_read_u16 v9, v8
	s_waitcnt lgkmcnt(0)
	v_add_nc_u32_sdwa v28, sext(v9), v39 dst_sel:DWORD dst_unused:UNUSED_PAD src0_sel:WORD_0 src1_sel:DWORD
	v_and_b32_e32 v28, v28, v11
	v_cmp_eq_u32_e32 vcc_lo, v28, v10
	s_and_b32 exec_lo, exec_lo, vcc_lo
	s_cbranch_execz .LBB168_226
; %bb.230:                              ;   in Loop: Header=BB168_228 Depth=2
	v_perm_b32 v9, v9, 1, 0x5040100
	ds_write_b32 v3, v9 offset:3072
	s_branch .LBB168_226
.LBB168_231:                            ;   in Loop: Header=BB168_228 Depth=2
	v_add_co_u32 v6, vcc_lo, v6, s33
	v_add_co_ci_u32_e64 v7, null, 0, v7, vcc_lo
	v_add_nc_u32_e32 v8, s90, v8
	s_mov_b32 s47, 0
	v_cmp_le_u64_e32 vcc_lo, s[22:23], v[6:7]
	s_orn2_b32 s46, vcc_lo, exec_lo
	s_branch .LBB168_227
.LBB168_232:                            ;   in Loop: Header=BB168_6 Depth=1
	s_inst_prefetch 0x2
	s_or_b32 exec_lo, exec_lo, s24
	v_lshrrev_b32_e32 v8, 16, v9
	s_and_b32 s24, s56, exec_lo
.LBB168_233:                            ;   in Loop: Header=BB168_6 Depth=1
	s_or_b32 exec_lo, exec_lo, s52
.LBB168_234:                            ;   in Loop: Header=BB168_6 Depth=1
	s_and_b32 vcc_lo, exec_lo, s25
	s_cbranch_vccz .LBB168_250
; %bb.235:                              ;   in Loop: Header=BB168_6 Depth=1
	s_mov_b32 s56, s53
	s_cmp_lg_u64 s[56:57], 0
	s_cbranch_scc0 .LBB168_237
; %bb.236:                              ;   in Loop: Header=BB168_6 Depth=1
	v_cvt_f32_u32_e32 v6, s33
	s_sub_u32 s8, 0, s33
	s_subb_u32 s20, 0, 0
	v_fmac_f32_e64 v6, 0x4f800000, 0
	v_rcp_f32_e32 v6, v6
	v_mul_f32_e32 v6, 0x5f7ffffc, v6
	v_mul_f32_e32 v7, 0x2f800000, v6
	v_trunc_f32_e32 v7, v7
	v_fmac_f32_e32 v6, 0xcf800000, v7
	v_cvt_u32_f32_e32 v7, v7
	v_cvt_u32_f32_e32 v6, v6
	v_readfirstlane_b32 s6, v7
	v_readfirstlane_b32 s7, v6
	s_mul_i32 s21, s8, s6
	s_mul_hi_u32 s23, s8, s7
	s_mul_i32 s22, s20, s7
	s_add_i32 s21, s23, s21
	s_mul_i32 s25, s8, s7
	s_add_i32 s21, s21, s22
	s_mul_hi_u32 s23, s7, s25
	s_mul_i32 s47, s7, s21
	s_mul_hi_u32 s46, s6, s25
	s_mul_i32 s22, s6, s25
	s_mul_hi_u32 s25, s7, s21
	s_add_u32 s23, s23, s47
	s_addc_u32 s25, 0, s25
	s_mul_hi_u32 s49, s6, s21
	s_add_u32 s22, s23, s22
	s_mul_i32 s21, s6, s21
	s_addc_u32 s22, s25, s46
	s_addc_u32 s23, s49, 0
	s_add_u32 s21, s22, s21
	s_addc_u32 s22, 0, s23
	s_add_u32 s7, s7, s21
	s_cselect_b32 s21, -1, 0
	s_mul_hi_u32 s23, s8, s7
	s_cmp_lg_u32 s21, 0
	s_mul_i32 s21, s8, s7
	s_addc_u32 s6, s6, s22
	s_mul_i32 s20, s20, s7
	s_mul_i32 s8, s8, s6
	s_mul_hi_u32 s22, s7, s21
	s_add_i32 s8, s23, s8
	s_mul_hi_u32 s23, s6, s21
	s_add_i32 s8, s8, s20
	s_mul_i32 s20, s6, s21
	s_mul_i32 s46, s7, s8
	s_mul_hi_u32 s25, s7, s8
	s_add_u32 s22, s22, s46
	s_addc_u32 s25, 0, s25
	s_mul_hi_u32 s21, s6, s8
	s_add_u32 s20, s22, s20
	s_mul_i32 s8, s6, s8
	s_addc_u32 s20, s25, s23
	s_addc_u32 s21, s21, 0
	s_add_u32 s8, s20, s8
	s_addc_u32 s20, 0, s21
	s_add_u32 s7, s7, s8
	s_cselect_b32 s8, -1, 0
	s_mul_hi_u32 s21, s84, s7
	s_cmp_lg_u32 s8, 0
	s_mul_hi_u32 s8, s57, s7
	s_addc_u32 s6, s6, s20
	s_mul_i32 s7, s57, s7
	s_mul_i32 s22, s84, s6
	s_mul_hi_u32 s20, s84, s6
	s_add_u32 s21, s21, s22
	s_addc_u32 s20, 0, s20
	s_mul_hi_u32 s23, s57, s6
	s_add_u32 s7, s21, s7
	s_mul_i32 s6, s57, s6
	s_addc_u32 s7, s20, s8
	s_addc_u32 s8, s23, 0
	s_add_u32 s6, s7, s6
	s_addc_u32 s7, 0, s8
	s_mul_hi_u32 s8, s33, s6
	s_mul_i32 s7, s33, s7
	s_mul_i32 s6, s33, s6
	s_add_i32 s8, s8, s7
	s_sub_u32 s6, s84, s6
	s_cselect_b32 s7, -1, 0
	s_cmp_lg_u32 s7, 0
	s_subb_u32 s7, s57, s8
	s_sub_u32 s8, s6, s33
	s_cselect_b32 s20, -1, 0
	s_cmp_lg_u32 s20, 0
	s_subb_u32 s20, s7, 0
	;; [unrolled: 4-line block ×3, first 2 shown]
	s_cmp_ge_u32 s8, s33
	s_cselect_b32 s23, -1, 0
	s_cmp_eq_u32 s20, 0
	s_cselect_b32 s23, s23, -1
	s_cmp_lg_u32 s23, 0
	s_cselect_b32 s20, s22, s20
	s_cselect_b32 s8, s21, s8
	s_cmp_ge_u32 s6, s33
	s_cselect_b32 s21, -1, 0
	s_cmp_eq_u32 s7, 0
	s_cselect_b32 s21, s21, -1
	s_cmp_lg_u32 s21, 0
	s_cselect_b32 s21, s20, s7
	s_cselect_b32 s20, s8, s6
	s_mov_b32 s6, 0
	s_branch .LBB168_238
.LBB168_237:                            ;   in Loop: Header=BB168_6 Depth=1
	s_mov_b32 s6, -1
                                        ; implicit-def: $sgpr20_sgpr21
.LBB168_238:                            ;   in Loop: Header=BB168_6 Depth=1
	s_andn2_b32 vcc_lo, exec_lo, s6
	s_cbranch_vccnz .LBB168_240
; %bb.239:                              ;   in Loop: Header=BB168_6 Depth=1
	v_cvt_f32_u32_e32 v6, s33
	s_sub_i32 s7, 0, s33
	v_rcp_iflag_f32_e32 v6, v6
	v_mul_f32_e32 v6, 0x4f7ffffe, v6
	v_cvt_u32_f32_e32 v6, v6
	v_readfirstlane_b32 s6, v6
	s_mul_i32 s7, s7, s6
	s_mul_hi_u32 s7, s6, s7
	s_add_i32 s6, s6, s7
	s_mul_hi_u32 s6, s84, s6
	s_mul_i32 s6, s6, s33
	s_sub_i32 s6, s84, s6
	s_sub_i32 s7, s6, s33
	s_cmp_ge_u32 s6, s33
	s_cselect_b32 s6, s7, s6
	s_sub_i32 s7, s6, s33
	s_cmp_ge_u32 s6, s33
	s_cselect_b32 s52, s7, s6
	s_mov_b64 s[20:21], s[52:53]
.LBB168_240:                            ;   in Loop: Header=BB168_6 Depth=1
	s_sub_u32 s20, s84, s20
	s_subb_u32 s21, s57, s21
	s_mov_b32 s22, exec_lo
                                        ; implicit-def: $vgpr8
	v_cmpx_gt_u64_e64 s[20:21], v[0:1]
	s_cbranch_execz .LBB168_249
; %bb.241:                              ;   in Loop: Header=BB168_6 Depth=1
	v_mov_b32_e32 v6, v12
	v_mov_b32_e32 v9, v1
	v_mov_b32_e32 v7, v13
	v_mov_b32_e32 v8, v0
	s_mov_b32 s23, 0
                                        ; implicit-def: $sgpr25
	s_inst_prefetch 0x1
	s_branch .LBB168_244
	.p2align	6
.LBB168_242:                            ;   in Loop: Header=BB168_244 Depth=2
	s_or_b32 exec_lo, exec_lo, s6
	s_waitcnt lgkmcnt(0)
	s_barrier
	buffer_gl0_inv
	ds_read_b32 v28, v3 offset:3072
	s_mov_b32 s6, -1
	s_mov_b32 s46, -1
	s_waitcnt lgkmcnt(0)
	s_barrier
	buffer_gl0_inv
	v_cmp_eq_u32_sdwa s7, v28, v3 src0_sel:WORD_0 src1_sel:DWORD
	s_and_b32 vcc_lo, exec_lo, s7
	s_cbranch_vccnz .LBB168_247
.LBB168_243:                            ;   in Loop: Header=BB168_244 Depth=2
	s_and_b32 s6, exec_lo, s6
	s_or_b32 s23, s6, s23
	s_andn2_b32 s6, s25, exec_lo
	s_and_b32 s7, s46, exec_lo
	s_or_b32 s25, s6, s7
	s_andn2_b32 exec_lo, exec_lo, s23
	s_cbranch_execz .LBB168_248
.LBB168_244:                            ;   Parent Loop BB168_6 Depth=1
                                        ; =>  This Inner Loop Header: Depth=2
	s_mov_b32 s6, exec_lo
	v_cmpx_gt_u64_e64 s[28:29], v[8:9]
	s_cbranch_execz .LBB168_242
; %bb.245:                              ;   in Loop: Header=BB168_244 Depth=2
	global_load_ushort v28, v[6:7], off
	s_waitcnt vmcnt(0)
	v_add_nc_u32_sdwa v29, sext(v28), v39 dst_sel:DWORD dst_unused:UNUSED_PAD src0_sel:WORD_0 src1_sel:DWORD
	v_and_b32_e32 v29, v29, v11
	v_cmp_eq_u32_e32 vcc_lo, v29, v10
	s_and_b32 exec_lo, exec_lo, vcc_lo
	s_cbranch_execz .LBB168_242
; %bb.246:                              ;   in Loop: Header=BB168_244 Depth=2
	v_perm_b32 v28, v28, 1, 0x5040100
	ds_write_b32 v3, v28 offset:3072
	s_branch .LBB168_242
.LBB168_247:                            ;   in Loop: Header=BB168_244 Depth=2
	v_add_co_u32 v8, vcc_lo, v8, s33
	v_add_co_ci_u32_e64 v9, null, 0, v9, vcc_lo
	v_add_co_u32 v6, s6, v6, s34
	v_add_co_ci_u32_e64 v7, null, s35, v7, s6
	v_cmp_le_u64_e32 vcc_lo, s[20:21], v[8:9]
	s_mov_b32 s46, 0
	s_orn2_b32 s6, vcc_lo, exec_lo
	s_branch .LBB168_243
.LBB168_248:                            ;   in Loop: Header=BB168_6 Depth=1
	s_inst_prefetch 0x2
	s_or_b32 exec_lo, exec_lo, s23
	v_lshrrev_b32_e32 v8, 16, v28
	s_andn2_b32 s6, s24, exec_lo
	s_and_b32 s7, s25, exec_lo
	s_or_b32 s24, s6, s7
.LBB168_249:                            ;   in Loop: Header=BB168_6 Depth=1
	s_or_b32 exec_lo, exec_lo, s22
	s_mov_b32 s6, 0
	s_mov_b32 s49, -1
.LBB168_250:                            ;   in Loop: Header=BB168_6 Depth=1
	s_orn2_b32 s21, s24, exec_lo
.LBB168_251:                            ;   in Loop: Header=BB168_6 Depth=1
	s_or_b32 exec_lo, exec_lo, s48
	s_mov_b32 s22, 0
	s_and_saveexec_b32 s20, s21
	s_cbranch_execz .LBB168_262
; %bb.252:                              ;   in Loop: Header=BB168_6 Depth=1
	v_mov_b32_e32 v6, 1
	v_mov_b32_e32 v7, 0
	;; [unrolled: 1-line block ×3, first 2 shown]
	s_xor_b32 s7, s77, -1
	s_and_saveexec_b32 s21, s7
	s_cbranch_execz .LBB168_261
; %bb.253:                              ;   in Loop: Header=BB168_6 Depth=1
	s_mov_b32 s7, exec_lo
	v_cmpx_ge_u64_e64 s[18:19], v[4:5]
	s_xor_b32 s22, exec_lo, s7
	s_cbranch_execz .LBB168_258
; %bb.254:                              ;   in Loop: Header=BB168_6 Depth=1
	ds_read_b64 v[6:7], v3 offset:5120
	v_or_b32_e32 v10, s11, v10
	v_or_b32_e32 v11, s11, v11
	s_waitcnt lgkmcnt(0)
	v_cmp_ne_u64_e32 vcc_lo, 0, v[6:7]
	s_cbranch_vccnz .LBB168_258
; %bb.255:                              ;   in Loop: Header=BB168_6 Depth=1
	s_and_saveexec_b32 s23, s3
; %bb.256:                              ;   in Loop: Header=BB168_6 Depth=1
	v_mov_b32_e32 v6, s18
	v_mov_b32_e32 v7, s19
	ds_write_b64 v3, v[6:7] offset:5128
; %bb.257:                              ;   in Loop: Header=BB168_6 Depth=1
	s_or_b32 exec_lo, exec_lo, s23
	s_waitcnt lgkmcnt(0)
	s_barrier
	buffer_gl0_inv
.LBB168_258:                            ;   in Loop: Header=BB168_6 Depth=1
	s_andn2_saveexec_b32 s22, s22
; %bb.259:                              ;   in Loop: Header=BB168_6 Depth=1
	v_sub_co_u32 v4, vcc_lo, v4, s18
	v_subrev_co_ci_u32_e64 v5, null, s19, v5, vcc_lo
; %bb.260:                              ;   in Loop: Header=BB168_6 Depth=1
	s_or_b32 exec_lo, exec_lo, s22
	v_mov_b32_e32 v7, v5
	v_mov_b32_e32 v2, 8
	;; [unrolled: 1-line block ×3, first 2 shown]
.LBB168_261:                            ;   in Loop: Header=BB168_6 Depth=1
	s_or_b32 exec_lo, exec_lo, s21
	v_mov_b32_e32 v4, v6
	v_mov_b32_e32 v5, v7
	s_mov_b32 s22, exec_lo
.LBB168_262:                            ;   in Loop: Header=BB168_6 Depth=1
	s_or_b32 exec_lo, exec_lo, s20
	s_orn2_b32 s20, s22, exec_lo
.LBB168_263:                            ;   in Loop: Header=BB168_6 Depth=1
	s_or_b32 exec_lo, exec_lo, s76
	v_mov_b32_e32 v7, v5
	v_mov_b32_e32 v6, v4
	s_andn2_b32 s21, s74, exec_lo
	s_and_b32 s22, s49, exec_lo
	s_andn2_b32 s23, s73, exec_lo
	s_and_b32 s6, s6, exec_lo
	s_or_b32 s74, s21, s22
	s_or_b32 s73, s23, s6
	s_and_b32 s20, s20, exec_lo
.LBB168_264:                            ;   in Loop: Header=BB168_6 Depth=1
	s_or_b32 exec_lo, exec_lo, s75
	s_orn2_b32 s6, s20, exec_lo
.LBB168_265:                            ;   in Loop: Header=BB168_6 Depth=1
	s_or_b32 exec_lo, exec_lo, s72
	v_mov_b32_e32 v4, v6
	v_mov_b32_e32 v5, v7
	s_andn2_b32 s20, s70, exec_lo
	s_and_b32 s21, s74, exec_lo
	s_andn2_b32 s22, s65, exec_lo
	s_and_b32 s23, s73, exec_lo
	s_or_b32 s70, s20, s21
	s_or_b32 s65, s22, s23
	s_and_b32 s20, s6, exec_lo
.LBB168_266:                            ;   in Loop: Header=BB168_6 Depth=1
	s_or_b32 exec_lo, exec_lo, s71
	s_orn2_b32 s6, s20, exec_lo
.LBB168_267:                            ;   in Loop: Header=BB168_6 Depth=1
	s_or_b32 exec_lo, exec_lo, s64
	s_mov_b32 s20, 0
	s_mov_b32 s21, 0
	s_and_saveexec_b32 s22, s6
	s_xor_b32 s22, exec_lo, s22
; %bb.268:                              ;   in Loop: Header=BB168_6 Depth=1
	v_cmp_ne_u32_e32 vcc_lo, 8, v2
	v_cmp_eq_u32_e64 s6, 8, v2
	s_and_b32 s21, vcc_lo, exec_lo
	s_and_b32 s20, s6, exec_lo
; %bb.269:                              ;   in Loop: Header=BB168_6 Depth=1
	s_or_b32 exec_lo, exec_lo, s22
	s_andn2_b32 s6, s67, exec_lo
	s_and_b32 s22, s70, exec_lo
	s_andn2_b32 s23, s66, exec_lo
	s_and_b32 s24, s65, exec_lo
	s_or_b32 s67, s6, s22
	s_or_b32 s66, s23, s24
	s_and_b32 s64, s21, exec_lo
	s_and_b32 s65, s20, exec_lo
.LBB168_270:                            ;   in Loop: Header=BB168_6 Depth=1
	s_or_b32 exec_lo, exec_lo, s69
.LBB168_271:                            ;   in Loop: Header=BB168_6 Depth=1
	s_and_b32 vcc_lo, exec_lo, s68
	s_cbranch_vccz .LBB168_287
; %bb.272:                              ;   in Loop: Header=BB168_6 Depth=1
	s_cmp_eq_u64 s[18:19], 1
                                        ; implicit-def: $sgpr27
	s_cselect_b32 s6, -1, 0
	s_and_b32 s66, s6, s9
	s_mov_b32 s6, -1
                                        ; implicit-def: $sgpr9
	s_and_saveexec_b32 s67, s66
	s_cbranch_execz .LBB168_305
; %bb.273:                              ;   in Loop: Header=BB168_6 Depth=1
	ds_read_b64 v[4:5], v3 offset:5120
	s_waitcnt lgkmcnt(0)
	s_barrier
	buffer_gl0_inv
	v_readfirstlane_b32 s20, v4
	v_readfirstlane_b32 s21, v5
	s_and_saveexec_b32 s6, s10
; %bb.274:                              ;   in Loop: Header=BB168_6 Depth=1
	ds_write_b16 v33, v3
; %bb.275:                              ;   in Loop: Header=BB168_6 Depth=1
	s_or_b32 exec_lo, exec_lo, s6
	v_or_b32_e32 v20, s11, v20
	v_or_b32_e32 v40, s11, v40
	s_mov_b32 s27, -1
	s_mov_b32 s9, 0
	s_cmp_eq_u64 s[20:21], 0
	s_mov_b32 s24, 0
	s_mov_b32 s6, -1
	s_waitcnt lgkmcnt(0)
	s_barrier
	buffer_gl0_inv
                                        ; implicit-def: $vgpr41
	s_cbranch_scc1 .LBB168_290
; %bb.276:                              ;   in Loop: Header=BB168_6 Depth=1
	s_add_u32 s6, s20, s82
	s_addc_u32 s23, s21, s83
	s_mov_b32 s22, s53
	s_cmp_lg_u64 s[22:23], 0
	s_cbranch_scc0 .LBB168_331
; %bb.277:                              ;   in Loop: Header=BB168_6 Depth=1
	v_cvt_f32_u32_e32 v2, s33
	s_sub_u32 s25, 0, s33
	s_subb_u32 s46, 0, 0
	v_fmac_f32_e64 v2, 0x4f800000, 0
	v_rcp_f32_e32 v2, v2
	v_mul_f32_e32 v2, 0x5f7ffffc, v2
	v_mul_f32_e32 v4, 0x2f800000, v2
	v_trunc_f32_e32 v4, v4
	v_fmac_f32_e32 v2, 0xcf800000, v4
	v_cvt_u32_f32_e32 v4, v4
	v_cvt_u32_f32_e32 v2, v2
	v_readfirstlane_b32 s22, v4
	v_readfirstlane_b32 s24, v2
	s_mul_i32 s47, s25, s22
	s_mul_hi_u32 s49, s25, s24
	s_mul_i32 s48, s46, s24
	s_add_i32 s47, s49, s47
	s_mul_i32 s52, s25, s24
	s_add_i32 s47, s47, s48
	s_mul_hi_u32 s49, s24, s52
	s_mul_i32 s68, s24, s47
	s_mul_hi_u32 s56, s22, s52
	s_mul_i32 s48, s22, s52
	s_mul_hi_u32 s52, s24, s47
	s_add_u32 s49, s49, s68
	s_addc_u32 s52, 0, s52
	s_mul_hi_u32 s69, s22, s47
	s_add_u32 s48, s49, s48
	s_mul_i32 s47, s22, s47
	s_addc_u32 s48, s52, s56
	s_addc_u32 s49, s69, 0
	s_add_u32 s47, s48, s47
	s_addc_u32 s48, 0, s49
	s_add_u32 s24, s24, s47
	s_cselect_b32 s47, -1, 0
	s_mul_hi_u32 s49, s25, s24
	s_cmp_lg_u32 s47, 0
	s_mul_i32 s47, s25, s24
	s_addc_u32 s22, s22, s48
	s_mul_i32 s46, s46, s24
	s_mul_i32 s25, s25, s22
	s_mul_hi_u32 s48, s24, s47
	s_add_i32 s25, s49, s25
	s_mul_hi_u32 s49, s22, s47
	s_add_i32 s25, s25, s46
	s_mul_i32 s46, s22, s47
	s_mul_i32 s56, s24, s25
	s_mul_hi_u32 s52, s24, s25
	s_add_u32 s48, s48, s56
	s_addc_u32 s52, 0, s52
	s_mul_hi_u32 s47, s22, s25
	s_add_u32 s46, s48, s46
	s_mul_i32 s25, s22, s25
	s_addc_u32 s46, s52, s49
	s_addc_u32 s47, s47, 0
	s_add_u32 s25, s46, s25
	s_addc_u32 s46, 0, s47
	s_add_u32 s24, s24, s25
	s_cselect_b32 s25, -1, 0
	s_mul_hi_u32 s47, s6, s24
	s_cmp_lg_u32 s25, 0
	s_mul_hi_u32 s25, s23, s24
	s_addc_u32 s22, s22, s46
	s_mul_i32 s24, s23, s24
	s_mul_i32 s48, s6, s22
	s_mul_hi_u32 s46, s6, s22
	s_add_u32 s47, s47, s48
	s_addc_u32 s46, 0, s46
	s_mul_hi_u32 s49, s23, s22
	s_add_u32 s24, s47, s24
	s_mul_i32 s22, s23, s22
	s_addc_u32 s24, s46, s25
	s_addc_u32 s25, s49, 0
	s_add_u32 s22, s24, s22
	s_addc_u32 s24, 0, s25
	s_mul_hi_u32 s25, s33, s22
	s_mul_i32 s24, s33, s24
	s_mul_i32 s22, s33, s22
	s_add_i32 s25, s25, s24
	s_sub_u32 s22, s6, s22
	s_cselect_b32 s24, -1, 0
	s_cmp_lg_u32 s24, 0
	s_subb_u32 s24, s23, s25
	s_sub_u32 s25, s22, s33
	s_cselect_b32 s46, -1, 0
	s_cmp_lg_u32 s46, 0
	s_subb_u32 s46, s24, 0
	;; [unrolled: 4-line block ×3, first 2 shown]
	s_cmp_ge_u32 s25, s33
	s_cselect_b32 s49, -1, 0
	s_cmp_eq_u32 s46, 0
	s_cselect_b32 s49, s49, -1
	s_cmp_lg_u32 s49, 0
	s_cselect_b32 s46, s48, s46
	s_cselect_b32 s47, s47, s25
	s_cmp_ge_u32 s22, s33
	s_cselect_b32 s25, -1, 0
	s_cmp_eq_u32 s24, 0
	s_cselect_b32 s25, s25, -1
	s_cmp_lg_u32 s25, 0
	s_cselect_b32 s25, s46, s24
	s_cselect_b32 s24, s47, s22
	s_cbranch_execnz .LBB168_279
.LBB168_278:                            ;   in Loop: Header=BB168_6 Depth=1
	v_cvt_f32_u32_e32 v2, s33
	s_sub_i32 s24, 0, s33
	v_rcp_iflag_f32_e32 v2, v2
	v_mul_f32_e32 v2, 0x4f7ffffe, v2
	v_cvt_u32_f32_e32 v2, v2
	v_readfirstlane_b32 s22, v2
	s_mul_i32 s24, s24, s22
	s_mul_hi_u32 s24, s22, s24
	s_add_i32 s22, s22, s24
	s_mul_hi_u32 s22, s6, s22
	s_mul_i32 s22, s22, s33
	s_sub_i32 s22, s6, s22
	s_sub_i32 s24, s22, s33
	s_cmp_ge_u32 s22, s33
	s_cselect_b32 s22, s24, s22
	s_sub_i32 s24, s22, s33
	s_cmp_ge_u32 s22, s33
	s_cselect_b32 s52, s24, s22
	s_mov_b64 s[24:25], s[52:53]
.LBB168_279:                            ;   in Loop: Header=BB168_6 Depth=1
	s_sub_u32 s22, s6, s24
	s_subb_u32 s23, s23, s25
	s_mov_b32 s6, 0
	s_mov_b32 s24, 0
	s_mov_b32 s25, exec_lo
                                        ; implicit-def: $vgpr41
	v_cmpx_gt_u64_e64 s[22:23], v[0:1]
	s_cbranch_execz .LBB168_289
; %bb.280:                              ;   in Loop: Header=BB168_6 Depth=1
	v_mov_b32_e32 v5, v1
	v_mov_b32_e32 v2, v32
	;; [unrolled: 1-line block ×3, first 2 shown]
                                        ; implicit-def: $sgpr48
	s_inst_prefetch 0x1
	s_branch .LBB168_283
	.p2align	6
.LBB168_281:                            ;   in Loop: Header=BB168_283 Depth=2
	s_or_b32 exec_lo, exec_lo, s49
	s_waitcnt lgkmcnt(0)
	s_barrier
	buffer_gl0_inv
	ds_read_b32 v6, v3 offset:3072
	s_mov_b32 s46, -1
	s_waitcnt lgkmcnt(0)
	s_barrier
	buffer_gl0_inv
	v_cmp_ne_u32_sdwa s47, v6, v3 src0_sel:WORD_0 src1_sel:DWORD
	s_and_b32 vcc_lo, exec_lo, s47
	s_mov_b32 s47, -1
	s_cbranch_vccz .LBB168_286
.LBB168_282:                            ;   in Loop: Header=BB168_283 Depth=2
	s_and_b32 s7, exec_lo, s46
	s_or_b32 s24, s7, s24
	s_andn2_b32 s7, s48, exec_lo
	s_and_b32 s8, s47, exec_lo
	s_or_b32 s48, s7, s8
	s_andn2_b32 exec_lo, exec_lo, s24
	s_cbranch_execz .LBB168_288
.LBB168_283:                            ;   Parent Loop BB168_6 Depth=1
                                        ; =>  This Inner Loop Header: Depth=2
	s_mov_b32 s49, exec_lo
	v_cmpx_gt_u64_e64 s[20:21], v[4:5]
	s_cbranch_execz .LBB168_281
; %bb.284:                              ;   in Loop: Header=BB168_283 Depth=2
	ds_read_u16 v6, v2
	s_waitcnt lgkmcnt(0)
	v_add_nc_u32_sdwa v7, sext(v6), v39 dst_sel:DWORD dst_unused:UNUSED_PAD src0_sel:WORD_0 src1_sel:DWORD
	v_and_b32_e32 v7, v7, v40
	v_cmp_eq_u32_e32 vcc_lo, v7, v20
	s_and_b32 exec_lo, exec_lo, vcc_lo
	s_cbranch_execz .LBB168_281
; %bb.285:                              ;   in Loop: Header=BB168_283 Depth=2
	v_perm_b32 v6, v6, 1, 0x5040100
	ds_write_b32 v3, v6 offset:3072
	s_branch .LBB168_281
.LBB168_286:                            ;   in Loop: Header=BB168_283 Depth=2
	v_add_co_u32 v4, vcc_lo, v4, s33
	v_add_co_ci_u32_e64 v5, null, 0, v5, vcc_lo
	v_add_nc_u32_e32 v2, s90, v2
	s_mov_b32 s47, 0
	v_cmp_le_u64_e32 vcc_lo, s[22:23], v[4:5]
	s_orn2_b32 s46, vcc_lo, exec_lo
	s_branch .LBB168_282
.LBB168_287:                            ;   in Loop: Header=BB168_6 Depth=1
	v_mov_b32_e32 v20, v10
	v_mov_b32_e32 v40, v11
	v_mov_b32_e32 v41, v8
	s_mov_b32 s9, 0
	s_and_saveexec_b32 s6, s65
	s_cbranch_execnz .LBB168_464
	s_branch .LBB168_465
.LBB168_288:                            ;   in Loop: Header=BB168_6 Depth=1
	s_inst_prefetch 0x2
	s_or_b32 exec_lo, exec_lo, s24
	v_lshrrev_b32_e32 v41, 16, v6
	s_and_b32 s24, s48, exec_lo
.LBB168_289:                            ;   in Loop: Header=BB168_6 Depth=1
	s_or_b32 exec_lo, exec_lo, s25
.LBB168_290:                            ;   in Loop: Header=BB168_6 Depth=1
	s_and_b32 vcc_lo, exec_lo, s6
	s_cbranch_vccz .LBB168_304
; %bb.291:                              ;   in Loop: Header=BB168_6 Depth=1
	s_mov_b32 s56, s53
	s_cmp_lg_u64 s[56:57], 0
	s_cbranch_scc0 .LBB168_332
; %bb.292:                              ;   in Loop: Header=BB168_6 Depth=1
	v_cvt_f32_u32_e32 v2, s33
	s_sub_u32 s20, 0, s33
	s_subb_u32 s21, 0, 0
	v_fmac_f32_e64 v2, 0x4f800000, 0
	v_rcp_f32_e32 v2, v2
	v_mul_f32_e32 v2, 0x5f7ffffc, v2
	v_mul_f32_e32 v4, 0x2f800000, v2
	v_trunc_f32_e32 v4, v4
	v_fmac_f32_e32 v2, 0xcf800000, v4
	v_cvt_u32_f32_e32 v4, v4
	v_cvt_u32_f32_e32 v2, v2
	v_readfirstlane_b32 s6, v4
	v_readfirstlane_b32 s9, v2
	s_mul_i32 s22, s20, s6
	s_mul_hi_u32 s25, s20, s9
	s_mul_i32 s23, s21, s9
	s_add_i32 s22, s25, s22
	s_mul_i32 s27, s20, s9
	s_add_i32 s22, s22, s23
	s_mul_hi_u32 s25, s9, s27
	s_mul_i32 s47, s9, s22
	s_mul_hi_u32 s46, s6, s27
	s_mul_i32 s23, s6, s27
	s_mul_hi_u32 s27, s9, s22
	s_add_u32 s25, s25, s47
	s_addc_u32 s27, 0, s27
	s_mul_hi_u32 s48, s6, s22
	s_add_u32 s23, s25, s23
	s_mul_i32 s22, s6, s22
	s_addc_u32 s23, s27, s46
	s_addc_u32 s25, s48, 0
	s_add_u32 s22, s23, s22
	s_addc_u32 s23, 0, s25
	s_add_u32 s9, s9, s22
	s_cselect_b32 s22, -1, 0
	s_mul_hi_u32 s25, s20, s9
	s_cmp_lg_u32 s22, 0
	s_mul_i32 s22, s20, s9
	s_addc_u32 s6, s6, s23
	s_mul_i32 s21, s21, s9
	s_mul_i32 s20, s20, s6
	s_mul_hi_u32 s23, s9, s22
	s_add_i32 s20, s25, s20
	s_mul_hi_u32 s25, s6, s22
	s_add_i32 s20, s20, s21
	s_mul_i32 s21, s6, s22
	s_mul_i32 s46, s9, s20
	s_mul_hi_u32 s27, s9, s20
	s_add_u32 s23, s23, s46
	s_addc_u32 s27, 0, s27
	s_mul_hi_u32 s22, s6, s20
	s_add_u32 s21, s23, s21
	s_mul_i32 s20, s6, s20
	s_addc_u32 s21, s27, s25
	s_addc_u32 s22, s22, 0
	s_add_u32 s20, s21, s20
	s_addc_u32 s21, 0, s22
	s_add_u32 s9, s9, s20
	s_cselect_b32 s20, -1, 0
	s_mul_hi_u32 s22, s84, s9
	s_cmp_lg_u32 s20, 0
	s_mul_hi_u32 s20, s57, s9
	s_addc_u32 s6, s6, s21
	s_mul_i32 s9, s57, s9
	s_mul_i32 s23, s84, s6
	s_mul_hi_u32 s21, s84, s6
	s_add_u32 s22, s22, s23
	s_addc_u32 s21, 0, s21
	s_mul_hi_u32 s25, s57, s6
	s_add_u32 s9, s22, s9
	s_mul_i32 s6, s57, s6
	s_addc_u32 s9, s21, s20
	s_addc_u32 s20, s25, 0
	s_add_u32 s6, s9, s6
	s_addc_u32 s9, 0, s20
	s_mul_hi_u32 s20, s33, s6
	s_mul_i32 s9, s33, s9
	s_mul_i32 s6, s33, s6
	s_add_i32 s20, s20, s9
	s_sub_u32 s6, s84, s6
	s_cselect_b32 s9, -1, 0
	s_cmp_lg_u32 s9, 0
	s_subb_u32 s9, s57, s20
	s_sub_u32 s20, s6, s33
	s_cselect_b32 s21, -1, 0
	s_cmp_lg_u32 s21, 0
	s_subb_u32 s21, s9, 0
	;; [unrolled: 4-line block ×3, first 2 shown]
	s_cmp_ge_u32 s20, s33
	s_cselect_b32 s25, -1, 0
	s_cmp_eq_u32 s21, 0
	s_cselect_b32 s25, s25, -1
	s_cmp_lg_u32 s25, 0
	s_cselect_b32 s21, s23, s21
	s_cselect_b32 s20, s22, s20
	s_cmp_ge_u32 s6, s33
	s_cselect_b32 s22, -1, 0
	s_cmp_eq_u32 s9, 0
	s_cselect_b32 s22, s22, -1
	s_cmp_lg_u32 s22, 0
	s_cselect_b32 s21, s21, s9
	s_cselect_b32 s20, s20, s6
	s_cbranch_execnz .LBB168_294
.LBB168_293:                            ;   in Loop: Header=BB168_6 Depth=1
	v_cvt_f32_u32_e32 v2, s33
	s_sub_i32 s9, 0, s33
	v_rcp_iflag_f32_e32 v2, v2
	v_mul_f32_e32 v2, 0x4f7ffffe, v2
	v_cvt_u32_f32_e32 v2, v2
	v_readfirstlane_b32 s6, v2
	s_mul_i32 s9, s9, s6
	s_mul_hi_u32 s9, s6, s9
	s_add_i32 s6, s6, s9
	s_mul_hi_u32 s6, s84, s6
	s_mul_i32 s6, s6, s33
	s_sub_i32 s6, s84, s6
	s_sub_i32 s9, s6, s33
	s_cmp_ge_u32 s6, s33
	s_cselect_b32 s6, s9, s6
	s_sub_i32 s9, s6, s33
	s_cmp_ge_u32 s6, s33
	s_cselect_b32 s52, s9, s6
	s_mov_b64 s[20:21], s[52:53]
.LBB168_294:                            ;   in Loop: Header=BB168_6 Depth=1
	s_sub_u32 s20, s84, s20
	s_subb_u32 s21, s57, s21
	s_mov_b32 s9, exec_lo
                                        ; implicit-def: $vgpr41
	v_cmpx_gt_u64_e64 s[20:21], v[0:1]
	s_cbranch_execz .LBB168_303
; %bb.295:                              ;   in Loop: Header=BB168_6 Depth=1
	v_mov_b32_e32 v4, v12
	v_mov_b32_e32 v7, v1
	;; [unrolled: 1-line block ×4, first 2 shown]
	s_mov_b32 s22, 0
                                        ; implicit-def: $sgpr23
	s_inst_prefetch 0x1
	s_branch .LBB168_298
	.p2align	6
.LBB168_296:                            ;   in Loop: Header=BB168_298 Depth=2
	s_or_b32 exec_lo, exec_lo, s6
	s_waitcnt lgkmcnt(0)
	s_barrier
	buffer_gl0_inv
	ds_read_b32 v2, v3 offset:3072
	s_mov_b32 s6, -1
	s_waitcnt lgkmcnt(0)
	s_barrier
	buffer_gl0_inv
	v_cmp_ne_u32_sdwa s25, v2, v3 src0_sel:WORD_0 src1_sel:DWORD
	s_and_b32 vcc_lo, exec_lo, s25
	s_mov_b32 s25, -1
	s_cbranch_vccz .LBB168_301
.LBB168_297:                            ;   in Loop: Header=BB168_298 Depth=2
	s_and_b32 s6, exec_lo, s6
	s_or_b32 s22, s6, s22
	s_andn2_b32 s6, s23, exec_lo
	s_and_b32 s7, s25, exec_lo
	s_or_b32 s23, s6, s7
	s_andn2_b32 exec_lo, exec_lo, s22
	s_cbranch_execz .LBB168_302
.LBB168_298:                            ;   Parent Loop BB168_6 Depth=1
                                        ; =>  This Inner Loop Header: Depth=2
	s_mov_b32 s6, exec_lo
	v_cmpx_gt_u64_e64 s[28:29], v[6:7]
	s_cbranch_execz .LBB168_296
; %bb.299:                              ;   in Loop: Header=BB168_298 Depth=2
	global_load_ushort v2, v[4:5], off
	s_waitcnt vmcnt(0)
	v_add_nc_u32_sdwa v8, sext(v2), v39 dst_sel:DWORD dst_unused:UNUSED_PAD src0_sel:WORD_0 src1_sel:DWORD
	v_and_b32_e32 v8, v8, v40
	v_cmp_eq_u32_e32 vcc_lo, v8, v20
	s_and_b32 exec_lo, exec_lo, vcc_lo
	s_cbranch_execz .LBB168_296
; %bb.300:                              ;   in Loop: Header=BB168_298 Depth=2
	v_perm_b32 v2, v2, 1, 0x5040100
	ds_write_b32 v3, v2 offset:3072
	s_branch .LBB168_296
.LBB168_301:                            ;   in Loop: Header=BB168_298 Depth=2
	v_add_co_u32 v6, vcc_lo, v6, s33
	v_add_co_ci_u32_e64 v7, null, 0, v7, vcc_lo
	v_add_co_u32 v4, s6, v4, s34
	v_add_co_ci_u32_e64 v5, null, s35, v5, s6
	v_cmp_le_u64_e32 vcc_lo, s[20:21], v[6:7]
	s_mov_b32 s25, 0
	s_orn2_b32 s6, vcc_lo, exec_lo
	s_branch .LBB168_297
.LBB168_302:                            ;   in Loop: Header=BB168_6 Depth=1
	s_inst_prefetch 0x2
	s_or_b32 exec_lo, exec_lo, s22
	v_lshrrev_b32_e32 v41, 16, v2
	s_andn2_b32 s6, s24, exec_lo
	s_and_b32 s7, s23, exec_lo
	s_or_b32 s24, s6, s7
.LBB168_303:                            ;   in Loop: Header=BB168_6 Depth=1
	s_or_b32 exec_lo, exec_lo, s9
	s_mov_b32 s27, 0
	s_mov_b32 s9, -1
.LBB168_304:                            ;   in Loop: Header=BB168_6 Depth=1
	s_orn2_b32 s6, s24, exec_lo
.LBB168_305:                            ;   in Loop: Header=BB168_6 Depth=1
	s_or_b32 exec_lo, exec_lo, s67
                                        ; implicit-def: $vgpr4_vgpr5
                                        ; implicit-def: $vgpr2
	s_and_saveexec_b32 s24, s6
	s_cbranch_execz .LBB168_463
; %bb.306:                              ;   in Loop: Header=BB168_6 Depth=1
	v_mov_b32_e32 v4, 1
	v_mov_b32_e32 v5, 0
	;; [unrolled: 1-line block ×3, first 2 shown]
	s_xor_b32 s21, s66, -1
	s_mov_b32 s20, 0
	s_and_saveexec_b32 s6, s21
	s_cbranch_execz .LBB168_315
; %bb.307:                              ;   in Loop: Header=BB168_6 Depth=1
	s_mov_b32 s20, exec_lo
	v_cmpx_ge_u64_e64 s[18:19], v[26:27]
	s_xor_b32 s20, exec_lo, s20
	s_cbranch_execz .LBB168_312
; %bb.308:                              ;   in Loop: Header=BB168_6 Depth=1
	ds_read_b64 v[4:5], v3 offset:5120
	v_or_b32_e32 v20, s11, v20
	v_or_b32_e32 v40, s11, v40
	s_waitcnt lgkmcnt(0)
	v_cmp_ne_u64_e32 vcc_lo, 0, v[4:5]
	s_cbranch_vccnz .LBB168_312
; %bb.309:                              ;   in Loop: Header=BB168_6 Depth=1
	s_and_saveexec_b32 s21, s3
; %bb.310:                              ;   in Loop: Header=BB168_6 Depth=1
	v_mov_b32_e32 v4, s18
	v_mov_b32_e32 v5, s19
	ds_write_b64 v3, v[4:5] offset:5128
; %bb.311:                              ;   in Loop: Header=BB168_6 Depth=1
	s_or_b32 exec_lo, exec_lo, s21
	s_waitcnt lgkmcnt(0)
	s_barrier
	buffer_gl0_inv
.LBB168_312:                            ;   in Loop: Header=BB168_6 Depth=1
	s_or_saveexec_b32 s20, s20
	v_mov_b32_e32 v2, 5
	s_mov_b32 s21, 0
	s_xor_b32 exec_lo, exec_lo, s20
; %bb.313:                              ;   in Loop: Header=BB168_6 Depth=1
	v_sub_co_u32 v26, vcc_lo, v26, s18
	v_subrev_co_ci_u32_e64 v27, null, s19, v27, vcc_lo
	v_mov_b32_e32 v2, 0
	s_mov_b32 s21, exec_lo
; %bb.314:                              ;   in Loop: Header=BB168_6 Depth=1
	s_or_b32 exec_lo, exec_lo, s20
	v_mov_b32_e32 v4, v26
	v_mov_b32_e32 v5, v27
	s_and_b32 s20, s21, exec_lo
.LBB168_315:                            ;   in Loop: Header=BB168_6 Depth=1
	s_or_b32 exec_lo, exec_lo, s6
	s_mov_b32 s6, -1
                                        ; implicit-def: $sgpr66
                                        ; implicit-def: $sgpr67
	s_and_saveexec_b32 s18, s20
	s_xor_b32 s25, exec_lo, s18
	s_cbranch_execz .LBB168_460
; %bb.316:                              ;   in Loop: Header=BB168_6 Depth=1
	v_cmp_eq_u64_e32 vcc_lo, 1, v[4:5]
	s_cmp_eq_u64 s[16:17], 1
                                        ; implicit-def: $sgpr67
                                        ; implicit-def: $sgpr66
	s_cselect_b32 s6, -1, 0
	s_and_b32 s68, s6, vcc_lo
	s_mov_b32 s6, -1
	s_and_saveexec_b32 s69, s68
	s_cbranch_execz .LBB168_350
; %bb.317:                              ;   in Loop: Header=BB168_6 Depth=1
	ds_read_b64 v[6:7], v3 offset:5120
	s_waitcnt lgkmcnt(0)
	s_barrier
	buffer_gl0_inv
	v_readfirstlane_b32 s18, v6
	v_readfirstlane_b32 s19, v7
	s_and_saveexec_b32 s6, s10
; %bb.318:                              ;   in Loop: Header=BB168_6 Depth=1
	ds_write_b16 v33, v3
; %bb.319:                              ;   in Loop: Header=BB168_6 Depth=1
	s_or_b32 exec_lo, exec_lo, s6
	s_lshl_b32 s6, 2, s97
	v_or_b32_e32 v40, s11, v40
	v_and_or_b32 v20, v20, s26, s6
	s_mov_b32 s66, -1
	s_mov_b32 s67, 0
	s_cmp_eq_u64 s[18:19], 0
	s_mov_b32 s22, 0
	s_mov_b32 s6, -1
	s_waitcnt lgkmcnt(0)
	s_barrier
	buffer_gl0_inv
                                        ; implicit-def: $vgpr41
	s_cbranch_scc1 .LBB168_335
; %bb.320:                              ;   in Loop: Header=BB168_6 Depth=1
	s_add_u32 s6, s18, s82
	s_addc_u32 s21, s19, s83
	s_mov_b32 s20, s53
	s_cmp_lg_u64 s[20:21], 0
	s_cbranch_scc0 .LBB168_376
; %bb.321:                              ;   in Loop: Header=BB168_6 Depth=1
	v_cvt_f32_u32_e32 v6, s33
	s_sub_u32 s23, 0, s33
	s_subb_u32 s46, 0, 0
	v_fmac_f32_e64 v6, 0x4f800000, 0
	v_rcp_f32_e32 v6, v6
	v_mul_f32_e32 v6, 0x5f7ffffc, v6
	v_mul_f32_e32 v7, 0x2f800000, v6
	v_trunc_f32_e32 v7, v7
	v_fmac_f32_e32 v6, 0xcf800000, v7
	v_cvt_u32_f32_e32 v7, v7
	v_cvt_u32_f32_e32 v6, v6
	v_readfirstlane_b32 s20, v7
	v_readfirstlane_b32 s22, v6
	s_mul_i32 s47, s23, s20
	s_mul_hi_u32 s49, s23, s22
	s_mul_i32 s48, s46, s22
	s_add_i32 s47, s49, s47
	s_mul_i32 s52, s23, s22
	s_add_i32 s47, s47, s48
	s_mul_hi_u32 s49, s22, s52
	s_mul_i32 s70, s22, s47
	s_mul_hi_u32 s56, s20, s52
	s_mul_i32 s48, s20, s52
	s_mul_hi_u32 s52, s22, s47
	s_add_u32 s49, s49, s70
	s_addc_u32 s52, 0, s52
	s_mul_hi_u32 s71, s20, s47
	s_add_u32 s48, s49, s48
	s_mul_i32 s47, s20, s47
	s_addc_u32 s48, s52, s56
	s_addc_u32 s49, s71, 0
	s_add_u32 s47, s48, s47
	s_addc_u32 s48, 0, s49
	s_add_u32 s22, s22, s47
	s_cselect_b32 s47, -1, 0
	s_mul_hi_u32 s49, s23, s22
	s_cmp_lg_u32 s47, 0
	s_mul_i32 s47, s23, s22
	s_addc_u32 s20, s20, s48
	s_mul_i32 s46, s46, s22
	s_mul_i32 s23, s23, s20
	s_mul_hi_u32 s48, s22, s47
	s_add_i32 s23, s49, s23
	s_mul_hi_u32 s49, s20, s47
	s_add_i32 s23, s23, s46
	s_mul_i32 s46, s20, s47
	s_mul_i32 s56, s22, s23
	s_mul_hi_u32 s52, s22, s23
	s_add_u32 s48, s48, s56
	s_addc_u32 s52, 0, s52
	s_mul_hi_u32 s47, s20, s23
	s_add_u32 s46, s48, s46
	s_mul_i32 s23, s20, s23
	s_addc_u32 s46, s52, s49
	s_addc_u32 s47, s47, 0
	s_add_u32 s23, s46, s23
	s_addc_u32 s46, 0, s47
	s_add_u32 s22, s22, s23
	s_cselect_b32 s23, -1, 0
	s_mul_hi_u32 s47, s6, s22
	s_cmp_lg_u32 s23, 0
	s_mul_hi_u32 s23, s21, s22
	s_addc_u32 s20, s20, s46
	s_mul_i32 s22, s21, s22
	s_mul_i32 s48, s6, s20
	s_mul_hi_u32 s46, s6, s20
	s_add_u32 s47, s47, s48
	s_addc_u32 s46, 0, s46
	s_mul_hi_u32 s49, s21, s20
	s_add_u32 s22, s47, s22
	s_mul_i32 s20, s21, s20
	s_addc_u32 s22, s46, s23
	s_addc_u32 s23, s49, 0
	s_add_u32 s20, s22, s20
	s_addc_u32 s22, 0, s23
	s_mul_hi_u32 s23, s33, s20
	s_mul_i32 s22, s33, s22
	s_mul_i32 s20, s33, s20
	s_add_i32 s23, s23, s22
	s_sub_u32 s20, s6, s20
	s_cselect_b32 s22, -1, 0
	s_cmp_lg_u32 s22, 0
	s_subb_u32 s22, s21, s23
	s_sub_u32 s23, s20, s33
	s_cselect_b32 s46, -1, 0
	s_cmp_lg_u32 s46, 0
	s_subb_u32 s46, s22, 0
	;; [unrolled: 4-line block ×3, first 2 shown]
	s_cmp_ge_u32 s23, s33
	s_cselect_b32 s49, -1, 0
	s_cmp_eq_u32 s46, 0
	s_cselect_b32 s49, s49, -1
	s_cmp_lg_u32 s49, 0
	s_cselect_b32 s46, s48, s46
	s_cselect_b32 s47, s47, s23
	s_cmp_ge_u32 s20, s33
	s_cselect_b32 s23, -1, 0
	s_cmp_eq_u32 s22, 0
	s_cselect_b32 s23, s23, -1
	s_cmp_lg_u32 s23, 0
	s_cselect_b32 s23, s46, s22
	s_cselect_b32 s22, s47, s20
	s_cbranch_execnz .LBB168_323
.LBB168_322:                            ;   in Loop: Header=BB168_6 Depth=1
	v_cvt_f32_u32_e32 v6, s33
	s_sub_i32 s22, 0, s33
	v_rcp_iflag_f32_e32 v6, v6
	v_mul_f32_e32 v6, 0x4f7ffffe, v6
	v_cvt_u32_f32_e32 v6, v6
	v_readfirstlane_b32 s20, v6
	s_mul_i32 s22, s22, s20
	s_mul_hi_u32 s22, s20, s22
	s_add_i32 s20, s20, s22
	s_mul_hi_u32 s20, s6, s20
	s_mul_i32 s20, s20, s33
	s_sub_i32 s20, s6, s20
	s_sub_i32 s22, s20, s33
	s_cmp_ge_u32 s20, s33
	s_cselect_b32 s20, s22, s20
	s_sub_i32 s22, s20, s33
	s_cmp_ge_u32 s20, s33
	s_cselect_b32 s52, s22, s20
	s_mov_b64 s[22:23], s[52:53]
.LBB168_323:                            ;   in Loop: Header=BB168_6 Depth=1
	s_sub_u32 s20, s6, s22
	s_subb_u32 s21, s21, s23
	s_mov_b32 s6, 0
	s_mov_b32 s22, 0
	s_mov_b32 s23, exec_lo
                                        ; implicit-def: $vgpr41
	v_cmpx_gt_u64_e64 s[20:21], v[0:1]
	s_cbranch_execz .LBB168_334
; %bb.324:                              ;   in Loop: Header=BB168_6 Depth=1
	v_mov_b32_e32 v7, v1
	v_mov_b32_e32 v8, v32
	;; [unrolled: 1-line block ×3, first 2 shown]
                                        ; implicit-def: $sgpr48
	s_inst_prefetch 0x1
	s_branch .LBB168_327
	.p2align	6
.LBB168_325:                            ;   in Loop: Header=BB168_327 Depth=2
	s_or_b32 exec_lo, exec_lo, s49
	s_waitcnt lgkmcnt(0)
	s_barrier
	buffer_gl0_inv
	ds_read_b32 v9, v3 offset:3072
	s_mov_b32 s46, -1
	s_waitcnt lgkmcnt(0)
	s_barrier
	buffer_gl0_inv
	v_cmp_ne_u32_sdwa s47, v9, v3 src0_sel:WORD_0 src1_sel:DWORD
	s_and_b32 vcc_lo, exec_lo, s47
	s_mov_b32 s47, -1
	s_cbranch_vccz .LBB168_330
.LBB168_326:                            ;   in Loop: Header=BB168_327 Depth=2
	s_and_b32 s7, exec_lo, s46
	s_or_b32 s22, s7, s22
	s_andn2_b32 s7, s48, exec_lo
	s_and_b32 s8, s47, exec_lo
	s_or_b32 s48, s7, s8
	s_andn2_b32 exec_lo, exec_lo, s22
	s_cbranch_execz .LBB168_333
.LBB168_327:                            ;   Parent Loop BB168_6 Depth=1
                                        ; =>  This Inner Loop Header: Depth=2
	s_mov_b32 s49, exec_lo
	v_cmpx_gt_u64_e64 s[18:19], v[6:7]
	s_cbranch_execz .LBB168_325
; %bb.328:                              ;   in Loop: Header=BB168_327 Depth=2
	ds_read_u16 v9, v8
	s_waitcnt lgkmcnt(0)
	v_add_nc_u32_sdwa v10, sext(v9), v39 dst_sel:DWORD dst_unused:UNUSED_PAD src0_sel:WORD_0 src1_sel:DWORD
	v_and_b32_e32 v10, v10, v40
	v_cmp_eq_u32_e32 vcc_lo, v10, v20
	s_and_b32 exec_lo, exec_lo, vcc_lo
	s_cbranch_execz .LBB168_325
; %bb.329:                              ;   in Loop: Header=BB168_327 Depth=2
	v_perm_b32 v9, v9, 1, 0x5040100
	ds_write_b32 v3, v9 offset:3072
	s_branch .LBB168_325
.LBB168_330:                            ;   in Loop: Header=BB168_327 Depth=2
	v_add_co_u32 v6, vcc_lo, v6, s33
	v_add_co_ci_u32_e64 v7, null, 0, v7, vcc_lo
	v_add_nc_u32_e32 v8, s90, v8
	s_mov_b32 s47, 0
	v_cmp_le_u64_e32 vcc_lo, s[20:21], v[6:7]
	s_orn2_b32 s46, vcc_lo, exec_lo
	s_branch .LBB168_326
.LBB168_331:                            ;   in Loop: Header=BB168_6 Depth=1
                                        ; implicit-def: $sgpr24_sgpr25
	s_branch .LBB168_278
.LBB168_332:                            ;   in Loop: Header=BB168_6 Depth=1
                                        ; implicit-def: $sgpr20_sgpr21
	s_branch .LBB168_293
.LBB168_333:                            ;   in Loop: Header=BB168_6 Depth=1
	s_inst_prefetch 0x2
	s_or_b32 exec_lo, exec_lo, s22
	v_lshrrev_b32_e32 v41, 16, v9
	s_and_b32 s22, s48, exec_lo
.LBB168_334:                            ;   in Loop: Header=BB168_6 Depth=1
	s_or_b32 exec_lo, exec_lo, s23
.LBB168_335:                            ;   in Loop: Header=BB168_6 Depth=1
	s_and_b32 vcc_lo, exec_lo, s6
	s_cbranch_vccz .LBB168_349
; %bb.336:                              ;   in Loop: Header=BB168_6 Depth=1
	s_mov_b32 s56, s53
	s_cmp_lg_u64 s[56:57], 0
	s_cbranch_scc0 .LBB168_377
; %bb.337:                              ;   in Loop: Header=BB168_6 Depth=1
	v_cvt_f32_u32_e32 v6, s33
	s_sub_u32 s19, 0, s33
	s_subb_u32 s20, 0, 0
	v_fmac_f32_e64 v6, 0x4f800000, 0
	v_rcp_f32_e32 v6, v6
	v_mul_f32_e32 v6, 0x5f7ffffc, v6
	v_mul_f32_e32 v7, 0x2f800000, v6
	v_trunc_f32_e32 v7, v7
	v_fmac_f32_e32 v6, 0xcf800000, v7
	v_cvt_u32_f32_e32 v7, v7
	v_cvt_u32_f32_e32 v6, v6
	v_readfirstlane_b32 s6, v7
	v_readfirstlane_b32 s18, v6
	s_mul_i32 s21, s19, s6
	s_mul_hi_u32 s46, s19, s18
	s_mul_i32 s23, s20, s18
	s_add_i32 s21, s46, s21
	s_mul_i32 s47, s19, s18
	s_add_i32 s21, s21, s23
	s_mul_hi_u32 s46, s18, s47
	s_mul_i32 s49, s18, s21
	s_mul_hi_u32 s48, s6, s47
	s_mul_i32 s23, s6, s47
	s_mul_hi_u32 s47, s18, s21
	s_add_u32 s46, s46, s49
	s_addc_u32 s47, 0, s47
	s_mul_hi_u32 s52, s6, s21
	s_add_u32 s23, s46, s23
	s_mul_i32 s21, s6, s21
	s_addc_u32 s23, s47, s48
	s_addc_u32 s46, s52, 0
	s_add_u32 s21, s23, s21
	s_addc_u32 s23, 0, s46
	s_add_u32 s18, s18, s21
	s_cselect_b32 s21, -1, 0
	s_mul_hi_u32 s46, s19, s18
	s_cmp_lg_u32 s21, 0
	s_mul_i32 s21, s19, s18
	s_addc_u32 s6, s6, s23
	s_mul_i32 s20, s20, s18
	s_mul_i32 s19, s19, s6
	s_mul_hi_u32 s23, s18, s21
	s_add_i32 s19, s46, s19
	s_mul_hi_u32 s46, s6, s21
	s_add_i32 s19, s19, s20
	s_mul_i32 s20, s6, s21
	s_mul_i32 s48, s18, s19
	s_mul_hi_u32 s47, s18, s19
	s_add_u32 s23, s23, s48
	s_addc_u32 s47, 0, s47
	s_mul_hi_u32 s21, s6, s19
	s_add_u32 s20, s23, s20
	s_mul_i32 s19, s6, s19
	s_addc_u32 s20, s47, s46
	s_addc_u32 s21, s21, 0
	s_add_u32 s19, s20, s19
	s_addc_u32 s20, 0, s21
	s_add_u32 s18, s18, s19
	s_cselect_b32 s19, -1, 0
	s_mul_hi_u32 s21, s84, s18
	s_cmp_lg_u32 s19, 0
	s_mul_hi_u32 s19, s57, s18
	s_addc_u32 s6, s6, s20
	s_mul_i32 s18, s57, s18
	s_mul_i32 s23, s84, s6
	s_mul_hi_u32 s20, s84, s6
	s_add_u32 s21, s21, s23
	s_addc_u32 s20, 0, s20
	s_mul_hi_u32 s46, s57, s6
	s_add_u32 s18, s21, s18
	s_mul_i32 s6, s57, s6
	s_addc_u32 s18, s20, s19
	s_addc_u32 s19, s46, 0
	s_add_u32 s6, s18, s6
	s_addc_u32 s18, 0, s19
	s_mul_hi_u32 s19, s33, s6
	s_mul_i32 s18, s33, s18
	s_mul_i32 s6, s33, s6
	s_add_i32 s19, s19, s18
	s_sub_u32 s6, s84, s6
	s_cselect_b32 s18, -1, 0
	s_cmp_lg_u32 s18, 0
	s_subb_u32 s18, s57, s19
	s_sub_u32 s19, s6, s33
	s_cselect_b32 s20, -1, 0
	s_cmp_lg_u32 s20, 0
	s_subb_u32 s20, s18, 0
	;; [unrolled: 4-line block ×3, first 2 shown]
	s_cmp_ge_u32 s19, s33
	s_cselect_b32 s46, -1, 0
	s_cmp_eq_u32 s20, 0
	s_cselect_b32 s46, s46, -1
	s_cmp_lg_u32 s46, 0
	s_cselect_b32 s20, s23, s20
	s_cselect_b32 s21, s21, s19
	s_cmp_ge_u32 s6, s33
	s_cselect_b32 s19, -1, 0
	s_cmp_eq_u32 s18, 0
	s_cselect_b32 s19, s19, -1
	s_cmp_lg_u32 s19, 0
	s_cselect_b32 s19, s20, s18
	s_cselect_b32 s18, s21, s6
	s_cbranch_execnz .LBB168_339
.LBB168_338:                            ;   in Loop: Header=BB168_6 Depth=1
	v_cvt_f32_u32_e32 v6, s33
	s_sub_i32 s18, 0, s33
	v_rcp_iflag_f32_e32 v6, v6
	v_mul_f32_e32 v6, 0x4f7ffffe, v6
	v_cvt_u32_f32_e32 v6, v6
	v_readfirstlane_b32 s6, v6
	s_mul_i32 s18, s18, s6
	s_mul_hi_u32 s18, s6, s18
	s_add_i32 s6, s6, s18
	s_mul_hi_u32 s6, s84, s6
	s_mul_i32 s6, s6, s33
	s_sub_i32 s6, s84, s6
	s_sub_i32 s18, s6, s33
	s_cmp_ge_u32 s6, s33
	s_cselect_b32 s6, s18, s6
	s_sub_i32 s18, s6, s33
	s_cmp_ge_u32 s6, s33
	s_cselect_b32 s52, s18, s6
	s_mov_b64 s[18:19], s[52:53]
.LBB168_339:                            ;   in Loop: Header=BB168_6 Depth=1
	s_sub_u32 s18, s84, s18
	s_subb_u32 s19, s57, s19
	s_mov_b32 s20, exec_lo
                                        ; implicit-def: $vgpr41
	v_cmpx_gt_u64_e64 s[18:19], v[0:1]
	s_cbranch_execz .LBB168_348
; %bb.340:                              ;   in Loop: Header=BB168_6 Depth=1
	v_mov_b32_e32 v6, v12
	v_mov_b32_e32 v9, v1
	;; [unrolled: 1-line block ×4, first 2 shown]
	s_mov_b32 s21, 0
                                        ; implicit-def: $sgpr23
	s_inst_prefetch 0x1
	s_branch .LBB168_343
	.p2align	6
.LBB168_341:                            ;   in Loop: Header=BB168_343 Depth=2
	s_or_b32 exec_lo, exec_lo, s6
	s_waitcnt lgkmcnt(0)
	s_barrier
	buffer_gl0_inv
	ds_read_b32 v10, v3 offset:3072
	s_mov_b32 s6, -1
	s_waitcnt lgkmcnt(0)
	s_barrier
	buffer_gl0_inv
	v_cmp_eq_u32_sdwa s46, v10, v3 src0_sel:WORD_0 src1_sel:DWORD
	s_and_b32 vcc_lo, exec_lo, s46
	s_mov_b32 s46, -1
	s_cbranch_vccnz .LBB168_346
.LBB168_342:                            ;   in Loop: Header=BB168_343 Depth=2
	s_and_b32 s6, exec_lo, s6
	s_or_b32 s21, s6, s21
	s_andn2_b32 s6, s23, exec_lo
	s_and_b32 s7, s46, exec_lo
	s_or_b32 s23, s6, s7
	s_andn2_b32 exec_lo, exec_lo, s21
	s_cbranch_execz .LBB168_347
.LBB168_343:                            ;   Parent Loop BB168_6 Depth=1
                                        ; =>  This Inner Loop Header: Depth=2
	s_mov_b32 s6, exec_lo
	v_cmpx_gt_u64_e64 s[28:29], v[8:9]
	s_cbranch_execz .LBB168_341
; %bb.344:                              ;   in Loop: Header=BB168_343 Depth=2
	global_load_ushort v10, v[6:7], off
	s_waitcnt vmcnt(0)
	v_add_nc_u32_sdwa v11, sext(v10), v39 dst_sel:DWORD dst_unused:UNUSED_PAD src0_sel:WORD_0 src1_sel:DWORD
	v_and_b32_e32 v11, v11, v40
	v_cmp_eq_u32_e32 vcc_lo, v11, v20
	s_and_b32 exec_lo, exec_lo, vcc_lo
	s_cbranch_execz .LBB168_341
; %bb.345:                              ;   in Loop: Header=BB168_343 Depth=2
	v_perm_b32 v10, v10, 1, 0x5040100
	ds_write_b32 v3, v10 offset:3072
	s_branch .LBB168_341
.LBB168_346:                            ;   in Loop: Header=BB168_343 Depth=2
	v_add_co_u32 v8, vcc_lo, v8, s33
	v_add_co_ci_u32_e64 v9, null, 0, v9, vcc_lo
	v_add_co_u32 v6, s6, v6, s34
	v_add_co_ci_u32_e64 v7, null, s35, v7, s6
	v_cmp_le_u64_e32 vcc_lo, s[18:19], v[8:9]
	s_mov_b32 s46, 0
	s_orn2_b32 s6, vcc_lo, exec_lo
	s_branch .LBB168_342
.LBB168_347:                            ;   in Loop: Header=BB168_6 Depth=1
	s_inst_prefetch 0x2
	s_or_b32 exec_lo, exec_lo, s21
	v_lshrrev_b32_e32 v41, 16, v10
	s_andn2_b32 s6, s22, exec_lo
	s_and_b32 s7, s23, exec_lo
	s_or_b32 s22, s6, s7
.LBB168_348:                            ;   in Loop: Header=BB168_6 Depth=1
	s_or_b32 exec_lo, exec_lo, s20
	s_mov_b32 s66, 0
	s_mov_b32 s67, -1
.LBB168_349:                            ;   in Loop: Header=BB168_6 Depth=1
	s_orn2_b32 s6, s22, exec_lo
.LBB168_350:                            ;   in Loop: Header=BB168_6 Depth=1
	s_or_b32 exec_lo, exec_lo, s69
	s_mov_b32 s18, 0
	s_and_saveexec_b32 s22, s6
	s_cbranch_execz .LBB168_459
; %bb.351:                              ;   in Loop: Header=BB168_6 Depth=1
	v_mov_b32_e32 v6, 1
	v_mov_b32_e32 v7, 0
	;; [unrolled: 1-line block ×3, first 2 shown]
	s_xor_b32 s19, s68, -1
	s_and_saveexec_b32 s6, s19
	s_cbranch_execz .LBB168_360
; %bb.352:                              ;   in Loop: Header=BB168_6 Depth=1
	s_mov_b32 s18, exec_lo
	v_cmpx_ge_u64_e64 s[16:17], v[4:5]
	s_xor_b32 s18, exec_lo, s18
	s_cbranch_execz .LBB168_357
; %bb.353:                              ;   in Loop: Header=BB168_6 Depth=1
	ds_read_b64 v[6:7], v3 offset:5120
	s_lshl_b32 s19, 2, s97
	v_or_b32_e32 v40, s11, v40
	v_and_or_b32 v20, v20, s26, s19
	s_waitcnt lgkmcnt(0)
	v_cmp_ne_u64_e32 vcc_lo, 0, v[6:7]
	s_cbranch_vccnz .LBB168_357
; %bb.354:                              ;   in Loop: Header=BB168_6 Depth=1
	s_and_saveexec_b32 s19, s3
; %bb.355:                              ;   in Loop: Header=BB168_6 Depth=1
	v_mov_b32_e32 v6, s16
	v_mov_b32_e32 v7, s17
	ds_write_b64 v3, v[6:7] offset:5128
; %bb.356:                              ;   in Loop: Header=BB168_6 Depth=1
	s_or_b32 exec_lo, exec_lo, s19
	s_waitcnt lgkmcnt(0)
	s_barrier
	buffer_gl0_inv
.LBB168_357:                            ;   in Loop: Header=BB168_6 Depth=1
	s_or_saveexec_b32 s18, s18
	v_mov_b32_e32 v2, 5
	s_mov_b32 s19, 0
	s_xor_b32 exec_lo, exec_lo, s18
; %bb.358:                              ;   in Loop: Header=BB168_6 Depth=1
	v_sub_co_u32 v4, vcc_lo, v4, s16
	v_subrev_co_ci_u32_e64 v5, null, s17, v5, vcc_lo
	v_mov_b32_e32 v2, 0
	s_mov_b32 s19, exec_lo
; %bb.359:                              ;   in Loop: Header=BB168_6 Depth=1
	s_or_b32 exec_lo, exec_lo, s18
	v_mov_b32_e32 v7, v5
	v_mov_b32_e32 v6, v4
	s_and_b32 s18, s19, exec_lo
.LBB168_360:                            ;   in Loop: Header=BB168_6 Depth=1
	s_or_b32 exec_lo, exec_lo, s6
	s_mov_b32 s6, -1
                                        ; implicit-def: $sgpr68
                                        ; implicit-def: $sgpr69
	s_and_saveexec_b32 s23, s18
	s_cbranch_execz .LBB168_458
; %bb.361:                              ;   in Loop: Header=BB168_6 Depth=1
	v_cmp_eq_u64_e32 vcc_lo, 1, v[6:7]
	s_cmp_eq_u64 s[14:15], 1
                                        ; implicit-def: $sgpr69
                                        ; implicit-def: $sgpr68
	s_cselect_b32 s6, -1, 0
	s_and_b32 s70, s6, vcc_lo
	s_mov_b32 s6, -1
	s_and_saveexec_b32 s71, s70
	s_cbranch_execz .LBB168_395
; %bb.362:                              ;   in Loop: Header=BB168_6 Depth=1
	ds_read_b64 v[4:5], v3 offset:5120
	s_waitcnt lgkmcnt(0)
	s_barrier
	buffer_gl0_inv
	v_readfirstlane_b32 s16, v4
	v_readfirstlane_b32 s17, v5
	s_and_saveexec_b32 s6, s10
; %bb.363:                              ;   in Loop: Header=BB168_6 Depth=1
	ds_write_b16 v33, v3
; %bb.364:                              ;   in Loop: Header=BB168_6 Depth=1
	s_or_b32 exec_lo, exec_lo, s6
	s_lshl_b32 s6, 1, s97
	v_or_b32_e32 v40, s11, v40
	v_and_or_b32 v20, v20, s26, s6
	s_mov_b32 s68, -1
	s_mov_b32 s69, 0
	s_cmp_eq_u64 s[16:17], 0
	s_mov_b32 s20, 0
	s_mov_b32 s6, -1
	s_waitcnt lgkmcnt(0)
	s_barrier
	buffer_gl0_inv
                                        ; implicit-def: $vgpr41
	s_cbranch_scc1 .LBB168_380
; %bb.365:                              ;   in Loop: Header=BB168_6 Depth=1
	s_add_u32 s6, s16, s82
	s_addc_u32 s19, s17, s83
	s_mov_b32 s18, s53
	s_cmp_lg_u64 s[18:19], 0
	s_cbranch_scc0 .LBB168_412
; %bb.366:                              ;   in Loop: Header=BB168_6 Depth=1
	v_cvt_f32_u32_e32 v4, s33
	s_sub_u32 s21, 0, s33
	s_subb_u32 s46, 0, 0
	v_fmac_f32_e64 v4, 0x4f800000, 0
	v_rcp_f32_e32 v4, v4
	v_mul_f32_e32 v4, 0x5f7ffffc, v4
	v_mul_f32_e32 v5, 0x2f800000, v4
	v_trunc_f32_e32 v5, v5
	v_fmac_f32_e32 v4, 0xcf800000, v5
	v_cvt_u32_f32_e32 v5, v5
	v_cvt_u32_f32_e32 v4, v4
	v_readfirstlane_b32 s18, v5
	v_readfirstlane_b32 s20, v4
	s_mul_i32 s47, s21, s18
	s_mul_hi_u32 s49, s21, s20
	s_mul_i32 s48, s46, s20
	s_add_i32 s47, s49, s47
	s_mul_i32 s52, s21, s20
	s_add_i32 s47, s47, s48
	s_mul_hi_u32 s49, s20, s52
	s_mul_i32 s72, s20, s47
	s_mul_hi_u32 s56, s18, s52
	s_mul_i32 s48, s18, s52
	s_mul_hi_u32 s52, s20, s47
	s_add_u32 s49, s49, s72
	s_addc_u32 s52, 0, s52
	s_mul_hi_u32 s73, s18, s47
	s_add_u32 s48, s49, s48
	s_mul_i32 s47, s18, s47
	s_addc_u32 s48, s52, s56
	s_addc_u32 s49, s73, 0
	s_add_u32 s47, s48, s47
	s_addc_u32 s48, 0, s49
	s_add_u32 s20, s20, s47
	s_cselect_b32 s47, -1, 0
	s_mul_hi_u32 s49, s21, s20
	s_cmp_lg_u32 s47, 0
	s_mul_i32 s47, s21, s20
	s_addc_u32 s18, s18, s48
	s_mul_i32 s46, s46, s20
	s_mul_i32 s21, s21, s18
	s_mul_hi_u32 s48, s20, s47
	s_add_i32 s21, s49, s21
	s_mul_hi_u32 s49, s18, s47
	s_add_i32 s21, s21, s46
	s_mul_i32 s46, s18, s47
	s_mul_i32 s56, s20, s21
	s_mul_hi_u32 s52, s20, s21
	s_add_u32 s48, s48, s56
	s_addc_u32 s52, 0, s52
	s_mul_hi_u32 s47, s18, s21
	s_add_u32 s46, s48, s46
	s_mul_i32 s21, s18, s21
	s_addc_u32 s46, s52, s49
	s_addc_u32 s47, s47, 0
	s_add_u32 s21, s46, s21
	s_addc_u32 s46, 0, s47
	s_add_u32 s20, s20, s21
	s_cselect_b32 s21, -1, 0
	s_mul_hi_u32 s47, s6, s20
	s_cmp_lg_u32 s21, 0
	s_mul_hi_u32 s21, s19, s20
	s_addc_u32 s18, s18, s46
	s_mul_i32 s20, s19, s20
	s_mul_i32 s48, s6, s18
	s_mul_hi_u32 s46, s6, s18
	s_add_u32 s47, s47, s48
	s_addc_u32 s46, 0, s46
	s_mul_hi_u32 s49, s19, s18
	s_add_u32 s20, s47, s20
	s_mul_i32 s18, s19, s18
	s_addc_u32 s20, s46, s21
	s_addc_u32 s21, s49, 0
	s_add_u32 s18, s20, s18
	s_addc_u32 s20, 0, s21
	s_mul_hi_u32 s21, s33, s18
	s_mul_i32 s20, s33, s20
	s_mul_i32 s18, s33, s18
	s_add_i32 s21, s21, s20
	s_sub_u32 s18, s6, s18
	s_cselect_b32 s20, -1, 0
	s_cmp_lg_u32 s20, 0
	s_subb_u32 s20, s19, s21
	s_sub_u32 s21, s18, s33
	s_cselect_b32 s46, -1, 0
	s_cmp_lg_u32 s46, 0
	s_subb_u32 s46, s20, 0
	;; [unrolled: 4-line block ×3, first 2 shown]
	s_cmp_ge_u32 s21, s33
	s_cselect_b32 s49, -1, 0
	s_cmp_eq_u32 s46, 0
	s_cselect_b32 s49, s49, -1
	s_cmp_lg_u32 s49, 0
	s_cselect_b32 s46, s48, s46
	s_cselect_b32 s47, s47, s21
	s_cmp_ge_u32 s18, s33
	s_cselect_b32 s21, -1, 0
	s_cmp_eq_u32 s20, 0
	s_cselect_b32 s21, s21, -1
	s_cmp_lg_u32 s21, 0
	s_cselect_b32 s21, s46, s20
	s_cselect_b32 s20, s47, s18
	s_cbranch_execnz .LBB168_368
.LBB168_367:                            ;   in Loop: Header=BB168_6 Depth=1
	v_cvt_f32_u32_e32 v4, s33
	s_sub_i32 s20, 0, s33
	v_rcp_iflag_f32_e32 v4, v4
	v_mul_f32_e32 v4, 0x4f7ffffe, v4
	v_cvt_u32_f32_e32 v4, v4
	v_readfirstlane_b32 s18, v4
	s_mul_i32 s20, s20, s18
	s_mul_hi_u32 s20, s18, s20
	s_add_i32 s18, s18, s20
	s_mul_hi_u32 s18, s6, s18
	s_mul_i32 s18, s18, s33
	s_sub_i32 s18, s6, s18
	s_sub_i32 s20, s18, s33
	s_cmp_ge_u32 s18, s33
	s_cselect_b32 s18, s20, s18
	s_sub_i32 s20, s18, s33
	s_cmp_ge_u32 s18, s33
	s_cselect_b32 s52, s20, s18
	s_mov_b64 s[20:21], s[52:53]
.LBB168_368:                            ;   in Loop: Header=BB168_6 Depth=1
	s_sub_u32 s18, s6, s20
	s_subb_u32 s19, s19, s21
	s_mov_b32 s6, 0
	s_mov_b32 s20, 0
	s_mov_b32 s21, exec_lo
                                        ; implicit-def: $vgpr41
	v_cmpx_gt_u64_e64 s[18:19], v[0:1]
	s_cbranch_execz .LBB168_379
; %bb.369:                              ;   in Loop: Header=BB168_6 Depth=1
	v_mov_b32_e32 v5, v1
	v_mov_b32_e32 v8, v32
	;; [unrolled: 1-line block ×3, first 2 shown]
                                        ; implicit-def: $sgpr48
	s_inst_prefetch 0x1
	s_branch .LBB168_372
	.p2align	6
.LBB168_370:                            ;   in Loop: Header=BB168_372 Depth=2
	s_or_b32 exec_lo, exec_lo, s49
	s_waitcnt lgkmcnt(0)
	s_barrier
	buffer_gl0_inv
	ds_read_b32 v9, v3 offset:3072
	s_mov_b32 s46, -1
	s_waitcnt lgkmcnt(0)
	s_barrier
	buffer_gl0_inv
	v_cmp_ne_u32_sdwa s47, v9, v3 src0_sel:WORD_0 src1_sel:DWORD
	s_and_b32 vcc_lo, exec_lo, s47
	s_mov_b32 s47, -1
	s_cbranch_vccz .LBB168_375
.LBB168_371:                            ;   in Loop: Header=BB168_372 Depth=2
	s_and_b32 s7, exec_lo, s46
	s_or_b32 s20, s7, s20
	s_andn2_b32 s7, s48, exec_lo
	s_and_b32 s8, s47, exec_lo
	s_or_b32 s48, s7, s8
	s_andn2_b32 exec_lo, exec_lo, s20
	s_cbranch_execz .LBB168_378
.LBB168_372:                            ;   Parent Loop BB168_6 Depth=1
                                        ; =>  This Inner Loop Header: Depth=2
	s_mov_b32 s49, exec_lo
	v_cmpx_gt_u64_e64 s[16:17], v[4:5]
	s_cbranch_execz .LBB168_370
; %bb.373:                              ;   in Loop: Header=BB168_372 Depth=2
	ds_read_u16 v9, v8
	s_waitcnt lgkmcnt(0)
	v_add_nc_u32_sdwa v10, sext(v9), v39 dst_sel:DWORD dst_unused:UNUSED_PAD src0_sel:WORD_0 src1_sel:DWORD
	v_and_b32_e32 v10, v10, v40
	v_cmp_eq_u32_e32 vcc_lo, v10, v20
	s_and_b32 exec_lo, exec_lo, vcc_lo
	s_cbranch_execz .LBB168_370
; %bb.374:                              ;   in Loop: Header=BB168_372 Depth=2
	v_perm_b32 v9, v9, 1, 0x5040100
	ds_write_b32 v3, v9 offset:3072
	s_branch .LBB168_370
.LBB168_375:                            ;   in Loop: Header=BB168_372 Depth=2
	v_add_co_u32 v4, vcc_lo, v4, s33
	v_add_co_ci_u32_e64 v5, null, 0, v5, vcc_lo
	v_add_nc_u32_e32 v8, s90, v8
	s_mov_b32 s47, 0
	v_cmp_le_u64_e32 vcc_lo, s[18:19], v[4:5]
	s_orn2_b32 s46, vcc_lo, exec_lo
	s_branch .LBB168_371
.LBB168_376:                            ;   in Loop: Header=BB168_6 Depth=1
                                        ; implicit-def: $sgpr22_sgpr23
	s_branch .LBB168_322
.LBB168_377:                            ;   in Loop: Header=BB168_6 Depth=1
                                        ; implicit-def: $sgpr18_sgpr19
	s_branch .LBB168_338
.LBB168_378:                            ;   in Loop: Header=BB168_6 Depth=1
	s_inst_prefetch 0x2
	s_or_b32 exec_lo, exec_lo, s20
	v_lshrrev_b32_e32 v41, 16, v9
	s_and_b32 s20, s48, exec_lo
.LBB168_379:                            ;   in Loop: Header=BB168_6 Depth=1
	s_or_b32 exec_lo, exec_lo, s21
.LBB168_380:                            ;   in Loop: Header=BB168_6 Depth=1
	s_and_b32 vcc_lo, exec_lo, s6
	s_cbranch_vccz .LBB168_394
; %bb.381:                              ;   in Loop: Header=BB168_6 Depth=1
	s_mov_b32 s56, s53
	s_cmp_lg_u64 s[56:57], 0
	s_cbranch_scc0 .LBB168_413
; %bb.382:                              ;   in Loop: Header=BB168_6 Depth=1
	v_cvt_f32_u32_e32 v4, s33
	s_sub_u32 s17, 0, s33
	s_subb_u32 s18, 0, 0
	v_fmac_f32_e64 v4, 0x4f800000, 0
	v_rcp_f32_e32 v4, v4
	v_mul_f32_e32 v4, 0x5f7ffffc, v4
	v_mul_f32_e32 v5, 0x2f800000, v4
	v_trunc_f32_e32 v5, v5
	v_fmac_f32_e32 v4, 0xcf800000, v5
	v_cvt_u32_f32_e32 v5, v5
	v_cvt_u32_f32_e32 v4, v4
	v_readfirstlane_b32 s6, v5
	v_readfirstlane_b32 s16, v4
	s_mul_i32 s19, s17, s6
	s_mul_hi_u32 s46, s17, s16
	s_mul_i32 s21, s18, s16
	s_add_i32 s19, s46, s19
	s_mul_i32 s47, s17, s16
	s_add_i32 s19, s19, s21
	s_mul_hi_u32 s46, s16, s47
	s_mul_i32 s49, s16, s19
	s_mul_hi_u32 s48, s6, s47
	s_mul_i32 s21, s6, s47
	s_mul_hi_u32 s47, s16, s19
	s_add_u32 s46, s46, s49
	s_addc_u32 s47, 0, s47
	s_mul_hi_u32 s52, s6, s19
	s_add_u32 s21, s46, s21
	s_mul_i32 s19, s6, s19
	s_addc_u32 s21, s47, s48
	s_addc_u32 s46, s52, 0
	s_add_u32 s19, s21, s19
	s_addc_u32 s21, 0, s46
	s_add_u32 s16, s16, s19
	s_cselect_b32 s19, -1, 0
	s_mul_hi_u32 s46, s17, s16
	s_cmp_lg_u32 s19, 0
	s_mul_i32 s19, s17, s16
	s_addc_u32 s6, s6, s21
	s_mul_i32 s18, s18, s16
	s_mul_i32 s17, s17, s6
	s_mul_hi_u32 s21, s16, s19
	s_add_i32 s17, s46, s17
	s_mul_hi_u32 s46, s6, s19
	s_add_i32 s17, s17, s18
	s_mul_i32 s18, s6, s19
	s_mul_i32 s48, s16, s17
	s_mul_hi_u32 s47, s16, s17
	s_add_u32 s21, s21, s48
	s_addc_u32 s47, 0, s47
	s_mul_hi_u32 s19, s6, s17
	s_add_u32 s18, s21, s18
	s_mul_i32 s17, s6, s17
	s_addc_u32 s18, s47, s46
	s_addc_u32 s19, s19, 0
	s_add_u32 s17, s18, s17
	s_addc_u32 s18, 0, s19
	s_add_u32 s16, s16, s17
	s_cselect_b32 s17, -1, 0
	s_mul_hi_u32 s19, s84, s16
	s_cmp_lg_u32 s17, 0
	s_mul_hi_u32 s17, s57, s16
	s_addc_u32 s6, s6, s18
	s_mul_i32 s16, s57, s16
	s_mul_i32 s21, s84, s6
	s_mul_hi_u32 s18, s84, s6
	s_add_u32 s19, s19, s21
	s_addc_u32 s18, 0, s18
	s_mul_hi_u32 s46, s57, s6
	s_add_u32 s16, s19, s16
	s_mul_i32 s6, s57, s6
	s_addc_u32 s16, s18, s17
	s_addc_u32 s17, s46, 0
	s_add_u32 s6, s16, s6
	s_addc_u32 s16, 0, s17
	s_mul_hi_u32 s17, s33, s6
	s_mul_i32 s16, s33, s16
	s_mul_i32 s6, s33, s6
	s_add_i32 s17, s17, s16
	s_sub_u32 s6, s84, s6
	s_cselect_b32 s16, -1, 0
	s_cmp_lg_u32 s16, 0
	s_subb_u32 s16, s57, s17
	s_sub_u32 s17, s6, s33
	s_cselect_b32 s18, -1, 0
	s_cmp_lg_u32 s18, 0
	s_subb_u32 s18, s16, 0
	;; [unrolled: 4-line block ×3, first 2 shown]
	s_cmp_ge_u32 s17, s33
	s_cselect_b32 s46, -1, 0
	s_cmp_eq_u32 s18, 0
	s_cselect_b32 s46, s46, -1
	s_cmp_lg_u32 s46, 0
	s_cselect_b32 s18, s21, s18
	s_cselect_b32 s19, s19, s17
	s_cmp_ge_u32 s6, s33
	s_cselect_b32 s17, -1, 0
	s_cmp_eq_u32 s16, 0
	s_cselect_b32 s17, s17, -1
	s_cmp_lg_u32 s17, 0
	s_cselect_b32 s17, s18, s16
	s_cselect_b32 s16, s19, s6
	s_cbranch_execnz .LBB168_384
.LBB168_383:                            ;   in Loop: Header=BB168_6 Depth=1
	v_cvt_f32_u32_e32 v4, s33
	s_sub_i32 s16, 0, s33
	v_rcp_iflag_f32_e32 v4, v4
	v_mul_f32_e32 v4, 0x4f7ffffe, v4
	v_cvt_u32_f32_e32 v4, v4
	v_readfirstlane_b32 s6, v4
	s_mul_i32 s16, s16, s6
	s_mul_hi_u32 s16, s6, s16
	s_add_i32 s6, s6, s16
	s_mul_hi_u32 s6, s84, s6
	s_mul_i32 s6, s6, s33
	s_sub_i32 s6, s84, s6
	s_sub_i32 s16, s6, s33
	s_cmp_ge_u32 s6, s33
	s_cselect_b32 s6, s16, s6
	s_sub_i32 s16, s6, s33
	s_cmp_ge_u32 s6, s33
	s_cselect_b32 s52, s16, s6
	s_mov_b64 s[16:17], s[52:53]
.LBB168_384:                            ;   in Loop: Header=BB168_6 Depth=1
	s_sub_u32 s16, s84, s16
	s_subb_u32 s17, s57, s17
	s_mov_b32 s18, exec_lo
                                        ; implicit-def: $vgpr41
	v_cmpx_gt_u64_e64 s[16:17], v[0:1]
	s_cbranch_execz .LBB168_393
; %bb.385:                              ;   in Loop: Header=BB168_6 Depth=1
	v_mov_b32_e32 v4, v12
	v_mov_b32_e32 v9, v1
	;; [unrolled: 1-line block ×4, first 2 shown]
	s_mov_b32 s19, 0
                                        ; implicit-def: $sgpr21
	s_inst_prefetch 0x1
	s_branch .LBB168_388
	.p2align	6
.LBB168_386:                            ;   in Loop: Header=BB168_388 Depth=2
	s_or_b32 exec_lo, exec_lo, s6
	s_waitcnt lgkmcnt(0)
	s_barrier
	buffer_gl0_inv
	ds_read_b32 v10, v3 offset:3072
	s_mov_b32 s6, -1
	s_waitcnt lgkmcnt(0)
	s_barrier
	buffer_gl0_inv
	v_cmp_eq_u32_sdwa s46, v10, v3 src0_sel:WORD_0 src1_sel:DWORD
	s_and_b32 vcc_lo, exec_lo, s46
	s_mov_b32 s46, -1
	s_cbranch_vccnz .LBB168_391
.LBB168_387:                            ;   in Loop: Header=BB168_388 Depth=2
	s_and_b32 s6, exec_lo, s6
	s_or_b32 s19, s6, s19
	s_andn2_b32 s6, s21, exec_lo
	s_and_b32 s7, s46, exec_lo
	s_or_b32 s21, s6, s7
	s_andn2_b32 exec_lo, exec_lo, s19
	s_cbranch_execz .LBB168_392
.LBB168_388:                            ;   Parent Loop BB168_6 Depth=1
                                        ; =>  This Inner Loop Header: Depth=2
	s_mov_b32 s6, exec_lo
	v_cmpx_gt_u64_e64 s[28:29], v[8:9]
	s_cbranch_execz .LBB168_386
; %bb.389:                              ;   in Loop: Header=BB168_388 Depth=2
	global_load_ushort v10, v[4:5], off
	s_waitcnt vmcnt(0)
	v_add_nc_u32_sdwa v11, sext(v10), v39 dst_sel:DWORD dst_unused:UNUSED_PAD src0_sel:WORD_0 src1_sel:DWORD
	v_and_b32_e32 v11, v11, v40
	v_cmp_eq_u32_e32 vcc_lo, v11, v20
	s_and_b32 exec_lo, exec_lo, vcc_lo
	s_cbranch_execz .LBB168_386
; %bb.390:                              ;   in Loop: Header=BB168_388 Depth=2
	v_perm_b32 v10, v10, 1, 0x5040100
	ds_write_b32 v3, v10 offset:3072
	s_branch .LBB168_386
.LBB168_391:                            ;   in Loop: Header=BB168_388 Depth=2
	v_add_co_u32 v8, vcc_lo, v8, s33
	v_add_co_ci_u32_e64 v9, null, 0, v9, vcc_lo
	v_add_co_u32 v4, s6, v4, s34
	v_add_co_ci_u32_e64 v5, null, s35, v5, s6
	v_cmp_le_u64_e32 vcc_lo, s[16:17], v[8:9]
	s_mov_b32 s46, 0
	s_orn2_b32 s6, vcc_lo, exec_lo
	s_branch .LBB168_387
.LBB168_392:                            ;   in Loop: Header=BB168_6 Depth=1
	s_inst_prefetch 0x2
	s_or_b32 exec_lo, exec_lo, s19
	v_lshrrev_b32_e32 v41, 16, v10
	s_andn2_b32 s6, s20, exec_lo
	s_and_b32 s7, s21, exec_lo
	s_or_b32 s20, s6, s7
.LBB168_393:                            ;   in Loop: Header=BB168_6 Depth=1
	s_or_b32 exec_lo, exec_lo, s18
	s_mov_b32 s68, 0
	s_mov_b32 s69, -1
.LBB168_394:                            ;   in Loop: Header=BB168_6 Depth=1
	s_orn2_b32 s6, s20, exec_lo
.LBB168_395:                            ;   in Loop: Header=BB168_6 Depth=1
	s_or_b32 exec_lo, exec_lo, s71
	s_mov_b32 s16, 0
	s_and_saveexec_b32 s20, s6
	s_cbranch_execz .LBB168_457
; %bb.396:                              ;   in Loop: Header=BB168_6 Depth=1
	v_mov_b32_e32 v4, 1
	v_mov_b32_e32 v5, 0
	;; [unrolled: 1-line block ×3, first 2 shown]
	s_xor_b32 s17, s70, -1
	s_and_saveexec_b32 s6, s17
	s_cbranch_execz .LBB168_405
; %bb.397:                              ;   in Loop: Header=BB168_6 Depth=1
	s_mov_b32 s16, exec_lo
	v_cmpx_ge_u64_e64 s[14:15], v[6:7]
	s_xor_b32 s16, exec_lo, s16
	s_cbranch_execz .LBB168_402
; %bb.398:                              ;   in Loop: Header=BB168_6 Depth=1
	ds_read_b64 v[4:5], v3 offset:5120
	s_lshl_b32 s17, 1, s97
	v_or_b32_e32 v40, s11, v40
	v_and_or_b32 v20, v20, s26, s17
	s_waitcnt lgkmcnt(0)
	v_cmp_ne_u64_e32 vcc_lo, 0, v[4:5]
	s_cbranch_vccnz .LBB168_402
; %bb.399:                              ;   in Loop: Header=BB168_6 Depth=1
	s_and_saveexec_b32 s17, s3
; %bb.400:                              ;   in Loop: Header=BB168_6 Depth=1
	v_mov_b32_e32 v4, s14
	v_mov_b32_e32 v5, s15
	ds_write_b64 v3, v[4:5] offset:5128
; %bb.401:                              ;   in Loop: Header=BB168_6 Depth=1
	s_or_b32 exec_lo, exec_lo, s17
	s_waitcnt lgkmcnt(0)
	s_barrier
	buffer_gl0_inv
.LBB168_402:                            ;   in Loop: Header=BB168_6 Depth=1
	s_or_saveexec_b32 s16, s16
	v_mov_b32_e32 v2, 5
	s_mov_b32 s17, 0
	s_xor_b32 exec_lo, exec_lo, s16
; %bb.403:                              ;   in Loop: Header=BB168_6 Depth=1
	v_sub_co_u32 v6, vcc_lo, v6, s14
	v_subrev_co_ci_u32_e64 v7, null, s15, v7, vcc_lo
	v_mov_b32_e32 v2, 0
	s_mov_b32 s17, exec_lo
; %bb.404:                              ;   in Loop: Header=BB168_6 Depth=1
	s_or_b32 exec_lo, exec_lo, s16
	v_mov_b32_e32 v4, v6
	v_mov_b32_e32 v5, v7
	s_and_b32 s16, s17, exec_lo
.LBB168_405:                            ;   in Loop: Header=BB168_6 Depth=1
	s_or_b32 exec_lo, exec_lo, s6
	s_mov_b32 s14, -1
                                        ; implicit-def: $sgpr48
                                        ; implicit-def: $sgpr6
	s_and_saveexec_b32 s21, s16
	s_cbranch_execz .LBB168_456
; %bb.406:                              ;   in Loop: Header=BB168_6 Depth=1
	v_cmp_eq_u64_e32 vcc_lo, 1, v[4:5]
	s_cmp_eq_u64 s[12:13], 1
	s_mov_b32 s15, -1
	s_cselect_b32 s6, -1, 0
                                        ; implicit-def: $sgpr48
	s_and_b32 s70, s6, vcc_lo
                                        ; implicit-def: $sgpr6
	s_and_saveexec_b32 s71, s70
	s_cbranch_execz .LBB168_444
; %bb.407:                              ;   in Loop: Header=BB168_6 Depth=1
	ds_read_b64 v[6:7], v3 offset:5120
	s_waitcnt lgkmcnt(0)
	s_barrier
	buffer_gl0_inv
	v_readfirstlane_b32 s14, v6
	v_readfirstlane_b32 s15, v7
	s_and_saveexec_b32 s6, s10
; %bb.408:                              ;   in Loop: Header=BB168_6 Depth=1
	ds_write_b16 v33, v3
; %bb.409:                              ;   in Loop: Header=BB168_6 Depth=1
	s_or_b32 exec_lo, exec_lo, s6
	v_and_b32_e32 v20, s26, v20
	v_or_b32_e32 v40, s11, v40
	s_mov_b32 s6, -1
	s_mov_b32 s48, 0
	s_cmp_eq_u64 s[14:15], 0
	s_mov_b32 s18, 0
	s_mov_b32 s19, -1
	s_waitcnt lgkmcnt(0)
	s_barrier
	buffer_gl0_inv
                                        ; implicit-def: $vgpr41
	s_cbranch_scc1 .LBB168_427
; %bb.410:                              ;   in Loop: Header=BB168_6 Depth=1
	s_add_u32 s49, s14, s82
	s_addc_u32 s17, s15, s83
	s_mov_b32 s16, s53
	s_cmp_lg_u64 s[16:17], 0
	s_cbranch_scc0 .LBB168_414
; %bb.411:                              ;   in Loop: Header=BB168_6 Depth=1
	v_cvt_f32_u32_e32 v6, s33
	s_sub_u32 s19, 0, s33
	s_subb_u32 s46, 0, 0
	v_fmac_f32_e64 v6, 0x4f800000, 0
	v_rcp_f32_e32 v6, v6
	v_mul_f32_e32 v6, 0x5f7ffffc, v6
	v_mul_f32_e32 v7, 0x2f800000, v6
	v_trunc_f32_e32 v7, v7
	v_fmac_f32_e32 v6, 0xcf800000, v7
	v_cvt_u32_f32_e32 v7, v7
	v_cvt_u32_f32_e32 v6, v6
	v_readfirstlane_b32 s16, v7
	v_readfirstlane_b32 s18, v6
	s_mul_i32 s47, s19, s16
	s_mul_hi_u32 s56, s19, s18
	s_mul_i32 s52, s46, s18
	s_add_i32 s47, s56, s47
	s_mul_i32 s72, s19, s18
	s_add_i32 s47, s47, s52
	s_mul_hi_u32 s56, s18, s72
	s_mul_i32 s74, s18, s47
	s_mul_hi_u32 s73, s16, s72
	s_mul_i32 s52, s16, s72
	s_mul_hi_u32 s72, s18, s47
	s_add_u32 s56, s56, s74
	s_addc_u32 s72, 0, s72
	s_mul_hi_u32 s75, s16, s47
	s_add_u32 s52, s56, s52
	s_mul_i32 s47, s16, s47
	s_addc_u32 s52, s72, s73
	s_addc_u32 s56, s75, 0
	s_add_u32 s47, s52, s47
	s_addc_u32 s52, 0, s56
	s_add_u32 s18, s18, s47
	s_cselect_b32 s47, -1, 0
	s_mul_hi_u32 s56, s19, s18
	s_cmp_lg_u32 s47, 0
	s_mul_i32 s47, s19, s18
	s_addc_u32 s16, s16, s52
	s_mul_i32 s46, s46, s18
	s_mul_i32 s19, s19, s16
	s_mul_hi_u32 s52, s18, s47
	s_add_i32 s19, s56, s19
	s_mul_hi_u32 s56, s16, s47
	s_add_i32 s19, s19, s46
	s_mul_i32 s46, s16, s47
	s_mul_i32 s73, s18, s19
	s_mul_hi_u32 s72, s18, s19
	s_add_u32 s52, s52, s73
	s_addc_u32 s72, 0, s72
	s_mul_hi_u32 s47, s16, s19
	s_add_u32 s46, s52, s46
	s_mul_i32 s19, s16, s19
	s_addc_u32 s46, s72, s56
	s_addc_u32 s47, s47, 0
	s_add_u32 s19, s46, s19
	s_addc_u32 s46, 0, s47
	s_add_u32 s18, s18, s19
	s_cselect_b32 s19, -1, 0
	s_mul_hi_u32 s47, s49, s18
	s_cmp_lg_u32 s19, 0
	s_mul_hi_u32 s19, s17, s18
	s_addc_u32 s16, s16, s46
	s_mul_i32 s18, s17, s18
	s_mul_i32 s52, s49, s16
	s_mul_hi_u32 s46, s49, s16
	s_add_u32 s47, s47, s52
	s_addc_u32 s46, 0, s46
	s_mul_hi_u32 s56, s17, s16
	s_add_u32 s18, s47, s18
	s_mul_i32 s16, s17, s16
	s_addc_u32 s18, s46, s19
	s_addc_u32 s19, s56, 0
	s_add_u32 s16, s18, s16
	s_addc_u32 s18, 0, s19
	s_mul_hi_u32 s19, s33, s16
	s_mul_i32 s18, s33, s18
	s_mul_i32 s16, s33, s16
	s_add_i32 s19, s19, s18
	s_sub_u32 s16, s49, s16
	s_cselect_b32 s18, -1, 0
	s_cmp_lg_u32 s18, 0
	s_subb_u32 s18, s17, s19
	s_sub_u32 s19, s16, s33
	s_cselect_b32 s46, -1, 0
	s_cmp_lg_u32 s46, 0
	s_subb_u32 s46, s18, 0
	;; [unrolled: 4-line block ×3, first 2 shown]
	s_cmp_ge_u32 s19, s33
	s_cselect_b32 s56, -1, 0
	s_cmp_eq_u32 s46, 0
	s_cselect_b32 s56, s56, -1
	s_cmp_lg_u32 s56, 0
	s_cselect_b32 s46, s52, s46
	s_cselect_b32 s47, s47, s19
	s_cmp_ge_u32 s16, s33
	s_cselect_b32 s19, -1, 0
	s_cmp_eq_u32 s18, 0
	s_cselect_b32 s19, s19, -1
	s_cmp_lg_u32 s19, 0
	s_cselect_b32 s19, s46, s18
	s_cselect_b32 s18, s47, s16
	s_mov_b32 s16, 0
	s_branch .LBB168_415
.LBB168_412:                            ;   in Loop: Header=BB168_6 Depth=1
                                        ; implicit-def: $sgpr20_sgpr21
	s_branch .LBB168_367
.LBB168_413:                            ;   in Loop: Header=BB168_6 Depth=1
                                        ; implicit-def: $sgpr16_sgpr17
	s_branch .LBB168_383
.LBB168_414:                            ;   in Loop: Header=BB168_6 Depth=1
	s_mov_b32 s16, -1
                                        ; implicit-def: $sgpr18_sgpr19
.LBB168_415:                            ;   in Loop: Header=BB168_6 Depth=1
	s_andn2_b32 vcc_lo, exec_lo, s16
	s_cbranch_vccnz .LBB168_417
; %bb.416:                              ;   in Loop: Header=BB168_6 Depth=1
	v_cvt_f32_u32_e32 v6, s33
	s_sub_i32 s18, 0, s33
	v_rcp_iflag_f32_e32 v6, v6
	v_mul_f32_e32 v6, 0x4f7ffffe, v6
	v_cvt_u32_f32_e32 v6, v6
	v_readfirstlane_b32 s16, v6
	s_mul_i32 s18, s18, s16
	s_mul_hi_u32 s18, s16, s18
	s_add_i32 s16, s16, s18
	s_mul_hi_u32 s16, s49, s16
	s_mul_i32 s16, s16, s33
	s_sub_i32 s16, s49, s16
	s_sub_i32 s18, s16, s33
	s_cmp_ge_u32 s16, s33
	s_cselect_b32 s16, s18, s16
	s_sub_i32 s18, s16, s33
	s_cmp_ge_u32 s16, s33
	s_cselect_b32 s52, s18, s16
	s_mov_b64 s[18:19], s[52:53]
.LBB168_417:                            ;   in Loop: Header=BB168_6 Depth=1
	s_sub_u32 s16, s49, s18
	s_subb_u32 s17, s17, s19
	s_mov_b32 s19, 0
	s_mov_b32 s18, 0
	s_mov_b32 s49, exec_lo
                                        ; implicit-def: $vgpr41
	v_cmpx_gt_u64_e64 s[16:17], v[0:1]
	s_cbranch_execz .LBB168_426
; %bb.418:                              ;   in Loop: Header=BB168_6 Depth=1
	v_mov_b32_e32 v7, v1
	v_mov_b32_e32 v8, v32
	;; [unrolled: 1-line block ×3, first 2 shown]
                                        ; implicit-def: $sgpr52
	s_inst_prefetch 0x1
	s_branch .LBB168_421
	.p2align	6
.LBB168_419:                            ;   in Loop: Header=BB168_421 Depth=2
	s_or_b32 exec_lo, exec_lo, s56
	s_waitcnt lgkmcnt(0)
	s_barrier
	buffer_gl0_inv
	ds_read_b32 v9, v3 offset:3072
	s_mov_b32 s46, -1
	s_waitcnt lgkmcnt(0)
	s_barrier
	buffer_gl0_inv
	v_cmp_ne_u32_sdwa s47, v9, v3 src0_sel:WORD_0 src1_sel:DWORD
	s_and_b32 vcc_lo, exec_lo, s47
	s_mov_b32 s47, -1
	s_cbranch_vccz .LBB168_424
.LBB168_420:                            ;   in Loop: Header=BB168_421 Depth=2
	s_and_b32 s7, exec_lo, s46
	s_or_b32 s18, s7, s18
	s_andn2_b32 s7, s52, exec_lo
	s_and_b32 s8, s47, exec_lo
	s_or_b32 s52, s7, s8
	s_andn2_b32 exec_lo, exec_lo, s18
	s_cbranch_execz .LBB168_425
.LBB168_421:                            ;   Parent Loop BB168_6 Depth=1
                                        ; =>  This Inner Loop Header: Depth=2
	s_mov_b32 s56, exec_lo
	v_cmpx_gt_u64_e64 s[14:15], v[6:7]
	s_cbranch_execz .LBB168_419
; %bb.422:                              ;   in Loop: Header=BB168_421 Depth=2
	ds_read_u16 v9, v8
	s_waitcnt lgkmcnt(0)
	v_add_nc_u32_sdwa v10, sext(v9), v39 dst_sel:DWORD dst_unused:UNUSED_PAD src0_sel:WORD_0 src1_sel:DWORD
	v_and_b32_e32 v10, v10, v40
	v_cmp_eq_u32_e32 vcc_lo, v10, v20
	s_and_b32 exec_lo, exec_lo, vcc_lo
	s_cbranch_execz .LBB168_419
; %bb.423:                              ;   in Loop: Header=BB168_421 Depth=2
	v_perm_b32 v9, v9, 1, 0x5040100
	ds_write_b32 v3, v9 offset:3072
	s_branch .LBB168_419
.LBB168_424:                            ;   in Loop: Header=BB168_421 Depth=2
	v_add_co_u32 v6, vcc_lo, v6, s33
	v_add_co_ci_u32_e64 v7, null, 0, v7, vcc_lo
	v_add_nc_u32_e32 v8, s90, v8
	s_mov_b32 s47, 0
	v_cmp_le_u64_e32 vcc_lo, s[16:17], v[6:7]
	s_orn2_b32 s46, vcc_lo, exec_lo
	s_branch .LBB168_420
.LBB168_425:                            ;   in Loop: Header=BB168_6 Depth=1
	s_inst_prefetch 0x2
	s_or_b32 exec_lo, exec_lo, s18
	v_lshrrev_b32_e32 v41, 16, v9
	s_and_b32 s18, s52, exec_lo
.LBB168_426:                            ;   in Loop: Header=BB168_6 Depth=1
	s_or_b32 exec_lo, exec_lo, s49
.LBB168_427:                            ;   in Loop: Header=BB168_6 Depth=1
	s_and_b32 vcc_lo, exec_lo, s19
	s_cbranch_vccz .LBB168_443
; %bb.428:                              ;   in Loop: Header=BB168_6 Depth=1
	s_mov_b32 s56, s53
	s_cmp_lg_u64 s[56:57], 0
	s_cbranch_scc0 .LBB168_430
; %bb.429:                              ;   in Loop: Header=BB168_6 Depth=1
	v_cvt_f32_u32_e32 v6, s33
	s_sub_u32 s15, 0, s33
	s_subb_u32 s16, 0, 0
	v_fmac_f32_e64 v6, 0x4f800000, 0
	v_rcp_f32_e32 v6, v6
	v_mul_f32_e32 v6, 0x5f7ffffc, v6
	v_mul_f32_e32 v7, 0x2f800000, v6
	v_trunc_f32_e32 v7, v7
	v_fmac_f32_e32 v6, 0xcf800000, v7
	v_cvt_u32_f32_e32 v7, v7
	v_cvt_u32_f32_e32 v6, v6
	v_readfirstlane_b32 s6, v7
	v_readfirstlane_b32 s14, v6
	s_mul_i32 s17, s15, s6
	s_mul_hi_u32 s46, s15, s14
	s_mul_i32 s19, s16, s14
	s_add_i32 s17, s46, s17
	s_mul_i32 s47, s15, s14
	s_add_i32 s17, s17, s19
	s_mul_hi_u32 s46, s14, s47
	s_mul_i32 s49, s14, s17
	s_mul_hi_u32 s48, s6, s47
	s_mul_i32 s19, s6, s47
	s_mul_hi_u32 s47, s14, s17
	s_add_u32 s46, s46, s49
	s_addc_u32 s47, 0, s47
	s_mul_hi_u32 s52, s6, s17
	s_add_u32 s19, s46, s19
	s_mul_i32 s17, s6, s17
	s_addc_u32 s19, s47, s48
	s_addc_u32 s46, s52, 0
	s_add_u32 s17, s19, s17
	s_addc_u32 s19, 0, s46
	s_add_u32 s14, s14, s17
	s_cselect_b32 s17, -1, 0
	s_mul_hi_u32 s46, s15, s14
	s_cmp_lg_u32 s17, 0
	s_mul_i32 s17, s15, s14
	s_addc_u32 s6, s6, s19
	s_mul_i32 s16, s16, s14
	s_mul_i32 s15, s15, s6
	s_mul_hi_u32 s19, s14, s17
	s_add_i32 s15, s46, s15
	s_mul_hi_u32 s46, s6, s17
	s_add_i32 s15, s15, s16
	s_mul_i32 s16, s6, s17
	s_mul_i32 s48, s14, s15
	s_mul_hi_u32 s47, s14, s15
	s_add_u32 s19, s19, s48
	s_addc_u32 s47, 0, s47
	s_mul_hi_u32 s17, s6, s15
	s_add_u32 s16, s19, s16
	s_mul_i32 s15, s6, s15
	s_addc_u32 s16, s47, s46
	s_addc_u32 s17, s17, 0
	s_add_u32 s15, s16, s15
	s_addc_u32 s16, 0, s17
	s_add_u32 s14, s14, s15
	s_cselect_b32 s15, -1, 0
	s_mul_hi_u32 s17, s84, s14
	s_cmp_lg_u32 s15, 0
	s_mul_hi_u32 s15, s57, s14
	s_addc_u32 s6, s6, s16
	s_mul_i32 s14, s57, s14
	s_mul_i32 s19, s84, s6
	s_mul_hi_u32 s16, s84, s6
	s_add_u32 s17, s17, s19
	s_addc_u32 s16, 0, s16
	s_mul_hi_u32 s46, s57, s6
	s_add_u32 s14, s17, s14
	s_mul_i32 s6, s57, s6
	s_addc_u32 s14, s16, s15
	s_addc_u32 s15, s46, 0
	s_add_u32 s6, s14, s6
	s_addc_u32 s14, 0, s15
	s_mul_hi_u32 s15, s33, s6
	s_mul_i32 s14, s33, s14
	s_mul_i32 s6, s33, s6
	s_add_i32 s15, s15, s14
	s_sub_u32 s6, s84, s6
	s_cselect_b32 s14, -1, 0
	s_cmp_lg_u32 s14, 0
	s_subb_u32 s14, s57, s15
	s_sub_u32 s15, s6, s33
	s_cselect_b32 s16, -1, 0
	s_cmp_lg_u32 s16, 0
	s_subb_u32 s16, s14, 0
	s_sub_u32 s17, s15, s33
	s_cselect_b32 s19, -1, 0
	s_cmp_lg_u32 s19, 0
	s_subb_u32 s19, s16, 0
	s_cmp_ge_u32 s15, s33
	s_cselect_b32 s46, -1, 0
	s_cmp_eq_u32 s16, 0
	s_cselect_b32 s46, s46, -1
	s_cmp_lg_u32 s46, 0
	s_cselect_b32 s16, s19, s16
	s_cselect_b32 s17, s17, s15
	s_cmp_ge_u32 s6, s33
	s_cselect_b32 s15, -1, 0
	s_cmp_eq_u32 s14, 0
	s_cselect_b32 s15, s15, -1
	s_cmp_lg_u32 s15, 0
	s_cselect_b32 s15, s16, s14
	s_cselect_b32 s14, s17, s6
	s_mov_b32 s6, 0
	s_branch .LBB168_431
.LBB168_430:                            ;   in Loop: Header=BB168_6 Depth=1
	s_mov_b32 s6, -1
                                        ; implicit-def: $sgpr14_sgpr15
.LBB168_431:                            ;   in Loop: Header=BB168_6 Depth=1
	s_andn2_b32 vcc_lo, exec_lo, s6
	s_cbranch_vccnz .LBB168_433
; %bb.432:                              ;   in Loop: Header=BB168_6 Depth=1
	v_cvt_f32_u32_e32 v6, s33
	s_sub_i32 s14, 0, s33
	v_rcp_iflag_f32_e32 v6, v6
	v_mul_f32_e32 v6, 0x4f7ffffe, v6
	v_cvt_u32_f32_e32 v6, v6
	v_readfirstlane_b32 s6, v6
	s_mul_i32 s14, s14, s6
	s_mul_hi_u32 s14, s6, s14
	s_add_i32 s6, s6, s14
	s_mul_hi_u32 s6, s84, s6
	s_mul_i32 s6, s6, s33
	s_sub_i32 s6, s84, s6
	s_sub_i32 s14, s6, s33
	s_cmp_ge_u32 s6, s33
	s_cselect_b32 s6, s14, s6
	s_sub_i32 s14, s6, s33
	s_cmp_ge_u32 s6, s33
	s_cselect_b32 s52, s14, s6
	s_mov_b64 s[14:15], s[52:53]
.LBB168_433:                            ;   in Loop: Header=BB168_6 Depth=1
	s_sub_u32 s14, s84, s14
	s_subb_u32 s15, s57, s15
	s_mov_b32 s16, exec_lo
                                        ; implicit-def: $vgpr41
	v_cmpx_gt_u64_e64 s[14:15], v[0:1]
	s_cbranch_execz .LBB168_442
; %bb.434:                              ;   in Loop: Header=BB168_6 Depth=1
	v_mov_b32_e32 v6, v12
	v_mov_b32_e32 v9, v1
	;; [unrolled: 1-line block ×4, first 2 shown]
	s_mov_b32 s17, 0
                                        ; implicit-def: $sgpr19
	s_inst_prefetch 0x1
	s_branch .LBB168_437
	.p2align	6
.LBB168_435:                            ;   in Loop: Header=BB168_437 Depth=2
	s_or_b32 exec_lo, exec_lo, s6
	s_waitcnt lgkmcnt(0)
	s_barrier
	buffer_gl0_inv
	ds_read_b32 v10, v3 offset:3072
	s_mov_b32 s6, -1
	s_waitcnt lgkmcnt(0)
	s_barrier
	buffer_gl0_inv
	v_cmp_eq_u32_sdwa s46, v10, v3 src0_sel:WORD_0 src1_sel:DWORD
	s_and_b32 vcc_lo, exec_lo, s46
	s_mov_b32 s46, -1
	s_cbranch_vccnz .LBB168_440
.LBB168_436:                            ;   in Loop: Header=BB168_437 Depth=2
	s_and_b32 s6, exec_lo, s6
	s_or_b32 s17, s6, s17
	s_andn2_b32 s6, s19, exec_lo
	s_and_b32 s7, s46, exec_lo
	s_or_b32 s19, s6, s7
	s_andn2_b32 exec_lo, exec_lo, s17
	s_cbranch_execz .LBB168_441
.LBB168_437:                            ;   Parent Loop BB168_6 Depth=1
                                        ; =>  This Inner Loop Header: Depth=2
	s_mov_b32 s6, exec_lo
	v_cmpx_gt_u64_e64 s[28:29], v[8:9]
	s_cbranch_execz .LBB168_435
; %bb.438:                              ;   in Loop: Header=BB168_437 Depth=2
	global_load_ushort v10, v[6:7], off
	s_waitcnt vmcnt(0)
	v_add_nc_u32_sdwa v11, sext(v10), v39 dst_sel:DWORD dst_unused:UNUSED_PAD src0_sel:WORD_0 src1_sel:DWORD
	v_and_b32_e32 v11, v11, v40
	v_cmp_eq_u32_e32 vcc_lo, v11, v20
	s_and_b32 exec_lo, exec_lo, vcc_lo
	s_cbranch_execz .LBB168_435
; %bb.439:                              ;   in Loop: Header=BB168_437 Depth=2
	v_perm_b32 v10, v10, 1, 0x5040100
	ds_write_b32 v3, v10 offset:3072
	s_branch .LBB168_435
.LBB168_440:                            ;   in Loop: Header=BB168_437 Depth=2
	v_add_co_u32 v8, vcc_lo, v8, s33
	v_add_co_ci_u32_e64 v9, null, 0, v9, vcc_lo
	v_add_co_u32 v6, s6, v6, s34
	v_add_co_ci_u32_e64 v7, null, s35, v7, s6
	v_cmp_le_u64_e32 vcc_lo, s[14:15], v[8:9]
	s_mov_b32 s46, 0
	s_orn2_b32 s6, vcc_lo, exec_lo
	s_branch .LBB168_436
.LBB168_441:                            ;   in Loop: Header=BB168_6 Depth=1
	s_inst_prefetch 0x2
	s_or_b32 exec_lo, exec_lo, s17
	v_lshrrev_b32_e32 v41, 16, v10
	s_andn2_b32 s6, s18, exec_lo
	s_and_b32 s7, s19, exec_lo
	s_or_b32 s18, s6, s7
.LBB168_442:                            ;   in Loop: Header=BB168_6 Depth=1
	s_or_b32 exec_lo, exec_lo, s16
	s_mov_b32 s6, 0
	s_mov_b32 s48, -1
.LBB168_443:                            ;   in Loop: Header=BB168_6 Depth=1
	s_orn2_b32 s15, s18, exec_lo
.LBB168_444:                            ;   in Loop: Header=BB168_6 Depth=1
	s_or_b32 exec_lo, exec_lo, s71
	s_mov_b32 s16, 0
	s_and_saveexec_b32 s14, s15
	s_cbranch_execz .LBB168_455
; %bb.445:                              ;   in Loop: Header=BB168_6 Depth=1
	v_mov_b32_e32 v6, 1
	v_mov_b32_e32 v7, 0
	;; [unrolled: 1-line block ×3, first 2 shown]
	s_xor_b32 s16, s70, -1
	s_and_saveexec_b32 s15, s16
	s_cbranch_execz .LBB168_454
; %bb.446:                              ;   in Loop: Header=BB168_6 Depth=1
	s_mov_b32 s16, exec_lo
	v_cmpx_ge_u64_e64 s[12:13], v[4:5]
	s_xor_b32 s16, exec_lo, s16
	s_cbranch_execz .LBB168_451
; %bb.447:                              ;   in Loop: Header=BB168_6 Depth=1
	ds_read_b64 v[6:7], v3 offset:5120
	v_and_b32_e32 v20, s26, v20
	v_or_b32_e32 v40, s11, v40
	s_waitcnt lgkmcnt(0)
	v_cmp_ne_u64_e32 vcc_lo, 0, v[6:7]
	s_cbranch_vccnz .LBB168_451
; %bb.448:                              ;   in Loop: Header=BB168_6 Depth=1
	s_and_saveexec_b32 s11, s3
; %bb.449:                              ;   in Loop: Header=BB168_6 Depth=1
	v_mov_b32_e32 v6, s12
	v_mov_b32_e32 v7, s13
	ds_write_b64 v3, v[6:7] offset:5128
; %bb.450:                              ;   in Loop: Header=BB168_6 Depth=1
	s_or_b32 exec_lo, exec_lo, s11
	s_waitcnt lgkmcnt(0)
	s_barrier
	buffer_gl0_inv
.LBB168_451:                            ;   in Loop: Header=BB168_6 Depth=1
	s_andn2_saveexec_b32 s11, s16
; %bb.452:                              ;   in Loop: Header=BB168_6 Depth=1
	v_sub_co_u32 v4, vcc_lo, v4, s12
	v_subrev_co_ci_u32_e64 v5, null, s13, v5, vcc_lo
; %bb.453:                              ;   in Loop: Header=BB168_6 Depth=1
	s_or_b32 exec_lo, exec_lo, s11
	v_mov_b32_e32 v7, v5
	v_mov_b32_e32 v2, 5
	;; [unrolled: 1-line block ×3, first 2 shown]
.LBB168_454:                            ;   in Loop: Header=BB168_6 Depth=1
	s_or_b32 exec_lo, exec_lo, s15
	v_mov_b32_e32 v4, v6
	v_mov_b32_e32 v5, v7
	s_mov_b32 s16, exec_lo
.LBB168_455:                            ;   in Loop: Header=BB168_6 Depth=1
	s_or_b32 exec_lo, exec_lo, s14
	s_orn2_b32 s14, s16, exec_lo
.LBB168_456:                            ;   in Loop: Header=BB168_6 Depth=1
	s_or_b32 exec_lo, exec_lo, s21
	v_mov_b32_e32 v7, v5
	v_mov_b32_e32 v6, v4
	s_andn2_b32 s11, s69, exec_lo
	s_and_b32 s12, s48, exec_lo
	s_andn2_b32 s13, s68, exec_lo
	s_and_b32 s6, s6, exec_lo
	s_or_b32 s69, s11, s12
	s_or_b32 s68, s13, s6
	s_and_b32 s16, s14, exec_lo
.LBB168_457:                            ;   in Loop: Header=BB168_6 Depth=1
	s_or_b32 exec_lo, exec_lo, s20
	s_orn2_b32 s6, s16, exec_lo
.LBB168_458:                            ;   in Loop: Header=BB168_6 Depth=1
	s_or_b32 exec_lo, exec_lo, s23
	v_mov_b32_e32 v4, v6
	v_mov_b32_e32 v5, v7
	s_andn2_b32 s11, s67, exec_lo
	s_and_b32 s12, s69, exec_lo
	s_andn2_b32 s13, s66, exec_lo
	s_and_b32 s14, s68, exec_lo
	s_or_b32 s67, s11, s12
	s_or_b32 s66, s13, s14
	s_and_b32 s18, s6, exec_lo
.LBB168_459:                            ;   in Loop: Header=BB168_6 Depth=1
	s_or_b32 exec_lo, exec_lo, s22
	s_orn2_b32 s6, s18, exec_lo
.LBB168_460:                            ;   in Loop: Header=BB168_6 Depth=1
	s_or_b32 exec_lo, exec_lo, s25
	s_mov_b32 s11, s65
	s_mov_b32 s12, s64
	s_and_saveexec_b32 s13, s6
; %bb.461:                              ;   in Loop: Header=BB168_6 Depth=1
	v_cmp_ne_u32_e32 vcc_lo, 5, v2
	v_cmp_eq_u32_e64 s6, 5, v2
	s_andn2_b32 s11, s64, exec_lo
	s_andn2_b32 s14, s65, exec_lo
	s_and_b32 s12, vcc_lo, exec_lo
	s_and_b32 s6, s6, exec_lo
	s_or_b32 s12, s11, s12
	s_or_b32 s11, s14, s6
; %bb.462:                              ;   in Loop: Header=BB168_6 Depth=1
	s_or_b32 exec_lo, exec_lo, s13
	s_andn2_b32 s6, s9, exec_lo
	s_and_b32 s7, s67, exec_lo
	s_andn2_b32 s8, s27, exec_lo
	s_and_b32 s13, s66, exec_lo
	s_or_b32 s9, s6, s7
	s_or_b32 s27, s8, s13
	s_andn2_b32 s6, s64, exec_lo
	s_and_b32 s7, s12, exec_lo
	s_andn2_b32 s8, s65, exec_lo
	s_and_b32 s11, s11, exec_lo
	s_or_b32 s64, s6, s7
	s_or_b32 s65, s8, s11
.LBB168_463:                            ;   in Loop: Header=BB168_6 Depth=1
	s_or_b32 exec_lo, exec_lo, s24
	s_mov_b32 s66, 0
	s_mov_b32 s67, 0
	s_and_saveexec_b32 s6, s65
.LBB168_464:                            ;   in Loop: Header=BB168_6 Depth=1
	v_mov_b32_e32 v2, 0
	s_or_b32 s64, s64, exec_lo
.LBB168_465:                            ;   in Loop: Header=BB168_6 Depth=1
	s_or_b32 exec_lo, exec_lo, s6
	s_andn2_b32 s6, vcc_hi, exec_lo
	s_and_b32 s7, s9, exec_lo
	s_andn2_b32 s8, s99, exec_lo
	s_and_b32 s9, s27, exec_lo
	v_mov_b32_e32 v27, v5
	v_mov_b32_e32 v26, v4
	s_or_b32 vcc_hi, s6, s7
	s_or_b32 s99, s8, s9
	s_andn2_b32 s6, s45, exec_lo
	s_and_b32 s7, s67, exec_lo
	s_andn2_b32 s8, s44, exec_lo
	s_and_b32 s9, s66, exec_lo
	s_mov_b32 s11, -1
	s_andn2_b32 s104, s104, exec_lo
	s_or_b32 s45, s6, s7
	s_or_b32 s44, s8, s9
	s_and_saveexec_b32 s6, s64
	s_xor_b32 s6, exec_lo, s6
	s_cbranch_execz .LBB168_5
; %bb.466:                              ;   in Loop: Header=BB168_6 Depth=1
	s_mov_b32 s9, -1
	s_mov_b32 s12, exec_lo
	v_cmpx_eq_u32_e32 0, v2
	s_cbranch_execz .LBB168_4
; %bb.467:                              ;   in Loop: Header=BB168_6 Depth=1
	s_xor_b32 s93, s93, 1
	s_add_i32 s13, s97, -2
	s_cmp_eq_u32 s97, 0
	s_mov_b32 s97, s13
	s_cselect_b32 s9, -1, 0
	s_xor_b32 s11, exec_lo, -1
	s_orn2_b32 s9, s9, exec_lo
	s_branch .LBB168_4
.LBB168_468:
	s_or_b32 exec_lo, exec_lo, s91
	s_xor_b32 s7, s98, -1
	s_xor_b32 s9, s95, -1
	;; [unrolled: 1-line block ×5, first 2 shown]
	s_mov_b32 s8, 0
	s_and_saveexec_b32 s12, s11
	s_xor_b32 s12, exec_lo, s12
	s_cbranch_execnz .LBB168_473
; %bb.469:
	s_andn2_saveexec_b32 s0, s12
	s_cbranch_execnz .LBB168_492
.LBB168_470:
	s_or_b32 exec_lo, exec_lo, s0
	s_and_saveexec_b32 s0, s8
.LBB168_471:
	; divergent unreachable
.LBB168_472:
	s_endpgm
.LBB168_473:
	s_and_saveexec_b32 s11, s10
	s_xor_b32 s13, exec_lo, s11
	s_cbranch_execz .LBB168_490
; %bb.474:
	s_and_saveexec_b32 s10, s9
	s_xor_b32 s14, exec_lo, s10
	s_cbranch_execz .LBB168_488
; %bb.475:
	;; [unrolled: 4-line block ×3, first 2 shown]
	s_and_saveexec_b32 s7, s6
	s_xor_b32 s6, exec_lo, s7
; %bb.477:
	v_xor_b32_e32 v41, 0xffff8000, v20
; %bb.478:
	s_or_b32 exec_lo, exec_lo, s6
	s_and_saveexec_b32 s6, s3
; %bb.479:
	v_mov_b32_e32 v2, 0
	v_mov_b32_e32 v3, v2
	ds_write_b64 v2, v[2:3] offset:5136
; %bb.480:
	s_or_b32 exec_lo, exec_lo, s6
	v_mov_b32_e32 v16, 0
	s_waitcnt lgkmcnt(0)
	s_barrier
	buffer_gl0_inv
	s_and_saveexec_b32 s3, s1
	s_cbranch_execz .LBB168_482
; %bb.481:
	global_load_ushort v16, v[12:13], off
.LBB168_482:
	s_or_b32 exec_lo, exec_lo, s3
	s_clause 0x2
	s_load_dwordx2 s[20:21], s[4:5], 0x298
	s_load_dwordx2 s[8:9], s[4:5], 0x368
	;; [unrolled: 1-line block ×3, first 2 shown]
	v_readlane_b32 s18, v50, 0
	v_readlane_b32 s19, v50, 1
	s_add_u32 s3, s28, 31
	s_addc_u32 s7, s29, 0
	s_and_b32 s6, s3, 0xffffffe0
	s_mul_i32 s3, s19, s42
	v_cmp_gt_u64_e32 vcc_lo, s[6:7], v[0:1]
	s_waitcnt lgkmcnt(0)
	s_mul_i32 s16, s21, s42
	s_mul_hi_u32 s17, s20, s42
	s_mul_i32 s4, s20, s42
	v_readlane_b32 s20, v50, 4
	s_add_i32 s5, s17, s16
	s_mul_hi_u32 s16, s18, s42
	v_readlane_b32 s21, v50, 5
	s_add_i32 s19, s16, s3
	s_lshl_b64 s[16:17], s[4:5], 1
	s_mul_i32 s18, s18, s42
	s_add_u32 s5, s20, s16
	s_addc_u32 s16, s21, s17
	v_readlane_b32 s20, v50, 2
	v_readlane_b32 s21, v50, 3
	s_lshl_b64 s[18:19], s[18:19], 3
	s_mov_b32 s4, -1
	s_mov_b32 s3, 0
	s_add_u32 s17, s20, s18
	s_addc_u32 s18, s21, s19
	s_mov_b32 s19, 0
	s_and_saveexec_b32 s20, vcc_lo
	s_cbranch_execnz .LBB168_493
; %bb.483:
	s_or_b32 exec_lo, exec_lo, s20
	s_and_saveexec_b32 s2, s4
	s_cbranch_execnz .LBB168_508
.LBB168_484:
	s_or_b32 exec_lo, exec_lo, s2
	s_and_saveexec_b32 s0, s3
	s_xor_b32 s0, exec_lo, s0
	s_cbranch_execnz .LBB168_531
.LBB168_485:
	s_or_b32 exec_lo, exec_lo, s0
	s_and_b32 s8, s19, exec_lo
.LBB168_486:
	s_andn2_saveexec_b32 s0, s15
	s_cbranch_execnz .LBB168_533
.LBB168_487:
	s_or_b32 exec_lo, exec_lo, s0
	s_and_b32 s8, s8, exec_lo
.LBB168_488:
	s_andn2_saveexec_b32 s0, s14
	s_cbranch_execnz .LBB168_532
.LBB168_489:
	s_or_b32 exec_lo, exec_lo, s0
	s_and_b32 s8, s8, exec_lo
.LBB168_490:
	s_andn2_saveexec_b32 s0, s13
	s_cbranch_execnz .LBB168_527
.LBB168_491:
	s_or_b32 exec_lo, exec_lo, s0
	s_and_b32 s8, s8, exec_lo
	s_andn2_saveexec_b32 s0, s12
	s_cbranch_execz .LBB168_470
.LBB168_492:
	s_or_b32 s8, s8, exec_lo
	s_trap 2
	s_or_b32 exec_lo, exec_lo, s0
	s_and_saveexec_b32 s0, s8
	s_cbranch_execnz .LBB168_471
	s_branch .LBB168_472
.LBB168_493:
	v_add_co_u32 v2, s3, v0, s33
	v_add_co_ci_u32_e64 v3, null, 0, 0, s3
	v_mov_b32_e32 v17, 0x8000
	v_mul_lo_u32 v4, s39, v2
	s_add_u32 s3, s36, s40
	v_mul_lo_u32 v5, s38, v3
	v_mad_u64_u32 v[2:3], null, s38, v2, 0
	s_addc_u32 s4, s37, s41
	v_mov_b32_e32 v11, v1
	v_add_nc_u32_sdwa v18, sext(v41), v17 dst_sel:DWORD dst_unused:UNUSED_PAD src0_sel:WORD_0 src1_sel:DWORD
	v_mov_b32_e32 v10, v0
	s_mov_b32 s21, 0
                                        ; implicit-def: $sgpr22
                                        ; implicit-def: $vgpr8_vgpr9
	v_add3_u32 v3, v3, v5, v4
	v_lshlrev_b64 v[4:5], 1, v[2:3]
	v_mov_b32_e32 v3, 0
	v_add_co_u32 v4, s3, s3, v4
	v_add_co_ci_u32_e64 v5, null, s4, v5, s3
	s_branch .LBB168_495
.LBB168_494:                            ;   in Loop: Header=BB168_495 Depth=1
	s_or_b32 exec_lo, exec_lo, s23
	s_xor_b32 s3, s24, -1
	s_and_b32 s4, exec_lo, s4
	v_mov_b32_e32 v11, v7
	v_mov_b32_e32 v16, v19
	s_or_b32 s21, s4, s21
	v_mov_b32_e32 v10, v6
	s_andn2_b32 s4, s22, exec_lo
	s_and_b32 s3, s3, exec_lo
	s_or_b32 s22, s4, s3
	s_andn2_b32 exec_lo, exec_lo, s21
	s_cbranch_execz .LBB168_507
.LBB168_495:                            ; =>This Inner Loop Header: Depth=1
	v_add_co_u32 v6, s3, v10, s33
	v_add_co_ci_u32_e64 v7, null, 0, v11, s3
	v_mov_b32_e32 v19, 0
	s_mov_b32 s4, exec_lo
	v_cmpx_gt_u64_e64 s[28:29], v[6:7]
	s_cbranch_execz .LBB168_497
; %bb.496:                              ;   in Loop: Header=BB168_495 Depth=1
	global_load_ushort v19, v[4:5], off
.LBB168_497:                            ;   in Loop: Header=BB168_495 Depth=1
	s_or_b32 exec_lo, exec_lo, s4
	s_waitcnt vmcnt(0)
	v_add_nc_u32_sdwa v2, sext(v16), v17 dst_sel:DWORD dst_unused:UNUSED_PAD src0_sel:WORD_0 src1_sel:DWORD
	v_cmp_gt_u32_e64 s3, v2, v18
	v_cndmask_b32_e64 v14, 0, 1, s3
	v_cmp_lt_u32_e64 s3, v2, v18
	v_cndmask_b32_e64 v2, 0, 1, s3
	v_cmp_gt_u64_e64 s3, s[28:29], v[10:11]
	v_cndmask_b32_e64 v2, v2, v14, s2
	v_and_b32_e32 v2, 1, v2
	v_cmp_eq_u32_e64 s4, 1, v2
	s_and_b32 s24, s3, s4
	v_cndmask_b32_e64 v2, 0, 1, s24
	v_cmp_ne_u32_e64 s3, 0, v2
	s_cmp_lg_u32 s3, 0
	s_cselect_b32 s4, -1, 0
	s_and_b32 s4, s0, s4
	s_and_saveexec_b32 s23, s4
	s_cbranch_execz .LBB168_501
; %bb.498:                              ;   in Loop: Header=BB168_495 Depth=1
	s_mov_b32 s27, exec_lo
	s_bcnt1_i32_b32 s25, s3
	v_mbcnt_lo_u32_b32 v14, s27, 0
	s_mov_b32 s26, exec_lo
                                        ; implicit-def: $vgpr8_vgpr9
	v_cmpx_eq_u32_e32 0, v14
	s_cbranch_execz .LBB168_500
; %bb.499:                              ;   in Loop: Header=BB168_495 Depth=1
	s_bcnt1_i32_b32 s4, s27
	s_mul_i32 s4, s25, s4
	v_mov_b32_e32 v2, s4
	s_waitcnt lgkmcnt(0)
	ds_add_rtn_u64 v[8:9], v3, v[2:3] offset:5136
.LBB168_500:                            ;   in Loop: Header=BB168_495 Depth=1
	s_or_b32 exec_lo, exec_lo, s26
	s_waitcnt lgkmcnt(0)
	v_readfirstlane_b32 s27, v9
	v_readfirstlane_b32 s26, v8
	v_mad_u64_u32 v[8:9], null, s25, v14, s[26:27]
.LBB168_501:                            ;   in Loop: Header=BB168_495 Depth=1
	s_or_b32 exec_lo, exec_lo, s23
	s_waitcnt lgkmcnt(1)
	ds_bpermute_b32 v8, v3, v8
	s_waitcnt lgkmcnt(1)
	ds_bpermute_b32 v9, v3, v9
	s_mov_b32 s4, -1
	s_mov_b32 s25, -1
	s_and_saveexec_b32 s23, s24
	s_cbranch_execz .LBB168_505
; %bb.502:                              ;   in Loop: Header=BB168_495 Depth=1
	v_and_b32_e32 v2, s3, v30
	s_mov_b32 s24, 0
	s_mov_b32 s25, exec_lo
	v_bcnt_u32_b32 v2, v2, 0
	s_waitcnt lgkmcnt(1)
	v_add_co_u32 v14, s3, v8, v2
	s_waitcnt lgkmcnt(0)
	v_add_co_ci_u32_e64 v15, null, 0, v9, s3
	v_cmpx_gt_u64_e64 s[30:31], v[14:15]
; %bb.503:                              ;   in Loop: Header=BB168_495 Depth=1
	v_mul_lo_u32 v2, v15, s8
	v_mul_lo_u32 v22, v14, s9
	v_mad_u64_u32 v[20:21], null, v14, s8, 0
	v_mul_lo_u32 v23, v15, s10
	v_mul_lo_u32 v24, v14, s11
	v_mad_u64_u32 v[14:15], null, v14, s10, 0
	s_mov_b32 s24, exec_lo
	v_add3_u32 v21, v21, v22, v2
	v_add3_u32 v15, v15, v24, v23
	v_lshlrev_b64 v[20:21], 1, v[20:21]
	v_lshlrev_b64 v[14:15], 3, v[14:15]
	v_add_co_u32 v20, s3, s5, v20
	v_add_co_ci_u32_e64 v21, null, s16, v21, s3
	v_add_co_u32 v14, s3, s17, v14
	v_add_co_ci_u32_e64 v15, null, s18, v15, s3
	global_store_short v[20:21], v16, off
	global_store_dwordx2 v[14:15], v[10:11], off
; %bb.504:                              ;   in Loop: Header=BB168_495 Depth=1
	s_or_b32 exec_lo, exec_lo, s25
	s_orn2_b32 s25, s24, exec_lo
.LBB168_505:                            ;   in Loop: Header=BB168_495 Depth=1
	s_or_b32 exec_lo, exec_lo, s23
	s_mov_b32 s24, -1
	s_and_saveexec_b32 s23, s25
	s_cbranch_execz .LBB168_494
; %bb.506:                              ;   in Loop: Header=BB168_495 Depth=1
	v_cmp_le_u64_e64 s3, s[6:7], v[6:7]
	v_add_co_u32 v4, s4, v4, s34
	v_add_co_ci_u32_e64 v5, null, s35, v5, s4
	s_xor_b32 s24, exec_lo, -1
	s_orn2_b32 s4, s3, exec_lo
	s_branch .LBB168_494
.LBB168_507:
	s_or_b32 exec_lo, exec_lo, s21
	s_mov_b32 s3, exec_lo
	s_orn2_b32 s4, s22, exec_lo
	s_or_b32 exec_lo, exec_lo, s20
	s_and_saveexec_b32 s2, s4
	s_cbranch_execz .LBB168_484
.LBB168_508:
	v_mov_b32_e32 v4, 0
	s_waitcnt vmcnt(0) lgkmcnt(0)
	s_waitcnt_vscnt null, 0x0
	s_barrier
	buffer_gl0_inv
	s_and_saveexec_b32 s4, s1
	s_cbranch_execz .LBB168_510
; %bb.509:
	global_load_ushort v4, v[12:13], off
.LBB168_510:
	s_or_b32 exec_lo, exec_lo, s4
	s_mov_b32 s1, 0
	s_and_saveexec_b32 s4, vcc_lo
	s_cbranch_execz .LBB168_530
; %bb.511:
	v_add_co_u32 v2, s1, v0, s33
	v_add_co_ci_u32_e64 v3, null, 0, 0, s1
	s_add_u32 s1, s36, s40
	v_mul_lo_u32 v5, s39, v2
	s_addc_u32 s19, s37, s41
	v_mul_lo_u32 v6, s38, v3
	v_mad_u64_u32 v[2:3], null, s38, v2, 0
                                        ; implicit-def: $sgpr20
                                        ; implicit-def: $vgpr8_vgpr9
	v_add3_u32 v3, v3, v6, v5
	v_mov_b32_e32 v5, 0
	v_lshlrev_b64 v[2:3], 1, v[2:3]
	v_add_co_u32 v2, vcc_lo, s1, v2
	v_add_co_ci_u32_e64 v3, null, s19, v3, vcc_lo
	s_mov_b32 s19, 0
	s_branch .LBB168_514
.LBB168_512:                            ;   in Loop: Header=BB168_514 Depth=1
	s_or_b32 exec_lo, exec_lo, s22
	s_orn2_b32 s24, s23, exec_lo
	s_orn2_b32 s23, s1, exec_lo
.LBB168_513:                            ;   in Loop: Header=BB168_514 Depth=1
	s_or_b32 exec_lo, exec_lo, s21
	s_xor_b32 s1, s24, -1
	s_and_b32 s21, exec_lo, s23
	v_mov_b32_e32 v0, v6
	v_mov_b32_e32 v1, v7
	s_or_b32 s19, s21, s19
	v_mov_b32_e32 v4, v12
	s_andn2_b32 s20, s20, exec_lo
	s_and_b32 s1, s1, exec_lo
	s_or_b32 s20, s20, s1
	s_andn2_b32 exec_lo, exec_lo, s19
	s_cbranch_execz .LBB168_528
.LBB168_514:                            ; =>This Inner Loop Header: Depth=1
	v_add_co_u32 v6, vcc_lo, v0, s33
	v_add_co_ci_u32_e64 v7, null, 0, v1, vcc_lo
	v_mov_b32_e32 v12, 0
	s_mov_b32 s1, exec_lo
	v_cmpx_gt_u64_e64 s[28:29], v[6:7]
	s_cbranch_execz .LBB168_516
; %bb.515:                              ;   in Loop: Header=BB168_514 Depth=1
	global_load_ushort v12, v[2:3], off
.LBB168_516:                            ;   in Loop: Header=BB168_514 Depth=1
	s_or_b32 exec_lo, exec_lo, s1
	v_cmp_gt_u64_e32 vcc_lo, s[28:29], v[0:1]
	s_waitcnt vmcnt(0)
	v_cmp_eq_u16_e64 s1, v4, v41
	s_and_b32 s22, vcc_lo, s1
	v_cndmask_b32_e64 v4, 0, 1, s22
	v_cmp_ne_u32_e32 vcc_lo, 0, v4
	s_cmp_lg_u32 vcc_lo, 0
	s_cselect_b32 s1, -1, 0
	s_and_b32 s1, s0, s1
	s_and_saveexec_b32 s21, s1
	s_cbranch_execz .LBB168_520
; %bb.517:                              ;   in Loop: Header=BB168_514 Depth=1
	s_mov_b32 s25, exec_lo
	s_bcnt1_i32_b32 s23, vcc_lo
	v_mbcnt_lo_u32_b32 v10, s25, 0
	s_mov_b32 s24, exec_lo
                                        ; implicit-def: $vgpr8_vgpr9
	v_cmpx_eq_u32_e32 0, v10
; %bb.518:                              ;   in Loop: Header=BB168_514 Depth=1
	s_bcnt1_i32_b32 s1, s25
	s_mul_i32 s1, s23, s1
	v_mov_b32_e32 v4, s1
	ds_add_rtn_u64 v[8:9], v5, v[4:5] offset:5136
; %bb.519:                              ;   in Loop: Header=BB168_514 Depth=1
	s_or_b32 exec_lo, exec_lo, s24
	s_waitcnt lgkmcnt(0)
	v_readfirstlane_b32 s25, v9
	v_readfirstlane_b32 s24, v8
	v_mad_u64_u32 v[8:9], null, s23, v10, s[24:25]
.LBB168_520:                            ;   in Loop: Header=BB168_514 Depth=1
	s_or_b32 exec_lo, exec_lo, s21
	ds_bpermute_b32 v8, v5, v8
	ds_bpermute_b32 v9, v5, v9
	s_cmp_eq_u32 vcc_lo, 0
	s_mov_b32 s23, -1
	s_cselect_b32 s21, -1, 0
	s_mov_b32 s24, -1
	s_waitcnt lgkmcnt(0)
	v_cmp_gt_u64_e64 s1, s[30:31], v[8:9]
	s_or_b32 s1, s21, s1
	s_and_saveexec_b32 s21, s1
	s_cbranch_execz .LBB168_513
; %bb.521:                              ;   in Loop: Header=BB168_514 Depth=1
	v_and_b32_e32 v4, vcc_lo, v30
	v_sub_co_u32 v10, vcc_lo, s30, v8
	v_sub_co_ci_u32_e64 v11, null, s31, v9, vcc_lo
	v_bcnt_u32_b32 v4, v4, 0
	s_mov_b32 s1, -1
	v_bcnt_u32_b32 v4, 0, v4
	v_cmp_gt_u64_e32 vcc_lo, v[10:11], v[4:5]
	s_and_b32 s25, s22, vcc_lo
	s_and_saveexec_b32 s22, s25
	s_cbranch_execz .LBB168_525
; %bb.522:                              ;   in Loop: Header=BB168_514 Depth=1
	v_add_co_u32 v10, vcc_lo, v8, v4
	v_add_co_ci_u32_e64 v11, null, 0, v9, vcc_lo
	s_mov_b32 s24, 0
	s_mov_b32 s23, exec_lo
	v_cmpx_gt_u64_e64 s[30:31], v[10:11]
; %bb.523:                              ;   in Loop: Header=BB168_514 Depth=1
	v_mul_lo_u32 v4, v11, s8
	v_mul_lo_u32 v15, v10, s9
	v_mad_u64_u32 v[13:14], null, v10, s8, 0
	v_mul_lo_u32 v16, v11, s10
	v_mul_lo_u32 v17, v10, s11
	v_mad_u64_u32 v[10:11], null, v10, s10, 0
	s_mov_b32 s24, exec_lo
	v_add3_u32 v14, v14, v15, v4
	v_add3_u32 v11, v11, v17, v16
	v_lshlrev_b64 v[13:14], 1, v[13:14]
	v_lshlrev_b64 v[10:11], 3, v[10:11]
	v_add_co_u32 v13, vcc_lo, s5, v13
	v_add_co_ci_u32_e64 v14, null, s16, v14, vcc_lo
	v_add_co_u32 v10, vcc_lo, s17, v10
	v_add_co_ci_u32_e64 v11, null, s18, v11, vcc_lo
	global_store_short v[13:14], v41, off
	global_store_dwordx2 v[10:11], v[0:1], off
; %bb.524:                              ;   in Loop: Header=BB168_514 Depth=1
	s_or_b32 exec_lo, exec_lo, s23
	s_xor_b32 s23, exec_lo, -1
	s_orn2_b32 s24, s24, exec_lo
.LBB168_525:                            ;   in Loop: Header=BB168_514 Depth=1
	s_or_b32 exec_lo, exec_lo, s22
	s_and_saveexec_b32 s22, s24
	s_cbranch_execz .LBB168_512
; %bb.526:                              ;   in Loop: Header=BB168_514 Depth=1
	v_cmp_le_u64_e32 vcc_lo, s[6:7], v[6:7]
	v_add_co_u32 v2, s1, v2, s34
	v_add_co_ci_u32_e64 v3, null, s35, v3, s1
	s_or_b32 s23, s23, exec_lo
	s_orn2_b32 s1, vcc_lo, exec_lo
	s_branch .LBB168_512
.LBB168_527:
	s_or_b32 s8, s8, exec_lo
	s_trap 2
	s_branch .LBB168_491
.LBB168_528:
	s_or_b32 exec_lo, exec_lo, s19
	s_mov_b32 s0, 0
	s_and_saveexec_b32 s1, s20
	s_xor_b32 s1, exec_lo, s1
	s_cbranch_execnz .LBB168_534
.LBB168_529:
	s_or_b32 exec_lo, exec_lo, s1
	s_and_b32 s1, s0, exec_lo
.LBB168_530:
	s_or_b32 exec_lo, exec_lo, s4
	s_and_b32 s19, s1, exec_lo
	s_andn2_b32 s3, s3, exec_lo
	s_or_b32 exec_lo, exec_lo, s2
	s_and_saveexec_b32 s0, s3
	s_xor_b32 s0, exec_lo, s0
	s_cbranch_execz .LBB168_485
.LBB168_531:
	s_or_b32 s19, s19, exec_lo
	s_trap 2
	s_branch .LBB168_485
.LBB168_532:
	s_or_b32 s8, s8, exec_lo
	s_trap 2
	s_branch .LBB168_489
.LBB168_533:
	s_or_b32 s8, s8, exec_lo
	s_trap 2
	s_branch .LBB168_487
.LBB168_534:
	s_mov_b32 s0, exec_lo
	s_trap 2
	s_branch .LBB168_529
	.section	.rodata,"a",@progbits
	.p2align	6, 0x0
	.amdhsa_kernel _ZN2at6native6sbtopk10gatherTopKIsmLi1ELb0EEEvNS_4cuda6detail10TensorInfoIKT_T0_EES8_S8_bS8_S8_NS5_IS6_S8_EES8_NS5_IlS8_EES8_PS6_
		.amdhsa_group_segment_fixed_size 5152
		.amdhsa_private_segment_fixed_size 0
		.amdhsa_kernarg_size 1568
		.amdhsa_user_sgpr_count 6
		.amdhsa_user_sgpr_private_segment_buffer 1
		.amdhsa_user_sgpr_dispatch_ptr 0
		.amdhsa_user_sgpr_queue_ptr 0
		.amdhsa_user_sgpr_kernarg_segment_ptr 1
		.amdhsa_user_sgpr_dispatch_id 0
		.amdhsa_user_sgpr_flat_scratch_init 0
		.amdhsa_user_sgpr_private_segment_size 0
		.amdhsa_wavefront_size32 1
		.amdhsa_uses_dynamic_stack 0
		.amdhsa_system_sgpr_private_segment_wavefront_offset 0
		.amdhsa_system_sgpr_workgroup_id_x 1
		.amdhsa_system_sgpr_workgroup_id_y 1
		.amdhsa_system_sgpr_workgroup_id_z 1
		.amdhsa_system_sgpr_workgroup_info 0
		.amdhsa_system_vgpr_workitem_id 0
		.amdhsa_next_free_vgpr 51
		.amdhsa_next_free_sgpr 105
		.amdhsa_reserve_vcc 1
		.amdhsa_reserve_flat_scratch 0
		.amdhsa_float_round_mode_32 0
		.amdhsa_float_round_mode_16_64 0
		.amdhsa_float_denorm_mode_32 3
		.amdhsa_float_denorm_mode_16_64 3
		.amdhsa_dx10_clamp 1
		.amdhsa_ieee_mode 1
		.amdhsa_fp16_overflow 0
		.amdhsa_workgroup_processor_mode 1
		.amdhsa_memory_ordered 1
		.amdhsa_forward_progress 1
		.amdhsa_shared_vgpr_count 0
		.amdhsa_exception_fp_ieee_invalid_op 0
		.amdhsa_exception_fp_denorm_src 0
		.amdhsa_exception_fp_ieee_div_zero 0
		.amdhsa_exception_fp_ieee_overflow 0
		.amdhsa_exception_fp_ieee_underflow 0
		.amdhsa_exception_fp_ieee_inexact 0
		.amdhsa_exception_int_div_zero 0
	.end_amdhsa_kernel
	.section	.text._ZN2at6native6sbtopk10gatherTopKIsmLi1ELb0EEEvNS_4cuda6detail10TensorInfoIKT_T0_EES8_S8_bS8_S8_NS5_IS6_S8_EES8_NS5_IlS8_EES8_PS6_,"axG",@progbits,_ZN2at6native6sbtopk10gatherTopKIsmLi1ELb0EEEvNS_4cuda6detail10TensorInfoIKT_T0_EES8_S8_bS8_S8_NS5_IS6_S8_EES8_NS5_IlS8_EES8_PS6_,comdat
.Lfunc_end168:
	.size	_ZN2at6native6sbtopk10gatherTopKIsmLi1ELb0EEEvNS_4cuda6detail10TensorInfoIKT_T0_EES8_S8_bS8_S8_NS5_IS6_S8_EES8_NS5_IlS8_EES8_PS6_, .Lfunc_end168-_ZN2at6native6sbtopk10gatherTopKIsmLi1ELb0EEEvNS_4cuda6detail10TensorInfoIKT_T0_EES8_S8_bS8_S8_NS5_IS6_S8_EES8_NS5_IlS8_EES8_PS6_
                                        ; -- End function
	.set _ZN2at6native6sbtopk10gatherTopKIsmLi1ELb0EEEvNS_4cuda6detail10TensorInfoIKT_T0_EES8_S8_bS8_S8_NS5_IS6_S8_EES8_NS5_IlS8_EES8_PS6_.num_vgpr, 51
	.set _ZN2at6native6sbtopk10gatherTopKIsmLi1ELb0EEEvNS_4cuda6detail10TensorInfoIKT_T0_EES8_S8_bS8_S8_NS5_IS6_S8_EES8_NS5_IlS8_EES8_PS6_.num_agpr, 0
	.set _ZN2at6native6sbtopk10gatherTopKIsmLi1ELb0EEEvNS_4cuda6detail10TensorInfoIKT_T0_EES8_S8_bS8_S8_NS5_IS6_S8_EES8_NS5_IlS8_EES8_PS6_.numbered_sgpr, 105
	.set _ZN2at6native6sbtopk10gatherTopKIsmLi1ELb0EEEvNS_4cuda6detail10TensorInfoIKT_T0_EES8_S8_bS8_S8_NS5_IS6_S8_EES8_NS5_IlS8_EES8_PS6_.num_named_barrier, 0
	.set _ZN2at6native6sbtopk10gatherTopKIsmLi1ELb0EEEvNS_4cuda6detail10TensorInfoIKT_T0_EES8_S8_bS8_S8_NS5_IS6_S8_EES8_NS5_IlS8_EES8_PS6_.private_seg_size, 0
	.set _ZN2at6native6sbtopk10gatherTopKIsmLi1ELb0EEEvNS_4cuda6detail10TensorInfoIKT_T0_EES8_S8_bS8_S8_NS5_IS6_S8_EES8_NS5_IlS8_EES8_PS6_.uses_vcc, 1
	.set _ZN2at6native6sbtopk10gatherTopKIsmLi1ELb0EEEvNS_4cuda6detail10TensorInfoIKT_T0_EES8_S8_bS8_S8_NS5_IS6_S8_EES8_NS5_IlS8_EES8_PS6_.uses_flat_scratch, 0
	.set _ZN2at6native6sbtopk10gatherTopKIsmLi1ELb0EEEvNS_4cuda6detail10TensorInfoIKT_T0_EES8_S8_bS8_S8_NS5_IS6_S8_EES8_NS5_IlS8_EES8_PS6_.has_dyn_sized_stack, 0
	.set _ZN2at6native6sbtopk10gatherTopKIsmLi1ELb0EEEvNS_4cuda6detail10TensorInfoIKT_T0_EES8_S8_bS8_S8_NS5_IS6_S8_EES8_NS5_IlS8_EES8_PS6_.has_recursion, 0
	.set _ZN2at6native6sbtopk10gatherTopKIsmLi1ELb0EEEvNS_4cuda6detail10TensorInfoIKT_T0_EES8_S8_bS8_S8_NS5_IS6_S8_EES8_NS5_IlS8_EES8_PS6_.has_indirect_call, 0
	.section	.AMDGPU.csdata,"",@progbits
; Kernel info:
; codeLenInByte = 25468
; TotalNumSgprs: 107
; NumVgprs: 51
; ScratchSize: 0
; MemoryBound: 0
; FloatMode: 240
; IeeeMode: 1
; LDSByteSize: 5152 bytes/workgroup (compile time only)
; SGPRBlocks: 0
; VGPRBlocks: 6
; NumSGPRsForWavesPerEU: 107
; NumVGPRsForWavesPerEU: 51
; Occupancy: 16
; WaveLimiterHint : 1
; COMPUTE_PGM_RSRC2:SCRATCH_EN: 0
; COMPUTE_PGM_RSRC2:USER_SGPR: 6
; COMPUTE_PGM_RSRC2:TRAP_HANDLER: 0
; COMPUTE_PGM_RSRC2:TGID_X_EN: 1
; COMPUTE_PGM_RSRC2:TGID_Y_EN: 1
; COMPUTE_PGM_RSRC2:TGID_Z_EN: 1
; COMPUTE_PGM_RSRC2:TIDIG_COMP_CNT: 0
	.section	.text._ZN2at6native6mbtopk23computeBlockDigitCountsIsmjLi2EEEvNS_4cuda6detail10TensorInfoIKT_T0_EEjPjjS8_iijT1_PSB_Ps,"axG",@progbits,_ZN2at6native6mbtopk23computeBlockDigitCountsIsmjLi2EEEvNS_4cuda6detail10TensorInfoIKT_T0_EEjPjjS8_iijT1_PSB_Ps,comdat
	.protected	_ZN2at6native6mbtopk23computeBlockDigitCountsIsmjLi2EEEvNS_4cuda6detail10TensorInfoIKT_T0_EEjPjjS8_iijT1_PSB_Ps ; -- Begin function _ZN2at6native6mbtopk23computeBlockDigitCountsIsmjLi2EEEvNS_4cuda6detail10TensorInfoIKT_T0_EEjPjjS8_iijT1_PSB_Ps
	.globl	_ZN2at6native6mbtopk23computeBlockDigitCountsIsmjLi2EEEvNS_4cuda6detail10TensorInfoIKT_T0_EEjPjjS8_iijT1_PSB_Ps
	.p2align	8
	.type	_ZN2at6native6mbtopk23computeBlockDigitCountsIsmjLi2EEEvNS_4cuda6detail10TensorInfoIKT_T0_EEjPjjS8_iijT1_PSB_Ps,@function
_ZN2at6native6mbtopk23computeBlockDigitCountsIsmjLi2EEEvNS_4cuda6detail10TensorInfoIKT_T0_EEjPjjS8_iijT1_PSB_Ps: ; @_ZN2at6native6mbtopk23computeBlockDigitCountsIsmjLi2EEEvNS_4cuda6detail10TensorInfoIKT_T0_EEjPjjS8_iijT1_PSB_Ps
; %bb.0:
	s_clause 0x2
	s_load_dwordx4 s[0:3], s[4:5], 0x1c0
	s_load_dword s12, s[4:5], 0x1b0
	s_load_dwordx2 s[10:11], s[4:5], 0x1e0
	s_waitcnt lgkmcnt(0)
	v_cvt_f32_u32_e32 v1, s2
	s_mul_i32 s8, s11, s8
	s_sub_i32 s11, 0, s2
	s_add_i32 s7, s8, s7
	v_rcp_iflag_f32_e32 v1, v1
	s_mul_i32 s16, s7, s10
	s_add_i32 s16, s16, s6
	v_mul_f32_e32 v1, 0x4f7ffffe, v1
	v_cvt_u32_f32_e32 v1, v1
	v_readfirstlane_b32 s9, v1
	s_mul_i32 s11, s11, s9
	s_mul_hi_u32 s7, s9, s11
	s_add_i32 s9, s9, s7
	s_mul_hi_u32 s6, s16, s9
	s_mul_i32 s7, s6, s2
	s_add_i32 s8, s6, 1
	s_sub_i32 s7, s16, s7
	s_sub_i32 s9, s7, s2
	s_cmp_ge_u32 s7, s2
	s_cselect_b32 s6, s8, s6
	s_cselect_b32 s7, s9, s7
	s_add_i32 s8, s6, 1
	s_cmp_ge_u32 s7, s2
	s_mov_b32 s7, 0
	s_cselect_b32 s6, s8, s6
	s_cmp_ge_u32 s6, s12
	s_cbranch_scc1 .LBB169_23
; %bb.1:
	s_clause 0x1
	s_load_dwordx2 s[12:13], s[4:5], 0x10
	s_load_dwordx4 s[8:11], s[4:5], 0x1d0
	s_lshl_b64 s[14:15], s[6:7], 2
	s_waitcnt lgkmcnt(0)
	v_cmp_lt_u64_e64 s17, s[6:7], s[12:13]
	s_add_u32 s14, s8, s14
	s_addc_u32 s15, s9, s15
	s_mov_b64 s[8:9], 0
	s_and_b32 vcc_lo, exec_lo, s17
	s_cbranch_vccnz .LBB169_3
; %bb.2:
	v_cvt_f32_u32_e32 v1, s12
	s_sub_i32 s8, 0, s12
	v_rcp_iflag_f32_e32 v1, v1
	v_mul_f32_e32 v1, 0x4f7ffffe, v1
	v_cvt_u32_f32_e32 v1, v1
	v_readfirstlane_b32 s7, v1
	s_mul_i32 s8, s8, s7
	s_mul_hi_u32 s8, s7, s8
	s_add_i32 s7, s7, s8
	s_mul_hi_u32 s7, s6, s7
	s_mul_i32 s8, s7, s12
	s_add_i32 s9, s7, 1
	s_sub_i32 s8, s6, s8
	s_sub_i32 s17, s8, s12
	s_cmp_ge_u32 s8, s12
	s_cselect_b32 s7, s9, s7
	s_cselect_b32 s8, s17, s8
	s_add_i32 s9, s7, 1
	s_cmp_ge_u32 s8, s12
	s_cselect_b32 s8, s9, s7
.LBB169_3:
	v_cmp_gt_u32_e32 vcc_lo, 0x100, v0
	v_lshlrev_b32_e32 v1, 2, v0
	s_and_saveexec_b32 s7, vcc_lo
; %bb.4:
	v_mov_b32_e32 v2, 0
	ds_write_b32 v1, v2
; %bb.5:
	s_or_b32 exec_lo, exec_lo, s7
	s_load_dword s7, s[4:5], 0x1a0
	s_mul_i32 s9, s6, s2
	s_waitcnt lgkmcnt(0)
	s_sub_i32 s17, s16, s9
	s_barrier
	s_mul_i32 s9, s1, s17
	s_add_i32 s17, s17, 1
	s_lshl_b32 s9, s9, 8
	buffer_gl0_inv
	s_sub_i32 s18, s7, s9
	s_add_u32 s18, s18, 0xff
	s_addc_u32 s19, 0, 0
	s_lshr_b64 s[18:19], s[18:19], 8
	s_cmp_lt_u32 s17, s2
	s_mov_b32 s17, 0
	s_cselect_b32 s2, s1, s18
	s_cmp_lt_i32 s2, 1
	s_cbranch_scc1 .LBB169_21
; %bb.6:
	s_clause 0x1
	s_load_dwordx4 s[20:23], s[4:5], 0xd0
	s_load_dwordx2 s[18:19], s[4:5], 0x0
	s_load_dword s1, s[14:15], 0x0
	s_load_dwordx2 s[4:5], s[4:5], 0x1b8
	s_mul_i32 s13, s8, s13
	s_mul_hi_u32 s14, s8, s12
	s_mul_i32 s12, s8, s12
	s_add_i32 s14, s14, s13
	s_sub_u32 s6, s6, s12
	s_subb_u32 s12, 0, s14
	v_add_nc_u32_e32 v2, s9, v0
	s_waitcnt lgkmcnt(0)
	s_mul_i32 s13, s6, s23
	s_mul_hi_u32 s23, s6, s22
	s_mul_i32 s24, s12, s22
	s_mul_i32 s12, s6, s22
	s_mul_i32 s6, s8, s21
	s_mul_hi_u32 s15, s8, s20
	s_mul_i32 s14, s8, s20
	s_add_i32 s15, s15, s6
	s_add_i32 s6, s23, s13
	s_lshl_b64 s[14:15], s[14:15], 1
	s_add_i32 s13, s6, s24
	s_add_u32 s6, s18, s14
	s_addc_u32 s14, s19, s15
	s_lshl_b64 s[12:13], s[12:13], 1
	s_add_u32 s8, s6, s12
	s_addc_u32 s9, s14, s13
	s_and_b32 s6, s0, 0xff
	s_cmp_eq_u32 s2, 1
	s_cbranch_scc1 .LBB169_16
; %bb.7:
	v_mov_b32_e32 v3, 1
	v_mov_b32_e32 v4, v2
	s_and_b32 s12, s2, 0x7ffffffe
	s_mov_b32 s13, 0
	s_branch .LBB169_9
.LBB169_8:                              ;   in Loop: Header=BB169_9 Depth=1
	s_or_b32 exec_lo, exec_lo, s14
	v_add_nc_u32_e32 v4, 0x200, v4
	s_add_i32 s13, s13, 2
	s_cmp_eq_u32 s12, s13
	s_cbranch_scc1 .LBB169_15
.LBB169_9:                              ; =>This Inner Loop Header: Depth=1
	s_mov_b32 s14, exec_lo
	v_cmpx_gt_u32_e64 s7, v4
	s_cbranch_execz .LBB169_12
; %bb.10:                               ;   in Loop: Header=BB169_9 Depth=1
	v_mad_u64_u32 v[5:6], null, s4, v4, 0
	v_mad_u64_u32 v[6:7], null, s5, v4, v[6:7]
	v_lshlrev_b64 v[5:6], 1, v[5:6]
	v_add_co_u32 v5, s0, s8, v5
	v_add_co_ci_u32_e64 v6, null, s9, v6, s0
	global_load_sshort v5, v[5:6], off
	s_waitcnt vmcnt(0)
	v_add_nc_u32_e32 v5, 0x8000, v5
	v_xor_b32_e32 v6, s1, v5
	v_and_b32_e32 v6, s3, v6
	v_cmp_eq_u32_e64 s0, 0, v6
	s_and_b32 exec_lo, exec_lo, s0
; %bb.11:                               ;   in Loop: Header=BB169_9 Depth=1
	v_bfe_u32 v5, v5, s6, 8
	v_lshlrev_b32_e32 v5, 2, v5
	ds_add_u32 v5, v3
.LBB169_12:                             ;   in Loop: Header=BB169_9 Depth=1
	s_or_b32 exec_lo, exec_lo, s14
	v_add_nc_u32_e32 v5, 0x100, v4
	s_mov_b32 s14, exec_lo
	v_cmpx_gt_u32_e64 s7, v5
	s_cbranch_execz .LBB169_8
; %bb.13:                               ;   in Loop: Header=BB169_9 Depth=1
	v_mad_u64_u32 v[6:7], null, s4, v5, 0
	v_mad_u64_u32 v[7:8], null, s5, v5, v[7:8]
	v_lshlrev_b64 v[5:6], 1, v[6:7]
	v_add_co_u32 v5, s0, s8, v5
	v_add_co_ci_u32_e64 v6, null, s9, v6, s0
	global_load_sshort v5, v[5:6], off
	s_waitcnt vmcnt(0)
	v_add_nc_u32_e32 v5, 0x8000, v5
	v_xor_b32_e32 v6, s1, v5
	v_and_b32_e32 v6, s3, v6
	v_cmp_eq_u32_e64 s0, 0, v6
	s_and_b32 exec_lo, exec_lo, s0
	s_cbranch_execz .LBB169_8
; %bb.14:                               ;   in Loop: Header=BB169_9 Depth=1
	v_bfe_u32 v5, v5, s6, 8
	v_lshlrev_b32_e32 v5, 2, v5
	ds_add_u32 v5, v3
	s_branch .LBB169_8
.LBB169_15:
	s_lshl_b32 s17, s12, 8
.LBB169_16:
	s_bitcmp0_b32 s2, 0
	s_cbranch_scc1 .LBB169_21
; %bb.17:
	v_add_nc_u32_e32 v2, s17, v2
	s_mov_b32 s2, exec_lo
	v_cmpx_gt_u32_e64 s7, v2
	s_cbranch_execz .LBB169_20
; %bb.18:
	v_mad_u64_u32 v[3:4], null, s4, v2, 0
	v_mad_u64_u32 v[4:5], null, s5, v2, v[4:5]
	v_lshlrev_b64 v[2:3], 1, v[3:4]
	v_add_co_u32 v2, s0, s8, v2
	v_add_co_ci_u32_e64 v3, null, s9, v3, s0
	global_load_sshort v2, v[2:3], off
	s_waitcnt vmcnt(0)
	v_add_nc_u32_e32 v2, 0x8000, v2
	v_xor_b32_e32 v3, s1, v2
	v_and_b32_e32 v3, s3, v3
	v_cmp_eq_u32_e64 s0, 0, v3
	s_and_b32 exec_lo, exec_lo, s0
	s_cbranch_execz .LBB169_20
; %bb.19:
	v_bfe_u32 v2, v2, s6, 8
	v_mov_b32_e32 v3, 1
	v_lshlrev_b32_e32 v2, 2, v2
	ds_add_u32 v2, v3
.LBB169_20:
	s_or_b32 exec_lo, exec_lo, s2
.LBB169_21:
	s_waitcnt lgkmcnt(0)
	s_barrier
	buffer_gl0_inv
	s_and_saveexec_b32 s0, vcc_lo
	s_cbranch_execz .LBB169_23
; %bb.22:
	ds_read_b32 v2, v1
	v_lshl_or_b32 v0, s16, 8, v0
	v_mov_b32_e32 v1, 0
	v_lshlrev_b64 v[0:1], 1, v[0:1]
	v_add_co_u32 v0, vcc_lo, s10, v0
	v_add_co_ci_u32_e64 v1, null, s11, v1, vcc_lo
	s_waitcnt lgkmcnt(0)
	global_store_short v[0:1], v2, off
.LBB169_23:
	s_endpgm
	.section	.rodata,"a",@progbits
	.p2align	6, 0x0
	.amdhsa_kernel _ZN2at6native6mbtopk23computeBlockDigitCountsIsmjLi2EEEvNS_4cuda6detail10TensorInfoIKT_T0_EEjPjjS8_iijT1_PSB_Ps
		.amdhsa_group_segment_fixed_size 1024
		.amdhsa_private_segment_fixed_size 0
		.amdhsa_kernarg_size 736
		.amdhsa_user_sgpr_count 6
		.amdhsa_user_sgpr_private_segment_buffer 1
		.amdhsa_user_sgpr_dispatch_ptr 0
		.amdhsa_user_sgpr_queue_ptr 0
		.amdhsa_user_sgpr_kernarg_segment_ptr 1
		.amdhsa_user_sgpr_dispatch_id 0
		.amdhsa_user_sgpr_flat_scratch_init 0
		.amdhsa_user_sgpr_private_segment_size 0
		.amdhsa_wavefront_size32 1
		.amdhsa_uses_dynamic_stack 0
		.amdhsa_system_sgpr_private_segment_wavefront_offset 0
		.amdhsa_system_sgpr_workgroup_id_x 1
		.amdhsa_system_sgpr_workgroup_id_y 1
		.amdhsa_system_sgpr_workgroup_id_z 1
		.amdhsa_system_sgpr_workgroup_info 0
		.amdhsa_system_vgpr_workitem_id 0
		.amdhsa_next_free_vgpr 9
		.amdhsa_next_free_sgpr 25
		.amdhsa_reserve_vcc 1
		.amdhsa_reserve_flat_scratch 0
		.amdhsa_float_round_mode_32 0
		.amdhsa_float_round_mode_16_64 0
		.amdhsa_float_denorm_mode_32 3
		.amdhsa_float_denorm_mode_16_64 3
		.amdhsa_dx10_clamp 1
		.amdhsa_ieee_mode 1
		.amdhsa_fp16_overflow 0
		.amdhsa_workgroup_processor_mode 1
		.amdhsa_memory_ordered 1
		.amdhsa_forward_progress 1
		.amdhsa_shared_vgpr_count 0
		.amdhsa_exception_fp_ieee_invalid_op 0
		.amdhsa_exception_fp_denorm_src 0
		.amdhsa_exception_fp_ieee_div_zero 0
		.amdhsa_exception_fp_ieee_overflow 0
		.amdhsa_exception_fp_ieee_underflow 0
		.amdhsa_exception_fp_ieee_inexact 0
		.amdhsa_exception_int_div_zero 0
	.end_amdhsa_kernel
	.section	.text._ZN2at6native6mbtopk23computeBlockDigitCountsIsmjLi2EEEvNS_4cuda6detail10TensorInfoIKT_T0_EEjPjjS8_iijT1_PSB_Ps,"axG",@progbits,_ZN2at6native6mbtopk23computeBlockDigitCountsIsmjLi2EEEvNS_4cuda6detail10TensorInfoIKT_T0_EEjPjjS8_iijT1_PSB_Ps,comdat
.Lfunc_end169:
	.size	_ZN2at6native6mbtopk23computeBlockDigitCountsIsmjLi2EEEvNS_4cuda6detail10TensorInfoIKT_T0_EEjPjjS8_iijT1_PSB_Ps, .Lfunc_end169-_ZN2at6native6mbtopk23computeBlockDigitCountsIsmjLi2EEEvNS_4cuda6detail10TensorInfoIKT_T0_EEjPjjS8_iijT1_PSB_Ps
                                        ; -- End function
	.set _ZN2at6native6mbtopk23computeBlockDigitCountsIsmjLi2EEEvNS_4cuda6detail10TensorInfoIKT_T0_EEjPjjS8_iijT1_PSB_Ps.num_vgpr, 9
	.set _ZN2at6native6mbtopk23computeBlockDigitCountsIsmjLi2EEEvNS_4cuda6detail10TensorInfoIKT_T0_EEjPjjS8_iijT1_PSB_Ps.num_agpr, 0
	.set _ZN2at6native6mbtopk23computeBlockDigitCountsIsmjLi2EEEvNS_4cuda6detail10TensorInfoIKT_T0_EEjPjjS8_iijT1_PSB_Ps.numbered_sgpr, 25
	.set _ZN2at6native6mbtopk23computeBlockDigitCountsIsmjLi2EEEvNS_4cuda6detail10TensorInfoIKT_T0_EEjPjjS8_iijT1_PSB_Ps.num_named_barrier, 0
	.set _ZN2at6native6mbtopk23computeBlockDigitCountsIsmjLi2EEEvNS_4cuda6detail10TensorInfoIKT_T0_EEjPjjS8_iijT1_PSB_Ps.private_seg_size, 0
	.set _ZN2at6native6mbtopk23computeBlockDigitCountsIsmjLi2EEEvNS_4cuda6detail10TensorInfoIKT_T0_EEjPjjS8_iijT1_PSB_Ps.uses_vcc, 1
	.set _ZN2at6native6mbtopk23computeBlockDigitCountsIsmjLi2EEEvNS_4cuda6detail10TensorInfoIKT_T0_EEjPjjS8_iijT1_PSB_Ps.uses_flat_scratch, 0
	.set _ZN2at6native6mbtopk23computeBlockDigitCountsIsmjLi2EEEvNS_4cuda6detail10TensorInfoIKT_T0_EEjPjjS8_iijT1_PSB_Ps.has_dyn_sized_stack, 0
	.set _ZN2at6native6mbtopk23computeBlockDigitCountsIsmjLi2EEEvNS_4cuda6detail10TensorInfoIKT_T0_EEjPjjS8_iijT1_PSB_Ps.has_recursion, 0
	.set _ZN2at6native6mbtopk23computeBlockDigitCountsIsmjLi2EEEvNS_4cuda6detail10TensorInfoIKT_T0_EEjPjjS8_iijT1_PSB_Ps.has_indirect_call, 0
	.section	.AMDGPU.csdata,"",@progbits
; Kernel info:
; codeLenInByte = 1076
; TotalNumSgprs: 27
; NumVgprs: 9
; ScratchSize: 0
; MemoryBound: 0
; FloatMode: 240
; IeeeMode: 1
; LDSByteSize: 1024 bytes/workgroup (compile time only)
; SGPRBlocks: 0
; VGPRBlocks: 1
; NumSGPRsForWavesPerEU: 27
; NumVGPRsForWavesPerEU: 9
; Occupancy: 16
; WaveLimiterHint : 1
; COMPUTE_PGM_RSRC2:SCRATCH_EN: 0
; COMPUTE_PGM_RSRC2:USER_SGPR: 6
; COMPUTE_PGM_RSRC2:TRAP_HANDLER: 0
; COMPUTE_PGM_RSRC2:TGID_X_EN: 1
; COMPUTE_PGM_RSRC2:TGID_Y_EN: 1
; COMPUTE_PGM_RSRC2:TGID_Z_EN: 1
; COMPUTE_PGM_RSRC2:TIDIG_COMP_CNT: 0
	.section	.text._ZN2at6native6mbtopk10gatherTopKIsmLi2EEEvNS_4cuda6detail10TensorInfoIKT_T0_EES8_S8_bjS8_NS5_IS6_S8_EES8_NS5_IlS8_EES8_jjPS6_PjSD_j,"axG",@progbits,_ZN2at6native6mbtopk10gatherTopKIsmLi2EEEvNS_4cuda6detail10TensorInfoIKT_T0_EES8_S8_bjS8_NS5_IS6_S8_EES8_NS5_IlS8_EES8_jjPS6_PjSD_j,comdat
	.protected	_ZN2at6native6mbtopk10gatherTopKIsmLi2EEEvNS_4cuda6detail10TensorInfoIKT_T0_EES8_S8_bjS8_NS5_IS6_S8_EES8_NS5_IlS8_EES8_jjPS6_PjSD_j ; -- Begin function _ZN2at6native6mbtopk10gatherTopKIsmLi2EEEvNS_4cuda6detail10TensorInfoIKT_T0_EES8_S8_bjS8_NS5_IS6_S8_EES8_NS5_IlS8_EES8_jjPS6_PjSD_j
	.globl	_ZN2at6native6mbtopk10gatherTopKIsmLi2EEEvNS_4cuda6detail10TensorInfoIKT_T0_EES8_S8_bjS8_NS5_IS6_S8_EES8_NS5_IlS8_EES8_jjPS6_PjSD_j
	.p2align	8
	.type	_ZN2at6native6mbtopk10gatherTopKIsmLi2EEEvNS_4cuda6detail10TensorInfoIKT_T0_EES8_S8_bjS8_NS5_IS6_S8_EES8_NS5_IlS8_EES8_jjPS6_PjSD_j,@function
_ZN2at6native6mbtopk10gatherTopKIsmLi2EEEvNS_4cuda6detail10TensorInfoIKT_T0_EES8_S8_bjS8_NS5_IS6_S8_EES8_NS5_IlS8_EES8_jjPS6_PjSD_j: ; @_ZN2at6native6mbtopk10gatherTopKIsmLi2EEEvNS_4cuda6detail10TensorInfoIKT_T0_EES8_S8_bjS8_NS5_IS6_S8_EES8_NS5_IlS8_EES8_jjPS6_PjSD_j
; %bb.0:
	s_clause 0x1
	s_load_dwordx2 s[0:1], s[4:5], 0x538
	s_load_dword s2, s[4:5], 0x530
	s_waitcnt lgkmcnt(0)
	s_mul_i32 s1, s1, s8
	s_add_i32 s1, s1, s7
	s_mul_i32 s0, s1, s0
	s_add_i32 s0, s0, s6
	s_cmp_ge_u32 s0, s2
	s_cbranch_scc1 .LBB170_48
; %bb.1:
	s_clause 0x3
	s_load_dwordx2 s[6:7], s[4:5], 0x510
	s_load_dwordx2 s[38:39], s[4:5], 0x1d0
	s_load_dwordx4 s[8:11], s[4:5], 0x1a0
	s_load_dwordx2 s[36:37], s[4:5], 0x10
	s_mov_b32 s35, 0
	s_waitcnt lgkmcnt(0)
	v_cvt_f32_u32_e32 v1, s7
	s_sub_i32 s2, 0, s7
	s_lshl_b32 s33, s6, 8
	v_rcp_iflag_f32_e32 v1, v1
	v_mul_f32_e32 v1, 0x4f7ffffe, v1
	v_cvt_u32_f32_e32 v1, v1
	v_readfirstlane_b32 s1, v1
	s_mul_i32 s2, s2, s1
	s_mul_hi_u32 s2, s1, s2
	s_add_i32 s1, s1, s2
	s_mul_hi_u32 s1, s0, s1
	s_mul_i32 s2, s1, s7
	s_add_i32 s3, s1, 1
	s_sub_i32 s2, s0, s2
	s_sub_i32 s12, s2, s7
	s_cmp_ge_u32 s2, s7
	s_cselect_b32 s1, s3, s1
	s_cselect_b32 s2, s12, s2
	s_add_i32 s3, s1, 1
	s_cmp_ge_u32 s2, s7
	s_cselect_b32 s34, s3, s1
	s_mul_i32 s16, s34, s7
	s_sub_i32 s50, s0, s16
	s_add_i32 s0, s50, 1
	s_cmp_lt_u32 s0, s7
	s_cbranch_scc1 .LBB170_3
; %bb.2:
	s_mul_i32 s0, s50, s33
	s_sub_u32 s0, s8, s0
	s_subb_u32 s1, s9, 0
	s_add_u32 s0, s0, 0xff
	s_addc_u32 s1, s1, 0
	s_ashr_i32 s2, s1, 31
	s_lshr_b32 s2, s2, 24
	s_add_u32 s0, s0, s2
	s_addc_u32 s1, s1, 0
	s_lshr_b64 s[0:1], s[0:1], 8
	s_mov_b32 s6, s0
.LBB170_3:
	s_load_dwordx2 s[40:41], s[4:5], 0x378
	v_cmp_lt_u64_e64 s0, s[34:35], s[36:37]
	s_mov_b64 s[42:43], 0
	s_mov_b64 s[44:45], 0
	s_and_b32 vcc_lo, exec_lo, s0
	s_cbranch_vccz .LBB170_20
; %bb.4:
	v_cmp_lt_u64_e64 s0, s[34:35], s[38:39]
	s_and_b32 vcc_lo, exec_lo, s0
	s_cbranch_vccz .LBB170_21
.LBB170_5:
	s_waitcnt lgkmcnt(0)
	v_cmp_lt_u64_e64 s0, s[34:35], s[40:41]
	s_mov_b64 s[46:47], 0
	s_and_b32 vcc_lo, exec_lo, s0
	s_cbranch_vccnz .LBB170_7
.LBB170_6:
	v_cvt_f32_u32_e32 v1, s40
	s_sub_i32 s1, 0, s40
	v_rcp_iflag_f32_e32 v1, v1
	v_mul_f32_e32 v1, 0x4f7ffffe, v1
	v_cvt_u32_f32_e32 v1, v1
	v_readfirstlane_b32 s0, v1
	s_mul_i32 s1, s1, s0
	s_mul_hi_u32 s1, s0, s1
	s_add_i32 s0, s0, s1
	s_mul_hi_u32 s0, s34, s0
	s_mul_i32 s1, s0, s40
	s_add_i32 s2, s0, 1
	s_sub_i32 s1, s34, s1
	s_sub_i32 s3, s1, s40
	s_cmp_ge_u32 s1, s40
	s_cselect_b32 s0, s2, s0
	s_cselect_b32 s1, s3, s1
	s_add_i32 s2, s0, 1
	s_cmp_ge_u32 s1, s40
	s_cselect_b32 s46, s2, s0
.LBB170_7:
	s_clause 0x1
	s_load_dwordx4 s[0:3], s[4:5], 0x518
	s_load_dwordx2 s[48:49], s[4:5], 0x0
	s_lshl_b64 s[12:13], s[34:35], 1
	v_mov_b32_e32 v1, 0
	s_mov_b32 s17, 0
	s_waitcnt lgkmcnt(0)
	s_add_u32 s0, s0, s12
	s_addc_u32 s1, s1, s13
	global_load_ushort v8, v1, s[0:1]
	v_cmp_ne_u32_e64 s0, 0, v0
	v_cmp_eq_u32_e64 s1, 0, v0
	s_and_saveexec_b32 s24, s1
	s_cbranch_execz .LBB170_25
; %bb.8:
	s_load_dwordx2 s[18:19], s[4:5], 0x528
	s_lshl_b64 s[20:21], s[16:17], 2
	s_mov_b32 s16, 0
	s_add_u32 s12, s2, s20
	s_addc_u32 s13, s3, s21
	s_mov_b32 s25, 0
	s_waitcnt lgkmcnt(0)
	s_add_u32 s14, s18, s20
	s_addc_u32 s15, s19, s21
	s_cmp_lt_u32 s7, 4
	s_cbranch_scc1 .LBB170_22
; %bb.9:
	s_mov_b32 s26, 0
.LBB170_10:                             ; =>This Inner Loop Header: Depth=1
	s_add_u32 s12, s2, s20
	s_addc_u32 s13, s3, s21
	s_add_u32 s22, s18, s20
	s_load_dwordx4 s[12:15], s[12:13], 0x0
	s_addc_u32 s23, s19, s21
	s_cmp_ge_u32 s26, s50
	s_cbranch_scc0 .LBB170_17
; %bb.11:                               ;   in Loop: Header=BB170_10 Depth=1
	s_add_i32 s27, s26, 1
	s_cmp_ge_u32 s27, s50
	s_cbranch_scc0 .LBB170_18
.LBB170_12:                             ;   in Loop: Header=BB170_10 Depth=1
	s_add_i32 s27, s27, 1
	s_cmp_ge_u32 s27, s50
	s_cbranch_scc0 .LBB170_19
.LBB170_13:                             ;   in Loop: Header=BB170_10 Depth=1
	s_add_i32 s27, s27, 1
	s_cmp_ge_u32 s27, s50
	s_cbranch_scc1 .LBB170_15
.LBB170_14:                             ;   in Loop: Header=BB170_10 Depth=1
	s_load_dword s22, s[22:23], 0xc
	s_waitcnt lgkmcnt(0)
	s_add_i32 s17, s17, s15
	s_add_i32 s16, s22, s16
.LBB170_15:                             ;   in Loop: Header=BB170_10 Depth=1
	s_waitcnt lgkmcnt(0)
	s_add_i32 s12, s12, s25
	s_add_i32 s12, s12, s13
	;; [unrolled: 1-line block ×4, first 2 shown]
	s_add_u32 s2, s2, 16
	s_addc_u32 s3, s3, 0
	s_add_u32 s18, s18, 16
	s_addc_u32 s19, s19, 0
	s_add_i32 s23, s27, 4
	s_add_u32 s14, s18, s20
	s_addc_u32 s15, s19, s21
	s_add_u32 s12, s2, s20
	s_addc_u32 s13, s3, s21
	s_add_i32 s22, s27, 1
	s_cmp_ge_u32 s23, s7
	s_cbranch_scc1 .LBB170_23
; %bb.16:                               ;   in Loop: Header=BB170_10 Depth=1
	s_mov_b32 s26, s22
	s_branch .LBB170_10
.LBB170_17:                             ;   in Loop: Header=BB170_10 Depth=1
	s_load_dword s27, s[22:23], 0x0
	s_waitcnt lgkmcnt(0)
	s_add_i32 s17, s12, s17
	s_add_i32 s16, s27, s16
	;; [unrolled: 1-line block ×3, first 2 shown]
	s_cmp_ge_u32 s27, s50
	s_cbranch_scc1 .LBB170_12
.LBB170_18:                             ;   in Loop: Header=BB170_10 Depth=1
	s_load_dword s28, s[22:23], 0x4
	s_waitcnt lgkmcnt(0)
	s_add_i32 s17, s17, s13
	s_add_i32 s16, s28, s16
	;; [unrolled: 1-line block ×3, first 2 shown]
	s_cmp_ge_u32 s27, s50
	s_cbranch_scc1 .LBB170_13
.LBB170_19:                             ;   in Loop: Header=BB170_10 Depth=1
	s_load_dword s28, s[22:23], 0x8
	s_waitcnt lgkmcnt(0)
	s_add_i32 s17, s17, s14
	s_add_i32 s16, s28, s16
	;; [unrolled: 1-line block ×3, first 2 shown]
	s_cmp_ge_u32 s27, s50
	s_cbranch_scc0 .LBB170_14
	s_branch .LBB170_15
.LBB170_20:
	v_cvt_f32_u32_e32 v1, s36
	s_sub_i32 s1, 0, s36
	v_rcp_iflag_f32_e32 v1, v1
	v_mul_f32_e32 v1, 0x4f7ffffe, v1
	v_cvt_u32_f32_e32 v1, v1
	v_readfirstlane_b32 s0, v1
	s_mul_i32 s1, s1, s0
	s_mul_hi_u32 s1, s0, s1
	s_add_i32 s0, s0, s1
	s_mul_hi_u32 s0, s34, s0
	s_mul_i32 s1, s0, s36
	s_add_i32 s2, s0, 1
	s_sub_i32 s1, s34, s1
	s_sub_i32 s3, s1, s36
	s_cmp_ge_u32 s1, s36
	s_cselect_b32 s0, s2, s0
	s_cselect_b32 s1, s3, s1
	s_add_i32 s2, s0, 1
	s_cmp_ge_u32 s1, s36
	s_cselect_b32 s44, s2, s0
	v_cmp_lt_u64_e64 s0, s[34:35], s[38:39]
	s_and_b32 vcc_lo, exec_lo, s0
	s_cbranch_vccnz .LBB170_5
.LBB170_21:
	v_cvt_f32_u32_e32 v1, s38
	s_sub_i32 s1, 0, s38
	v_rcp_iflag_f32_e32 v1, v1
	v_mul_f32_e32 v1, 0x4f7ffffe, v1
	v_cvt_u32_f32_e32 v1, v1
	v_readfirstlane_b32 s0, v1
	s_mul_i32 s1, s1, s0
	s_mul_hi_u32 s1, s0, s1
	s_add_i32 s0, s0, s1
	s_mul_hi_u32 s0, s34, s0
	s_mul_i32 s1, s0, s38
	s_add_i32 s2, s0, 1
	s_sub_i32 s1, s34, s1
	s_sub_i32 s3, s1, s38
	s_cmp_ge_u32 s1, s38
	s_cselect_b32 s0, s2, s0
	s_cselect_b32 s1, s3, s1
	s_add_i32 s2, s0, 1
	s_cmp_ge_u32 s1, s38
	s_cselect_b32 s42, s2, s0
	s_waitcnt lgkmcnt(0)
	v_cmp_lt_u64_e64 s0, s[34:35], s[40:41]
	s_mov_b64 s[46:47], 0
	s_and_b32 vcc_lo, exec_lo, s0
	s_cbranch_vccz .LBB170_6
	s_branch .LBB170_7
.LBB170_22:
	s_mov_b32 s2, 0
	s_cmp_ge_u32 s2, s7
	s_cbranch_scc0 .LBB170_46
	s_branch .LBB170_24
.LBB170_23:
	s_add_i32 s2, s26, 4
	s_cmp_ge_u32 s2, s7
	s_cbranch_scc0 .LBB170_46
.LBB170_24:
	v_mov_b32_e32 v1, s16
	v_mov_b32_e32 v2, s25
	;; [unrolled: 1-line block ×4, first 2 shown]
	ds_write_b96 v4, v[1:3] offset:1056
.LBB170_25:
	s_or_b32 exec_lo, exec_lo, s24
	s_clause 0x4
	s_load_dwordx4 s[12:15], s[4:5], 0x1b8
	s_load_dwordx4 s[28:31], s[4:5], 0xd0
	;; [unrolled: 1-line block ×5, first 2 shown]
	s_cmp_eq_u32 s6, 0
	s_waitcnt vmcnt(0) lgkmcnt(0)
	s_barrier
	buffer_gl0_inv
	s_cbranch_scc1 .LBB170_48
; %bb.26:
	s_mul_i32 s2, s42, s39
	s_mul_hi_u32 s3, s42, s38
	s_mul_i32 s7, s42, s38
	s_add_i32 s3, s3, s2
	s_sub_u32 s2, s34, s7
	s_subb_u32 s3, 0, s3
	s_mul_i32 s7, s2, s27
	s_mul_hi_u32 s27, s2, s26
	s_mul_i32 s3, s3, s26
	s_add_i32 s7, s27, s7
	s_mul_i32 s25, s42, s25
	s_mul_hi_u32 s27, s42, s24
	s_add_i32 s3, s7, s3
	s_add_i32 s25, s27, s25
	s_mul_i32 s7, s44, s37
	s_mul_hi_u32 s27, s44, s36
	s_mul_i32 s35, s44, s36
	s_add_i32 s27, s27, s7
	s_sub_u32 s7, s34, s35
	s_subb_u32 s27, 0, s27
	s_mul_i32 s31, s7, s31
	s_mul_hi_u32 s35, s7, s30
	s_mul_i32 s27, s27, s30
	s_add_i32 s31, s35, s31
	s_mul_i32 s29, s44, s29
	s_mul_hi_u32 s35, s44, s28
	s_add_i32 s31, s31, s27
	s_add_i32 s29, s35, s29
	s_mul_i32 s27, s46, s41
	s_mul_hi_u32 s35, s46, s40
	s_mul_i32 s36, s46, s40
	s_add_i32 s35, s35, s27
	s_sub_u32 s34, s34, s36
	s_mul_i32 s30, s7, s30
	s_mul_i32 s7, s34, s23
	s_mul_hi_u32 s23, s34, s22
	s_subb_u32 s27, 0, s35
	s_add_i32 s7, s23, s7
	s_mul_i32 s27, s27, s22
	s_mul_i32 s28, s44, s28
	s_add_i32 s23, s7, s27
	s_mul_i32 s7, s46, s21
	s_mul_hi_u32 s21, s46, s20
	v_mov_b32_e32 v5, 0
	s_lshl_b64 s[28:29], s[28:29], 1
	s_add_i32 s27, s21, s7
	s_add_u32 s7, s48, s28
	s_addc_u32 s21, s49, s29
	s_lshl_b64 s[28:29], s[30:31], 1
	s_mul_i32 s24, s42, s24
	ds_read_b96 v[1:3], v5 offset:1056
	s_add_u32 s7, s7, s28
	s_addc_u32 s21, s21, s29
	s_lshl_b64 s[24:25], s[24:25], 1
	s_mul_i32 s2, s2, s26
	s_add_u32 s14, s14, s24
	s_addc_u32 s15, s15, s25
	s_lshl_b64 s[2:3], s[2:3], 1
	s_mul_i32 s26, s46, s20
	;; [unrolled: 4-line block ×3, first 2 shown]
	s_add_u32 s18, s18, s2
	s_addc_u32 s19, s19, s3
	s_lshl_b64 s[2:3], s[22:23], 3
	v_add_nc_u32_e32 v4, -1, v0
	s_add_u32 s18, s18, s2
	s_addc_u32 s19, s19, s3
	s_clause 0x1
	s_load_dword s3, s[4:5], 0x1b0
	s_load_dwordx2 s[4:5], s[4:5], 0x508
	v_lshrrev_b32_e32 v6, 3, v0
	v_lshrrev_b32_e32 v7, 3, v4
	s_waitcnt lgkmcnt(0)
	v_add_nc_u32_e32 v1, v1, v2
	v_mov_b32_e32 v9, 0x8000
	v_and_b32_e32 v13, 0xfc, v0
	v_and_b32_e32 v2, 28, v6
	;; [unrolled: 1-line block ×3, first 2 shown]
	v_mad_u64_u32 v[6:7], null, s50, s33, v[0:1]
	v_lshlrev_b32_e32 v14, 5, v0
	v_mbcnt_lo_u32_b32 v11, -1, 0
	v_add_nc_u32_sdwa v10, sext(v8), v9 dst_sel:DWORD dst_unused:UNUSED_PAD src0_sel:WORD_0 src1_sel:DWORD
	v_lshl_add_u32 v12, v0, 2, v2
	v_cmp_gt_u32_e64 s2, 32, v0
	v_lshl_add_u32 v0, v4, 2, v15
	v_add_nc_u32_e32 v13, v13, v14
	v_and_b32_e32 v14, 15, v11
	v_bfe_i32 v15, v11, 4, 1
	v_add_nc_u32_e32 v16, -1, v11
	v_mov_b32_e32 v4, v6
	s_bitcmp1_b32 s3, 0
                                        ; implicit-def: $vgpr17
	s_cselect_b32 s3, -1, 0
	s_branch .LBB170_29
.LBB170_27:                             ;   in Loop: Header=BB170_29 Depth=1
	s_or_b32 exec_lo, exec_lo, s20
	v_add_nc_u32_e32 v1, v2, v1
.LBB170_28:                             ;   in Loop: Header=BB170_29 Depth=1
	v_add_nc_u32_e32 v3, v18, v3
	v_add_nc_u32_e32 v4, 0x100, v4
	s_add_i32 s6, s6, -1
	s_cmp_lg_u32 s6, 0
	s_cbranch_scc0 .LBB170_48
.LBB170_29:                             ; =>This Inner Loop Header: Depth=1
	v_mov_b32_e32 v2, v5
	v_mov_b32_e32 v6, v5
	s_mov_b32 s20, exec_lo
	v_cmpx_gt_u64_e64 s[8:9], v[4:5]
	s_cbranch_execz .LBB170_31
; %bb.30:                               ;   in Loop: Header=BB170_29 Depth=1
	v_mad_u64_u32 v[6:7], null, s12, v4, 0
	v_mov_b32_e32 v2, v7
	v_mad_u64_u32 v[17:18], null, s13, v4, v[2:3]
	v_mov_b32_e32 v7, v17
	v_lshlrev_b64 v[6:7], 1, v[6:7]
	v_add_co_u32 v6, vcc_lo, s7, v6
	v_add_co_ci_u32_e64 v7, null, s21, v7, vcc_lo
	global_load_ushort v17, v[6:7], off
	s_waitcnt vmcnt(0)
	v_add_nc_u32_sdwa v2, sext(v17), v9 dst_sel:DWORD dst_unused:UNUSED_PAD src0_sel:WORD_0 src1_sel:DWORD
	v_cmp_gt_u32_e32 vcc_lo, v2, v10
	v_cndmask_b32_e64 v6, 0, 1, vcc_lo
	v_cmp_lt_u32_e32 vcc_lo, v2, v10
	v_cndmask_b32_e64 v2, 0, 1, vcc_lo
	v_cmp_eq_u16_e32 vcc_lo, v17, v8
	v_cndmask_b32_e64 v2, v2, v6, s3
	v_cndmask_b32_e64 v6, 0, 1, vcc_lo
	v_and_b32_e32 v2, 1, v2
.LBB170_31:                             ;   in Loop: Header=BB170_29 Depth=1
	s_or_b32 exec_lo, exec_lo, s20
	ds_write_b32 v12, v2
	s_waitcnt lgkmcnt(0)
	s_barrier
	buffer_gl0_inv
	s_and_saveexec_b32 s20, s2
	s_cbranch_execz .LBB170_33
; %bb.32:                               ;   in Loop: Header=BB170_29 Depth=1
	ds_read2_b32 v[18:19], v13 offset1:1
	ds_read2_b32 v[20:21], v13 offset0:2 offset1:3
	ds_read2_b32 v[22:23], v13 offset0:4 offset1:5
	;; [unrolled: 1-line block ×3, first 2 shown]
	v_cmp_ne_u32_e32 vcc_lo, 0, v14
	; wave barrier
	s_waitcnt lgkmcnt(3)
	v_add_nc_u32_e32 v7, v19, v18
	s_waitcnt lgkmcnt(2)
	v_add3_u32 v7, v7, v20, v21
	s_waitcnt lgkmcnt(1)
	v_add3_u32 v7, v7, v22, v23
	;; [unrolled: 2-line block ×3, first 2 shown]
	v_mov_b32_dpp v19, v7 row_shr:1 row_mask:0xf bank_mask:0xf
	v_cndmask_b32_e32 v19, 0, v19, vcc_lo
	v_cmp_lt_u32_e32 vcc_lo, 1, v14
	v_add_nc_u32_e32 v7, v19, v7
	v_mov_b32_dpp v19, v7 row_shr:2 row_mask:0xf bank_mask:0xf
	v_cndmask_b32_e32 v19, 0, v19, vcc_lo
	v_cmp_lt_u32_e32 vcc_lo, 3, v14
	v_add_nc_u32_e32 v7, v7, v19
	;; [unrolled: 4-line block ×3, first 2 shown]
	v_mov_b32_dpp v19, v7 row_shr:8 row_mask:0xf bank_mask:0xf
	v_cndmask_b32_e32 v19, 0, v19, vcc_lo
	v_cmp_gt_i32_e32 vcc_lo, 0, v16
	v_add_nc_u32_e32 v7, v7, v19
	v_cndmask_b32_e32 v20, v16, v11, vcc_lo
	ds_swizzle_b32 v19, v7 offset:swizzle(BROADCAST,32,15)
	v_lshlrev_b32_e32 v20, 2, v20
	s_waitcnt lgkmcnt(0)
	v_and_b32_e32 v19, v15, v19
	v_add_nc_u32_e32 v7, v7, v19
	ds_bpermute_b32 v7, v20, v7
	s_waitcnt lgkmcnt(0)
	v_add_nc_u32_e32 v7, v7, v18
	v_cndmask_b32_e64 v7, v7, v2, s1
	ds_write_b32 v13, v7
	; wave barrier
	ds_read2_b32 v[18:19], v13 offset0:1 offset1:2
	ds_read2_b32 v[20:21], v13 offset0:3 offset1:4
	;; [unrolled: 1-line block ×3, first 2 shown]
	ds_read_b32 v24, v13 offset:28
	s_waitcnt lgkmcnt(3)
	v_add_nc_u32_e32 v7, v18, v7
	v_add_nc_u32_e32 v18, v19, v7
	s_waitcnt lgkmcnt(2)
	v_add_nc_u32_e32 v19, v20, v18
	v_add_nc_u32_e32 v20, v21, v19
	;; [unrolled: 3-line block ×3, first 2 shown]
	s_waitcnt lgkmcnt(0)
	v_add_nc_u32_e32 v23, v24, v22
	ds_write2_b32 v13, v7, v18 offset0:1 offset1:2
	ds_write2_b32 v13, v19, v20 offset0:3 offset1:4
	;; [unrolled: 1-line block ×3, first 2 shown]
	ds_write_b32 v13, v23 offset:28
.LBB170_33:                             ;   in Loop: Header=BB170_29 Depth=1
	s_or_b32 exec_lo, exec_lo, s20
	v_mov_b32_e32 v7, 0
	s_waitcnt lgkmcnt(0)
	s_barrier
	buffer_gl0_inv
	s_and_saveexec_b32 s20, s0
; %bb.34:                               ;   in Loop: Header=BB170_29 Depth=1
	ds_read_b32 v7, v0
; %bb.35:                               ;   in Loop: Header=BB170_29 Depth=1
	s_or_b32 exec_lo, exec_lo, s20
	ds_read_b32 v18, v5 offset:1048
	s_mov_b32 s20, exec_lo
	s_waitcnt lgkmcnt(0)
	s_barrier
	buffer_gl0_inv
	v_cmpx_ne_u32_e32 0, v2
	s_cbranch_execz .LBB170_37
; %bb.36:                               ;   in Loop: Header=BB170_29 Depth=1
	v_add_nc_u32_e32 v24, v7, v3
	v_mad_u64_u32 v[19:20], null, s16, v24, 0
	v_mad_u64_u32 v[21:22], null, s4, v24, 0
	v_mov_b32_e32 v2, v20
	v_mov_b32_e32 v7, v22
	v_mad_u64_u32 v[22:23], null, s17, v24, v[2:3]
	v_mad_u64_u32 v[23:24], null, s5, v24, v[7:8]
	v_mov_b32_e32 v20, v22
	v_mov_b32_e32 v22, v23
	v_lshlrev_b64 v[19:20], 1, v[19:20]
	v_lshlrev_b64 v[21:22], 3, v[21:22]
	v_add_co_u32 v19, vcc_lo, s14, v19
	v_add_co_ci_u32_e64 v20, null, s15, v20, vcc_lo
	v_add_co_u32 v21, vcc_lo, s18, v21
	v_add_co_ci_u32_e64 v22, null, s19, v22, vcc_lo
	global_store_short v[19:20], v17, off
	global_store_dwordx2 v[21:22], v[4:5], off
.LBB170_37:                             ;   in Loop: Header=BB170_29 Depth=1
	s_or_b32 exec_lo, exec_lo, s20
	v_mov_b32_e32 v2, v5
	v_cmp_le_u64_e32 vcc_lo, s[10:11], v[1:2]
	s_cbranch_vccnz .LBB170_28
; %bb.38:                               ;   in Loop: Header=BB170_29 Depth=1
	ds_write_b32 v12, v6
	s_waitcnt lgkmcnt(0)
	s_waitcnt_vscnt null, 0x0
	s_barrier
	buffer_gl0_inv
	s_and_saveexec_b32 s20, s2
	s_cbranch_execz .LBB170_40
; %bb.39:                               ;   in Loop: Header=BB170_29 Depth=1
	ds_read2_b32 v[19:20], v13 offset1:1
	ds_read2_b32 v[21:22], v13 offset0:2 offset1:3
	ds_read2_b32 v[23:24], v13 offset0:4 offset1:5
	;; [unrolled: 1-line block ×3, first 2 shown]
	v_cmp_ne_u32_e32 vcc_lo, 0, v14
	; wave barrier
	s_waitcnt lgkmcnt(3)
	v_add_nc_u32_e32 v2, v20, v19
	s_waitcnt lgkmcnt(2)
	v_add3_u32 v2, v2, v21, v22
	s_waitcnt lgkmcnt(1)
	v_add3_u32 v2, v2, v23, v24
	;; [unrolled: 2-line block ×3, first 2 shown]
	v_mov_b32_dpp v7, v2 row_shr:1 row_mask:0xf bank_mask:0xf
	v_cndmask_b32_e32 v7, 0, v7, vcc_lo
	v_cmp_lt_u32_e32 vcc_lo, 1, v14
	v_add_nc_u32_e32 v2, v7, v2
	v_mov_b32_dpp v7, v2 row_shr:2 row_mask:0xf bank_mask:0xf
	v_cndmask_b32_e32 v7, 0, v7, vcc_lo
	v_cmp_lt_u32_e32 vcc_lo, 3, v14
	v_add_nc_u32_e32 v2, v2, v7
	;; [unrolled: 4-line block ×3, first 2 shown]
	v_mov_b32_dpp v7, v2 row_shr:8 row_mask:0xf bank_mask:0xf
	v_cndmask_b32_e32 v7, 0, v7, vcc_lo
	v_cmp_gt_i32_e32 vcc_lo, 0, v16
	v_add_nc_u32_e32 v2, v2, v7
	v_cndmask_b32_e32 v20, v16, v11, vcc_lo
	ds_swizzle_b32 v7, v2 offset:swizzle(BROADCAST,32,15)
	v_lshlrev_b32_e32 v20, 2, v20
	s_waitcnt lgkmcnt(0)
	v_and_b32_e32 v7, v15, v7
	v_add_nc_u32_e32 v2, v2, v7
	ds_bpermute_b32 v2, v20, v2
	s_waitcnt lgkmcnt(0)
	v_add_nc_u32_e32 v2, v2, v19
	v_cndmask_b32_e64 v2, v2, v6, s1
	ds_write_b32 v13, v2
	; wave barrier
	ds_read2_b32 v[19:20], v13 offset0:1 offset1:2
	ds_read2_b32 v[21:22], v13 offset0:3 offset1:4
	ds_read2_b32 v[23:24], v13 offset0:5 offset1:6
	ds_read_b32 v7, v13 offset:28
	s_waitcnt lgkmcnt(3)
	v_add_nc_u32_e32 v2, v19, v2
	v_add_nc_u32_e32 v19, v20, v2
	s_waitcnt lgkmcnt(2)
	v_add_nc_u32_e32 v20, v21, v19
	v_add_nc_u32_e32 v21, v22, v20
	s_waitcnt lgkmcnt(1)
	v_add_nc_u32_e32 v22, v23, v21
	v_add_nc_u32_e32 v23, v24, v22
	s_waitcnt lgkmcnt(0)
	v_add_nc_u32_e32 v7, v7, v23
	ds_write2_b32 v13, v2, v19 offset0:1 offset1:2
	ds_write2_b32 v13, v20, v21 offset0:3 offset1:4
	;; [unrolled: 1-line block ×3, first 2 shown]
	ds_write_b32 v13, v7 offset:28
.LBB170_40:                             ;   in Loop: Header=BB170_29 Depth=1
	s_or_b32 exec_lo, exec_lo, s20
	v_mov_b32_e32 v7, 0
	s_waitcnt lgkmcnt(0)
	s_barrier
	buffer_gl0_inv
	s_and_saveexec_b32 s20, s0
; %bb.41:                               ;   in Loop: Header=BB170_29 Depth=1
	ds_read_b32 v7, v0
; %bb.42:                               ;   in Loop: Header=BB170_29 Depth=1
	s_or_b32 exec_lo, exec_lo, s20
	ds_read_b32 v2, v5 offset:1048
	s_mov_b32 s20, exec_lo
	s_waitcnt lgkmcnt(0)
	s_barrier
	buffer_gl0_inv
	v_cmpx_ne_u32_e32 0, v6
	s_cbranch_execz .LBB170_27
; %bb.43:                               ;   in Loop: Header=BB170_29 Depth=1
	v_add_nc_u32_e32 v6, v7, v1
	v_mov_b32_e32 v7, v5
	v_cmp_gt_u64_e32 vcc_lo, s[10:11], v[6:7]
	s_and_b32 exec_lo, exec_lo, vcc_lo
	s_cbranch_execz .LBB170_27
; %bb.44:                               ;   in Loop: Header=BB170_29 Depth=1
	v_mad_u64_u32 v[19:20], null, s16, v6, 0
	v_mad_u64_u32 v[21:22], null, s4, v6, 0
	v_mov_b32_e32 v7, v20
	v_mov_b32_e32 v20, v22
	v_mad_u64_u32 v[22:23], null, s17, v6, v[7:8]
	v_mad_u64_u32 v[6:7], null, s5, v6, v[20:21]
	v_mov_b32_e32 v20, v22
	v_mov_b32_e32 v22, v6
	v_lshlrev_b64 v[6:7], 1, v[19:20]
	v_lshlrev_b64 v[19:20], 3, v[21:22]
	v_add_co_u32 v6, vcc_lo, s14, v6
	v_add_co_ci_u32_e64 v7, null, s15, v7, vcc_lo
	v_add_co_u32 v19, vcc_lo, s18, v19
	v_add_co_ci_u32_e64 v20, null, s19, v20, vcc_lo
	global_store_short v[6:7], v17, off
	global_store_dwordx2 v[19:20], v[4:5], off
	s_branch .LBB170_27
	.p2align	6
.LBB170_45:                             ;   in Loop: Header=BB170_46 Depth=1
	s_add_u32 s12, s12, 4
	s_addc_u32 s13, s13, 0
	s_waitcnt lgkmcnt(0)
	s_add_i32 s25, s3, s25
	s_add_u32 s14, s14, 4
	s_addc_u32 s15, s15, 0
	s_add_i32 s2, s2, 1
	s_cmp_lt_u32 s2, s7
	s_cbranch_scc0 .LBB170_24
.LBB170_46:                             ; =>This Inner Loop Header: Depth=1
	s_load_dword s3, s[12:13], 0x0
	s_cmp_ge_u32 s2, s50
	s_cbranch_scc1 .LBB170_45
; %bb.47:                               ;   in Loop: Header=BB170_46 Depth=1
	s_load_dword s18, s[14:15], 0x0
	s_waitcnt lgkmcnt(0)
	s_add_i32 s17, s3, s17
	s_add_i32 s16, s18, s16
	s_branch .LBB170_45
.LBB170_48:
	s_endpgm
	.section	.rodata,"a",@progbits
	.p2align	6, 0x0
	.amdhsa_kernel _ZN2at6native6mbtopk10gatherTopKIsmLi2EEEvNS_4cuda6detail10TensorInfoIKT_T0_EES8_S8_bjS8_NS5_IS6_S8_EES8_NS5_IlS8_EES8_jjPS6_PjSD_j
		.amdhsa_group_segment_fixed_size 1068
		.amdhsa_private_segment_fixed_size 0
		.amdhsa_kernarg_size 1592
		.amdhsa_user_sgpr_count 6
		.amdhsa_user_sgpr_private_segment_buffer 1
		.amdhsa_user_sgpr_dispatch_ptr 0
		.amdhsa_user_sgpr_queue_ptr 0
		.amdhsa_user_sgpr_kernarg_segment_ptr 1
		.amdhsa_user_sgpr_dispatch_id 0
		.amdhsa_user_sgpr_flat_scratch_init 0
		.amdhsa_user_sgpr_private_segment_size 0
		.amdhsa_wavefront_size32 1
		.amdhsa_uses_dynamic_stack 0
		.amdhsa_system_sgpr_private_segment_wavefront_offset 0
		.amdhsa_system_sgpr_workgroup_id_x 1
		.amdhsa_system_sgpr_workgroup_id_y 1
		.amdhsa_system_sgpr_workgroup_id_z 1
		.amdhsa_system_sgpr_workgroup_info 0
		.amdhsa_system_vgpr_workitem_id 0
		.amdhsa_next_free_vgpr 27
		.amdhsa_next_free_sgpr 51
		.amdhsa_reserve_vcc 1
		.amdhsa_reserve_flat_scratch 0
		.amdhsa_float_round_mode_32 0
		.amdhsa_float_round_mode_16_64 0
		.amdhsa_float_denorm_mode_32 3
		.amdhsa_float_denorm_mode_16_64 3
		.amdhsa_dx10_clamp 1
		.amdhsa_ieee_mode 1
		.amdhsa_fp16_overflow 0
		.amdhsa_workgroup_processor_mode 1
		.amdhsa_memory_ordered 1
		.amdhsa_forward_progress 1
		.amdhsa_shared_vgpr_count 0
		.amdhsa_exception_fp_ieee_invalid_op 0
		.amdhsa_exception_fp_denorm_src 0
		.amdhsa_exception_fp_ieee_div_zero 0
		.amdhsa_exception_fp_ieee_overflow 0
		.amdhsa_exception_fp_ieee_underflow 0
		.amdhsa_exception_fp_ieee_inexact 0
		.amdhsa_exception_int_div_zero 0
	.end_amdhsa_kernel
	.section	.text._ZN2at6native6mbtopk10gatherTopKIsmLi2EEEvNS_4cuda6detail10TensorInfoIKT_T0_EES8_S8_bjS8_NS5_IS6_S8_EES8_NS5_IlS8_EES8_jjPS6_PjSD_j,"axG",@progbits,_ZN2at6native6mbtopk10gatherTopKIsmLi2EEEvNS_4cuda6detail10TensorInfoIKT_T0_EES8_S8_bjS8_NS5_IS6_S8_EES8_NS5_IlS8_EES8_jjPS6_PjSD_j,comdat
.Lfunc_end170:
	.size	_ZN2at6native6mbtopk10gatherTopKIsmLi2EEEvNS_4cuda6detail10TensorInfoIKT_T0_EES8_S8_bjS8_NS5_IS6_S8_EES8_NS5_IlS8_EES8_jjPS6_PjSD_j, .Lfunc_end170-_ZN2at6native6mbtopk10gatherTopKIsmLi2EEEvNS_4cuda6detail10TensorInfoIKT_T0_EES8_S8_bjS8_NS5_IS6_S8_EES8_NS5_IlS8_EES8_jjPS6_PjSD_j
                                        ; -- End function
	.set _ZN2at6native6mbtopk10gatherTopKIsmLi2EEEvNS_4cuda6detail10TensorInfoIKT_T0_EES8_S8_bjS8_NS5_IS6_S8_EES8_NS5_IlS8_EES8_jjPS6_PjSD_j.num_vgpr, 27
	.set _ZN2at6native6mbtopk10gatherTopKIsmLi2EEEvNS_4cuda6detail10TensorInfoIKT_T0_EES8_S8_bjS8_NS5_IS6_S8_EES8_NS5_IlS8_EES8_jjPS6_PjSD_j.num_agpr, 0
	.set _ZN2at6native6mbtopk10gatherTopKIsmLi2EEEvNS_4cuda6detail10TensorInfoIKT_T0_EES8_S8_bjS8_NS5_IS6_S8_EES8_NS5_IlS8_EES8_jjPS6_PjSD_j.numbered_sgpr, 51
	.set _ZN2at6native6mbtopk10gatherTopKIsmLi2EEEvNS_4cuda6detail10TensorInfoIKT_T0_EES8_S8_bjS8_NS5_IS6_S8_EES8_NS5_IlS8_EES8_jjPS6_PjSD_j.num_named_barrier, 0
	.set _ZN2at6native6mbtopk10gatherTopKIsmLi2EEEvNS_4cuda6detail10TensorInfoIKT_T0_EES8_S8_bjS8_NS5_IS6_S8_EES8_NS5_IlS8_EES8_jjPS6_PjSD_j.private_seg_size, 0
	.set _ZN2at6native6mbtopk10gatherTopKIsmLi2EEEvNS_4cuda6detail10TensorInfoIKT_T0_EES8_S8_bjS8_NS5_IS6_S8_EES8_NS5_IlS8_EES8_jjPS6_PjSD_j.uses_vcc, 1
	.set _ZN2at6native6mbtopk10gatherTopKIsmLi2EEEvNS_4cuda6detail10TensorInfoIKT_T0_EES8_S8_bjS8_NS5_IS6_S8_EES8_NS5_IlS8_EES8_jjPS6_PjSD_j.uses_flat_scratch, 0
	.set _ZN2at6native6mbtopk10gatherTopKIsmLi2EEEvNS_4cuda6detail10TensorInfoIKT_T0_EES8_S8_bjS8_NS5_IS6_S8_EES8_NS5_IlS8_EES8_jjPS6_PjSD_j.has_dyn_sized_stack, 0
	.set _ZN2at6native6mbtopk10gatherTopKIsmLi2EEEvNS_4cuda6detail10TensorInfoIKT_T0_EES8_S8_bjS8_NS5_IS6_S8_EES8_NS5_IlS8_EES8_jjPS6_PjSD_j.has_recursion, 0
	.set _ZN2at6native6mbtopk10gatherTopKIsmLi2EEEvNS_4cuda6detail10TensorInfoIKT_T0_EES8_S8_bjS8_NS5_IS6_S8_EES8_NS5_IlS8_EES8_jjPS6_PjSD_j.has_indirect_call, 0
	.section	.AMDGPU.csdata,"",@progbits
; Kernel info:
; codeLenInByte = 3024
; TotalNumSgprs: 53
; NumVgprs: 27
; ScratchSize: 0
; MemoryBound: 0
; FloatMode: 240
; IeeeMode: 1
; LDSByteSize: 1068 bytes/workgroup (compile time only)
; SGPRBlocks: 0
; VGPRBlocks: 3
; NumSGPRsForWavesPerEU: 53
; NumVGPRsForWavesPerEU: 27
; Occupancy: 16
; WaveLimiterHint : 1
; COMPUTE_PGM_RSRC2:SCRATCH_EN: 0
; COMPUTE_PGM_RSRC2:USER_SGPR: 6
; COMPUTE_PGM_RSRC2:TRAP_HANDLER: 0
; COMPUTE_PGM_RSRC2:TGID_X_EN: 1
; COMPUTE_PGM_RSRC2:TGID_Y_EN: 1
; COMPUTE_PGM_RSRC2:TGID_Z_EN: 1
; COMPUTE_PGM_RSRC2:TIDIG_COMP_CNT: 0
	.section	.text._ZN2at6native6sbtopk10gatherTopKIsmLi2ELb0EEEvNS_4cuda6detail10TensorInfoIKT_T0_EES8_S8_bS8_S8_NS5_IS6_S8_EES8_NS5_IlS8_EES8_PS6_,"axG",@progbits,_ZN2at6native6sbtopk10gatherTopKIsmLi2ELb0EEEvNS_4cuda6detail10TensorInfoIKT_T0_EES8_S8_bS8_S8_NS5_IS6_S8_EES8_NS5_IlS8_EES8_PS6_,comdat
	.protected	_ZN2at6native6sbtopk10gatherTopKIsmLi2ELb0EEEvNS_4cuda6detail10TensorInfoIKT_T0_EES8_S8_bS8_S8_NS5_IS6_S8_EES8_NS5_IlS8_EES8_PS6_ ; -- Begin function _ZN2at6native6sbtopk10gatherTopKIsmLi2ELb0EEEvNS_4cuda6detail10TensorInfoIKT_T0_EES8_S8_bS8_S8_NS5_IS6_S8_EES8_NS5_IlS8_EES8_PS6_
	.globl	_ZN2at6native6sbtopk10gatherTopKIsmLi2ELb0EEEvNS_4cuda6detail10TensorInfoIKT_T0_EES8_S8_bS8_S8_NS5_IS6_S8_EES8_NS5_IlS8_EES8_PS6_
	.p2align	8
	.type	_ZN2at6native6sbtopk10gatherTopKIsmLi2ELb0EEEvNS_4cuda6detail10TensorInfoIKT_T0_EES8_S8_bS8_S8_NS5_IS6_S8_EES8_NS5_IlS8_EES8_PS6_,@function
_ZN2at6native6sbtopk10gatherTopKIsmLi2ELb0EEEvNS_4cuda6detail10TensorInfoIKT_T0_EES8_S8_bS8_S8_NS5_IS6_S8_EES8_NS5_IlS8_EES8_PS6_: ; @_ZN2at6native6sbtopk10gatherTopKIsmLi2ELb0EEEvNS_4cuda6detail10TensorInfoIKT_T0_EES8_S8_bS8_S8_NS5_IS6_S8_EES8_NS5_IlS8_EES8_PS6_
; %bb.0:
	s_clause 0x1
	s_load_dwordx2 s[14:15], s[4:5], 0x520
	s_load_dwordx4 s[28:31], s[4:5], 0x1b8
	s_add_u32 s12, s4, 0x520
	s_addc_u32 s13, s5, 0
	s_mov_b32 s35, 0
	s_waitcnt lgkmcnt(0)
	s_mul_i32 s0, s15, s8
	s_add_i32 s0, s0, s7
	s_mul_i32 s0, s0, s14
	s_add_i32 s34, s0, s6
	v_cmp_le_u64_e64 s0, s[28:29], s[34:35]
	s_and_b32 vcc_lo, exec_lo, s0
	s_cbranch_vccnz .LBB171_478
; %bb.1:
	s_clause 0x2
	s_load_dwordx2 s[16:17], s[4:5], 0x10
	s_load_dwordx2 s[28:29], s[4:5], 0x380
	;; [unrolled: 1-line block ×3, first 2 shown]
	s_mov_b64 s[48:49], 0
	s_waitcnt lgkmcnt(0)
	v_cmp_lt_u64_e64 s0, s[34:35], s[16:17]
	s_and_b32 vcc_lo, exec_lo, s0
	s_mov_b64 s[0:1], 0
	s_cbranch_vccnz .LBB171_3
; %bb.2:
	v_cvt_f32_u32_e32 v1, s16
	s_sub_i32 s1, 0, s16
	v_rcp_iflag_f32_e32 v1, v1
	v_mul_f32_e32 v1, 0x4f7ffffe, v1
	v_cvt_u32_f32_e32 v1, v1
	v_readfirstlane_b32 s0, v1
	s_mul_i32 s1, s1, s0
	s_mul_hi_u32 s1, s0, s1
	s_add_i32 s0, s0, s1
	s_mul_hi_u32 s0, s34, s0
	s_mul_i32 s1, s0, s16
	s_add_i32 s2, s0, 1
	s_sub_i32 s1, s34, s1
	s_sub_i32 s3, s1, s16
	s_cmp_ge_u32 s1, s16
	s_cselect_b32 s0, s2, s0
	s_cselect_b32 s1, s3, s1
	s_add_i32 s2, s0, 1
	s_cmp_ge_u32 s1, s16
	s_cselect_b32 s0, s2, s0
.LBB171_3:
	v_cmp_lt_u64_e64 s1, s[34:35], s[50:51]
	s_and_b32 vcc_lo, exec_lo, s1
	s_cbranch_vccnz .LBB171_5
; %bb.4:
	v_cvt_f32_u32_e32 v1, s50
	s_sub_i32 s2, 0, s50
	v_rcp_iflag_f32_e32 v1, v1
	v_mul_f32_e32 v1, 0x4f7ffffe, v1
	v_cvt_u32_f32_e32 v1, v1
	v_readfirstlane_b32 s1, v1
	s_mul_i32 s2, s2, s1
	s_mul_hi_u32 s2, s1, s2
	s_add_i32 s1, s1, s2
	s_mul_hi_u32 s1, s34, s1
	s_mul_i32 s2, s1, s50
	s_add_i32 s3, s1, 1
	s_sub_i32 s2, s34, s2
	s_sub_i32 s7, s2, s50
	s_cmp_ge_u32 s2, s50
	s_cselect_b32 s1, s3, s1
	s_cselect_b32 s2, s7, s2
	s_add_i32 s3, s1, 1
	s_cmp_ge_u32 s2, s50
	s_cselect_b32 s48, s3, s1
.LBB171_5:
	s_load_dwordx2 s[18:19], s[4:5], 0x0
	v_cmp_lt_u64_e64 s1, s[34:35], s[28:29]
	s_mov_b64 s[52:53], 0
	s_and_b32 vcc_lo, exec_lo, s1
	s_cbranch_vccnz .LBB171_7
; %bb.6:
	v_cvt_f32_u32_e32 v1, s28
	s_sub_i32 s2, 0, s28
	v_rcp_iflag_f32_e32 v1, v1
	v_mul_f32_e32 v1, 0x4f7ffffe, v1
	v_cvt_u32_f32_e32 v1, v1
	v_readfirstlane_b32 s1, v1
	s_mul_i32 s2, s2, s1
	s_mul_hi_u32 s2, s1, s2
	s_add_i32 s1, s1, s2
	s_mul_hi_u32 s1, s34, s1
	s_mul_i32 s2, s1, s28
	s_add_i32 s3, s1, 1
	s_sub_i32 s2, s34, s2
	s_sub_i32 s7, s2, s28
	s_cmp_ge_u32 s2, s28
	s_cselect_b32 s1, s3, s1
	s_cselect_b32 s2, s7, s2
	s_add_i32 s3, s1, 1
	s_cmp_ge_u32 s2, s28
	s_cselect_b32 s52, s3, s1
.LBB171_7:
	s_clause 0x2
	s_load_dwordx2 s[2:3], s[4:5], 0x370
	; meta instruction
	s_load_dwordx4 s[8:11], s[4:5], 0xd0
	s_load_dwordx4 s[36:39], s[4:5], 0x1a0
	s_mov_b32 s59, 0
	s_waitcnt lgkmcnt(0)
	v_writelane_b32 v42, s2, 0
	v_writelane_b32 v42, s3, 1
	s_load_dwordx2 s[2:3], s[4:5], 0x1c8
	s_waitcnt lgkmcnt(0)
	v_writelane_b32 v42, s2, 2
	v_writelane_b32 v42, s3, 3
	v_cmp_eq_u32_e64 s3, 0, v0
	s_and_saveexec_b32 s1, s3
	s_cbranch_execz .LBB171_9
; %bb.8:
	v_mov_b32_e32 v1, 0
	v_mov_b32_e32 v3, s36
	;; [unrolled: 1-line block ×4, first 2 shown]
	ds_write_b32 v1, v1 offset:5144
	ds_write_b128 v1, v[1:4] offset:5120
.LBB171_9:
	s_or_b32 exec_lo, exec_lo, s1
	s_mul_i32 s1, s0, s17
	s_mul_hi_u32 s2, s0, s16
	s_mul_i32 s7, s0, s16
	s_add_i32 s2, s2, s1
	s_sub_u32 s7, s34, s7
	s_subb_u32 s2, 0, s2
	s_mul_i32 s1, s7, s11
	s_mul_hi_u32 s15, s7, s10
	s_load_dword s11, s[4:5], 0x1b0
	s_add_i32 s15, s15, s1
	s_mul_i32 s1, s0, s9
	s_mul_hi_u32 s9, s0, s8
	s_mul_i32 s0, s0, s8
	s_add_i32 s1, s9, s1
	s_mul_i32 s2, s2, s10
	v_mad_u64_u32 v[1:2], null, s30, v0, 0
	s_lshl_b64 s[0:1], s[0:1], 1
	s_add_i32 s9, s15, s2
	s_mul_i32 s8, s7, s10
	s_add_u32 s2, s18, s0
	s_addc_u32 s7, s19, s1
	s_lshl_b64 s[0:1], s[8:9], 1
	s_waitcnt lgkmcnt(0)
	s_add_u32 s33, s2, s0
	s_addc_u32 s35, s7, s1
	s_barrier
	buffer_gl0_inv
	s_load_dword s7, s[12:13], 0xc
	v_mad_u64_u32 v[2:3], null, s31, v0, v[2:3]
	v_mbcnt_lo_u32_b32 v24, -1, 0
	v_cmp_gt_u32_e32 vcc_lo, 32, v0
	v_mov_b32_e32 v3, 0
	s_bitcmp1_b32 s11, 0
	v_lshlrev_b32_e32 v25, 1, v0
	v_cmp_gt_i32_e64 s2, 4, v24
	v_lshlrev_b64 v[4:5], 1, v[1:2]
	v_add_nc_u32_e32 v2, 2, v0
	s_cselect_b32 s1, -1, 0
	v_mov_b32_e32 v1, v3
	s_and_b32 s78, vcc_lo, s2
	s_xor_b32 s53, s1, -1
	v_add_co_u32 v12, vcc_lo, s33, v4
	v_add_co_ci_u32_e64 v13, null, s35, v5, vcc_lo
	v_lshlrev_b64 v[4:5], v24, -1
	v_cmp_gt_u64_e32 vcc_lo, s[36:37], v[2:3]
	s_waitcnt lgkmcnt(0)
	s_and_b32 s49, s7, 0xffff
	v_cmp_lt_u64_e64 s79, 0x600, s[36:37]
	s_bfe_u32 s8, s49, 0x80008
	v_cmp_gt_u64_e64 s2, s[36:37], v[0:1]
	v_not_b32_e32 v23, v4
	v_cndmask_b32_e64 v2, v2, s36, vcc_lo
	v_not_b32_e32 v4, v0
	s_lshl_b32 s80, s8, 3
	s_bfe_u32 s8, s7, 0xb0005
	s_cmp_gt_u32 s49, 31
	v_cndmask_b32_e64 v5, 0, s37, vcc_lo
	s_cselect_b32 s81, -1, 0
	s_add_u32 s82, s49, -1
	s_addc_u32 s83, 0, -1
	v_add_co_u32 v4, vcc_lo, v2, v4
	s_add_u32 s84, s82, s36
	s_addc_u32 s61, s83, s37
	v_add_co_ci_u32_e64 v5, null, -1, v5, vcc_lo
	s_cmp_lt_u32 s6, s14
	v_and_b32_e32 v16, -2, v4
	s_cselect_b32 s7, 12, 18
	v_mov_b32_e32 v17, v5
	s_add_u32 s62, s12, s7
	s_movk_i32 s6, 0x3e0
	s_addc_u32 s63, s13, 0
	s_add_i32 s8, s8, -1
	v_and_or_b32 v27, v0, s6, 0xc00
	s_and_b32 s6, s8, 0xffff
	s_bfe_u32 s86, s49, 0x30005
	v_cmp_lt_u64_e64 s7, 1, v[4:5]
	s_cmp_gt_u32 s6, 6
	v_cmp_ne_u64_e64 s8, v[4:5], v[16:17]
	v_mov_b32_e32 v19, s38
	v_cmp_eq_u32_e64 s0, 0, v24
	v_lshlrev_b32_e32 v14, 2, v0
	v_mov_b32_e32 v15, v3
	v_cmp_gt_u32_e64 s10, 2, v0
	v_add_nc_u32_e32 v26, 0xc00, v25
	v_add_co_u32 v18, vcc_lo, v16, v0
	v_lshlrev_b32_e32 v29, 3, v0
	v_lshl_or_b32 v30, v24, 3, 0xc00
	v_mov_b32_e32 v20, s39
	v_mov_b32_e32 v31, 0x8000
	v_mov_b32_e32 v33, 0
	v_mov_b32_e32 v28, 0
	v_mov_b32_e32 v32, 0
	s_cselect_b32 s88, -1, 0
	s_cmp_lg_u32 s86, 0
	s_mov_b32 s85, s30
	s_mov_b32 s87, s31
	s_cselect_b32 s89, -1, 0
	s_lshl_b32 s90, s49, 1
	s_mov_b32 s97, 14
	s_mov_b32 s91, 0
	;; [unrolled: 1-line block ×3, first 2 shown]
	v_add_co_ci_u32_e64 v2, null, 0, v5, vcc_lo
                                        ; implicit-def: $sgpr92
                                        ; implicit-def: $sgpr96
                                        ; implicit-def: $sgpr95
                                        ; implicit-def: $sgpr98
                                        ; implicit-def: $sgpr94
                                        ; implicit-def: $sgpr40
                                        ; implicit-def: $sgpr41
                                        ; implicit-def: $sgpr99
                                        ; implicit-def: $vcc_hi
                                        ; implicit-def: $sgpr104
	s_branch .LBB171_12
.LBB171_10:                             ;   in Loop: Header=BB171_12 Depth=1
	s_or_b32 exec_lo, exec_lo, s12
	v_mov_b32_e32 v20, v5
	v_mov_b32_e32 v19, v4
	s_andn2_b32 s12, s104, exec_lo
	s_and_b32 s11, s11, exec_lo
	s_andn2_b32 vcc_hi, vcc_hi, exec_lo
	s_or_b32 s104, s12, s11
	s_andn2_b32 s99, s99, exec_lo
	s_andn2_b32 s41, s41, exec_lo
	;; [unrolled: 1-line block ×3, first 2 shown]
	s_orn2_b32 s11, s9, exec_lo
.LBB171_11:                             ;   in Loop: Header=BB171_12 Depth=1
	s_or_b32 exec_lo, exec_lo, s6
	s_and_b32 s6, exec_lo, s11
	s_or_b32 s91, s6, s91
	s_andn2_b32 s6, s94, exec_lo
	s_and_b32 s9, s104, exec_lo
	s_andn2_b32 s11, s98, exec_lo
	s_or_b32 s94, s6, s9
	s_and_b32 s6, vcc_hi, exec_lo
	s_andn2_b32 s9, s95, exec_lo
	s_and_b32 s12, s99, exec_lo
	s_or_b32 s98, s11, s6
	s_or_b32 s95, s9, s12
	s_andn2_b32 s6, s96, exec_lo
	s_and_b32 s9, s41, exec_lo
	s_andn2_b32 s11, s92, exec_lo
	s_and_b32 s12, s40, exec_lo
	s_or_b32 s96, s6, s9
	s_or_b32 s92, s11, s12
	s_andn2_b32 exec_lo, exec_lo, s91
	s_cbranch_execz .LBB171_474
.LBB171_12:                             ; =>This Loop Header: Depth=1
                                        ;     Child Loop BB171_17 Depth 2
                                        ;     Child Loop BB171_31 Depth 2
	;; [unrolled: 1-line block ×25, first 2 shown]
	ds_read_b128 v[4:7], v3 offset:5120
	s_waitcnt lgkmcnt(0)
	v_readfirstlane_b32 s65, v5
	v_readfirstlane_b32 s64, v4
	s_cmp_lg_u64 s[64:65], 0
	s_cbranch_scc1 .LBB171_44
; %bb.13:                               ;   in Loop: Header=BB171_12 Depth=1
	s_and_b32 vcc_lo, exec_lo, s79
	s_cbranch_vccz .LBB171_25
; %bb.14:                               ;   in Loop: Header=BB171_12 Depth=1
	v_cmp_gt_u64_e32 vcc_lo, 0x601, v[6:7]
	s_mov_b32 s11, 0
	s_mov_b32 s6, 0
	s_cbranch_vccz .LBB171_26
; %bb.15:                               ;   in Loop: Header=BB171_12 Depth=1
	global_load_ushort v2, v3, s[62:63]
	global_load_ushort v6, v[12:13], off
	v_mov_b32_e32 v5, v1
	v_mov_b32_e32 v4, v0
	s_mov_b32 s12, 0
	s_waitcnt vmcnt(1)
	v_and_b32_e32 v2, 0xffff, v2
	s_branch .LBB171_17
.LBB171_16:                             ;   in Loop: Header=BB171_17 Depth=2
	s_or_b32 exec_lo, exec_lo, s9
	v_mov_b32_e32 v6, v7
	s_andn2_b32 exec_lo, exec_lo, s12
	s_cbranch_execz .LBB171_98
.LBB171_17:                             ;   Parent Loop BB171_12 Depth=1
                                        ; =>  This Inner Loop Header: Depth=2
	v_add_co_u32 v4, vcc_lo, v4, v2
	v_add_co_ci_u32_e64 v5, null, 0, v5, vcc_lo
	s_waitcnt lgkmcnt(0)
	v_mov_b32_e32 v8, 0
	v_mov_b32_e32 v7, 0
	s_mov_b32 s9, exec_lo
	v_cmp_le_u64_e32 vcc_lo, s[36:37], v[4:5]
	v_cmpx_gt_u64_e64 s[36:37], v[4:5]
	s_cbranch_execz .LBB171_19
; %bb.18:                               ;   in Loop: Header=BB171_17 Depth=2
	v_mul_lo_u32 v7, v5, s30
	v_mul_lo_u32 v11, v4, s31
	v_mad_u64_u32 v[9:10], null, v4, s30, 0
	v_add3_u32 v10, v10, v11, v7
	v_lshlrev_b64 v[9:10], 1, v[9:10]
	v_add_co_u32 v9, s6, s33, v9
	v_add_co_ci_u32_e64 v10, null, s35, v10, s6
	global_load_ushort v7, v[9:10], off
.LBB171_19:                             ;   in Loop: Header=BB171_17 Depth=2
	s_or_b32 exec_lo, exec_lo, s9
	s_waitcnt vmcnt(0)
	v_add_nc_u32_sdwa v9, sext(v6), v31 dst_sel:DWORD dst_unused:UNUSED_PAD src0_sel:WORD_0 src1_sel:DWORD
	v_and_b32_e32 v9, v9, v32
	v_cmp_eq_u32_e64 s6, v9, v28
	s_cmp_lg_u32 s6, 0
	s_cselect_b32 s9, -1, 0
	s_and_b32 s9, s0, s9
	s_and_saveexec_b32 s13, s9
	s_cbranch_execz .LBB171_23
; %bb.20:                               ;   in Loop: Header=BB171_17 Depth=2
	s_mov_b32 s16, exec_lo
	s_bcnt1_i32_b32 s14, s6
	v_mbcnt_lo_u32_b32 v8, s16, 0
	s_mov_b32 s15, exec_lo
                                        ; implicit-def: $vgpr9
	v_cmpx_eq_u32_e32 0, v8
; %bb.21:                               ;   in Loop: Header=BB171_17 Depth=2
	s_bcnt1_i32_b32 s9, s16
	s_mul_i32 s9, s14, s9
	v_mov_b32_e32 v9, s9
	ds_add_rtn_u32 v9, v3, v9 offset:5144
; %bb.22:                               ;   in Loop: Header=BB171_17 Depth=2
	s_or_b32 exec_lo, exec_lo, s15
	s_waitcnt lgkmcnt(0)
	v_readfirstlane_b32 s9, v9
	v_mad_u32_u24 v8, s14, v8, s9
.LBB171_23:                             ;   in Loop: Header=BB171_17 Depth=2
	s_or_b32 exec_lo, exec_lo, s13
	ds_bpermute_b32 v8, v3, v8
	s_and_b32 s9, exec_lo, vcc_lo
	s_or_b32 s12, s9, s12
	s_and_saveexec_b32 s9, s6
	s_cbranch_execz .LBB171_16
; %bb.24:                               ;   in Loop: Header=BB171_17 Depth=2
	v_and_b32_e32 v9, s6, v23
	v_bcnt_u32_b32 v9, v9, 0
	v_lshlrev_b32_e32 v9, 1, v9
	s_waitcnt lgkmcnt(0)
	v_lshl_add_u32 v8, v8, 1, v9
	ds_write_b16 v8, v6
	s_branch .LBB171_16
.LBB171_25:                             ;   in Loop: Header=BB171_12 Depth=1
	s_mov_b32 s11, -1
	s_mov_b32 s6, 0
.LBB171_26:                             ;   in Loop: Header=BB171_12 Depth=1
	s_and_b32 vcc_lo, exec_lo, s11
	s_cbranch_vccz .LBB171_42
.LBB171_27:                             ;   in Loop: Header=BB171_12 Depth=1
	s_and_saveexec_b32 s9, s2
	s_cbranch_execz .LBB171_39
; %bb.28:                               ;   in Loop: Header=BB171_12 Depth=1
	global_load_ushort v4, v3, s[62:63]
	global_load_ushort v10, v[12:13], off
	v_mov_b32_e32 v8, v0
	s_mov_b32 s11, exec_lo
	s_waitcnt vmcnt(1)
	v_add_nc_u32_sdwa v2, v4, v0 dst_sel:DWORD dst_unused:UNUSED_PAD src0_sel:WORD_0 src1_sel:DWORD
	v_readfirstlane_b32 s6, v4
	v_cmpx_gt_u64_e64 s[36:37], v[2:3]
	s_cbranch_execz .LBB171_38
; %bb.29:                               ;   in Loop: Header=BB171_12 Depth=1
	s_and_b32 s12, s6, 0xffff
	v_mov_b32_e32 v7, v1
	s_cmp_eq_u32 s12, 1
	v_mov_b32_e32 v5, v3
	v_mov_b32_e32 v6, v0
	;; [unrolled: 1-line block ×3, first 2 shown]
	s_cselect_b32 s6, -1, 0
                                        ; implicit-def: $vgpr8_vgpr9
	s_and_b32 s14, s7, s6
	s_mov_b32 s6, -1
	s_and_saveexec_b32 s13, s14
	s_cbranch_execz .LBB171_33
; %bb.30:                               ;   in Loop: Header=BB171_12 Depth=1
	v_add_co_u32 v4, s6, v2, 1
	v_add_co_ci_u32_e64 v5, null, 0, 0, s6
	v_mov_b32_e32 v8, v16
	s_waitcnt vmcnt(0)
	v_lshlrev_b32_e32 v21, 16, v10
	v_mov_b32_e32 v9, v17
	v_mov_b32_e32 v7, v5
	;; [unrolled: 1-line block ×6, first 2 shown]
	s_mov_b32 s14, 0
.LBB171_31:                             ;   Parent Loop BB171_12 Depth=1
                                        ; =>  This Inner Loop Header: Depth=2
	v_mul_lo_u32 v10, v5, s85
	v_mul_lo_u32 v22, v4, s87
	v_mad_u64_u32 v[34:35], null, v4, s85, 0
	v_mul_lo_u32 v38, v7, s30
	v_mul_lo_u32 v39, v6, s31
	v_mad_u64_u32 v[36:37], null, v6, s30, 0
	v_add3_u32 v35, v35, v22, v10
	v_add3_u32 v37, v37, v39, v38
	v_lshlrev_b64 v[34:35], 1, v[34:35]
	v_lshlrev_b64 v[36:37], 1, v[36:37]
	v_add_co_u32 v34, vcc_lo, s33, v34
	v_add_co_ci_u32_e64 v35, null, s35, v35, vcc_lo
	v_add_co_u32 v36, vcc_lo, s33, v36
	v_add_co_ci_u32_e64 v37, null, s35, v37, vcc_lo
	s_clause 0x1
	global_load_ushort v22, v[34:35], off
	global_load_ushort v10, v[36:37], off
	v_add_co_u32 v8, vcc_lo, v8, -2
	v_add_co_ci_u32_e64 v9, null, -1, v9, vcc_lo
	v_add_co_u32 v6, vcc_lo, v6, 2
	v_add_co_ci_u32_e64 v7, null, 0, v7, vcc_lo
	v_cmp_eq_u64_e64 s6, 0, v[8:9]
	v_add_co_u32 v4, vcc_lo, v4, 2
	v_add_co_ci_u32_e64 v5, null, 0, v5, vcc_lo
	s_or_b32 s14, s6, s14
	s_waitcnt vmcnt(1)
	v_alignbit_b32 v21, v22, v21, 16
	s_waitcnt vmcnt(0)
	v_perm_b32 v22, v10, v22, 0x5040100
	ds_write_b32 v11, v21
	v_add_nc_u32_e32 v11, 4, v11
	v_mov_b32_e32 v21, v22
	s_andn2_b32 exec_lo, exec_lo, s14
	s_cbranch_execnz .LBB171_31
; %bb.32:                               ;   in Loop: Header=BB171_12 Depth=1
	s_or_b32 exec_lo, exec_lo, s14
	v_add_co_u32 v4, vcc_lo, v2, v16
	v_add_co_ci_u32_e64 v5, null, 0, v17, vcc_lo
	v_mov_b32_e32 v6, v18
	v_add_co_u32 v8, vcc_lo, v4, -1
	s_orn2_b32 s6, s8, exec_lo
	v_add_co_ci_u32_e64 v2, null, -1, v5, vcc_lo
	v_mov_b32_e32 v7, v19
.LBB171_33:                             ;   in Loop: Header=BB171_12 Depth=1
	s_or_b32 exec_lo, exec_lo, s13
	s_and_saveexec_b32 s13, s6
	s_cbranch_execz .LBB171_37
; %bb.34:                               ;   in Loop: Header=BB171_12 Depth=1
	s_sub_u32 s14, 0, s12
	s_subb_u32 s16, 0, 0
	s_mov_b32 s15, 0
	s_inst_prefetch 0x1
	.p2align	6
.LBB171_35:                             ;   Parent Loop BB171_12 Depth=1
                                        ; =>  This Inner Loop Header: Depth=2
	v_mov_b32_e32 v8, v5
	v_mov_b32_e32 v7, v4
	v_lshlrev_b32_e32 v6, 1, v6
	v_mul_lo_u32 v2, v8, s30
	v_mul_lo_u32 v9, v7, s31
	v_mad_u64_u32 v[4:5], null, v7, s30, 0
	s_waitcnt vmcnt(0)
	ds_write_b16 v6, v10
	v_add3_u32 v5, v5, v9, v2
	v_lshlrev_b64 v[4:5], 1, v[4:5]
	v_add_co_u32 v4, vcc_lo, s33, v4
	v_add_co_ci_u32_e64 v5, null, s35, v5, vcc_lo
	global_load_ushort v2, v[4:5], off
	v_add_co_u32 v4, vcc_lo, v7, s12
	v_add_co_ci_u32_e64 v5, null, 0, v8, vcc_lo
	v_mov_b32_e32 v6, v7
	v_mov_b32_e32 v7, v8
	v_add_co_u32 v8, s6, s14, v4
	v_cmp_le_u64_e32 vcc_lo, s[36:37], v[4:5]
	v_add_co_ci_u32_e64 v7, null, s16, v5, s6
	s_or_b32 s15, vcc_lo, s15
	s_waitcnt vmcnt(0)
	v_mov_b32_e32 v10, v2
	s_andn2_b32 exec_lo, exec_lo, s15
	s_cbranch_execnz .LBB171_35
; %bb.36:                               ;   in Loop: Header=BB171_12 Depth=1
	s_inst_prefetch 0x2
	s_or_b32 exec_lo, exec_lo, s15
	v_mov_b32_e32 v10, v2
.LBB171_37:                             ;   in Loop: Header=BB171_12 Depth=1
	s_or_b32 exec_lo, exec_lo, s13
.LBB171_38:                             ;   in Loop: Header=BB171_12 Depth=1
	s_or_b32 exec_lo, exec_lo, s11
	v_lshlrev_b32_e32 v2, 1, v8
	s_waitcnt vmcnt(0)
	ds_write_b16 v2, v10
.LBB171_39:                             ;   in Loop: Header=BB171_12 Depth=1
	s_or_b32 exec_lo, exec_lo, s9
	s_waitcnt lgkmcnt(0)
	s_barrier
	buffer_gl0_inv
	s_and_saveexec_b32 s6, s3
; %bb.40:                               ;   in Loop: Header=BB171_12 Depth=1
	v_mov_b32_e32 v4, s36
	v_mov_b32_e32 v5, s37
	ds_write_b64 v3, v[4:5] offset:5120
; %bb.41:                               ;   in Loop: Header=BB171_12 Depth=1
	s_or_b32 exec_lo, exec_lo, s6
	s_mov_b32 s6, -1
	s_waitcnt lgkmcnt(0)
	s_barrier
.LBB171_42:                             ;   in Loop: Header=BB171_12 Depth=1
	s_and_b32 vcc_lo, exec_lo, s6
	s_mov_b64 s[64:65], 0
	s_cbranch_vccz .LBB171_44
; %bb.43:                               ;   in Loop: Header=BB171_12 Depth=1
	buffer_gl0_inv
	ds_read_b64 v[4:5], v3 offset:5120
	s_waitcnt lgkmcnt(0)
	v_readfirstlane_b32 s64, v4
.LBB171_44:                             ;   in Loop: Header=BB171_12 Depth=1
	s_cmp_lt_i32 s64, 1
	s_mov_b32 s6, -1
                                        ; implicit-def: $vgpr4_vgpr5
                                        ; implicit-def: $vgpr8_vgpr9
	s_cbranch_scc1 .LBB171_54
; %bb.45:                               ;   in Loop: Header=BB171_12 Depth=1
	s_and_b32 vcc_lo, exec_lo, s6
	s_cbranch_vccnz .LBB171_68
.LBB171_46:                             ;   in Loop: Header=BB171_12 Depth=1
	s_lshl_b32 s6, s93, 7
	s_and_saveexec_b32 s9, s0
	s_cbranch_execz .LBB171_48
.LBB171_47:                             ;   in Loop: Header=BB171_12 Depth=1
	v_lshl_add_u32 v2, s6, 3, v27
	ds_write_b128 v2, v[4:7]
	ds_write_b128 v2, v[8:11] offset:16
.LBB171_48:                             ;   in Loop: Header=BB171_12 Depth=1
	s_or_b32 exec_lo, exec_lo, s9
	s_waitcnt lgkmcnt(0)
	s_barrier
	buffer_gl0_inv
	s_and_saveexec_b32 s9, s78
	s_cbranch_execz .LBB171_82
; %bb.49:                               ;   in Loop: Header=BB171_12 Depth=1
	v_mov_b32_e32 v4, 0
	v_mov_b32_e32 v5, 0
	s_andn2_b32 vcc_lo, exec_lo, s81
	s_cbranch_vccnz .LBB171_81
; %bb.50:                               ;   in Loop: Header=BB171_12 Depth=1
	v_mov_b32_e32 v4, 0
	v_mov_b32_e32 v5, 0
	s_andn2_b32 vcc_lo, exec_lo, s88
	s_cbranch_vccnz .LBB171_78
; %bb.51:                               ;   in Loop: Header=BB171_12 Depth=1
	v_lshl_add_u32 v2, s93, 10, v30
	s_mov_b32 s11, 0
	s_inst_prefetch 0x1
	.p2align	6
.LBB171_52:                             ;   Parent Loop BB171_12 Depth=1
                                        ; =>  This Inner Loop Header: Depth=2
	ds_read2_b64 v[6:9], v2 offset1:4
	ds_read2_b64 v[34:37], v2 offset0:8 offset1:12
	ds_read2_b64 v[38:41], v2 offset0:16 offset1:20
	s_add_i32 s11, s11, 8
	s_cmp_eq_u32 s80, s11
	s_waitcnt lgkmcnt(2)
	v_add_co_u32 v4, vcc_lo, v6, v4
	v_add_co_ci_u32_e64 v5, null, v7, v5, vcc_lo
	v_add_co_u32 v8, vcc_lo, v8, v4
	v_add_co_ci_u32_e64 v9, null, v9, v5, vcc_lo
	ds_read2_b64 v[4:7], v2 offset0:24 offset1:28
	s_waitcnt lgkmcnt(2)
	v_add_co_u32 v8, vcc_lo, v34, v8
	v_add_co_ci_u32_e64 v9, null, v35, v9, vcc_lo
	v_add_nc_u32_e32 v2, 0x100, v2
	v_add_co_u32 v8, vcc_lo, v36, v8
	v_add_co_ci_u32_e64 v9, null, v37, v9, vcc_lo
	s_waitcnt lgkmcnt(1)
	v_add_co_u32 v8, vcc_lo, v38, v8
	v_add_co_ci_u32_e64 v9, null, v39, v9, vcc_lo
	v_add_co_u32 v8, vcc_lo, v40, v8
	v_add_co_ci_u32_e64 v9, null, v41, v9, vcc_lo
	s_waitcnt lgkmcnt(0)
	v_add_co_u32 v4, vcc_lo, v4, v8
	v_add_co_ci_u32_e64 v5, null, v5, v9, vcc_lo
	v_add_co_u32 v4, vcc_lo, v6, v4
	v_add_co_ci_u32_e64 v5, null, v7, v5, vcc_lo
	s_cbranch_scc0 .LBB171_52
; %bb.53:                               ;   in Loop: Header=BB171_12 Depth=1
	s_inst_prefetch 0x2
	s_mov_b32 s11, s80
	s_andn2_b32 vcc_lo, exec_lo, s89
	s_cbranch_vccz .LBB171_79
	s_branch .LBB171_81
.LBB171_54:                             ;   in Loop: Header=BB171_12 Depth=1
	global_load_ushort v2, v3, s[62:63]
	s_mov_b32 s12, s59
	s_mov_b32 s13, s37
	s_waitcnt vmcnt(0)
	v_readfirstlane_b32 s6, v2
	s_and_b32 s6, 0xffff, s6
	s_lshl_b32 s27, s6, 2
	s_cmp_lg_u64 s[12:13], 0
	s_cbranch_scc0 .LBB171_77
; %bb.55:                               ;   in Loop: Header=BB171_12 Depth=1
	v_cvt_f32_u32_e32 v4, s27
	s_sub_u32 s11, 0, s27
	s_subb_u32 s12, 0, 0
	v_fmac_f32_e64 v4, 0x4f800000, 0
	v_rcp_f32_e32 v4, v4
	v_mul_f32_e32 v4, 0x5f7ffffc, v4
	v_mul_f32_e32 v5, 0x2f800000, v4
	v_trunc_f32_e32 v5, v5
	v_fmac_f32_e32 v4, 0xcf800000, v5
	v_cvt_u32_f32_e32 v5, v5
	v_cvt_u32_f32_e32 v4, v4
	v_readfirstlane_b32 s6, v5
	v_readfirstlane_b32 s9, v4
	s_mul_i32 s13, s11, s6
	s_mul_hi_u32 s15, s11, s9
	s_mul_i32 s14, s12, s9
	s_add_i32 s13, s15, s13
	s_mul_i32 s16, s11, s9
	s_add_i32 s13, s13, s14
	s_mul_hi_u32 s15, s9, s16
	s_mul_i32 s18, s9, s13
	s_mul_hi_u32 s17, s6, s16
	s_mul_i32 s14, s6, s16
	s_mul_hi_u32 s16, s9, s13
	s_add_u32 s15, s15, s18
	s_addc_u32 s16, 0, s16
	s_mul_hi_u32 s19, s6, s13
	s_add_u32 s14, s15, s14
	s_mul_i32 s13, s6, s13
	s_addc_u32 s14, s16, s17
	s_addc_u32 s15, s19, 0
	s_add_u32 s13, s14, s13
	s_addc_u32 s14, 0, s15
	s_add_u32 s9, s9, s13
	s_cselect_b32 s13, -1, 0
	s_mul_hi_u32 s15, s11, s9
	s_cmp_lg_u32 s13, 0
	s_mul_i32 s13, s11, s9
	s_addc_u32 s6, s6, s14
	s_mul_i32 s12, s12, s9
	s_mul_i32 s11, s11, s6
	s_mul_hi_u32 s14, s9, s13
	s_add_i32 s11, s15, s11
	s_mul_hi_u32 s15, s6, s13
	s_add_i32 s11, s11, s12
	s_mul_i32 s12, s6, s13
	s_mul_i32 s17, s9, s11
	s_mul_hi_u32 s16, s9, s11
	s_add_u32 s14, s14, s17
	s_addc_u32 s16, 0, s16
	s_mul_hi_u32 s13, s6, s11
	s_add_u32 s12, s14, s12
	s_mul_i32 s11, s6, s11
	s_addc_u32 s12, s16, s15
	s_addc_u32 s13, s13, 0
	s_add_u32 s11, s12, s11
	s_addc_u32 s12, 0, s13
	s_add_u32 s9, s9, s11
	s_cselect_b32 s11, -1, 0
	s_mul_hi_u32 s13, s36, s9
	s_cmp_lg_u32 s11, 0
	s_mul_hi_u32 s11, s37, s9
	s_addc_u32 s6, s6, s12
	s_mul_i32 s9, s37, s9
	s_mul_i32 s14, s36, s6
	s_mul_hi_u32 s12, s36, s6
	s_add_u32 s13, s13, s14
	s_addc_u32 s12, 0, s12
	s_mul_hi_u32 s15, s37, s6
	s_add_u32 s9, s13, s9
	s_mul_i32 s6, s37, s6
	s_addc_u32 s9, s12, s11
	s_addc_u32 s11, s15, 0
	s_add_u32 s6, s9, s6
	s_addc_u32 s9, 0, s11
	s_mul_hi_u32 s11, s27, s6
	s_mul_i32 s9, s27, s9
	s_mul_i32 s6, s27, s6
	s_add_i32 s11, s11, s9
	s_sub_u32 s6, s36, s6
	s_cselect_b32 s9, -1, 0
	s_cmp_lg_u32 s9, 0
	s_subb_u32 s9, s37, s11
	s_sub_u32 s11, s6, s27
	s_cselect_b32 s12, -1, 0
	s_cmp_lg_u32 s12, 0
	s_subb_u32 s12, s9, 0
	;; [unrolled: 4-line block ×3, first 2 shown]
	s_cmp_ge_u32 s11, s27
	s_cselect_b32 s15, -1, 0
	s_cmp_eq_u32 s12, 0
	s_cselect_b32 s15, s15, -1
	s_cmp_lg_u32 s15, 0
	s_cselect_b32 s12, s14, s12
	s_cselect_b32 s11, s13, s11
	s_cmp_ge_u32 s6, s27
	s_cselect_b32 s13, -1, 0
	s_cmp_eq_u32 s9, 0
	s_cselect_b32 s13, s13, -1
	s_cmp_lg_u32 s13, 0
	s_cselect_b32 s13, s12, s9
	s_cselect_b32 s12, s11, s6
	s_cbranch_execnz .LBB171_57
.LBB171_56:                             ;   in Loop: Header=BB171_12 Depth=1
	v_cvt_f32_u32_e32 v4, s27
	s_sub_i32 s9, 0, s27
	v_rcp_iflag_f32_e32 v4, v4
	v_mul_f32_e32 v4, 0x4f7ffffe, v4
	v_cvt_u32_f32_e32 v4, v4
	v_readfirstlane_b32 s6, v4
	s_mul_i32 s9, s9, s6
	s_mul_hi_u32 s9, s6, s9
	s_add_i32 s6, s6, s9
	s_mul_hi_u32 s6, s36, s6
	s_mul_i32 s6, s6, s27
	s_sub_i32 s6, s36, s6
	s_sub_i32 s9, s6, s27
	s_cmp_ge_u32 s6, s27
	s_cselect_b32 s6, s9, s6
	s_sub_i32 s9, s6, s27
	s_cmp_ge_u32 s6, s27
	s_cselect_b32 s58, s9, s6
	s_mov_b64 s[12:13], s[58:59]
.LBB171_57:                             ;   in Loop: Header=BB171_12 Depth=1
	v_mov_b32_e32 v4, 0
	v_mov_b32_e32 v6, 0
	;; [unrolled: 1-line block ×8, first 2 shown]
	s_sub_u32 s66, s36, s12
	s_subb_u32 s67, s37, s13
	s_mov_b32 s42, exec_lo
	v_cmpx_gt_u64_e64 s[66:67], v[14:15]
	s_cbranch_execz .LBB171_61
; %bb.58:                               ;   in Loop: Header=BB171_12 Depth=1
	v_mov_b32_e32 v22, v15
	v_mov_b32_e32 v21, v14
	s_mov_b64 s[68:69], 0
	s_mov_b32 s43, 0
	s_mov_b64 s[70:71], 0
	s_mov_b64 s[72:73], 0
	;; [unrolled: 1-line block ×3, first 2 shown]
.LBB171_59:                             ;   Parent Loop BB171_12 Depth=1
                                        ; =>  This Inner Loop Header: Depth=2
	v_mul_lo_u32 v6, v22, s30
	v_mul_lo_u32 v7, v21, s31
	v_mad_u64_u32 v[4:5], null, v21, s30, 0
	s_lshl_b64 s[12:13], s[30:31], 1
	v_add3_u32 v5, v5, v7, v6
	v_lshlrev_b64 v[4:5], 1, v[4:5]
	v_add_co_u32 v4, vcc_lo, s33, v4
	v_add_co_ci_u32_e64 v5, null, s35, v5, vcc_lo
	v_add_co_u32 v6, vcc_lo, v4, s12
	v_add_co_ci_u32_e64 v7, null, s13, v5, vcc_lo
	global_load_sshort v8, v[4:5], off
	v_add_co_u32 v4, vcc_lo, v6, s12
	v_add_co_ci_u32_e64 v5, null, s13, v7, vcc_lo
	s_clause 0x1
	global_load_sshort v6, v[6:7], off
	global_load_sshort v7, v[4:5], off
	v_add_co_u32 v4, vcc_lo, v4, s12
	v_add_co_ci_u32_e64 v5, null, s13, v5, vcc_lo
	v_add_co_u32 v21, vcc_lo, v21, s27
	v_add_co_ci_u32_e64 v22, null, 0, v22, vcc_lo
	global_load_sshort v4, v[4:5], off
	v_cmp_le_u64_e32 vcc_lo, s[66:67], v[21:22]
	s_waitcnt vmcnt(3)
	v_add_nc_u32_e32 v5, 0x8000, v8
	v_and_b32_e32 v8, v5, v32
	s_waitcnt vmcnt(2)
	v_add_nc_u32_e32 v6, 0x8000, v6
	v_bfe_u32 v5, v5, s97, 2
	s_waitcnt vmcnt(1)
	v_add_nc_u32_e32 v7, 0x8000, v7
	v_cmp_eq_u32_e64 s6, v8, v28
	v_and_b32_e32 v8, v6, v32
	v_bfe_u32 v6, v6, s97, 2
	v_cmp_eq_u32_e64 s9, 0, v5
	v_cmp_eq_u32_e64 s11, 1, v5
	v_cmp_eq_u32_e64 s12, 2, v5
	v_cmp_eq_u32_e64 s13, 3, v5
	s_waitcnt vmcnt(0)
	v_add_nc_u32_e32 v4, 0x8000, v4
	v_and_b32_e32 v5, v7, v32
	v_cmp_eq_u32_e64 s14, v8, v28
	v_bfe_u32 v7, v7, s97, 2
	v_cmp_eq_u32_e64 s15, 0, v6
	s_and_b32 s9, s6, s9
	v_cmp_eq_u32_e64 s18, v5, v28
	v_cndmask_b32_e64 v8, 0, 1, s9
	v_and_b32_e32 v5, v4, v32
	v_bfe_u32 v4, v4, s97, 2
	v_cmp_eq_u32_e64 s19, 0, v7
	s_and_b32 s15, s14, s15
	v_cmp_eq_u32_e64 s9, 1, v6
	v_cmp_eq_u32_e64 s16, 2, v6
	;; [unrolled: 1-line block ×3, first 2 shown]
	v_cmp_ne_u32_e64 s20, 0, v8
	v_cndmask_b32_e64 v6, 0, 1, s15
	v_cmp_eq_u32_e64 s23, v5, v28
	v_cmp_eq_u32_e64 s24, 0, v4
	s_and_b32 s19, s18, s19
	s_bcnt1_i32_b32 s54, s20
	v_cmp_ne_u32_e64 s20, 0, v6
	v_cndmask_b32_e64 v5, 0, 1, s19
	s_and_b32 s24, s23, s24
	v_cmp_eq_u32_e64 s19, 1, v4
	v_cmp_eq_u32_e64 s25, 2, v4
	;; [unrolled: 1-line block ×3, first 2 shown]
	v_cndmask_b32_e64 v4, 0, 1, s24
	s_bcnt1_i32_b32 s24, s20
	v_cmp_ne_u32_e64 s20, 0, v5
	s_add_i32 s54, s24, s54
	v_cmp_eq_u32_e64 s15, 1, v7
	v_cmp_ne_u32_e64 s24, 0, v4
	v_cmp_eq_u32_e64 s21, 2, v7
	s_bcnt1_i32_b32 s20, s20
	v_cmp_eq_u32_e64 s22, 3, v7
	s_add_i32 s20, s54, s20
	s_bcnt1_i32_b32 s24, s24
	s_add_i32 s20, s20, s24
	s_add_u32 s74, s74, s20
	s_addc_u32 s75, s75, 0
	s_and_b32 s11, s6, s11
	s_and_b32 s9, s14, s9
	v_cndmask_b32_e64 v4, 0, 1, s11
	v_cndmask_b32_e64 v5, 0, 1, s9
	s_and_b32 s9, s18, s15
	v_cndmask_b32_e64 v6, 0, 1, s9
	s_and_b32 s9, s23, s19
	v_cmp_ne_u32_e64 s11, 0, v5
	v_cndmask_b32_e64 v7, 0, 1, s9
	v_cmp_ne_u32_e64 s9, 0, v4
	v_cmp_ne_u32_e64 s15, 0, v6
	s_bcnt1_i32_b32 s11, s11
	v_cmp_ne_u32_e64 s19, 0, v7
	s_bcnt1_i32_b32 s9, s9
	s_bcnt1_i32_b32 s15, s15
	s_add_i32 s9, s11, s9
	s_bcnt1_i32_b32 s19, s19
	s_add_i32 s9, s9, s15
	s_add_i32 s9, s9, s19
	s_add_u32 s72, s72, s9
	s_addc_u32 s73, s73, 0
	s_and_b32 s9, s6, s12
	v_cndmask_b32_e64 v4, 0, 1, s9
	s_and_b32 s9, s14, s16
	v_cndmask_b32_e64 v5, 0, 1, s9
	;; [unrolled: 2-line block ×3, first 2 shown]
	s_and_b32 s9, s23, s25
	v_cmp_ne_u32_e64 s11, 0, v5
	v_cndmask_b32_e64 v7, 0, 1, s9
	v_cmp_ne_u32_e64 s9, 0, v4
	v_cmp_ne_u32_e64 s12, 0, v6
	s_bcnt1_i32_b32 s11, s11
	v_cmp_ne_u32_e64 s15, 0, v7
	s_bcnt1_i32_b32 s9, s9
	s_bcnt1_i32_b32 s12, s12
	s_add_i32 s9, s11, s9
	s_bcnt1_i32_b32 s15, s15
	s_add_i32 s9, s9, s12
	s_add_i32 s9, s9, s15
	s_add_u32 s70, s70, s9
	s_addc_u32 s71, s71, 0
	s_and_b32 s6, s6, s13
	v_mov_b32_e32 v8, s70
	v_cndmask_b32_e64 v4, 0, 1, s6
	s_and_b32 s6, s14, s17
	v_mov_b32_e32 v9, s71
	v_cndmask_b32_e64 v5, 0, 1, s6
	s_and_b32 s6, s18, s22
	v_cndmask_b32_e64 v6, 0, 1, s6
	s_and_b32 s6, s23, s26
	v_cmp_ne_u32_e64 s9, 0, v5
	v_cndmask_b32_e64 v7, 0, 1, s6
	v_cmp_ne_u32_e64 s6, 0, v4
	v_cmp_ne_u32_e64 s11, 0, v6
	v_mov_b32_e32 v4, s74
	s_bcnt1_i32_b32 s9, s9
	v_cmp_ne_u32_e64 s12, 0, v7
	s_bcnt1_i32_b32 s6, s6
	s_bcnt1_i32_b32 s11, s11
	s_add_i32 s6, s9, s6
	v_mov_b32_e32 v6, s72
	s_bcnt1_i32_b32 s9, s12
	s_add_i32 s6, s6, s11
	v_mov_b32_e32 v5, s75
	s_add_i32 s6, s6, s9
	v_mov_b32_e32 v7, s73
	s_add_u32 s68, s68, s6
	s_addc_u32 s69, s69, 0
	v_mov_b32_e32 v10, s68
	v_mov_b32_e32 v11, s69
	s_or_b32 s43, vcc_lo, s43
	s_andn2_b32 exec_lo, exec_lo, s43
	s_cbranch_execnz .LBB171_59
; %bb.60:                               ;   in Loop: Header=BB171_12 Depth=1
	s_or_b32 exec_lo, exec_lo, s43
.LBB171_61:                             ;   in Loop: Header=BB171_12 Depth=1
	s_or_b32 exec_lo, exec_lo, s42
	v_add_co_u32 v21, s6, s66, v0
	v_and_b32_e32 v2, 0xffff, v2
	v_add_co_ci_u32_e64 v22, null, s67, 0, s6
	s_mov_b32 s12, exec_lo
	v_cmpx_gt_u64_e64 s[36:37], v[21:22]
	s_cbranch_execz .LBB171_67
; %bb.62:                               ;   in Loop: Header=BB171_12 Depth=1
	v_mul_lo_u32 v36, v22, s30
	v_mul_lo_u32 v37, v21, s31
	v_mad_u64_u32 v[34:35], null, v21, s30, 0
	s_mov_b32 s13, 0
	v_add3_u32 v35, v35, v37, v36
	v_lshlrev_b64 v[34:35], 1, v[34:35]
	v_add_co_u32 v34, vcc_lo, s33, v34
	v_add_co_ci_u32_e64 v35, null, s35, v35, vcc_lo
	global_load_ushort v35, v[34:35], off
	s_branch .LBB171_64
.LBB171_63:                             ;   in Loop: Header=BB171_64 Depth=2
	s_or_b32 exec_lo, exec_lo, s9
	s_waitcnt vmcnt(0)
	v_add_nc_u32_sdwa v35, sext(v35), v31 dst_sel:DWORD dst_unused:UNUSED_PAD src0_sel:WORD_0 src1_sel:DWORD
	s_and_b32 s11, exec_lo, vcc_lo
	s_or_b32 s13, s11, s13
	v_and_b32_e32 v36, v35, v32
	v_bfe_u32 v35, v35, s97, 2
	v_cmp_eq_u32_e64 s6, v36, v28
	v_cmp_eq_u32_e64 s9, 0, v35
	v_cmp_eq_u32_e32 vcc_lo, 1, v35
	v_cmp_eq_u32_e64 s11, 2, v35
	s_and_b32 s9, s6, s9
	v_cndmask_b32_e64 v36, 0, 1, s9
	s_and_b32 s9, s6, vcc_lo
	v_cmp_eq_u32_e32 vcc_lo, 3, v35
	v_cndmask_b32_e64 v37, 0, 1, s9
	s_and_b32 s9, s6, s11
	v_cndmask_b32_e64 v35, 0, 1, s9
	v_cmp_ne_u32_e64 s9, 0, v36
	v_cmp_ne_u32_e64 s11, 0, v37
	s_and_b32 s6, s6, vcc_lo
	v_cndmask_b32_e64 v36, 0, 1, s6
	s_bcnt1_i32_b32 s6, s9
	v_cmp_ne_u32_e32 vcc_lo, 0, v35
	s_bcnt1_i32_b32 s9, s11
	v_add_co_u32 v4, s6, v4, s6
	v_add_co_ci_u32_e64 v5, null, 0, v5, s6
	v_add_co_u32 v6, s6, v6, s9
	v_add_co_ci_u32_e64 v7, null, 0, v7, s6
	s_bcnt1_i32_b32 s6, vcc_lo
	v_cmp_ne_u32_e32 vcc_lo, 0, v36
	v_add_co_u32 v8, s6, v8, s6
	v_add_co_ci_u32_e64 v9, null, 0, v9, s6
	s_bcnt1_i32_b32 s6, vcc_lo
	v_mov_b32_e32 v35, v34
	v_add_co_u32 v10, vcc_lo, v10, s6
	v_add_co_ci_u32_e64 v11, null, 0, v11, vcc_lo
	s_andn2_b32 exec_lo, exec_lo, s13
	s_cbranch_execz .LBB171_66
.LBB171_64:                             ;   Parent Loop BB171_12 Depth=1
                                        ; =>  This Inner Loop Header: Depth=2
	v_add_co_u32 v21, vcc_lo, v21, v2
	v_add_co_ci_u32_e64 v22, null, 0, v22, vcc_lo
	v_mov_b32_e32 v34, 0
	s_mov_b32 s9, exec_lo
	v_cmp_le_u64_e32 vcc_lo, s[36:37], v[21:22]
	v_cmpx_gt_u64_e64 s[36:37], v[21:22]
	s_cbranch_execz .LBB171_63
; %bb.65:                               ;   in Loop: Header=BB171_64 Depth=2
	v_mul_lo_u32 v34, v22, s30
	v_mul_lo_u32 v38, v21, s31
	v_mad_u64_u32 v[36:37], null, v21, s30, 0
	v_add3_u32 v37, v37, v38, v34
	v_lshlrev_b64 v[36:37], 1, v[36:37]
	v_add_co_u32 v36, s6, s33, v36
	v_add_co_ci_u32_e64 v37, null, s35, v37, s6
	global_load_ushort v34, v[36:37], off
	s_branch .LBB171_63
.LBB171_66:                             ;   in Loop: Header=BB171_12 Depth=1
	s_or_b32 exec_lo, exec_lo, s13
.LBB171_67:                             ;   in Loop: Header=BB171_12 Depth=1
	s_or_b32 exec_lo, exec_lo, s12
	s_branch .LBB171_46
.LBB171_68:                             ;   in Loop: Header=BB171_12 Depth=1
	global_load_ushort v2, v3, s[62:63]
	v_mov_b32_e32 v6, 0
	v_mov_b32_e32 v8, 0
	;; [unrolled: 1-line block ×6, first 2 shown]
	s_mov_b32 s58, exec_lo
	s_waitcnt vmcnt(0)
	v_readfirstlane_b32 s6, v2
	s_and_b32 s42, 0xffff, s6
	s_lshl_b32 s43, s42, 2
	v_cvt_f32_u32_e32 v4, s43
	s_sub_i32 s9, 0, s43
	v_rcp_iflag_f32_e32 v4, v4
	v_mul_f32_e32 v4, 0x4f7ffffe, v4
	v_cvt_u32_f32_e32 v4, v4
	v_readfirstlane_b32 s6, v4
	v_mov_b32_e32 v4, 0
	v_mov_b32_e32 v5, 0
	s_mul_i32 s9, s9, s6
	s_mul_hi_u32 s9, s6, s9
	s_add_i32 s6, s6, s9
	s_mul_hi_u32 s6, s64, s6
	s_mul_i32 s9, s6, s43
	s_add_i32 s11, s6, 1
	s_sub_i32 s9, s64, s9
	s_sub_i32 s12, s9, s43
	s_cmp_ge_u32 s9, s43
	s_cselect_b32 s6, s11, s6
	s_cselect_b32 s9, s12, s9
	s_add_i32 s11, s6, 1
	s_cmp_ge_u32 s9, s43
	s_cselect_b32 s6, s11, s6
	s_mul_hi_u32 s67, s42, s6
	s_mul_i32 s66, s42, s6
	s_lshl_b64 s[68:69], s[66:67], 2
	v_cmpx_gt_u64_e64 s[68:69], v[14:15]
	s_cbranch_execz .LBB171_72
; %bb.69:                               ;   in Loop: Header=BB171_12 Depth=1
	v_mov_b32_e32 v22, v15
	v_mov_b32_e32 v34, v29
	;; [unrolled: 1-line block ×3, first 2 shown]
	s_lshl_b32 s60, s42, 3
	s_mov_b64 s[70:71], 0
	s_mov_b32 s65, 0
	s_mov_b64 s[72:73], 0
	s_mov_b64 s[74:75], 0
	;; [unrolled: 1-line block ×3, first 2 shown]
.LBB171_70:                             ;   Parent Loop BB171_12 Depth=1
                                        ; =>  This Inner Loop Header: Depth=2
	ds_read_b64 v[4:5], v34
	v_add_nc_u32_e32 v34, s60, v34
	s_waitcnt lgkmcnt(0)
	v_add_nc_u32_sdwa v6, sext(v4), v31 dst_sel:DWORD dst_unused:UNUSED_PAD src0_sel:WORD_0 src1_sel:DWORD
	v_add_nc_u32_sdwa v4, sext(v4), v31 dst_sel:DWORD dst_unused:UNUSED_PAD src0_sel:WORD_1 src1_sel:DWORD
	v_add_nc_u32_sdwa v7, sext(v5), v31 dst_sel:DWORD dst_unused:UNUSED_PAD src0_sel:WORD_0 src1_sel:DWORD
	v_add_nc_u32_sdwa v5, sext(v5), v31 dst_sel:DWORD dst_unused:UNUSED_PAD src0_sel:WORD_1 src1_sel:DWORD
	v_and_b32_e32 v8, v6, v32
	v_bfe_u32 v6, v6, s97, 2
	v_cmp_eq_u32_e32 vcc_lo, v8, v28
	v_and_b32_e32 v8, v4, v32
	v_bfe_u32 v4, v4, s97, 2
	v_cmp_eq_u32_e64 s12, 0, v6
	v_cmp_eq_u32_e64 s13, 1, v6
	;; [unrolled: 1-line block ×8, first 2 shown]
	v_bfe_u32 v4, v7, s97, 2
	v_and_b32_e32 v8, v7, v32
	s_and_b32 s12, vcc_lo, s12
	s_and_b32 s16, s6, s16
	v_cmp_eq_u32_e64 s15, 3, v6
	v_cmp_eq_u32_e64 s20, 0, v4
	;; [unrolled: 1-line block ×5, first 2 shown]
	v_bfe_u32 v4, v5, s97, 2
	v_cmp_eq_u32_e64 s9, v8, v28
	v_and_b32_e32 v8, v5, v32
	v_cmp_eq_u32_e64 s24, 0, v4
	v_cmp_eq_u32_e64 s25, 1, v4
	;; [unrolled: 1-line block ×4, first 2 shown]
	v_cndmask_b32_e64 v4, 0, 1, s12
	v_cmp_eq_u32_e64 s11, v8, v28
	s_and_b32 s20, s9, s20
	v_cmp_ne_u32_e64 s12, 0, v4
	v_cndmask_b32_e64 v4, 0, 1, s16
	s_and_b32 s24, s11, s24
	s_bcnt1_i32_b32 s12, s12
	v_cmp_ne_u32_e64 s16, 0, v4
	v_cndmask_b32_e64 v4, 0, 1, s20
	s_bcnt1_i32_b32 s16, s16
	v_cmp_ne_u32_e64 s20, 0, v4
	v_cndmask_b32_e64 v4, 0, 1, s24
	s_add_i32 s12, s16, s12
	s_bcnt1_i32_b32 s20, s20
	v_cmp_ne_u32_e64 s24, 0, v4
	s_add_i32 s12, s12, s20
	s_bcnt1_i32_b32 s24, s24
	s_add_i32 s12, s12, s24
	s_add_u32 s76, s76, s12
	s_addc_u32 s77, s77, 0
	s_and_b32 s12, vcc_lo, s13
	s_and_b32 s13, s6, s17
	v_cndmask_b32_e64 v4, 0, 1, s12
	s_and_b32 s16, s9, s21
	s_and_b32 s17, s11, s25
	v_cmp_ne_u32_e64 s12, 0, v4
	v_cndmask_b32_e64 v4, 0, 1, s13
	s_bcnt1_i32_b32 s12, s12
	v_cmp_ne_u32_e64 s13, 0, v4
	v_cndmask_b32_e64 v4, 0, 1, s16
	s_bcnt1_i32_b32 s13, s13
	v_cmp_ne_u32_e64 s16, 0, v4
	v_cndmask_b32_e64 v4, 0, 1, s17
	s_add_i32 s12, s13, s12
	s_bcnt1_i32_b32 s16, s16
	v_cmp_ne_u32_e64 s17, 0, v4
	s_add_i32 s12, s12, s16
	s_bcnt1_i32_b32 s17, s17
	s_add_i32 s12, s12, s17
	s_add_u32 s74, s74, s12
	s_addc_u32 s75, s75, 0
	s_and_b32 s12, vcc_lo, s14
	s_and_b32 s13, s6, s18
	v_cndmask_b32_e64 v4, 0, 1, s12
	s_and_b32 s14, s9, s22
	s_and_b32 s16, s11, s26
	v_mov_b32_e32 v6, s74
	v_mov_b32_e32 v7, s75
	v_cmp_ne_u32_e64 s12, 0, v4
	v_cndmask_b32_e64 v4, 0, 1, s13
	s_bcnt1_i32_b32 s12, s12
	v_cmp_ne_u32_e64 s13, 0, v4
	v_cndmask_b32_e64 v4, 0, 1, s14
	s_bcnt1_i32_b32 s13, s13
	v_cmp_ne_u32_e64 s14, 0, v4
	v_cndmask_b32_e64 v4, 0, 1, s16
	s_add_i32 s12, s13, s12
	s_bcnt1_i32_b32 s14, s14
	v_cmp_ne_u32_e64 s16, 0, v4
	s_add_i32 s12, s12, s14
	s_bcnt1_i32_b32 s16, s16
	s_add_i32 s12, s12, s16
	s_add_u32 s72, s72, s12
	s_addc_u32 s73, s73, 0
	s_and_b32 s12, vcc_lo, s15
	s_and_b32 s6, s6, s19
	v_cndmask_b32_e64 v4, 0, 1, s12
	s_and_b32 s9, s9, s23
	s_and_b32 s11, s11, s27
	v_add_co_u32 v21, s12, v21, s43
	v_cmp_ne_u32_e32 vcc_lo, 0, v4
	v_cndmask_b32_e64 v4, 0, 1, s6
	v_add_co_ci_u32_e64 v22, null, 0, v22, s12
	v_mov_b32_e32 v8, s72
	s_bcnt1_i32_b32 s13, vcc_lo
	v_cmp_ne_u32_e64 s6, 0, v4
	v_cndmask_b32_e64 v4, 0, 1, s9
	v_cmp_le_u64_e64 s12, s[68:69], v[21:22]
	v_mov_b32_e32 v9, s73
	s_bcnt1_i32_b32 s6, s6
	v_cmp_ne_u32_e64 s9, 0, v4
	v_cndmask_b32_e64 v4, 0, 1, s11
	s_add_i32 s6, s6, s13
	s_bcnt1_i32_b32 s9, s9
	v_cmp_ne_u32_e64 s11, 0, v4
	s_add_i32 s6, s6, s9
	v_mov_b32_e32 v4, s76
	v_mov_b32_e32 v5, s77
	s_bcnt1_i32_b32 s11, s11
	s_add_i32 s6, s6, s11
	s_add_u32 s70, s70, s6
	s_addc_u32 s71, s71, 0
	v_mov_b32_e32 v10, s70
	v_mov_b32_e32 v11, s71
	s_or_b32 s65, s12, s65
	s_andn2_b32 exec_lo, exec_lo, s65
	s_cbranch_execnz .LBB171_70
; %bb.71:                               ;   in Loop: Header=BB171_12 Depth=1
	s_or_b32 exec_lo, exec_lo, s65
.LBB171_72:                             ;   in Loop: Header=BB171_12 Depth=1
	s_or_b32 exec_lo, exec_lo, s58
	v_add_co_u32 v21, s6, s68, v0
	v_and_b32_e32 v2, 0xffff, v2
	v_add_co_ci_u32_e64 v22, null, s69, 0, s6
	s_and_b32 s58, s64, 0x7fffffff
	s_mov_b32 s14, exec_lo
	v_cmpx_gt_u64_e64 s[58:59], v[21:22]
	s_cbranch_execz .LBB171_76
; %bb.73:                               ;   in Loop: Header=BB171_12 Depth=1
	v_lshl_add_u32 v34, s66, 3, v25
	s_lshl_b32 s16, s42, 1
	s_mov_b32 s15, 0
.LBB171_74:                             ;   Parent Loop BB171_12 Depth=1
                                        ; =>  This Inner Loop Header: Depth=2
	ds_read_i16 v35, v34
	v_add_co_u32 v21, vcc_lo, v21, v2
	v_add_co_ci_u32_e64 v22, null, 0, v22, vcc_lo
	v_add_nc_u32_e32 v34, s16, v34
	v_cmp_le_u64_e32 vcc_lo, s[58:59], v[21:22]
	s_waitcnt lgkmcnt(0)
	v_add_nc_u32_e32 v35, 0x8000, v35
	v_and_b32_e32 v36, v35, v32
	v_bfe_u32 v35, v35, s97, 2
	v_cmp_eq_u32_e64 s6, v36, v28
	v_cmp_eq_u32_e64 s9, 0, v35
	;; [unrolled: 1-line block ×5, first 2 shown]
	s_and_b32 s9, s6, s9
	v_cndmask_b32_e64 v35, 0, 1, s9
	s_and_b32 s9, s6, s11
	v_cndmask_b32_e64 v36, 0, 1, s9
	s_and_b32 s9, s6, s12
	s_and_b32 s6, s6, s13
	v_cndmask_b32_e64 v37, 0, 1, s9
	v_cndmask_b32_e64 v38, 0, 1, s6
	v_cmp_ne_u32_e64 s6, 0, v35
	v_cmp_ne_u32_e64 s9, 0, v36
	;; [unrolled: 1-line block ×4, first 2 shown]
	s_bcnt1_i32_b32 s6, s6
	s_bcnt1_i32_b32 s9, s9
	v_add_co_u32 v4, s6, v4, s6
	s_bcnt1_i32_b32 s11, s11
	v_add_co_ci_u32_e64 v5, null, 0, v5, s6
	v_add_co_u32 v6, s6, v6, s9
	s_bcnt1_i32_b32 s12, s12
	v_add_co_ci_u32_e64 v7, null, 0, v7, s6
	v_add_co_u32 v8, s6, v8, s11
	v_add_co_ci_u32_e64 v9, null, 0, v9, s6
	v_add_co_u32 v10, s6, v10, s12
	v_add_co_ci_u32_e64 v11, null, 0, v11, s6
	s_or_b32 s15, vcc_lo, s15
	s_andn2_b32 exec_lo, exec_lo, s15
	s_cbranch_execnz .LBB171_74
; %bb.75:                               ;   in Loop: Header=BB171_12 Depth=1
	s_or_b32 exec_lo, exec_lo, s15
.LBB171_76:                             ;   in Loop: Header=BB171_12 Depth=1
	s_or_b32 exec_lo, exec_lo, s14
	s_lshl_b32 s6, s93, 7
	s_and_saveexec_b32 s9, s0
	s_cbranch_execnz .LBB171_47
	s_branch .LBB171_48
.LBB171_77:                             ;   in Loop: Header=BB171_12 Depth=1
                                        ; implicit-def: $sgpr12_sgpr13
	s_branch .LBB171_56
.LBB171_78:                             ;   in Loop: Header=BB171_12 Depth=1
	s_mov_b32 s11, 0
	s_andn2_b32 vcc_lo, exec_lo, s89
	s_cbranch_vccnz .LBB171_81
.LBB171_79:                             ;   in Loop: Header=BB171_12 Depth=1
	s_lshl_b32 s12, s93, 10
	s_lshl_b32 s11, s11, 5
	v_add3_u32 v2, s12, s11, v30
	s_mov_b32 s11, s86
.LBB171_80:                             ;   Parent Loop BB171_12 Depth=1
                                        ; =>  This Inner Loop Header: Depth=2
	ds_read_b64 v[6:7], v2
	v_add_nc_u32_e32 v2, 32, v2
	s_add_i32 s11, s11, -1
	s_cmp_lg_u32 s11, 0
	s_waitcnt lgkmcnt(0)
	v_add_co_u32 v4, vcc_lo, v6, v4
	v_add_co_ci_u32_e64 v5, null, v7, v5, vcc_lo
	s_cbranch_scc1 .LBB171_80
.LBB171_81:                             ;   in Loop: Header=BB171_12 Depth=1
	v_add_lshl_u32 v2, s6, v24, 3
	ds_write_b64 v2, v[4:5] offset:3072
.LBB171_82:                             ;   in Loop: Header=BB171_12 Depth=1
	s_or_b32 exec_lo, exec_lo, s9
	s_lshl_b32 s6, s6, 3
	s_waitcnt lgkmcnt(0)
	v_mov_b32_e32 v2, s6
	s_barrier
	buffer_gl0_inv
	v_cmp_eq_u64_e64 s9, 1, v[19:20]
	s_lshl_b32 s11, 3, s97
	ds_read_b128 v[4:7], v2 offset:3072
	ds_read_b128 v[8:11], v2 offset:3088
	s_mov_b32 s66, -1
	s_not_b32 s26, s11
	s_mov_b32 s27, 0
	s_andn2_b32 vcc_lo, exec_lo, s53
	s_mov_b32 s43, 0
	s_mov_b32 s42, 0
                                        ; implicit-def: $sgpr64
                                        ; implicit-def: $sgpr65
                                        ; implicit-def: $vgpr2
	s_waitcnt lgkmcnt(1)
	v_readfirstlane_b32 s13, v5
	v_readfirstlane_b32 s12, v4
	;; [unrolled: 1-line block ×4, first 2 shown]
	s_waitcnt lgkmcnt(0)
	v_readfirstlane_b32 s17, v9
	v_readfirstlane_b32 s16, v8
	;; [unrolled: 1-line block ×4, first 2 shown]
                                        ; implicit-def: $vgpr4_vgpr5
                                        ; implicit-def: $vgpr8
                                        ; implicit-def: $vgpr9
                                        ; implicit-def: $vgpr10
	s_cbranch_vccnz .LBB171_277
; %bb.83:                               ;   in Loop: Header=BB171_12 Depth=1
	s_cmp_eq_u64 s[12:13], 1
	v_mov_b32_e32 v8, v28
	v_mov_b32_e32 v9, v32
	;; [unrolled: 1-line block ×3, first 2 shown]
	s_cselect_b32 s6, -1, 0
	s_mov_b32 s20, -1
	s_and_b32 s6, s6, s9
                                        ; implicit-def: $sgpr65
                                        ; implicit-def: $sgpr64
	s_and_saveexec_b32 s42, s6
	s_cbranch_execz .LBB171_118
; %bb.84:                               ;   in Loop: Header=BB171_12 Depth=1
	ds_read_b64 v[4:5], v3 offset:5120
	s_waitcnt lgkmcnt(0)
	s_barrier
	buffer_gl0_inv
	v_readfirstlane_b32 s20, v4
	v_readfirstlane_b32 s21, v5
	s_and_saveexec_b32 s22, s10
; %bb.85:                               ;   in Loop: Header=BB171_12 Depth=1
	ds_write_b16 v26, v3
; %bb.86:                               ;   in Loop: Header=BB171_12 Depth=1
	s_or_b32 exec_lo, exec_lo, s22
	v_and_b32_e32 v8, s26, v28
	v_or_b32_e32 v9, s11, v32
	s_mov_b32 s64, -1
	s_mov_b32 s65, 0
	s_cmp_eq_u64 s[20:21], 0
	s_mov_b32 s24, 0
	s_mov_b32 s25, -1
	s_waitcnt lgkmcnt(0)
	s_barrier
	buffer_gl0_inv
                                        ; implicit-def: $vgpr10
	s_cbranch_scc1 .LBB171_103
; %bb.87:                               ;   in Loop: Header=BB171_12 Depth=1
	s_add_u32 s43, s20, s82
	s_addc_u32 s23, s21, s83
	s_mov_b32 s22, s59
	s_cmp_lg_u64 s[22:23], 0
	s_cbranch_scc0 .LBB171_144
; %bb.88:                               ;   in Loop: Header=BB171_12 Depth=1
	v_cvt_f32_u32_e32 v2, s49
	s_sub_u32 s25, 0, s49
	s_subb_u32 s44, 0, 0
	v_fmac_f32_e64 v2, 0x4f800000, 0
	v_rcp_f32_e32 v2, v2
	v_mul_f32_e32 v2, 0x5f7ffffc, v2
	v_mul_f32_e32 v4, 0x2f800000, v2
	v_trunc_f32_e32 v4, v4
	v_fmac_f32_e32 v2, 0xcf800000, v4
	v_cvt_u32_f32_e32 v4, v4
	v_cvt_u32_f32_e32 v2, v2
	v_readfirstlane_b32 s22, v4
	v_readfirstlane_b32 s24, v2
	s_mul_i32 s45, s25, s22
	s_mul_hi_u32 s47, s25, s24
	s_mul_i32 s46, s44, s24
	s_add_i32 s45, s47, s45
	s_mul_i32 s54, s25, s24
	s_add_i32 s45, s45, s46
	s_mul_hi_u32 s47, s24, s54
	s_mul_i32 s56, s24, s45
	s_mul_hi_u32 s55, s22, s54
	s_mul_i32 s46, s22, s54
	s_mul_hi_u32 s54, s24, s45
	s_add_u32 s47, s47, s56
	s_addc_u32 s54, 0, s54
	s_mul_hi_u32 s57, s22, s45
	s_add_u32 s46, s47, s46
	s_mul_i32 s45, s22, s45
	s_addc_u32 s46, s54, s55
	s_addc_u32 s47, s57, 0
	s_add_u32 s45, s46, s45
	s_addc_u32 s46, 0, s47
	s_add_u32 s24, s24, s45
	s_cselect_b32 s45, -1, 0
	s_mul_hi_u32 s47, s25, s24
	s_cmp_lg_u32 s45, 0
	s_mul_i32 s45, s25, s24
	s_addc_u32 s22, s22, s46
	s_mul_i32 s44, s44, s24
	s_mul_i32 s25, s25, s22
	s_mul_hi_u32 s46, s24, s45
	s_add_i32 s25, s47, s25
	s_mul_hi_u32 s47, s22, s45
	s_add_i32 s25, s25, s44
	s_mul_i32 s44, s22, s45
	s_mul_i32 s55, s24, s25
	s_mul_hi_u32 s54, s24, s25
	s_add_u32 s46, s46, s55
	s_addc_u32 s54, 0, s54
	s_mul_hi_u32 s45, s22, s25
	s_add_u32 s44, s46, s44
	s_mul_i32 s25, s22, s25
	s_addc_u32 s44, s54, s47
	s_addc_u32 s45, s45, 0
	s_add_u32 s25, s44, s25
	s_addc_u32 s44, 0, s45
	s_add_u32 s24, s24, s25
	s_cselect_b32 s25, -1, 0
	s_mul_hi_u32 s45, s43, s24
	s_cmp_lg_u32 s25, 0
	s_mul_hi_u32 s25, s23, s24
	s_addc_u32 s22, s22, s44
	s_mul_i32 s24, s23, s24
	s_mul_i32 s46, s43, s22
	s_mul_hi_u32 s44, s43, s22
	s_add_u32 s45, s45, s46
	s_addc_u32 s44, 0, s44
	s_mul_hi_u32 s47, s23, s22
	s_add_u32 s24, s45, s24
	s_mul_i32 s22, s23, s22
	s_addc_u32 s24, s44, s25
	s_addc_u32 s25, s47, 0
	s_add_u32 s22, s24, s22
	s_addc_u32 s24, 0, s25
	s_mul_hi_u32 s25, s49, s22
	s_mul_i32 s24, s49, s24
	s_mul_i32 s22, s49, s22
	s_add_i32 s25, s25, s24
	s_sub_u32 s22, s43, s22
	s_cselect_b32 s24, -1, 0
	s_cmp_lg_u32 s24, 0
	s_subb_u32 s24, s23, s25
	s_sub_u32 s25, s22, s49
	s_cselect_b32 s44, -1, 0
	s_cmp_lg_u32 s44, 0
	s_subb_u32 s44, s24, 0
	;; [unrolled: 4-line block ×3, first 2 shown]
	s_cmp_ge_u32 s25, s49
	s_cselect_b32 s47, -1, 0
	s_cmp_eq_u32 s44, 0
	s_cselect_b32 s47, s47, -1
	s_cmp_lg_u32 s47, 0
	s_cselect_b32 s44, s46, s44
	s_cselect_b32 s45, s45, s25
	s_cmp_ge_u32 s22, s49
	s_cselect_b32 s25, -1, 0
	s_cmp_eq_u32 s24, 0
	s_cselect_b32 s25, s25, -1
	s_cmp_lg_u32 s25, 0
	s_cselect_b32 s25, s44, s24
	s_cselect_b32 s24, s45, s22
	s_cbranch_execnz .LBB171_90
.LBB171_89:                             ;   in Loop: Header=BB171_12 Depth=1
	v_cvt_f32_u32_e32 v2, s49
	s_sub_i32 s24, 0, s49
	v_rcp_iflag_f32_e32 v2, v2
	v_mul_f32_e32 v2, 0x4f7ffffe, v2
	v_cvt_u32_f32_e32 v2, v2
	v_readfirstlane_b32 s22, v2
	s_mul_i32 s24, s24, s22
	s_mul_hi_u32 s24, s22, s24
	s_add_i32 s22, s22, s24
	s_mul_hi_u32 s22, s43, s22
	s_mul_i32 s22, s22, s49
	s_sub_i32 s22, s43, s22
	s_sub_i32 s24, s22, s49
	s_cmp_ge_u32 s22, s49
	s_cselect_b32 s22, s24, s22
	s_sub_i32 s24, s22, s49
	s_cmp_ge_u32 s22, s49
	s_cselect_b32 s58, s24, s22
	s_mov_b64 s[24:25], s[58:59]
.LBB171_90:                             ;   in Loop: Header=BB171_12 Depth=1
	s_sub_u32 s22, s43, s24
	s_subb_u32 s23, s23, s25
	s_mov_b32 s25, 0
	s_mov_b32 s24, 0
	s_mov_b32 s43, exec_lo
                                        ; implicit-def: $vgpr10
	v_cmpx_gt_u64_e64 s[22:23], v[0:1]
	s_cbranch_execz .LBB171_102
; %bb.91:                               ;   in Loop: Header=BB171_12 Depth=1
	v_mov_b32_e32 v5, v1
	v_mov_b32_e32 v2, v25
	;; [unrolled: 1-line block ×3, first 2 shown]
                                        ; implicit-def: $sgpr58
	s_inst_prefetch 0x1
	s_branch .LBB171_94
	.p2align	6
.LBB171_92:                             ;   in Loop: Header=BB171_94 Depth=2
	s_or_b32 exec_lo, exec_lo, s54
	s_waitcnt lgkmcnt(0)
	s_barrier
	buffer_gl0_inv
	ds_read_b32 v6, v3 offset:3072
	s_mov_b32 s54, -1
	s_mov_b32 s55, -1
	s_waitcnt lgkmcnt(0)
	s_barrier
	buffer_gl0_inv
	v_cmp_ne_u32_sdwa s44, v6, v3 src0_sel:WORD_0 src1_sel:DWORD
	s_and_b32 vcc_lo, exec_lo, s44
	s_cbranch_vccz .LBB171_97
.LBB171_93:                             ;   in Loop: Header=BB171_94 Depth=2
	s_and_b32 s44, exec_lo, s54
	s_or_b32 s24, s44, s24
	s_andn2_b32 s44, s58, exec_lo
	s_and_b32 s45, s55, exec_lo
	s_or_b32 s58, s44, s45
	s_andn2_b32 exec_lo, exec_lo, s24
	s_cbranch_execz .LBB171_101
.LBB171_94:                             ;   Parent Loop BB171_12 Depth=1
                                        ; =>  This Inner Loop Header: Depth=2
	s_mov_b32 s54, exec_lo
	v_cmpx_gt_u64_e64 s[20:21], v[4:5]
	s_cbranch_execz .LBB171_92
; %bb.95:                               ;   in Loop: Header=BB171_94 Depth=2
	ds_read_u16 v6, v2
	s_waitcnt lgkmcnt(0)
	v_add_nc_u32_sdwa v7, sext(v6), v31 dst_sel:DWORD dst_unused:UNUSED_PAD src0_sel:WORD_0 src1_sel:DWORD
	v_and_b32_e32 v7, v7, v9
	v_cmp_eq_u32_e32 vcc_lo, v7, v8
	s_and_b32 exec_lo, exec_lo, vcc_lo
	s_cbranch_execz .LBB171_92
; %bb.96:                               ;   in Loop: Header=BB171_94 Depth=2
	v_perm_b32 v6, v6, 1, 0x5040100
	ds_write_b32 v3, v6 offset:3072
	s_branch .LBB171_92
.LBB171_97:                             ;   in Loop: Header=BB171_94 Depth=2
	v_add_co_u32 v4, vcc_lo, v4, s49
	v_add_co_ci_u32_e64 v5, null, 0, v5, vcc_lo
	v_add_nc_u32_e32 v2, s90, v2
	s_mov_b32 s55, 0
	v_cmp_le_u64_e32 vcc_lo, s[22:23], v[4:5]
	s_orn2_b32 s54, vcc_lo, exec_lo
	s_branch .LBB171_93
.LBB171_98:                             ;   in Loop: Header=BB171_12 Depth=1
	s_or_b32 exec_lo, exec_lo, s12
	s_waitcnt lgkmcnt(0)
	s_barrier
	buffer_gl0_inv
	s_and_saveexec_b32 s6, s3
	s_cbranch_execz .LBB171_100
; %bb.99:                               ;   in Loop: Header=BB171_12 Depth=1
	ds_read_b32 v4, v3 offset:5144
	s_waitcnt lgkmcnt(0)
	v_ashrrev_i32_e32 v5, 31, v4
	ds_write_b64 v3, v[4:5] offset:5120
.LBB171_100:                            ;   in Loop: Header=BB171_12 Depth=1
	s_or_b32 exec_lo, exec_lo, s6
	s_waitcnt lgkmcnt(0)
	s_mov_b32 s6, -1
	s_barrier
	s_and_b32 vcc_lo, exec_lo, s11
	s_cbranch_vccnz .LBB171_27
	s_branch .LBB171_42
.LBB171_101:                            ;   in Loop: Header=BB171_12 Depth=1
	s_inst_prefetch 0x2
	s_or_b32 exec_lo, exec_lo, s24
	v_lshrrev_b32_e32 v10, 16, v6
	s_and_b32 s24, s58, exec_lo
.LBB171_102:                            ;   in Loop: Header=BB171_12 Depth=1
	s_or_b32 exec_lo, exec_lo, s43
.LBB171_103:                            ;   in Loop: Header=BB171_12 Depth=1
	s_and_b32 vcc_lo, exec_lo, s25
	s_cbranch_vccz .LBB171_117
; %bb.104:                              ;   in Loop: Header=BB171_12 Depth=1
	s_mov_b32 s60, s59
	s_cmp_lg_u64 s[60:61], 0
	s_cbranch_scc0 .LBB171_145
; %bb.105:                              ;   in Loop: Header=BB171_12 Depth=1
	v_cvt_f32_u32_e32 v2, s49
	s_sub_u32 s22, 0, s49
	s_subb_u32 s23, 0, 0
	v_fmac_f32_e64 v2, 0x4f800000, 0
	v_rcp_f32_e32 v2, v2
	v_mul_f32_e32 v2, 0x5f7ffffc, v2
	v_mul_f32_e32 v4, 0x2f800000, v2
	v_trunc_f32_e32 v4, v4
	v_fmac_f32_e32 v2, 0xcf800000, v4
	v_cvt_u32_f32_e32 v4, v4
	v_cvt_u32_f32_e32 v2, v2
	v_readfirstlane_b32 s20, v4
	v_readfirstlane_b32 s21, v2
	s_mul_i32 s25, s22, s20
	s_mul_hi_u32 s44, s22, s21
	s_mul_i32 s43, s23, s21
	s_add_i32 s25, s44, s25
	s_mul_i32 s45, s22, s21
	s_add_i32 s25, s25, s43
	s_mul_hi_u32 s44, s21, s45
	s_mul_i32 s47, s21, s25
	s_mul_hi_u32 s46, s20, s45
	s_mul_i32 s43, s20, s45
	s_mul_hi_u32 s45, s21, s25
	s_add_u32 s44, s44, s47
	s_addc_u32 s45, 0, s45
	s_mul_hi_u32 s54, s20, s25
	s_add_u32 s43, s44, s43
	s_mul_i32 s25, s20, s25
	s_addc_u32 s43, s45, s46
	s_addc_u32 s44, s54, 0
	s_add_u32 s25, s43, s25
	s_addc_u32 s43, 0, s44
	s_add_u32 s21, s21, s25
	s_cselect_b32 s25, -1, 0
	s_mul_hi_u32 s44, s22, s21
	s_cmp_lg_u32 s25, 0
	s_mul_i32 s25, s22, s21
	s_addc_u32 s20, s20, s43
	s_mul_i32 s23, s23, s21
	s_mul_i32 s22, s22, s20
	s_mul_hi_u32 s43, s21, s25
	s_add_i32 s22, s44, s22
	s_mul_hi_u32 s44, s20, s25
	s_add_i32 s22, s22, s23
	s_mul_i32 s23, s20, s25
	s_mul_i32 s46, s21, s22
	s_mul_hi_u32 s45, s21, s22
	s_add_u32 s43, s43, s46
	s_addc_u32 s45, 0, s45
	s_mul_hi_u32 s25, s20, s22
	s_add_u32 s23, s43, s23
	s_mul_i32 s22, s20, s22
	s_addc_u32 s23, s45, s44
	s_addc_u32 s25, s25, 0
	s_add_u32 s22, s23, s22
	s_addc_u32 s23, 0, s25
	s_add_u32 s21, s21, s22
	s_cselect_b32 s22, -1, 0
	s_mul_hi_u32 s25, s84, s21
	s_cmp_lg_u32 s22, 0
	s_mul_hi_u32 s22, s61, s21
	s_addc_u32 s20, s20, s23
	s_mul_i32 s21, s61, s21
	s_mul_i32 s43, s84, s20
	s_mul_hi_u32 s23, s84, s20
	s_add_u32 s25, s25, s43
	s_addc_u32 s23, 0, s23
	s_mul_hi_u32 s44, s61, s20
	s_add_u32 s21, s25, s21
	s_mul_i32 s20, s61, s20
	s_addc_u32 s21, s23, s22
	s_addc_u32 s22, s44, 0
	s_add_u32 s20, s21, s20
	s_addc_u32 s21, 0, s22
	s_mul_hi_u32 s22, s49, s20
	s_mul_i32 s21, s49, s21
	s_mul_i32 s20, s49, s20
	s_add_i32 s22, s22, s21
	s_sub_u32 s20, s84, s20
	s_cselect_b32 s21, -1, 0
	s_cmp_lg_u32 s21, 0
	s_subb_u32 s21, s61, s22
	s_sub_u32 s22, s20, s49
	s_cselect_b32 s23, -1, 0
	s_cmp_lg_u32 s23, 0
	s_subb_u32 s23, s21, 0
	;; [unrolled: 4-line block ×3, first 2 shown]
	s_cmp_ge_u32 s22, s49
	s_cselect_b32 s44, -1, 0
	s_cmp_eq_u32 s23, 0
	s_cselect_b32 s44, s44, -1
	s_cmp_lg_u32 s44, 0
	s_cselect_b32 s23, s43, s23
	s_cselect_b32 s22, s25, s22
	s_cmp_ge_u32 s20, s49
	s_cselect_b32 s25, -1, 0
	s_cmp_eq_u32 s21, 0
	s_cselect_b32 s25, s25, -1
	s_cmp_lg_u32 s25, 0
	s_cselect_b32 s21, s23, s21
	s_cselect_b32 s20, s22, s20
	s_cbranch_execnz .LBB171_107
.LBB171_106:                            ;   in Loop: Header=BB171_12 Depth=1
	v_cvt_f32_u32_e32 v2, s49
	s_sub_i32 s21, 0, s49
	v_rcp_iflag_f32_e32 v2, v2
	v_mul_f32_e32 v2, 0x4f7ffffe, v2
	v_cvt_u32_f32_e32 v2, v2
	v_readfirstlane_b32 s20, v2
	s_mul_i32 s21, s21, s20
	s_mul_hi_u32 s21, s20, s21
	s_add_i32 s20, s20, s21
	s_mul_hi_u32 s20, s84, s20
	s_mul_i32 s20, s20, s49
	s_sub_i32 s20, s84, s20
	s_sub_i32 s21, s20, s49
	s_cmp_ge_u32 s20, s49
	s_cselect_b32 s20, s21, s20
	s_sub_i32 s21, s20, s49
	s_cmp_ge_u32 s20, s49
	s_cselect_b32 s58, s21, s20
	s_mov_b64 s[20:21], s[58:59]
.LBB171_107:                            ;   in Loop: Header=BB171_12 Depth=1
	s_sub_u32 s20, s84, s20
	s_subb_u32 s21, s61, s21
	s_mov_b32 s22, exec_lo
                                        ; implicit-def: $vgpr10
	v_cmpx_gt_u64_e64 s[20:21], v[0:1]
	s_cbranch_execz .LBB171_116
; %bb.108:                              ;   in Loop: Header=BB171_12 Depth=1
	v_mov_b32_e32 v5, v1
	v_mov_b32_e32 v4, v0
	s_mov_b32 s23, 0
                                        ; implicit-def: $sgpr25
	s_branch .LBB171_111
.LBB171_109:                            ;   in Loop: Header=BB171_111 Depth=2
	s_or_b32 exec_lo, exec_lo, s43
	s_waitcnt lgkmcnt(0)
	s_barrier
	buffer_gl0_inv
	ds_read_b32 v2, v3 offset:3072
	s_mov_b32 s54, -1
	s_waitcnt lgkmcnt(0)
	s_barrier
	buffer_gl0_inv
	v_cmp_ne_u32_sdwa s43, v2, v3 src0_sel:WORD_0 src1_sel:DWORD
	s_and_b32 vcc_lo, exec_lo, s43
	s_mov_b32 s43, -1
	s_cbranch_vccz .LBB171_114
.LBB171_110:                            ;   in Loop: Header=BB171_111 Depth=2
	s_and_b32 s44, exec_lo, s54
	s_or_b32 s23, s44, s23
	s_andn2_b32 s25, s25, exec_lo
	s_and_b32 s43, s43, exec_lo
	s_or_b32 s25, s25, s43
	s_andn2_b32 exec_lo, exec_lo, s23
	s_cbranch_execz .LBB171_115
.LBB171_111:                            ;   Parent Loop BB171_12 Depth=1
                                        ; =>  This Inner Loop Header: Depth=2
	s_mov_b32 s43, exec_lo
	v_cmpx_gt_u64_e64 s[36:37], v[4:5]
	s_cbranch_execz .LBB171_109
; %bb.112:                              ;   in Loop: Header=BB171_111 Depth=2
	v_mul_lo_u32 v2, v5, s30
	v_mul_lo_u32 v10, v4, s31
	v_mad_u64_u32 v[6:7], null, v4, s30, 0
	v_add3_u32 v7, v7, v10, v2
	v_lshlrev_b64 v[6:7], 1, v[6:7]
	v_add_co_u32 v6, vcc_lo, s33, v6
	v_add_co_ci_u32_e64 v7, null, s35, v7, vcc_lo
	global_load_ushort v2, v[6:7], off
	s_waitcnt vmcnt(0)
	v_add_nc_u32_sdwa v6, sext(v2), v31 dst_sel:DWORD dst_unused:UNUSED_PAD src0_sel:WORD_0 src1_sel:DWORD
	v_and_b32_e32 v6, v6, v9
	v_cmp_eq_u32_e32 vcc_lo, v6, v8
	s_and_b32 exec_lo, exec_lo, vcc_lo
	s_cbranch_execz .LBB171_109
; %bb.113:                              ;   in Loop: Header=BB171_111 Depth=2
	v_perm_b32 v2, v2, 1, 0x5040100
	ds_write_b32 v3, v2 offset:3072
	s_branch .LBB171_109
.LBB171_114:                            ;   in Loop: Header=BB171_111 Depth=2
	v_add_co_u32 v4, vcc_lo, v4, s49
	v_add_co_ci_u32_e64 v5, null, 0, v5, vcc_lo
	s_mov_b32 s43, 0
	v_cmp_le_u64_e32 vcc_lo, s[20:21], v[4:5]
	s_orn2_b32 s54, vcc_lo, exec_lo
	s_branch .LBB171_110
.LBB171_115:                            ;   in Loop: Header=BB171_12 Depth=1
	s_or_b32 exec_lo, exec_lo, s23
	v_lshrrev_b32_e32 v10, 16, v2
	s_andn2_b32 s20, s24, exec_lo
	s_and_b32 s21, s25, exec_lo
	s_or_b32 s24, s20, s21
.LBB171_116:                            ;   in Loop: Header=BB171_12 Depth=1
	s_or_b32 exec_lo, exec_lo, s22
	s_mov_b32 s64, 0
	s_mov_b32 s65, -1
.LBB171_117:                            ;   in Loop: Header=BB171_12 Depth=1
	s_orn2_b32 s20, s24, exec_lo
.LBB171_118:                            ;   in Loop: Header=BB171_12 Depth=1
	s_or_b32 exec_lo, exec_lo, s42
	s_mov_b32 s66, 0
	s_mov_b32 s43, 0
	;; [unrolled: 1-line block ×3, first 2 shown]
                                        ; implicit-def: $vgpr4_vgpr5
                                        ; implicit-def: $vgpr2
	s_and_saveexec_b32 s67, s20
	s_cbranch_execz .LBB171_276
; %bb.119:                              ;   in Loop: Header=BB171_12 Depth=1
	v_mov_b32_e32 v4, 1
	v_mov_b32_e32 v5, 0
	;; [unrolled: 1-line block ×3, first 2 shown]
	s_xor_b32 s20, s6, -1
	s_mov_b32 s21, 0
	s_and_saveexec_b32 s6, s20
	s_cbranch_execz .LBB171_128
; %bb.120:                              ;   in Loop: Header=BB171_12 Depth=1
	s_mov_b32 s20, exec_lo
	v_cmpx_ge_u64_e64 s[12:13], v[19:20]
	s_xor_b32 s20, exec_lo, s20
	s_cbranch_execz .LBB171_125
; %bb.121:                              ;   in Loop: Header=BB171_12 Depth=1
	ds_read_b64 v[4:5], v3 offset:5120
	v_and_b32_e32 v8, s26, v8
	v_or_b32_e32 v9, s11, v9
	s_waitcnt lgkmcnt(0)
	v_cmp_ne_u64_e32 vcc_lo, 0, v[4:5]
	s_cbranch_vccnz .LBB171_125
; %bb.122:                              ;   in Loop: Header=BB171_12 Depth=1
	s_and_saveexec_b32 s21, s3
; %bb.123:                              ;   in Loop: Header=BB171_12 Depth=1
	v_mov_b32_e32 v4, s12
	v_mov_b32_e32 v5, s13
	ds_write_b64 v3, v[4:5] offset:5128
; %bb.124:                              ;   in Loop: Header=BB171_12 Depth=1
	s_or_b32 exec_lo, exec_lo, s21
	s_waitcnt lgkmcnt(0)
	s_barrier
	buffer_gl0_inv
.LBB171_125:                            ;   in Loop: Header=BB171_12 Depth=1
	s_or_saveexec_b32 s20, s20
	v_mov_b32_e32 v4, v19
	v_mov_b32_e32 v2, 8
	;; [unrolled: 1-line block ×3, first 2 shown]
	s_mov_b32 s21, 0
	s_xor_b32 exec_lo, exec_lo, s20
; %bb.126:                              ;   in Loop: Header=BB171_12 Depth=1
	v_sub_co_u32 v4, vcc_lo, v19, s12
	v_subrev_co_ci_u32_e64 v5, null, s13, v20, vcc_lo
	v_mov_b32_e32 v2, 0
	s_mov_b32 s21, exec_lo
; %bb.127:                              ;   in Loop: Header=BB171_12 Depth=1
	s_or_b32 exec_lo, exec_lo, s20
	s_and_b32 s21, s21, exec_lo
.LBB171_128:                            ;   in Loop: Header=BB171_12 Depth=1
	s_or_b32 exec_lo, exec_lo, s6
	s_mov_b32 s20, -1
                                        ; implicit-def: $sgpr42
                                        ; implicit-def: $sgpr43
	s_and_saveexec_b32 s6, s21
	s_xor_b32 s6, exec_lo, s6
	s_cbranch_execz .LBB171_273
; %bb.129:                              ;   in Loop: Header=BB171_12 Depth=1
	v_cmp_eq_u64_e32 vcc_lo, 1, v[4:5]
	s_cmp_eq_u64 s[14:15], 1
                                        ; implicit-def: $sgpr43
                                        ; implicit-def: $sgpr42
	s_cselect_b32 s20, -1, 0
	s_and_b32 s69, s20, vcc_lo
	s_mov_b32 s20, -1
	s_and_saveexec_b32 s68, s69
	s_cbranch_execz .LBB171_163
; %bb.130:                              ;   in Loop: Header=BB171_12 Depth=1
	ds_read_b64 v[6:7], v3 offset:5120
	s_waitcnt lgkmcnt(0)
	s_barrier
	buffer_gl0_inv
	v_readfirstlane_b32 s20, v6
	v_readfirstlane_b32 s21, v7
	s_and_saveexec_b32 s22, s10
; %bb.131:                              ;   in Loop: Header=BB171_12 Depth=1
	ds_write_b16 v26, v3
; %bb.132:                              ;   in Loop: Header=BB171_12 Depth=1
	s_or_b32 exec_lo, exec_lo, s22
	s_lshl_b32 s22, 1, s97
	v_or_b32_e32 v9, s11, v9
	v_and_or_b32 v8, v8, s26, s22
	s_mov_b32 s42, -1
	s_mov_b32 s43, 0
	s_cmp_eq_u64 s[20:21], 0
	s_mov_b32 s24, 0
	s_mov_b32 s25, -1
	s_waitcnt lgkmcnt(0)
	s_barrier
	buffer_gl0_inv
                                        ; implicit-def: $vgpr10
	s_cbranch_scc1 .LBB171_148
; %bb.133:                              ;   in Loop: Header=BB171_12 Depth=1
	s_add_u32 s60, s20, s82
	s_addc_u32 s23, s21, s83
	s_mov_b32 s22, s59
	s_cmp_lg_u64 s[22:23], 0
	s_cbranch_scc0 .LBB171_189
; %bb.134:                              ;   in Loop: Header=BB171_12 Depth=1
	v_cvt_f32_u32_e32 v6, s49
	s_sub_u32 s25, 0, s49
	s_subb_u32 s54, 0, 0
	v_fmac_f32_e64 v6, 0x4f800000, 0
	v_rcp_f32_e32 v6, v6
	v_mul_f32_e32 v6, 0x5f7ffffc, v6
	v_mul_f32_e32 v7, 0x2f800000, v6
	v_trunc_f32_e32 v7, v7
	v_fmac_f32_e32 v6, 0xcf800000, v7
	v_cvt_u32_f32_e32 v7, v7
	v_cvt_u32_f32_e32 v6, v6
	v_readfirstlane_b32 s22, v7
	v_readfirstlane_b32 s24, v6
	s_mul_i32 s55, s25, s22
	s_mul_hi_u32 s70, s25, s24
	s_mul_i32 s58, s54, s24
	s_add_i32 s55, s70, s55
	s_mul_i32 s71, s25, s24
	s_add_i32 s55, s55, s58
	s_mul_hi_u32 s70, s24, s71
	s_mul_i32 s73, s24, s55
	s_mul_hi_u32 s72, s22, s71
	s_mul_i32 s58, s22, s71
	s_mul_hi_u32 s71, s24, s55
	s_add_u32 s70, s70, s73
	s_addc_u32 s71, 0, s71
	s_mul_hi_u32 s74, s22, s55
	s_add_u32 s58, s70, s58
	s_mul_i32 s55, s22, s55
	s_addc_u32 s58, s71, s72
	s_addc_u32 s70, s74, 0
	s_add_u32 s55, s58, s55
	s_addc_u32 s58, 0, s70
	s_add_u32 s24, s24, s55
	s_cselect_b32 s55, -1, 0
	s_mul_hi_u32 s70, s25, s24
	s_cmp_lg_u32 s55, 0
	s_mul_i32 s55, s25, s24
	s_addc_u32 s22, s22, s58
	s_mul_i32 s54, s54, s24
	s_mul_i32 s25, s25, s22
	s_mul_hi_u32 s58, s24, s55
	s_add_i32 s25, s70, s25
	s_mul_hi_u32 s70, s22, s55
	s_add_i32 s25, s25, s54
	s_mul_i32 s54, s22, s55
	s_mul_i32 s72, s24, s25
	s_mul_hi_u32 s71, s24, s25
	s_add_u32 s58, s58, s72
	s_addc_u32 s71, 0, s71
	s_mul_hi_u32 s55, s22, s25
	s_add_u32 s54, s58, s54
	s_mul_i32 s25, s22, s25
	s_addc_u32 s54, s71, s70
	s_addc_u32 s55, s55, 0
	s_add_u32 s25, s54, s25
	s_addc_u32 s54, 0, s55
	s_add_u32 s24, s24, s25
	s_cselect_b32 s25, -1, 0
	s_mul_hi_u32 s55, s60, s24
	s_cmp_lg_u32 s25, 0
	s_mul_hi_u32 s25, s23, s24
	s_addc_u32 s22, s22, s54
	s_mul_i32 s24, s23, s24
	s_mul_i32 s58, s60, s22
	s_mul_hi_u32 s54, s60, s22
	s_add_u32 s55, s55, s58
	s_addc_u32 s54, 0, s54
	s_mul_hi_u32 s70, s23, s22
	s_add_u32 s24, s55, s24
	s_mul_i32 s22, s23, s22
	s_addc_u32 s24, s54, s25
	s_addc_u32 s25, s70, 0
	s_add_u32 s22, s24, s22
	s_addc_u32 s24, 0, s25
	s_mul_hi_u32 s25, s49, s22
	s_mul_i32 s24, s49, s24
	s_mul_i32 s22, s49, s22
	s_add_i32 s25, s25, s24
	s_sub_u32 s22, s60, s22
	s_cselect_b32 s24, -1, 0
	s_cmp_lg_u32 s24, 0
	s_subb_u32 s24, s23, s25
	s_sub_u32 s25, s22, s49
	s_cselect_b32 s54, -1, 0
	s_cmp_lg_u32 s54, 0
	s_subb_u32 s54, s24, 0
	;; [unrolled: 4-line block ×3, first 2 shown]
	s_cmp_ge_u32 s25, s49
	s_cselect_b32 s70, -1, 0
	s_cmp_eq_u32 s54, 0
	s_cselect_b32 s70, s70, -1
	s_cmp_lg_u32 s70, 0
	s_cselect_b32 s54, s58, s54
	s_cselect_b32 s55, s55, s25
	s_cmp_ge_u32 s22, s49
	s_cselect_b32 s25, -1, 0
	s_cmp_eq_u32 s24, 0
	s_cselect_b32 s25, s25, -1
	s_cmp_lg_u32 s25, 0
	s_cselect_b32 s25, s54, s24
	s_cselect_b32 s24, s55, s22
	s_cbranch_execnz .LBB171_136
.LBB171_135:                            ;   in Loop: Header=BB171_12 Depth=1
	v_cvt_f32_u32_e32 v6, s49
	s_sub_i32 s24, 0, s49
	v_rcp_iflag_f32_e32 v6, v6
	v_mul_f32_e32 v6, 0x4f7ffffe, v6
	v_cvt_u32_f32_e32 v6, v6
	v_readfirstlane_b32 s22, v6
	s_mul_i32 s24, s24, s22
	s_mul_hi_u32 s24, s22, s24
	s_add_i32 s22, s22, s24
	s_mul_hi_u32 s22, s60, s22
	s_mul_i32 s22, s22, s49
	s_sub_i32 s22, s60, s22
	s_sub_i32 s24, s22, s49
	s_cmp_ge_u32 s22, s49
	s_cselect_b32 s22, s24, s22
	s_sub_i32 s24, s22, s49
	s_cmp_ge_u32 s22, s49
	s_cselect_b32 s58, s24, s22
	s_mov_b64 s[24:25], s[58:59]
.LBB171_136:                            ;   in Loop: Header=BB171_12 Depth=1
	s_sub_u32 s22, s60, s24
	s_subb_u32 s23, s23, s25
	s_mov_b32 s25, 0
	s_mov_b32 s24, 0
	s_mov_b32 s58, exec_lo
                                        ; implicit-def: $vgpr10
	v_cmpx_gt_u64_e64 s[22:23], v[0:1]
	s_cbranch_execz .LBB171_147
; %bb.137:                              ;   in Loop: Header=BB171_12 Depth=1
	v_mov_b32_e32 v7, v1
	v_mov_b32_e32 v10, v25
	;; [unrolled: 1-line block ×3, first 2 shown]
                                        ; implicit-def: $sgpr60
	s_inst_prefetch 0x1
	s_branch .LBB171_140
	.p2align	6
.LBB171_138:                            ;   in Loop: Header=BB171_140 Depth=2
	s_or_b32 exec_lo, exec_lo, s70
	s_waitcnt lgkmcnt(0)
	s_barrier
	buffer_gl0_inv
	ds_read_b32 v11, v3 offset:3072
	s_mov_b32 s54, -1
	s_waitcnt lgkmcnt(0)
	s_barrier
	buffer_gl0_inv
	v_cmp_ne_u32_sdwa s55, v11, v3 src0_sel:WORD_0 src1_sel:DWORD
	s_and_b32 vcc_lo, exec_lo, s55
	s_mov_b32 s55, -1
	s_cbranch_vccz .LBB171_143
.LBB171_139:                            ;   in Loop: Header=BB171_140 Depth=2
	s_and_b32 s44, exec_lo, s54
	s_or_b32 s24, s44, s24
	s_andn2_b32 s44, s60, exec_lo
	s_and_b32 s45, s55, exec_lo
	s_or_b32 s60, s44, s45
	s_andn2_b32 exec_lo, exec_lo, s24
	s_cbranch_execz .LBB171_146
.LBB171_140:                            ;   Parent Loop BB171_12 Depth=1
                                        ; =>  This Inner Loop Header: Depth=2
	s_mov_b32 s70, exec_lo
	v_cmpx_gt_u64_e64 s[20:21], v[6:7]
	s_cbranch_execz .LBB171_138
; %bb.141:                              ;   in Loop: Header=BB171_140 Depth=2
	ds_read_u16 v11, v10
	s_waitcnt lgkmcnt(0)
	v_add_nc_u32_sdwa v21, sext(v11), v31 dst_sel:DWORD dst_unused:UNUSED_PAD src0_sel:WORD_0 src1_sel:DWORD
	v_and_b32_e32 v21, v21, v9
	v_cmp_eq_u32_e32 vcc_lo, v21, v8
	s_and_b32 exec_lo, exec_lo, vcc_lo
	s_cbranch_execz .LBB171_138
; %bb.142:                              ;   in Loop: Header=BB171_140 Depth=2
	v_perm_b32 v11, v11, 1, 0x5040100
	ds_write_b32 v3, v11 offset:3072
	s_branch .LBB171_138
.LBB171_143:                            ;   in Loop: Header=BB171_140 Depth=2
	v_add_co_u32 v6, vcc_lo, v6, s49
	v_add_co_ci_u32_e64 v7, null, 0, v7, vcc_lo
	v_add_nc_u32_e32 v10, s90, v10
	s_mov_b32 s55, 0
	v_cmp_le_u64_e32 vcc_lo, s[22:23], v[6:7]
	s_orn2_b32 s54, vcc_lo, exec_lo
	s_branch .LBB171_139
.LBB171_144:                            ;   in Loop: Header=BB171_12 Depth=1
                                        ; implicit-def: $sgpr24_sgpr25
	s_branch .LBB171_89
.LBB171_145:                            ;   in Loop: Header=BB171_12 Depth=1
                                        ; implicit-def: $sgpr20_sgpr21
	s_branch .LBB171_106
.LBB171_146:                            ;   in Loop: Header=BB171_12 Depth=1
	s_inst_prefetch 0x2
	s_or_b32 exec_lo, exec_lo, s24
	v_lshrrev_b32_e32 v10, 16, v11
	s_and_b32 s24, s60, exec_lo
.LBB171_147:                            ;   in Loop: Header=BB171_12 Depth=1
	s_or_b32 exec_lo, exec_lo, s58
.LBB171_148:                            ;   in Loop: Header=BB171_12 Depth=1
	s_and_b32 vcc_lo, exec_lo, s25
	s_cbranch_vccz .LBB171_162
; %bb.149:                              ;   in Loop: Header=BB171_12 Depth=1
	s_mov_b32 s60, s59
	s_cmp_lg_u64 s[60:61], 0
	s_cbranch_scc0 .LBB171_190
; %bb.150:                              ;   in Loop: Header=BB171_12 Depth=1
	v_cvt_f32_u32_e32 v6, s49
	s_sub_u32 s22, 0, s49
	s_subb_u32 s23, 0, 0
	v_fmac_f32_e64 v6, 0x4f800000, 0
	v_rcp_f32_e32 v6, v6
	v_mul_f32_e32 v6, 0x5f7ffffc, v6
	v_mul_f32_e32 v7, 0x2f800000, v6
	v_trunc_f32_e32 v7, v7
	v_fmac_f32_e32 v6, 0xcf800000, v7
	v_cvt_u32_f32_e32 v7, v7
	v_cvt_u32_f32_e32 v6, v6
	v_readfirstlane_b32 s20, v7
	v_readfirstlane_b32 s21, v6
	s_mul_i32 s25, s22, s20
	s_mul_hi_u32 s43, s22, s21
	s_mul_i32 s42, s23, s21
	s_add_i32 s25, s43, s25
	s_mul_i32 s54, s22, s21
	s_add_i32 s25, s25, s42
	s_mul_hi_u32 s43, s21, s54
	s_mul_i32 s58, s21, s25
	s_mul_hi_u32 s55, s20, s54
	s_mul_i32 s42, s20, s54
	s_mul_hi_u32 s54, s21, s25
	s_add_u32 s43, s43, s58
	s_addc_u32 s54, 0, s54
	s_mul_hi_u32 s60, s20, s25
	s_add_u32 s42, s43, s42
	s_mul_i32 s25, s20, s25
	s_addc_u32 s42, s54, s55
	s_addc_u32 s43, s60, 0
	s_add_u32 s25, s42, s25
	s_addc_u32 s42, 0, s43
	s_add_u32 s21, s21, s25
	s_cselect_b32 s25, -1, 0
	s_mul_hi_u32 s43, s22, s21
	s_cmp_lg_u32 s25, 0
	s_mul_i32 s25, s22, s21
	s_addc_u32 s20, s20, s42
	s_mul_i32 s23, s23, s21
	s_mul_i32 s22, s22, s20
	s_mul_hi_u32 s42, s21, s25
	s_add_i32 s22, s43, s22
	s_mul_hi_u32 s43, s20, s25
	s_add_i32 s22, s22, s23
	s_mul_i32 s23, s20, s25
	s_mul_i32 s55, s21, s22
	s_mul_hi_u32 s54, s21, s22
	s_add_u32 s42, s42, s55
	s_addc_u32 s54, 0, s54
	s_mul_hi_u32 s25, s20, s22
	s_add_u32 s23, s42, s23
	s_mul_i32 s22, s20, s22
	s_addc_u32 s23, s54, s43
	s_addc_u32 s25, s25, 0
	s_add_u32 s22, s23, s22
	s_addc_u32 s23, 0, s25
	s_add_u32 s21, s21, s22
	s_cselect_b32 s22, -1, 0
	s_mul_hi_u32 s25, s84, s21
	s_cmp_lg_u32 s22, 0
	s_mul_hi_u32 s22, s61, s21
	s_addc_u32 s20, s20, s23
	s_mul_i32 s21, s61, s21
	s_mul_i32 s42, s84, s20
	s_mul_hi_u32 s23, s84, s20
	s_add_u32 s25, s25, s42
	s_addc_u32 s23, 0, s23
	s_mul_hi_u32 s43, s61, s20
	s_add_u32 s21, s25, s21
	s_mul_i32 s20, s61, s20
	s_addc_u32 s21, s23, s22
	s_addc_u32 s22, s43, 0
	s_add_u32 s20, s21, s20
	s_addc_u32 s21, 0, s22
	s_mul_hi_u32 s22, s49, s20
	s_mul_i32 s21, s49, s21
	s_mul_i32 s20, s49, s20
	s_add_i32 s22, s22, s21
	s_sub_u32 s20, s84, s20
	s_cselect_b32 s21, -1, 0
	s_cmp_lg_u32 s21, 0
	s_subb_u32 s21, s61, s22
	s_sub_u32 s22, s20, s49
	s_cselect_b32 s23, -1, 0
	s_cmp_lg_u32 s23, 0
	s_subb_u32 s23, s21, 0
	;; [unrolled: 4-line block ×3, first 2 shown]
	s_cmp_ge_u32 s22, s49
	s_cselect_b32 s43, -1, 0
	s_cmp_eq_u32 s23, 0
	s_cselect_b32 s43, s43, -1
	s_cmp_lg_u32 s43, 0
	s_cselect_b32 s23, s42, s23
	s_cselect_b32 s22, s25, s22
	s_cmp_ge_u32 s20, s49
	s_cselect_b32 s25, -1, 0
	s_cmp_eq_u32 s21, 0
	s_cselect_b32 s25, s25, -1
	s_cmp_lg_u32 s25, 0
	s_cselect_b32 s21, s23, s21
	s_cselect_b32 s20, s22, s20
	s_cbranch_execnz .LBB171_152
.LBB171_151:                            ;   in Loop: Header=BB171_12 Depth=1
	v_cvt_f32_u32_e32 v6, s49
	s_sub_i32 s21, 0, s49
	v_rcp_iflag_f32_e32 v6, v6
	v_mul_f32_e32 v6, 0x4f7ffffe, v6
	v_cvt_u32_f32_e32 v6, v6
	v_readfirstlane_b32 s20, v6
	s_mul_i32 s21, s21, s20
	s_mul_hi_u32 s21, s20, s21
	s_add_i32 s20, s20, s21
	s_mul_hi_u32 s20, s84, s20
	s_mul_i32 s20, s20, s49
	s_sub_i32 s20, s84, s20
	s_sub_i32 s21, s20, s49
	s_cmp_ge_u32 s20, s49
	s_cselect_b32 s20, s21, s20
	s_sub_i32 s21, s20, s49
	s_cmp_ge_u32 s20, s49
	s_cselect_b32 s58, s21, s20
	s_mov_b64 s[20:21], s[58:59]
.LBB171_152:                            ;   in Loop: Header=BB171_12 Depth=1
	s_sub_u32 s20, s84, s20
	s_subb_u32 s21, s61, s21
	s_mov_b32 s22, exec_lo
                                        ; implicit-def: $vgpr10
	v_cmpx_gt_u64_e64 s[20:21], v[0:1]
	s_cbranch_execz .LBB171_161
; %bb.153:                              ;   in Loop: Header=BB171_12 Depth=1
	v_mov_b32_e32 v7, v1
	v_mov_b32_e32 v6, v0
	s_mov_b32 s23, 0
                                        ; implicit-def: $sgpr25
	s_branch .LBB171_156
.LBB171_154:                            ;   in Loop: Header=BB171_156 Depth=2
	s_or_b32 exec_lo, exec_lo, s42
	s_waitcnt lgkmcnt(0)
	s_barrier
	buffer_gl0_inv
	ds_read_b32 v10, v3 offset:3072
	s_mov_b32 s43, -1
	s_waitcnt lgkmcnt(0)
	s_barrier
	buffer_gl0_inv
	v_cmp_eq_u32_sdwa s42, v10, v3 src0_sel:WORD_0 src1_sel:DWORD
	s_and_b32 vcc_lo, exec_lo, s42
	s_mov_b32 s42, -1
	s_cbranch_vccnz .LBB171_159
.LBB171_155:                            ;   in Loop: Header=BB171_156 Depth=2
	s_and_b32 s43, exec_lo, s43
	s_or_b32 s23, s43, s23
	s_andn2_b32 s25, s25, exec_lo
	s_and_b32 s42, s42, exec_lo
	s_or_b32 s25, s25, s42
	s_andn2_b32 exec_lo, exec_lo, s23
	s_cbranch_execz .LBB171_160
.LBB171_156:                            ;   Parent Loop BB171_12 Depth=1
                                        ; =>  This Inner Loop Header: Depth=2
	s_mov_b32 s42, exec_lo
	v_cmpx_gt_u64_e64 s[36:37], v[6:7]
	s_cbranch_execz .LBB171_154
; %bb.157:                              ;   in Loop: Header=BB171_156 Depth=2
	v_mul_lo_u32 v21, v7, s30
	v_mul_lo_u32 v22, v6, s31
	v_mad_u64_u32 v[10:11], null, v6, s30, 0
	v_add3_u32 v11, v11, v22, v21
	v_lshlrev_b64 v[10:11], 1, v[10:11]
	v_add_co_u32 v10, vcc_lo, s33, v10
	v_add_co_ci_u32_e64 v11, null, s35, v11, vcc_lo
	global_load_ushort v10, v[10:11], off
	s_waitcnt vmcnt(0)
	v_add_nc_u32_sdwa v11, sext(v10), v31 dst_sel:DWORD dst_unused:UNUSED_PAD src0_sel:WORD_0 src1_sel:DWORD
	v_and_b32_e32 v11, v11, v9
	v_cmp_eq_u32_e32 vcc_lo, v11, v8
	s_and_b32 exec_lo, exec_lo, vcc_lo
	s_cbranch_execz .LBB171_154
; %bb.158:                              ;   in Loop: Header=BB171_156 Depth=2
	v_perm_b32 v10, v10, 1, 0x5040100
	ds_write_b32 v3, v10 offset:3072
	s_branch .LBB171_154
.LBB171_159:                            ;   in Loop: Header=BB171_156 Depth=2
	v_add_co_u32 v6, vcc_lo, v6, s49
	v_add_co_ci_u32_e64 v7, null, 0, v7, vcc_lo
	s_mov_b32 s42, 0
	v_cmp_le_u64_e32 vcc_lo, s[20:21], v[6:7]
	s_orn2_b32 s43, vcc_lo, exec_lo
	s_branch .LBB171_155
.LBB171_160:                            ;   in Loop: Header=BB171_12 Depth=1
	s_or_b32 exec_lo, exec_lo, s23
	v_lshrrev_b32_e32 v10, 16, v10
	s_andn2_b32 s20, s24, exec_lo
	s_and_b32 s21, s25, exec_lo
	s_or_b32 s24, s20, s21
.LBB171_161:                            ;   in Loop: Header=BB171_12 Depth=1
	s_or_b32 exec_lo, exec_lo, s22
	s_mov_b32 s42, 0
	s_mov_b32 s43, -1
.LBB171_162:                            ;   in Loop: Header=BB171_12 Depth=1
	s_orn2_b32 s20, s24, exec_lo
.LBB171_163:                            ;   in Loop: Header=BB171_12 Depth=1
	s_or_b32 exec_lo, exec_lo, s68
	s_mov_b32 s21, 0
	s_and_saveexec_b32 s68, s20
	s_cbranch_execz .LBB171_272
; %bb.164:                              ;   in Loop: Header=BB171_12 Depth=1
	v_mov_b32_e32 v6, 1
	v_mov_b32_e32 v7, 0
	;; [unrolled: 1-line block ×3, first 2 shown]
	s_xor_b32 s22, s69, -1
	s_and_saveexec_b32 s20, s22
	s_cbranch_execz .LBB171_173
; %bb.165:                              ;   in Loop: Header=BB171_12 Depth=1
	s_mov_b32 s21, exec_lo
	v_cmpx_ge_u64_e64 s[14:15], v[4:5]
	s_xor_b32 s21, exec_lo, s21
	s_cbranch_execz .LBB171_170
; %bb.166:                              ;   in Loop: Header=BB171_12 Depth=1
	ds_read_b64 v[6:7], v3 offset:5120
	s_lshl_b32 s22, 1, s97
	v_or_b32_e32 v9, s11, v9
	v_and_or_b32 v8, v8, s26, s22
	s_waitcnt lgkmcnt(0)
	v_cmp_ne_u64_e32 vcc_lo, 0, v[6:7]
	s_cbranch_vccnz .LBB171_170
; %bb.167:                              ;   in Loop: Header=BB171_12 Depth=1
	s_and_saveexec_b32 s22, s3
; %bb.168:                              ;   in Loop: Header=BB171_12 Depth=1
	v_mov_b32_e32 v6, s14
	v_mov_b32_e32 v7, s15
	ds_write_b64 v3, v[6:7] offset:5128
; %bb.169:                              ;   in Loop: Header=BB171_12 Depth=1
	s_or_b32 exec_lo, exec_lo, s22
	s_waitcnt lgkmcnt(0)
	s_barrier
	buffer_gl0_inv
.LBB171_170:                            ;   in Loop: Header=BB171_12 Depth=1
	s_or_saveexec_b32 s21, s21
	v_mov_b32_e32 v2, 8
	s_mov_b32 s22, 0
	s_xor_b32 exec_lo, exec_lo, s21
; %bb.171:                              ;   in Loop: Header=BB171_12 Depth=1
	v_sub_co_u32 v4, vcc_lo, v4, s14
	v_subrev_co_ci_u32_e64 v5, null, s15, v5, vcc_lo
	v_mov_b32_e32 v2, 0
	s_mov_b32 s22, exec_lo
; %bb.172:                              ;   in Loop: Header=BB171_12 Depth=1
	s_or_b32 exec_lo, exec_lo, s21
	v_mov_b32_e32 v7, v5
	v_mov_b32_e32 v6, v4
	s_and_b32 s21, s22, exec_lo
.LBB171_173:                            ;   in Loop: Header=BB171_12 Depth=1
	s_or_b32 exec_lo, exec_lo, s20
	s_mov_b32 s20, -1
                                        ; implicit-def: $sgpr70
                                        ; implicit-def: $sgpr71
	s_and_saveexec_b32 s69, s21
	s_cbranch_execz .LBB171_271
; %bb.174:                              ;   in Loop: Header=BB171_12 Depth=1
	v_cmp_eq_u64_e32 vcc_lo, 1, v[6:7]
	s_cmp_eq_u64 s[16:17], 1
                                        ; implicit-def: $sgpr71
                                        ; implicit-def: $sgpr70
	s_cselect_b32 s20, -1, 0
	s_and_b32 s73, s20, vcc_lo
	s_mov_b32 s20, -1
	s_and_saveexec_b32 s72, s73
	s_cbranch_execz .LBB171_208
; %bb.175:                              ;   in Loop: Header=BB171_12 Depth=1
	ds_read_b64 v[4:5], v3 offset:5120
	s_waitcnt lgkmcnt(0)
	s_barrier
	buffer_gl0_inv
	v_readfirstlane_b32 s20, v4
	v_readfirstlane_b32 s21, v5
	s_and_saveexec_b32 s22, s10
; %bb.176:                              ;   in Loop: Header=BB171_12 Depth=1
	ds_write_b16 v26, v3
; %bb.177:                              ;   in Loop: Header=BB171_12 Depth=1
	s_or_b32 exec_lo, exec_lo, s22
	s_lshl_b32 s22, 2, s97
	v_or_b32_e32 v9, s11, v9
	v_and_or_b32 v8, v8, s26, s22
	s_mov_b32 s70, -1
	s_mov_b32 s71, 0
	s_cmp_eq_u64 s[20:21], 0
	s_mov_b32 s24, 0
	s_mov_b32 s25, -1
	s_waitcnt lgkmcnt(0)
	s_barrier
	buffer_gl0_inv
                                        ; implicit-def: $vgpr10
	s_cbranch_scc1 .LBB171_193
; %bb.178:                              ;   in Loop: Header=BB171_12 Depth=1
	s_add_u32 s60, s20, s82
	s_addc_u32 s23, s21, s83
	s_mov_b32 s22, s59
	s_cmp_lg_u64 s[22:23], 0
	s_cbranch_scc0 .LBB171_225
; %bb.179:                              ;   in Loop: Header=BB171_12 Depth=1
	v_cvt_f32_u32_e32 v4, s49
	s_sub_u32 s25, 0, s49
	s_subb_u32 s54, 0, 0
	v_fmac_f32_e64 v4, 0x4f800000, 0
	v_rcp_f32_e32 v4, v4
	v_mul_f32_e32 v4, 0x5f7ffffc, v4
	v_mul_f32_e32 v5, 0x2f800000, v4
	v_trunc_f32_e32 v5, v5
	v_fmac_f32_e32 v4, 0xcf800000, v5
	v_cvt_u32_f32_e32 v5, v5
	v_cvt_u32_f32_e32 v4, v4
	v_readfirstlane_b32 s22, v5
	v_readfirstlane_b32 s24, v4
	s_mul_i32 s55, s25, s22
	s_mul_hi_u32 s74, s25, s24
	s_mul_i32 s58, s54, s24
	s_add_i32 s55, s74, s55
	s_mul_i32 s75, s25, s24
	s_add_i32 s55, s55, s58
	s_mul_hi_u32 s74, s24, s75
	s_mul_i32 s77, s24, s55
	s_mul_hi_u32 s76, s22, s75
	s_mul_i32 s58, s22, s75
	s_mul_hi_u32 s75, s24, s55
	s_add_u32 s74, s74, s77
	s_addc_u32 s75, 0, s75
	s_mul_hi_u32 vcc_lo, s22, s55
	s_add_u32 s58, s74, s58
	s_mul_i32 s55, s22, s55
	s_addc_u32 s58, s75, s76
	s_addc_u32 s74, vcc_lo, 0
	s_add_u32 s55, s58, s55
	s_addc_u32 s58, 0, s74
	s_add_u32 s24, s24, s55
	s_cselect_b32 s55, -1, 0
	s_mul_hi_u32 s74, s25, s24
	s_cmp_lg_u32 s55, 0
	s_mul_i32 s55, s25, s24
	s_addc_u32 s22, s22, s58
	s_mul_i32 s54, s54, s24
	s_mul_i32 s25, s25, s22
	s_mul_hi_u32 s58, s24, s55
	s_add_i32 s25, s74, s25
	s_mul_hi_u32 s74, s22, s55
	s_add_i32 s25, s25, s54
	s_mul_i32 s54, s22, s55
	s_mul_i32 s76, s24, s25
	s_mul_hi_u32 s75, s24, s25
	s_add_u32 s58, s58, s76
	s_addc_u32 s75, 0, s75
	s_mul_hi_u32 s55, s22, s25
	s_add_u32 s54, s58, s54
	s_mul_i32 s25, s22, s25
	s_addc_u32 s54, s75, s74
	s_addc_u32 s55, s55, 0
	s_add_u32 s25, s54, s25
	s_addc_u32 s54, 0, s55
	s_add_u32 s24, s24, s25
	s_cselect_b32 s25, -1, 0
	s_mul_hi_u32 s55, s60, s24
	s_cmp_lg_u32 s25, 0
	s_mul_hi_u32 s25, s23, s24
	s_addc_u32 s22, s22, s54
	s_mul_i32 s24, s23, s24
	s_mul_i32 s58, s60, s22
	s_mul_hi_u32 s54, s60, s22
	s_add_u32 s55, s55, s58
	s_addc_u32 s54, 0, s54
	s_mul_hi_u32 s74, s23, s22
	s_add_u32 s24, s55, s24
	s_mul_i32 s22, s23, s22
	s_addc_u32 s24, s54, s25
	s_addc_u32 s25, s74, 0
	s_add_u32 s22, s24, s22
	s_addc_u32 s24, 0, s25
	s_mul_hi_u32 s25, s49, s22
	s_mul_i32 s24, s49, s24
	s_mul_i32 s22, s49, s22
	s_add_i32 s25, s25, s24
	s_sub_u32 s22, s60, s22
	s_cselect_b32 s24, -1, 0
	s_cmp_lg_u32 s24, 0
	s_subb_u32 s24, s23, s25
	s_sub_u32 s25, s22, s49
	s_cselect_b32 s54, -1, 0
	s_cmp_lg_u32 s54, 0
	s_subb_u32 s54, s24, 0
	;; [unrolled: 4-line block ×3, first 2 shown]
	s_cmp_ge_u32 s25, s49
	s_cselect_b32 s74, -1, 0
	s_cmp_eq_u32 s54, 0
	s_cselect_b32 s74, s74, -1
	s_cmp_lg_u32 s74, 0
	s_cselect_b32 s54, s58, s54
	s_cselect_b32 s55, s55, s25
	s_cmp_ge_u32 s22, s49
	s_cselect_b32 s25, -1, 0
	s_cmp_eq_u32 s24, 0
	s_cselect_b32 s25, s25, -1
	s_cmp_lg_u32 s25, 0
	s_cselect_b32 s25, s54, s24
	s_cselect_b32 s24, s55, s22
	s_cbranch_execnz .LBB171_181
.LBB171_180:                            ;   in Loop: Header=BB171_12 Depth=1
	v_cvt_f32_u32_e32 v4, s49
	s_sub_i32 s24, 0, s49
	v_rcp_iflag_f32_e32 v4, v4
	v_mul_f32_e32 v4, 0x4f7ffffe, v4
	v_cvt_u32_f32_e32 v4, v4
	v_readfirstlane_b32 s22, v4
	s_mul_i32 s24, s24, s22
	s_mul_hi_u32 s24, s22, s24
	s_add_i32 s22, s22, s24
	s_mul_hi_u32 s22, s60, s22
	s_mul_i32 s22, s22, s49
	s_sub_i32 s22, s60, s22
	s_sub_i32 s24, s22, s49
	s_cmp_ge_u32 s22, s49
	s_cselect_b32 s22, s24, s22
	s_sub_i32 s24, s22, s49
	s_cmp_ge_u32 s22, s49
	s_cselect_b32 s58, s24, s22
	s_mov_b64 s[24:25], s[58:59]
.LBB171_181:                            ;   in Loop: Header=BB171_12 Depth=1
	s_sub_u32 s22, s60, s24
	s_subb_u32 s23, s23, s25
	s_mov_b32 s25, 0
	s_mov_b32 s24, 0
	s_mov_b32 s58, exec_lo
                                        ; implicit-def: $vgpr10
	v_cmpx_gt_u64_e64 s[22:23], v[0:1]
	s_cbranch_execz .LBB171_192
; %bb.182:                              ;   in Loop: Header=BB171_12 Depth=1
	v_mov_b32_e32 v5, v1
	v_mov_b32_e32 v10, v25
	;; [unrolled: 1-line block ×3, first 2 shown]
                                        ; implicit-def: $sgpr60
	s_inst_prefetch 0x1
	s_branch .LBB171_185
	.p2align	6
.LBB171_183:                            ;   in Loop: Header=BB171_185 Depth=2
	s_or_b32 exec_lo, exec_lo, s74
	s_waitcnt lgkmcnt(0)
	s_barrier
	buffer_gl0_inv
	ds_read_b32 v11, v3 offset:3072
	s_mov_b32 s54, -1
	s_waitcnt lgkmcnt(0)
	s_barrier
	buffer_gl0_inv
	v_cmp_ne_u32_sdwa s55, v11, v3 src0_sel:WORD_0 src1_sel:DWORD
	s_and_b32 vcc_lo, exec_lo, s55
	s_mov_b32 s55, -1
	s_cbranch_vccz .LBB171_188
.LBB171_184:                            ;   in Loop: Header=BB171_185 Depth=2
	s_and_b32 s44, exec_lo, s54
	s_or_b32 s24, s44, s24
	s_andn2_b32 s44, s60, exec_lo
	s_and_b32 s45, s55, exec_lo
	s_or_b32 s60, s44, s45
	s_andn2_b32 exec_lo, exec_lo, s24
	s_cbranch_execz .LBB171_191
.LBB171_185:                            ;   Parent Loop BB171_12 Depth=1
                                        ; =>  This Inner Loop Header: Depth=2
	s_mov_b32 s74, exec_lo
	v_cmpx_gt_u64_e64 s[20:21], v[4:5]
	s_cbranch_execz .LBB171_183
; %bb.186:                              ;   in Loop: Header=BB171_185 Depth=2
	ds_read_u16 v11, v10
	s_waitcnt lgkmcnt(0)
	v_add_nc_u32_sdwa v21, sext(v11), v31 dst_sel:DWORD dst_unused:UNUSED_PAD src0_sel:WORD_0 src1_sel:DWORD
	v_and_b32_e32 v21, v21, v9
	v_cmp_eq_u32_e32 vcc_lo, v21, v8
	s_and_b32 exec_lo, exec_lo, vcc_lo
	s_cbranch_execz .LBB171_183
; %bb.187:                              ;   in Loop: Header=BB171_185 Depth=2
	v_perm_b32 v11, v11, 1, 0x5040100
	ds_write_b32 v3, v11 offset:3072
	s_branch .LBB171_183
.LBB171_188:                            ;   in Loop: Header=BB171_185 Depth=2
	v_add_co_u32 v4, vcc_lo, v4, s49
	v_add_co_ci_u32_e64 v5, null, 0, v5, vcc_lo
	v_add_nc_u32_e32 v10, s90, v10
	s_mov_b32 s55, 0
	v_cmp_le_u64_e32 vcc_lo, s[22:23], v[4:5]
	s_orn2_b32 s54, vcc_lo, exec_lo
	s_branch .LBB171_184
.LBB171_189:                            ;   in Loop: Header=BB171_12 Depth=1
                                        ; implicit-def: $sgpr24_sgpr25
	s_branch .LBB171_135
.LBB171_190:                            ;   in Loop: Header=BB171_12 Depth=1
                                        ; implicit-def: $sgpr20_sgpr21
	s_branch .LBB171_151
.LBB171_191:                            ;   in Loop: Header=BB171_12 Depth=1
	s_inst_prefetch 0x2
	s_or_b32 exec_lo, exec_lo, s24
	v_lshrrev_b32_e32 v10, 16, v11
	s_and_b32 s24, s60, exec_lo
.LBB171_192:                            ;   in Loop: Header=BB171_12 Depth=1
	s_or_b32 exec_lo, exec_lo, s58
.LBB171_193:                            ;   in Loop: Header=BB171_12 Depth=1
	s_and_b32 vcc_lo, exec_lo, s25
	s_cbranch_vccz .LBB171_207
; %bb.194:                              ;   in Loop: Header=BB171_12 Depth=1
	s_mov_b32 s60, s59
	s_cmp_lg_u64 s[60:61], 0
	s_cbranch_scc0 .LBB171_226
; %bb.195:                              ;   in Loop: Header=BB171_12 Depth=1
	v_cvt_f32_u32_e32 v4, s49
	s_sub_u32 s22, 0, s49
	s_subb_u32 s23, 0, 0
	v_fmac_f32_e64 v4, 0x4f800000, 0
	v_rcp_f32_e32 v4, v4
	v_mul_f32_e32 v4, 0x5f7ffffc, v4
	v_mul_f32_e32 v5, 0x2f800000, v4
	v_trunc_f32_e32 v5, v5
	v_fmac_f32_e32 v4, 0xcf800000, v5
	v_cvt_u32_f32_e32 v5, v5
	v_cvt_u32_f32_e32 v4, v4
	v_readfirstlane_b32 s20, v5
	v_readfirstlane_b32 s21, v4
	s_mul_i32 s25, s22, s20
	s_mul_hi_u32 s55, s22, s21
	s_mul_i32 s54, s23, s21
	s_add_i32 s25, s55, s25
	s_mul_i32 s58, s22, s21
	s_add_i32 s25, s25, s54
	s_mul_hi_u32 s55, s21, s58
	s_mul_i32 s70, s21, s25
	s_mul_hi_u32 s60, s20, s58
	s_mul_i32 s54, s20, s58
	s_mul_hi_u32 s58, s21, s25
	s_add_u32 s55, s55, s70
	s_addc_u32 s58, 0, s58
	s_mul_hi_u32 s71, s20, s25
	s_add_u32 s54, s55, s54
	s_mul_i32 s25, s20, s25
	s_addc_u32 s54, s58, s60
	s_addc_u32 s55, s71, 0
	s_add_u32 s25, s54, s25
	s_addc_u32 s54, 0, s55
	s_add_u32 s21, s21, s25
	s_cselect_b32 s25, -1, 0
	s_mul_hi_u32 s55, s22, s21
	s_cmp_lg_u32 s25, 0
	s_mul_i32 s25, s22, s21
	s_addc_u32 s20, s20, s54
	s_mul_i32 s23, s23, s21
	s_mul_i32 s22, s22, s20
	s_mul_hi_u32 s54, s21, s25
	s_add_i32 s22, s55, s22
	s_mul_hi_u32 s55, s20, s25
	s_add_i32 s22, s22, s23
	s_mul_i32 s23, s20, s25
	s_mul_i32 s60, s21, s22
	s_mul_hi_u32 s58, s21, s22
	s_add_u32 s54, s54, s60
	s_addc_u32 s58, 0, s58
	s_mul_hi_u32 s25, s20, s22
	s_add_u32 s23, s54, s23
	s_mul_i32 s22, s20, s22
	s_addc_u32 s23, s58, s55
	s_addc_u32 s25, s25, 0
	s_add_u32 s22, s23, s22
	s_addc_u32 s23, 0, s25
	s_add_u32 s21, s21, s22
	s_cselect_b32 s22, -1, 0
	s_mul_hi_u32 s25, s84, s21
	s_cmp_lg_u32 s22, 0
	s_mul_hi_u32 s22, s61, s21
	s_addc_u32 s20, s20, s23
	s_mul_i32 s21, s61, s21
	s_mul_i32 s54, s84, s20
	s_mul_hi_u32 s23, s84, s20
	s_add_u32 s25, s25, s54
	s_addc_u32 s23, 0, s23
	s_mul_hi_u32 s55, s61, s20
	s_add_u32 s21, s25, s21
	s_mul_i32 s20, s61, s20
	s_addc_u32 s21, s23, s22
	s_addc_u32 s22, s55, 0
	s_add_u32 s20, s21, s20
	s_addc_u32 s21, 0, s22
	s_mul_hi_u32 s22, s49, s20
	s_mul_i32 s21, s49, s21
	s_mul_i32 s20, s49, s20
	s_add_i32 s22, s22, s21
	s_sub_u32 s20, s84, s20
	s_cselect_b32 s21, -1, 0
	s_cmp_lg_u32 s21, 0
	s_subb_u32 s21, s61, s22
	s_sub_u32 s22, s20, s49
	s_cselect_b32 s23, -1, 0
	s_cmp_lg_u32 s23, 0
	s_subb_u32 s23, s21, 0
	s_sub_u32 s25, s22, s49
	s_cselect_b32 s54, -1, 0
	s_cmp_lg_u32 s54, 0
	s_subb_u32 s54, s23, 0
	s_cmp_ge_u32 s22, s49
	s_cselect_b32 s55, -1, 0
	s_cmp_eq_u32 s23, 0
	s_cselect_b32 s55, s55, -1
	s_cmp_lg_u32 s55, 0
	s_cselect_b32 s23, s54, s23
	s_cselect_b32 s22, s25, s22
	s_cmp_ge_u32 s20, s49
	s_cselect_b32 s25, -1, 0
	s_cmp_eq_u32 s21, 0
	s_cselect_b32 s25, s25, -1
	s_cmp_lg_u32 s25, 0
	s_cselect_b32 s21, s23, s21
	s_cselect_b32 s20, s22, s20
	s_cbranch_execnz .LBB171_197
.LBB171_196:                            ;   in Loop: Header=BB171_12 Depth=1
	v_cvt_f32_u32_e32 v4, s49
	s_sub_i32 s21, 0, s49
	v_rcp_iflag_f32_e32 v4, v4
	v_mul_f32_e32 v4, 0x4f7ffffe, v4
	v_cvt_u32_f32_e32 v4, v4
	v_readfirstlane_b32 s20, v4
	s_mul_i32 s21, s21, s20
	s_mul_hi_u32 s21, s20, s21
	s_add_i32 s20, s20, s21
	s_mul_hi_u32 s20, s84, s20
	s_mul_i32 s20, s20, s49
	s_sub_i32 s20, s84, s20
	s_sub_i32 s21, s20, s49
	s_cmp_ge_u32 s20, s49
	s_cselect_b32 s20, s21, s20
	s_sub_i32 s21, s20, s49
	s_cmp_ge_u32 s20, s49
	s_cselect_b32 s58, s21, s20
	s_mov_b64 s[20:21], s[58:59]
.LBB171_197:                            ;   in Loop: Header=BB171_12 Depth=1
	s_sub_u32 s20, s84, s20
	s_subb_u32 s21, s61, s21
	s_mov_b32 s22, exec_lo
                                        ; implicit-def: $vgpr10
	v_cmpx_gt_u64_e64 s[20:21], v[0:1]
	s_cbranch_execz .LBB171_206
; %bb.198:                              ;   in Loop: Header=BB171_12 Depth=1
	v_mov_b32_e32 v5, v1
	v_mov_b32_e32 v4, v0
	s_mov_b32 s23, 0
                                        ; implicit-def: $sgpr25
	s_branch .LBB171_201
.LBB171_199:                            ;   in Loop: Header=BB171_201 Depth=2
	s_or_b32 exec_lo, exec_lo, s58
	s_waitcnt lgkmcnt(0)
	s_barrier
	buffer_gl0_inv
	ds_read_b32 v10, v3 offset:3072
	s_mov_b32 s55, -1
	s_waitcnt lgkmcnt(0)
	s_barrier
	buffer_gl0_inv
	v_cmp_eq_u32_sdwa s54, v10, v3 src0_sel:WORD_0 src1_sel:DWORD
	s_and_b32 vcc_lo, exec_lo, s54
	s_mov_b32 s54, -1
	s_cbranch_vccnz .LBB171_204
.LBB171_200:                            ;   in Loop: Header=BB171_201 Depth=2
	s_and_b32 s44, exec_lo, s55
	s_or_b32 s23, s44, s23
	s_andn2_b32 s25, s25, exec_lo
	s_and_b32 s44, s54, exec_lo
	s_or_b32 s25, s25, s44
	s_andn2_b32 exec_lo, exec_lo, s23
	s_cbranch_execz .LBB171_205
.LBB171_201:                            ;   Parent Loop BB171_12 Depth=1
                                        ; =>  This Inner Loop Header: Depth=2
	s_mov_b32 s58, exec_lo
	v_cmpx_gt_u64_e64 s[36:37], v[4:5]
	s_cbranch_execz .LBB171_199
; %bb.202:                              ;   in Loop: Header=BB171_201 Depth=2
	v_mul_lo_u32 v21, v5, s30
	v_mul_lo_u32 v22, v4, s31
	v_mad_u64_u32 v[10:11], null, v4, s30, 0
	v_add3_u32 v11, v11, v22, v21
	v_lshlrev_b64 v[10:11], 1, v[10:11]
	v_add_co_u32 v10, vcc_lo, s33, v10
	v_add_co_ci_u32_e64 v11, null, s35, v11, vcc_lo
	global_load_ushort v10, v[10:11], off
	s_waitcnt vmcnt(0)
	v_add_nc_u32_sdwa v11, sext(v10), v31 dst_sel:DWORD dst_unused:UNUSED_PAD src0_sel:WORD_0 src1_sel:DWORD
	v_and_b32_e32 v11, v11, v9
	v_cmp_eq_u32_e32 vcc_lo, v11, v8
	s_and_b32 exec_lo, exec_lo, vcc_lo
	s_cbranch_execz .LBB171_199
; %bb.203:                              ;   in Loop: Header=BB171_201 Depth=2
	v_perm_b32 v10, v10, 1, 0x5040100
	ds_write_b32 v3, v10 offset:3072
	s_branch .LBB171_199
.LBB171_204:                            ;   in Loop: Header=BB171_201 Depth=2
	v_add_co_u32 v4, vcc_lo, v4, s49
	v_add_co_ci_u32_e64 v5, null, 0, v5, vcc_lo
	s_mov_b32 s54, 0
	v_cmp_le_u64_e32 vcc_lo, s[20:21], v[4:5]
	s_orn2_b32 s55, vcc_lo, exec_lo
	s_branch .LBB171_200
.LBB171_205:                            ;   in Loop: Header=BB171_12 Depth=1
	s_or_b32 exec_lo, exec_lo, s23
	v_lshrrev_b32_e32 v10, 16, v10
	s_andn2_b32 s20, s24, exec_lo
	s_and_b32 s21, s25, exec_lo
	s_or_b32 s24, s20, s21
.LBB171_206:                            ;   in Loop: Header=BB171_12 Depth=1
	s_or_b32 exec_lo, exec_lo, s22
	s_mov_b32 s70, 0
	s_mov_b32 s71, -1
.LBB171_207:                            ;   in Loop: Header=BB171_12 Depth=1
	s_orn2_b32 s20, s24, exec_lo
.LBB171_208:                            ;   in Loop: Header=BB171_12 Depth=1
	s_or_b32 exec_lo, exec_lo, s72
	s_mov_b32 s21, 0
	s_and_saveexec_b32 s72, s20
	s_cbranch_execz .LBB171_270
; %bb.209:                              ;   in Loop: Header=BB171_12 Depth=1
	v_mov_b32_e32 v4, 1
	v_mov_b32_e32 v5, 0
	;; [unrolled: 1-line block ×3, first 2 shown]
	s_xor_b32 s22, s73, -1
	s_and_saveexec_b32 s20, s22
	s_cbranch_execz .LBB171_218
; %bb.210:                              ;   in Loop: Header=BB171_12 Depth=1
	s_mov_b32 s21, exec_lo
	v_cmpx_ge_u64_e64 s[16:17], v[6:7]
	s_xor_b32 s21, exec_lo, s21
	s_cbranch_execz .LBB171_215
; %bb.211:                              ;   in Loop: Header=BB171_12 Depth=1
	ds_read_b64 v[4:5], v3 offset:5120
	s_lshl_b32 s22, 2, s97
	v_or_b32_e32 v9, s11, v9
	v_and_or_b32 v8, v8, s26, s22
	s_waitcnt lgkmcnt(0)
	v_cmp_ne_u64_e32 vcc_lo, 0, v[4:5]
	s_cbranch_vccnz .LBB171_215
; %bb.212:                              ;   in Loop: Header=BB171_12 Depth=1
	s_and_saveexec_b32 s22, s3
; %bb.213:                              ;   in Loop: Header=BB171_12 Depth=1
	v_mov_b32_e32 v4, s16
	v_mov_b32_e32 v5, s17
	ds_write_b64 v3, v[4:5] offset:5128
; %bb.214:                              ;   in Loop: Header=BB171_12 Depth=1
	s_or_b32 exec_lo, exec_lo, s22
	s_waitcnt lgkmcnt(0)
	s_barrier
	buffer_gl0_inv
.LBB171_215:                            ;   in Loop: Header=BB171_12 Depth=1
	s_or_saveexec_b32 s21, s21
	v_mov_b32_e32 v2, 8
	s_mov_b32 s22, 0
	s_xor_b32 exec_lo, exec_lo, s21
; %bb.216:                              ;   in Loop: Header=BB171_12 Depth=1
	v_sub_co_u32 v6, vcc_lo, v6, s16
	v_subrev_co_ci_u32_e64 v7, null, s17, v7, vcc_lo
	v_mov_b32_e32 v2, 0
	s_mov_b32 s22, exec_lo
; %bb.217:                              ;   in Loop: Header=BB171_12 Depth=1
	s_or_b32 exec_lo, exec_lo, s21
	v_mov_b32_e32 v4, v6
	v_mov_b32_e32 v5, v7
	s_and_b32 s21, s22, exec_lo
.LBB171_218:                            ;   in Loop: Header=BB171_12 Depth=1
	s_or_b32 exec_lo, exec_lo, s20
	s_mov_b32 s20, -1
                                        ; implicit-def: $sgpr76
                                        ; implicit-def: $sgpr60
	s_and_saveexec_b32 s73, s21
	s_cbranch_execz .LBB171_269
; %bb.219:                              ;   in Loop: Header=BB171_12 Depth=1
	v_cmp_eq_u64_e32 vcc_lo, 1, v[4:5]
	s_cmp_eq_u64 s[18:19], 1
	s_mov_b32 s21, -1
	s_cselect_b32 s20, -1, 0
                                        ; implicit-def: $sgpr76
                                        ; implicit-def: $sgpr60
	s_and_b32 s74, s20, vcc_lo
	s_and_saveexec_b32 s75, s74
	s_cbranch_execz .LBB171_257
; %bb.220:                              ;   in Loop: Header=BB171_12 Depth=1
	ds_read_b64 v[6:7], v3 offset:5120
	s_waitcnt lgkmcnt(0)
	s_barrier
	buffer_gl0_inv
	v_readfirstlane_b32 s20, v6
	v_readfirstlane_b32 s21, v7
	s_and_saveexec_b32 s22, s10
; %bb.221:                              ;   in Loop: Header=BB171_12 Depth=1
	ds_write_b16 v26, v3
; %bb.222:                              ;   in Loop: Header=BB171_12 Depth=1
	s_or_b32 exec_lo, exec_lo, s22
	v_or_b32_e32 v8, s11, v8
	v_or_b32_e32 v9, s11, v9
	s_mov_b32 s60, -1
	s_mov_b32 s76, 0
	s_cmp_eq_u64 s[20:21], 0
	s_mov_b32 s24, 0
	s_mov_b32 s25, -1
	s_waitcnt lgkmcnt(0)
	s_barrier
	buffer_gl0_inv
                                        ; implicit-def: $vgpr10
	s_cbranch_scc1 .LBB171_240
; %bb.223:                              ;   in Loop: Header=BB171_12 Depth=1
	s_add_u32 s77, s20, s82
	s_addc_u32 s23, s21, s83
	s_mov_b32 s22, s59
	s_cmp_lg_u64 s[22:23], 0
	s_cbranch_scc0 .LBB171_227
; %bb.224:                              ;   in Loop: Header=BB171_12 Depth=1
	v_cvt_f32_u32_e32 v6, s49
	s_sub_u32 s25, 0, s49
	s_subb_u32 s54, 0, 0
	v_fmac_f32_e64 v6, 0x4f800000, 0
	v_rcp_f32_e32 v6, v6
	v_mul_f32_e32 v6, 0x5f7ffffc, v6
	v_mul_f32_e32 v7, 0x2f800000, v6
	v_trunc_f32_e32 v7, v7
	v_fmac_f32_e32 v6, 0xcf800000, v7
	v_cvt_u32_f32_e32 v7, v7
	v_cvt_u32_f32_e32 v6, v6
	v_readfirstlane_b32 s22, v7
	v_readfirstlane_b32 s24, v6
	s_mul_i32 s55, s25, s22
	s_mul_hi_u32 vcc_lo, s25, s24
	s_mul_i32 s58, s54, s24
	s_add_i32 s55, vcc_lo, s55
	s_mul_i32 s56, s25, s24
	s_add_i32 s55, s55, s58
	s_mul_hi_u32 s57, s24, s56
	s_mul_i32 s44, s24, s55
	s_mul_hi_u32 s58, s24, s55
	s_mul_hi_u32 vcc_lo, s22, s56
	s_mul_i32 s56, s22, s56
	s_add_u32 s44, s57, s44
	s_addc_u32 s47, 0, s58
	s_mul_hi_u32 s45, s22, s55
	s_add_u32 s44, s44, s56
	s_mul_i32 s46, s22, s55
	s_addc_u32 s44, s47, vcc_lo
	s_addc_u32 s45, s45, 0
	s_add_u32 s44, s44, s46
	s_addc_u32 s45, 0, s45
	s_add_u32 s24, s24, s44
	s_cselect_b32 s44, -1, 0
	s_mul_hi_u32 s46, s25, s24
	s_cmp_lg_u32 s44, 0
	s_mul_i32 s44, s25, s24
	s_addc_u32 s22, s22, s45
	s_mul_i32 s54, s54, s24
	s_mul_i32 s25, s25, s22
	s_mul_hi_u32 s45, s24, s44
	s_add_i32 s25, s46, s25
	s_mul_hi_u32 s46, s22, s44
	s_add_i32 s25, s25, s54
	s_mul_i32 s44, s22, s44
	s_mul_i32 s55, s24, s25
	s_mul_hi_u32 s54, s24, s25
	s_add_u32 s45, s45, s55
	s_addc_u32 s54, 0, s54
	s_mul_hi_u32 s47, s22, s25
	s_add_u32 s44, s45, s44
	s_mul_i32 s25, s22, s25
	s_addc_u32 s44, s54, s46
	s_addc_u32 s45, s47, 0
	s_add_u32 s25, s44, s25
	s_addc_u32 s44, 0, s45
	s_add_u32 s24, s24, s25
	s_cselect_b32 s25, -1, 0
	s_mul_hi_u32 s45, s77, s24
	s_cmp_lg_u32 s25, 0
	s_mul_hi_u32 s25, s23, s24
	s_addc_u32 s22, s22, s44
	s_mul_i32 s24, s23, s24
	s_mul_i32 s46, s77, s22
	s_mul_hi_u32 s44, s77, s22
	s_add_u32 s45, s45, s46
	s_addc_u32 s44, 0, s44
	s_mul_hi_u32 s47, s23, s22
	s_add_u32 s24, s45, s24
	s_mul_i32 s22, s23, s22
	s_addc_u32 s24, s44, s25
	s_addc_u32 s25, s47, 0
	s_add_u32 s22, s24, s22
	s_addc_u32 s24, 0, s25
	s_mul_hi_u32 s25, s49, s22
	s_mul_i32 s24, s49, s24
	s_mul_i32 s22, s49, s22
	s_add_i32 s25, s25, s24
	s_sub_u32 s22, s77, s22
	s_cselect_b32 s24, -1, 0
	s_cmp_lg_u32 s24, 0
	s_subb_u32 s24, s23, s25
	s_sub_u32 s25, s22, s49
	s_cselect_b32 s44, -1, 0
	s_cmp_lg_u32 s44, 0
	s_subb_u32 s44, s24, 0
	;; [unrolled: 4-line block ×3, first 2 shown]
	s_cmp_ge_u32 s25, s49
	s_cselect_b32 s47, -1, 0
	s_cmp_eq_u32 s44, 0
	s_cselect_b32 s47, s47, -1
	s_cmp_lg_u32 s47, 0
	s_cselect_b32 s44, s46, s44
	s_cselect_b32 s45, s45, s25
	s_cmp_ge_u32 s22, s49
	s_cselect_b32 s25, -1, 0
	s_cmp_eq_u32 s24, 0
	s_cselect_b32 s25, s25, -1
	s_cmp_lg_u32 s25, 0
	s_cselect_b32 s25, s44, s24
	s_cselect_b32 s24, s45, s22
	s_mov_b32 s22, 0
	s_branch .LBB171_228
.LBB171_225:                            ;   in Loop: Header=BB171_12 Depth=1
                                        ; implicit-def: $sgpr24_sgpr25
	s_branch .LBB171_180
.LBB171_226:                            ;   in Loop: Header=BB171_12 Depth=1
                                        ; implicit-def: $sgpr20_sgpr21
	s_branch .LBB171_196
.LBB171_227:                            ;   in Loop: Header=BB171_12 Depth=1
	s_mov_b32 s22, -1
                                        ; implicit-def: $sgpr24_sgpr25
.LBB171_228:                            ;   in Loop: Header=BB171_12 Depth=1
	s_andn2_b32 vcc_lo, exec_lo, s22
	s_cbranch_vccnz .LBB171_230
; %bb.229:                              ;   in Loop: Header=BB171_12 Depth=1
	v_cvt_f32_u32_e32 v6, s49
	s_sub_i32 s24, 0, s49
	v_rcp_iflag_f32_e32 v6, v6
	v_mul_f32_e32 v6, 0x4f7ffffe, v6
	v_cvt_u32_f32_e32 v6, v6
	v_readfirstlane_b32 s22, v6
	s_mul_i32 s24, s24, s22
	s_mul_hi_u32 s24, s22, s24
	s_add_i32 s22, s22, s24
	s_mul_hi_u32 s22, s77, s22
	s_mul_i32 s22, s22, s49
	s_sub_i32 s22, s77, s22
	s_sub_i32 s24, s22, s49
	s_cmp_ge_u32 s22, s49
	s_cselect_b32 s22, s24, s22
	s_sub_i32 s24, s22, s49
	s_cmp_ge_u32 s22, s49
	s_cselect_b32 s58, s24, s22
	s_mov_b64 s[24:25], s[58:59]
.LBB171_230:                            ;   in Loop: Header=BB171_12 Depth=1
	s_sub_u32 s22, s77, s24
	s_subb_u32 s23, s23, s25
	s_mov_b32 s25, 0
	s_mov_b32 s24, 0
	s_mov_b32 s58, exec_lo
                                        ; implicit-def: $vgpr10
	v_cmpx_gt_u64_e64 s[22:23], v[0:1]
	s_cbranch_execz .LBB171_239
; %bb.231:                              ;   in Loop: Header=BB171_12 Depth=1
	v_mov_b32_e32 v7, v1
	v_mov_b32_e32 v10, v25
	;; [unrolled: 1-line block ×3, first 2 shown]
                                        ; implicit-def: $sgpr77
	s_inst_prefetch 0x1
	s_branch .LBB171_234
	.p2align	6
.LBB171_232:                            ;   in Loop: Header=BB171_234 Depth=2
	s_or_b32 exec_lo, exec_lo, s54
	s_waitcnt lgkmcnt(0)
	s_barrier
	buffer_gl0_inv
	ds_read_b32 v11, v3 offset:3072
	s_mov_b32 s54, -1
	s_mov_b32 s55, -1
	s_waitcnt lgkmcnt(0)
	s_barrier
	buffer_gl0_inv
	v_cmp_ne_u32_sdwa s44, v11, v3 src0_sel:WORD_0 src1_sel:DWORD
	s_and_b32 vcc_lo, exec_lo, s44
	s_cbranch_vccz .LBB171_237
.LBB171_233:                            ;   in Loop: Header=BB171_234 Depth=2
	s_and_b32 s44, exec_lo, s54
	s_or_b32 s24, s44, s24
	s_andn2_b32 s44, s77, exec_lo
	s_and_b32 s45, s55, exec_lo
	s_or_b32 s77, s44, s45
	s_andn2_b32 exec_lo, exec_lo, s24
	s_cbranch_execz .LBB171_238
.LBB171_234:                            ;   Parent Loop BB171_12 Depth=1
                                        ; =>  This Inner Loop Header: Depth=2
	s_mov_b32 s54, exec_lo
	v_cmpx_gt_u64_e64 s[20:21], v[6:7]
	s_cbranch_execz .LBB171_232
; %bb.235:                              ;   in Loop: Header=BB171_234 Depth=2
	ds_read_u16 v11, v10
	s_waitcnt lgkmcnt(0)
	v_add_nc_u32_sdwa v21, sext(v11), v31 dst_sel:DWORD dst_unused:UNUSED_PAD src0_sel:WORD_0 src1_sel:DWORD
	v_and_b32_e32 v21, v21, v9
	v_cmp_eq_u32_e32 vcc_lo, v21, v8
	s_and_b32 exec_lo, exec_lo, vcc_lo
	s_cbranch_execz .LBB171_232
; %bb.236:                              ;   in Loop: Header=BB171_234 Depth=2
	v_perm_b32 v11, v11, 1, 0x5040100
	ds_write_b32 v3, v11 offset:3072
	s_branch .LBB171_232
.LBB171_237:                            ;   in Loop: Header=BB171_234 Depth=2
	v_add_co_u32 v6, vcc_lo, v6, s49
	v_add_co_ci_u32_e64 v7, null, 0, v7, vcc_lo
	v_add_nc_u32_e32 v10, s90, v10
	s_mov_b32 s55, 0
	v_cmp_le_u64_e32 vcc_lo, s[22:23], v[6:7]
	s_orn2_b32 s54, vcc_lo, exec_lo
	s_branch .LBB171_233
.LBB171_238:                            ;   in Loop: Header=BB171_12 Depth=1
	s_inst_prefetch 0x2
	s_or_b32 exec_lo, exec_lo, s24
	v_lshrrev_b32_e32 v10, 16, v11
	s_and_b32 s24, s77, exec_lo
.LBB171_239:                            ;   in Loop: Header=BB171_12 Depth=1
	s_or_b32 exec_lo, exec_lo, s58
.LBB171_240:                            ;   in Loop: Header=BB171_12 Depth=1
	s_and_b32 vcc_lo, exec_lo, s25
	s_cbranch_vccz .LBB171_256
; %bb.241:                              ;   in Loop: Header=BB171_12 Depth=1
	s_mov_b32 s60, s59
	s_cmp_lg_u64 s[60:61], 0
	s_cbranch_scc0 .LBB171_243
; %bb.242:                              ;   in Loop: Header=BB171_12 Depth=1
	v_cvt_f32_u32_e32 v6, s49
	s_sub_u32 s22, 0, s49
	s_subb_u32 s23, 0, 0
	v_fmac_f32_e64 v6, 0x4f800000, 0
	v_rcp_f32_e32 v6, v6
	v_mul_f32_e32 v6, 0x5f7ffffc, v6
	v_mul_f32_e32 v7, 0x2f800000, v6
	v_trunc_f32_e32 v7, v7
	v_fmac_f32_e32 v6, 0xcf800000, v7
	v_cvt_u32_f32_e32 v7, v7
	v_cvt_u32_f32_e32 v6, v6
	v_readfirstlane_b32 s20, v7
	v_readfirstlane_b32 s21, v6
	s_mul_i32 s25, s22, s20
	s_mul_hi_u32 s45, s22, s21
	s_mul_i32 s44, s23, s21
	s_add_i32 s25, s45, s25
	s_mul_i32 s46, s22, s21
	s_add_i32 s25, s25, s44
	s_mul_hi_u32 s45, s21, s46
	s_mul_i32 s54, s21, s25
	s_mul_hi_u32 s47, s20, s46
	s_mul_i32 s44, s20, s46
	s_mul_hi_u32 s46, s21, s25
	s_add_u32 s45, s45, s54
	s_addc_u32 s46, 0, s46
	s_mul_hi_u32 s55, s20, s25
	s_add_u32 s44, s45, s44
	s_mul_i32 s25, s20, s25
	s_addc_u32 s44, s46, s47
	s_addc_u32 s45, s55, 0
	s_add_u32 s25, s44, s25
	s_addc_u32 s44, 0, s45
	s_add_u32 s21, s21, s25
	s_cselect_b32 s25, -1, 0
	s_mul_hi_u32 s45, s22, s21
	s_cmp_lg_u32 s25, 0
	s_mul_i32 s25, s22, s21
	s_addc_u32 s20, s20, s44
	s_mul_i32 s23, s23, s21
	s_mul_i32 s22, s22, s20
	s_mul_hi_u32 s44, s21, s25
	s_add_i32 s22, s45, s22
	s_mul_hi_u32 s45, s20, s25
	s_add_i32 s22, s22, s23
	s_mul_i32 s23, s20, s25
	s_mul_i32 s47, s21, s22
	s_mul_hi_u32 s46, s21, s22
	s_add_u32 s44, s44, s47
	s_addc_u32 s46, 0, s46
	s_mul_hi_u32 s25, s20, s22
	s_add_u32 s23, s44, s23
	s_mul_i32 s22, s20, s22
	s_addc_u32 s23, s46, s45
	s_addc_u32 s25, s25, 0
	s_add_u32 s22, s23, s22
	s_addc_u32 s23, 0, s25
	s_add_u32 s21, s21, s22
	s_cselect_b32 s22, -1, 0
	s_mul_hi_u32 s25, s84, s21
	s_cmp_lg_u32 s22, 0
	s_mul_hi_u32 s22, s61, s21
	s_addc_u32 s20, s20, s23
	s_mul_i32 s21, s61, s21
	s_mul_i32 s44, s84, s20
	s_mul_hi_u32 s23, s84, s20
	s_add_u32 s25, s25, s44
	s_addc_u32 s23, 0, s23
	s_mul_hi_u32 s45, s61, s20
	s_add_u32 s21, s25, s21
	s_mul_i32 s20, s61, s20
	s_addc_u32 s21, s23, s22
	s_addc_u32 s22, s45, 0
	s_add_u32 s20, s21, s20
	s_addc_u32 s21, 0, s22
	s_mul_hi_u32 s22, s49, s20
	s_mul_i32 s21, s49, s21
	s_mul_i32 s20, s49, s20
	s_add_i32 s22, s22, s21
	s_sub_u32 s20, s84, s20
	s_cselect_b32 s21, -1, 0
	s_cmp_lg_u32 s21, 0
	s_subb_u32 s21, s61, s22
	s_sub_u32 s22, s20, s49
	s_cselect_b32 s23, -1, 0
	s_cmp_lg_u32 s23, 0
	s_subb_u32 s23, s21, 0
	s_sub_u32 s25, s22, s49
	s_cselect_b32 s44, -1, 0
	s_cmp_lg_u32 s44, 0
	s_subb_u32 s44, s23, 0
	s_cmp_ge_u32 s22, s49
	s_cselect_b32 s45, -1, 0
	s_cmp_eq_u32 s23, 0
	s_cselect_b32 s45, s45, -1
	s_cmp_lg_u32 s45, 0
	s_cselect_b32 s23, s44, s23
	s_cselect_b32 s22, s25, s22
	s_cmp_ge_u32 s20, s49
	s_cselect_b32 s25, -1, 0
	s_cmp_eq_u32 s21, 0
	s_cselect_b32 s25, s25, -1
	s_cmp_lg_u32 s25, 0
	s_cselect_b32 s21, s23, s21
	s_cselect_b32 s20, s22, s20
	s_mov_b32 s22, 0
	s_branch .LBB171_244
.LBB171_243:                            ;   in Loop: Header=BB171_12 Depth=1
	s_mov_b32 s22, -1
                                        ; implicit-def: $sgpr20_sgpr21
.LBB171_244:                            ;   in Loop: Header=BB171_12 Depth=1
	s_andn2_b32 vcc_lo, exec_lo, s22
	s_cbranch_vccnz .LBB171_246
; %bb.245:                              ;   in Loop: Header=BB171_12 Depth=1
	v_cvt_f32_u32_e32 v6, s49
	s_sub_i32 s21, 0, s49
	v_rcp_iflag_f32_e32 v6, v6
	v_mul_f32_e32 v6, 0x4f7ffffe, v6
	v_cvt_u32_f32_e32 v6, v6
	v_readfirstlane_b32 s20, v6
	s_mul_i32 s21, s21, s20
	s_mul_hi_u32 s21, s20, s21
	s_add_i32 s20, s20, s21
	s_mul_hi_u32 s20, s84, s20
	s_mul_i32 s20, s20, s49
	s_sub_i32 s20, s84, s20
	s_sub_i32 s21, s20, s49
	s_cmp_ge_u32 s20, s49
	s_cselect_b32 s20, s21, s20
	s_sub_i32 s21, s20, s49
	s_cmp_ge_u32 s20, s49
	s_cselect_b32 s58, s21, s20
	s_mov_b64 s[20:21], s[58:59]
.LBB171_246:                            ;   in Loop: Header=BB171_12 Depth=1
	s_sub_u32 s20, s84, s20
	s_subb_u32 s21, s61, s21
	s_mov_b32 s22, exec_lo
                                        ; implicit-def: $vgpr10
	v_cmpx_gt_u64_e64 s[20:21], v[0:1]
	s_cbranch_execz .LBB171_255
; %bb.247:                              ;   in Loop: Header=BB171_12 Depth=1
	v_mov_b32_e32 v7, v1
	v_mov_b32_e32 v6, v0
	s_mov_b32 s23, 0
                                        ; implicit-def: $sgpr25
	s_branch .LBB171_250
.LBB171_248:                            ;   in Loop: Header=BB171_250 Depth=2
	s_or_b32 exec_lo, exec_lo, s58
	s_waitcnt lgkmcnt(0)
	s_barrier
	buffer_gl0_inv
	ds_read_b32 v10, v3 offset:3072
	s_mov_b32 s55, -1
	s_mov_b32 s54, -1
	s_waitcnt lgkmcnt(0)
	s_barrier
	buffer_gl0_inv
	v_cmp_eq_u32_sdwa s44, v10, v3 src0_sel:WORD_0 src1_sel:DWORD
	s_and_b32 vcc_lo, exec_lo, s44
	s_cbranch_vccnz .LBB171_253
.LBB171_249:                            ;   in Loop: Header=BB171_250 Depth=2
	s_and_b32 s44, exec_lo, s55
	s_or_b32 s23, s44, s23
	s_andn2_b32 s25, s25, exec_lo
	s_and_b32 s44, s54, exec_lo
	s_or_b32 s25, s25, s44
	s_andn2_b32 exec_lo, exec_lo, s23
	s_cbranch_execz .LBB171_254
.LBB171_250:                            ;   Parent Loop BB171_12 Depth=1
                                        ; =>  This Inner Loop Header: Depth=2
	s_mov_b32 s58, exec_lo
	v_cmpx_gt_u64_e64 s[36:37], v[6:7]
	s_cbranch_execz .LBB171_248
; %bb.251:                              ;   in Loop: Header=BB171_250 Depth=2
	v_mul_lo_u32 v21, v7, s30
	v_mul_lo_u32 v22, v6, s31
	v_mad_u64_u32 v[10:11], null, v6, s30, 0
	v_add3_u32 v11, v11, v22, v21
	v_lshlrev_b64 v[10:11], 1, v[10:11]
	v_add_co_u32 v10, vcc_lo, s33, v10
	v_add_co_ci_u32_e64 v11, null, s35, v11, vcc_lo
	global_load_ushort v10, v[10:11], off
	s_waitcnt vmcnt(0)
	v_add_nc_u32_sdwa v11, sext(v10), v31 dst_sel:DWORD dst_unused:UNUSED_PAD src0_sel:WORD_0 src1_sel:DWORD
	v_and_b32_e32 v11, v11, v9
	v_cmp_eq_u32_e32 vcc_lo, v11, v8
	s_and_b32 exec_lo, exec_lo, vcc_lo
	s_cbranch_execz .LBB171_248
; %bb.252:                              ;   in Loop: Header=BB171_250 Depth=2
	v_perm_b32 v10, v10, 1, 0x5040100
	ds_write_b32 v3, v10 offset:3072
	s_branch .LBB171_248
.LBB171_253:                            ;   in Loop: Header=BB171_250 Depth=2
	v_add_co_u32 v6, vcc_lo, v6, s49
	v_add_co_ci_u32_e64 v7, null, 0, v7, vcc_lo
	s_mov_b32 s54, 0
	v_cmp_le_u64_e32 vcc_lo, s[20:21], v[6:7]
	s_orn2_b32 s55, vcc_lo, exec_lo
	s_branch .LBB171_249
.LBB171_254:                            ;   in Loop: Header=BB171_12 Depth=1
	s_or_b32 exec_lo, exec_lo, s23
	v_lshrrev_b32_e32 v10, 16, v10
	s_andn2_b32 s20, s24, exec_lo
	s_and_b32 s21, s25, exec_lo
	s_or_b32 s24, s20, s21
.LBB171_255:                            ;   in Loop: Header=BB171_12 Depth=1
	s_or_b32 exec_lo, exec_lo, s22
	s_mov_b32 s60, 0
	s_mov_b32 s76, -1
.LBB171_256:                            ;   in Loop: Header=BB171_12 Depth=1
	s_orn2_b32 s21, s24, exec_lo
.LBB171_257:                            ;   in Loop: Header=BB171_12 Depth=1
	s_or_b32 exec_lo, exec_lo, s75
	s_mov_b32 s22, 0
	s_and_saveexec_b32 s20, s21
	s_cbranch_execz .LBB171_268
; %bb.258:                              ;   in Loop: Header=BB171_12 Depth=1
	v_mov_b32_e32 v6, 1
	v_mov_b32_e32 v7, 0
	;; [unrolled: 1-line block ×3, first 2 shown]
	s_xor_b32 s22, s74, -1
	s_and_saveexec_b32 s21, s22
	s_cbranch_execz .LBB171_267
; %bb.259:                              ;   in Loop: Header=BB171_12 Depth=1
	s_mov_b32 s22, exec_lo
	v_cmpx_ge_u64_e64 s[18:19], v[4:5]
	s_xor_b32 s22, exec_lo, s22
	s_cbranch_execz .LBB171_264
; %bb.260:                              ;   in Loop: Header=BB171_12 Depth=1
	ds_read_b64 v[6:7], v3 offset:5120
	v_or_b32_e32 v8, s11, v8
	v_or_b32_e32 v9, s11, v9
	s_waitcnt lgkmcnt(0)
	v_cmp_ne_u64_e32 vcc_lo, 0, v[6:7]
	s_cbranch_vccnz .LBB171_264
; %bb.261:                              ;   in Loop: Header=BB171_12 Depth=1
	s_and_saveexec_b32 s23, s3
; %bb.262:                              ;   in Loop: Header=BB171_12 Depth=1
	v_mov_b32_e32 v6, s18
	v_mov_b32_e32 v7, s19
	ds_write_b64 v3, v[6:7] offset:5128
; %bb.263:                              ;   in Loop: Header=BB171_12 Depth=1
	s_or_b32 exec_lo, exec_lo, s23
	s_waitcnt lgkmcnt(0)
	s_barrier
	buffer_gl0_inv
.LBB171_264:                            ;   in Loop: Header=BB171_12 Depth=1
	s_andn2_saveexec_b32 s22, s22
; %bb.265:                              ;   in Loop: Header=BB171_12 Depth=1
	v_sub_co_u32 v4, vcc_lo, v4, s18
	v_subrev_co_ci_u32_e64 v5, null, s19, v5, vcc_lo
; %bb.266:                              ;   in Loop: Header=BB171_12 Depth=1
	s_or_b32 exec_lo, exec_lo, s22
	v_mov_b32_e32 v7, v5
	v_mov_b32_e32 v2, 8
	;; [unrolled: 1-line block ×3, first 2 shown]
.LBB171_267:                            ;   in Loop: Header=BB171_12 Depth=1
	s_or_b32 exec_lo, exec_lo, s21
	v_mov_b32_e32 v4, v6
	v_mov_b32_e32 v5, v7
	s_mov_b32 s22, exec_lo
.LBB171_268:                            ;   in Loop: Header=BB171_12 Depth=1
	s_or_b32 exec_lo, exec_lo, s20
	s_orn2_b32 s20, s22, exec_lo
.LBB171_269:                            ;   in Loop: Header=BB171_12 Depth=1
	s_or_b32 exec_lo, exec_lo, s73
	v_mov_b32_e32 v7, v5
	v_mov_b32_e32 v6, v4
	s_andn2_b32 s21, s71, exec_lo
	s_and_b32 s22, s76, exec_lo
	s_andn2_b32 s23, s70, exec_lo
	s_and_b32 s24, s60, exec_lo
	s_or_b32 s71, s21, s22
	s_or_b32 s70, s23, s24
	s_and_b32 s21, s20, exec_lo
.LBB171_270:                            ;   in Loop: Header=BB171_12 Depth=1
	s_or_b32 exec_lo, exec_lo, s72
	s_orn2_b32 s20, s21, exec_lo
.LBB171_271:                            ;   in Loop: Header=BB171_12 Depth=1
	s_or_b32 exec_lo, exec_lo, s69
	v_mov_b32_e32 v4, v6
	v_mov_b32_e32 v5, v7
	s_andn2_b32 s21, s43, exec_lo
	s_and_b32 s22, s71, exec_lo
	s_andn2_b32 s23, s42, exec_lo
	s_and_b32 s24, s70, exec_lo
	s_or_b32 s43, s21, s22
	s_or_b32 s42, s23, s24
	s_and_b32 s21, s20, exec_lo
.LBB171_272:                            ;   in Loop: Header=BB171_12 Depth=1
	s_or_b32 exec_lo, exec_lo, s68
	s_orn2_b32 s20, s21, exec_lo
.LBB171_273:                            ;   in Loop: Header=BB171_12 Depth=1
	s_or_b32 exec_lo, exec_lo, s6
	s_mov_b32 s6, 0
	s_mov_b32 s21, 0
	s_and_saveexec_b32 s22, s20
	s_xor_b32 s20, exec_lo, s22
; %bb.274:                              ;   in Loop: Header=BB171_12 Depth=1
	v_cmp_ne_u32_e32 vcc_lo, 8, v2
	v_cmp_eq_u32_e64 s6, 8, v2
	s_and_b32 s21, vcc_lo, exec_lo
	s_and_b32 s6, s6, exec_lo
; %bb.275:                              ;   in Loop: Header=BB171_12 Depth=1
	s_or_b32 exec_lo, exec_lo, s20
	s_andn2_b32 s20, s65, exec_lo
	s_and_b32 s22, s43, exec_lo
	s_andn2_b32 s23, s64, exec_lo
	s_and_b32 s24, s42, exec_lo
	s_or_b32 s65, s20, s22
	s_or_b32 s64, s23, s24
	s_and_b32 s42, s21, exec_lo
	s_and_b32 s43, s6, exec_lo
.LBB171_276:                            ;   in Loop: Header=BB171_12 Depth=1
	s_or_b32 exec_lo, exec_lo, s67
.LBB171_277:                            ;   in Loop: Header=BB171_12 Depth=1
	s_and_b32 vcc_lo, exec_lo, s66
	s_cbranch_vccz .LBB171_293
; %bb.278:                              ;   in Loop: Header=BB171_12 Depth=1
	s_cmp_eq_u64 s[18:19], 1
	s_mov_b32 s20, -1
	s_cselect_b32 s6, -1, 0
                                        ; implicit-def: $sgpr27
	s_and_b32 s6, s6, s9
                                        ; implicit-def: $sgpr9
	s_and_saveexec_b32 s64, s6
	s_cbranch_execz .LBB171_311
; %bb.279:                              ;   in Loop: Header=BB171_12 Depth=1
	ds_read_b64 v[4:5], v3 offset:5120
	s_waitcnt lgkmcnt(0)
	s_barrier
	buffer_gl0_inv
	v_readfirstlane_b32 s20, v4
	v_readfirstlane_b32 s21, v5
	s_and_saveexec_b32 s9, s10
; %bb.280:                              ;   in Loop: Header=BB171_12 Depth=1
	ds_write_b16 v26, v3
; %bb.281:                              ;   in Loop: Header=BB171_12 Depth=1
	s_or_b32 exec_lo, exec_lo, s9
	v_or_b32_e32 v28, s11, v28
	v_or_b32_e32 v32, s11, v32
	s_mov_b32 s27, -1
	s_mov_b32 s9, 0
	s_cmp_eq_u64 s[20:21], 0
	s_mov_b32 s24, 0
	s_mov_b32 s25, -1
	s_waitcnt lgkmcnt(0)
	s_barrier
	buffer_gl0_inv
                                        ; implicit-def: $vgpr33
	s_cbranch_scc1 .LBB171_296
; %bb.282:                              ;   in Loop: Header=BB171_12 Depth=1
	s_add_u32 s60, s20, s82
	s_addc_u32 s23, s21, s83
	s_mov_b32 s22, s59
	s_cmp_lg_u64 s[22:23], 0
	s_cbranch_scc0 .LBB171_337
; %bb.283:                              ;   in Loop: Header=BB171_12 Depth=1
	v_cvt_f32_u32_e32 v2, s49
	s_sub_u32 s25, 0, s49
	s_subb_u32 s54, 0, 0
	v_fmac_f32_e64 v2, 0x4f800000, 0
	v_rcp_f32_e32 v2, v2
	v_mul_f32_e32 v2, 0x5f7ffffc, v2
	v_mul_f32_e32 v4, 0x2f800000, v2
	v_trunc_f32_e32 v4, v4
	v_fmac_f32_e32 v2, 0xcf800000, v4
	v_cvt_u32_f32_e32 v4, v4
	v_cvt_u32_f32_e32 v2, v2
	v_readfirstlane_b32 s22, v4
	v_readfirstlane_b32 s24, v2
	s_mul_i32 s55, s25, s22
	s_mul_hi_u32 s65, s25, s24
	s_mul_i32 s58, s54, s24
	s_add_i32 s55, s65, s55
	s_mul_i32 s66, s25, s24
	s_add_i32 s55, s55, s58
	s_mul_hi_u32 s65, s24, s66
	s_mul_i32 s68, s24, s55
	s_mul_hi_u32 s67, s22, s66
	s_mul_i32 s58, s22, s66
	s_mul_hi_u32 s66, s24, s55
	s_add_u32 s65, s65, s68
	s_addc_u32 s66, 0, s66
	s_mul_hi_u32 s69, s22, s55
	s_add_u32 s58, s65, s58
	s_mul_i32 s55, s22, s55
	s_addc_u32 s58, s66, s67
	s_addc_u32 s65, s69, 0
	s_add_u32 s55, s58, s55
	s_addc_u32 s58, 0, s65
	s_add_u32 s24, s24, s55
	s_cselect_b32 s55, -1, 0
	s_mul_hi_u32 s65, s25, s24
	s_cmp_lg_u32 s55, 0
	s_mul_i32 s55, s25, s24
	s_addc_u32 s22, s22, s58
	s_mul_i32 s54, s54, s24
	s_mul_i32 s25, s25, s22
	s_mul_hi_u32 s58, s24, s55
	s_add_i32 s25, s65, s25
	s_mul_hi_u32 s65, s22, s55
	s_add_i32 s25, s25, s54
	s_mul_i32 s54, s22, s55
	s_mul_i32 s67, s24, s25
	s_mul_hi_u32 s66, s24, s25
	s_add_u32 s58, s58, s67
	s_addc_u32 s66, 0, s66
	s_mul_hi_u32 s55, s22, s25
	s_add_u32 s54, s58, s54
	s_mul_i32 s25, s22, s25
	s_addc_u32 s54, s66, s65
	s_addc_u32 s55, s55, 0
	s_add_u32 s25, s54, s25
	s_addc_u32 s54, 0, s55
	s_add_u32 s24, s24, s25
	s_cselect_b32 s25, -1, 0
	s_mul_hi_u32 s55, s60, s24
	s_cmp_lg_u32 s25, 0
	s_mul_hi_u32 s25, s23, s24
	s_addc_u32 s22, s22, s54
	s_mul_i32 s24, s23, s24
	s_mul_i32 s58, s60, s22
	s_mul_hi_u32 s54, s60, s22
	s_add_u32 s55, s55, s58
	s_addc_u32 s54, 0, s54
	s_mul_hi_u32 s65, s23, s22
	s_add_u32 s24, s55, s24
	s_mul_i32 s22, s23, s22
	s_addc_u32 s24, s54, s25
	s_addc_u32 s25, s65, 0
	s_add_u32 s22, s24, s22
	s_addc_u32 s24, 0, s25
	s_mul_hi_u32 s25, s49, s22
	s_mul_i32 s24, s49, s24
	s_mul_i32 s22, s49, s22
	s_add_i32 s25, s25, s24
	s_sub_u32 s22, s60, s22
	s_cselect_b32 s24, -1, 0
	s_cmp_lg_u32 s24, 0
	s_subb_u32 s24, s23, s25
	s_sub_u32 s25, s22, s49
	s_cselect_b32 s54, -1, 0
	s_cmp_lg_u32 s54, 0
	s_subb_u32 s54, s24, 0
	;; [unrolled: 4-line block ×3, first 2 shown]
	s_cmp_ge_u32 s25, s49
	s_cselect_b32 s65, -1, 0
	s_cmp_eq_u32 s54, 0
	s_cselect_b32 s65, s65, -1
	s_cmp_lg_u32 s65, 0
	s_cselect_b32 s54, s58, s54
	s_cselect_b32 s55, s55, s25
	s_cmp_ge_u32 s22, s49
	s_cselect_b32 s25, -1, 0
	s_cmp_eq_u32 s24, 0
	s_cselect_b32 s25, s25, -1
	s_cmp_lg_u32 s25, 0
	s_cselect_b32 s25, s54, s24
	s_cselect_b32 s24, s55, s22
	s_cbranch_execnz .LBB171_285
.LBB171_284:                            ;   in Loop: Header=BB171_12 Depth=1
	v_cvt_f32_u32_e32 v2, s49
	s_sub_i32 s24, 0, s49
	v_rcp_iflag_f32_e32 v2, v2
	v_mul_f32_e32 v2, 0x4f7ffffe, v2
	v_cvt_u32_f32_e32 v2, v2
	v_readfirstlane_b32 s22, v2
	s_mul_i32 s24, s24, s22
	s_mul_hi_u32 s24, s22, s24
	s_add_i32 s22, s22, s24
	s_mul_hi_u32 s22, s60, s22
	s_mul_i32 s22, s22, s49
	s_sub_i32 s22, s60, s22
	s_sub_i32 s24, s22, s49
	s_cmp_ge_u32 s22, s49
	s_cselect_b32 s22, s24, s22
	s_sub_i32 s24, s22, s49
	s_cmp_ge_u32 s22, s49
	s_cselect_b32 s58, s24, s22
	s_mov_b64 s[24:25], s[58:59]
.LBB171_285:                            ;   in Loop: Header=BB171_12 Depth=1
	s_sub_u32 s22, s60, s24
	s_subb_u32 s23, s23, s25
	s_mov_b32 s25, 0
	s_mov_b32 s24, 0
	s_mov_b32 s58, exec_lo
                                        ; implicit-def: $vgpr33
	v_cmpx_gt_u64_e64 s[22:23], v[0:1]
	s_cbranch_execz .LBB171_295
; %bb.286:                              ;   in Loop: Header=BB171_12 Depth=1
	v_mov_b32_e32 v5, v1
	v_mov_b32_e32 v2, v25
	;; [unrolled: 1-line block ×3, first 2 shown]
                                        ; implicit-def: $sgpr60
	s_inst_prefetch 0x1
	s_branch .LBB171_289
	.p2align	6
.LBB171_287:                            ;   in Loop: Header=BB171_289 Depth=2
	s_or_b32 exec_lo, exec_lo, s65
	s_waitcnt lgkmcnt(0)
	s_barrier
	buffer_gl0_inv
	ds_read_b32 v6, v3 offset:3072
	s_mov_b32 s54, -1
	s_waitcnt lgkmcnt(0)
	s_barrier
	buffer_gl0_inv
	v_cmp_ne_u32_sdwa s55, v6, v3 src0_sel:WORD_0 src1_sel:DWORD
	s_and_b32 vcc_lo, exec_lo, s55
	s_mov_b32 s55, -1
	s_cbranch_vccz .LBB171_292
.LBB171_288:                            ;   in Loop: Header=BB171_289 Depth=2
	s_and_b32 s44, exec_lo, s54
	s_or_b32 s24, s44, s24
	s_andn2_b32 s44, s60, exec_lo
	s_and_b32 s45, s55, exec_lo
	s_or_b32 s60, s44, s45
	s_andn2_b32 exec_lo, exec_lo, s24
	s_cbranch_execz .LBB171_294
.LBB171_289:                            ;   Parent Loop BB171_12 Depth=1
                                        ; =>  This Inner Loop Header: Depth=2
	s_mov_b32 s65, exec_lo
	v_cmpx_gt_u64_e64 s[20:21], v[4:5]
	s_cbranch_execz .LBB171_287
; %bb.290:                              ;   in Loop: Header=BB171_289 Depth=2
	ds_read_u16 v6, v2
	s_waitcnt lgkmcnt(0)
	v_add_nc_u32_sdwa v7, sext(v6), v31 dst_sel:DWORD dst_unused:UNUSED_PAD src0_sel:WORD_0 src1_sel:DWORD
	v_and_b32_e32 v7, v7, v32
	v_cmp_eq_u32_e32 vcc_lo, v7, v28
	s_and_b32 exec_lo, exec_lo, vcc_lo
	s_cbranch_execz .LBB171_287
; %bb.291:                              ;   in Loop: Header=BB171_289 Depth=2
	v_perm_b32 v6, v6, 1, 0x5040100
	ds_write_b32 v3, v6 offset:3072
	s_branch .LBB171_287
.LBB171_292:                            ;   in Loop: Header=BB171_289 Depth=2
	v_add_co_u32 v4, vcc_lo, v4, s49
	v_add_co_ci_u32_e64 v5, null, 0, v5, vcc_lo
	v_add_nc_u32_e32 v2, s90, v2
	s_mov_b32 s55, 0
	v_cmp_le_u64_e32 vcc_lo, s[22:23], v[4:5]
	s_orn2_b32 s54, vcc_lo, exec_lo
	s_branch .LBB171_288
.LBB171_293:                            ;   in Loop: Header=BB171_12 Depth=1
	v_mov_b32_e32 v28, v8
	v_mov_b32_e32 v32, v9
	;; [unrolled: 1-line block ×3, first 2 shown]
	s_mov_b32 s9, 0
	s_and_saveexec_b32 s6, s43
	s_cbranch_execnz .LBB171_470
	s_branch .LBB171_471
.LBB171_294:                            ;   in Loop: Header=BB171_12 Depth=1
	s_inst_prefetch 0x2
	s_or_b32 exec_lo, exec_lo, s24
	v_lshrrev_b32_e32 v33, 16, v6
	s_and_b32 s24, s60, exec_lo
.LBB171_295:                            ;   in Loop: Header=BB171_12 Depth=1
	s_or_b32 exec_lo, exec_lo, s58
.LBB171_296:                            ;   in Loop: Header=BB171_12 Depth=1
	s_and_b32 vcc_lo, exec_lo, s25
	s_cbranch_vccz .LBB171_310
; %bb.297:                              ;   in Loop: Header=BB171_12 Depth=1
	s_mov_b32 s60, s59
	s_cmp_lg_u64 s[60:61], 0
	s_cbranch_scc0 .LBB171_338
; %bb.298:                              ;   in Loop: Header=BB171_12 Depth=1
	v_cvt_f32_u32_e32 v2, s49
	s_sub_u32 s21, 0, s49
	s_subb_u32 s22, 0, 0
	v_fmac_f32_e64 v2, 0x4f800000, 0
	v_rcp_f32_e32 v2, v2
	v_mul_f32_e32 v2, 0x5f7ffffc, v2
	v_mul_f32_e32 v4, 0x2f800000, v2
	v_trunc_f32_e32 v4, v4
	v_fmac_f32_e32 v2, 0xcf800000, v4
	v_cvt_u32_f32_e32 v4, v4
	v_cvt_u32_f32_e32 v2, v2
	v_readfirstlane_b32 s9, v4
	v_readfirstlane_b32 s20, v2
	s_mul_i32 s23, s21, s9
	s_mul_hi_u32 s27, s21, s20
	s_mul_i32 s25, s22, s20
	s_add_i32 s23, s27, s23
	s_mul_i32 s54, s21, s20
	s_add_i32 s23, s23, s25
	s_mul_hi_u32 s27, s20, s54
	s_mul_i32 s58, s20, s23
	s_mul_hi_u32 s55, s9, s54
	s_mul_i32 s25, s9, s54
	s_mul_hi_u32 s54, s20, s23
	s_add_u32 s27, s27, s58
	s_addc_u32 s54, 0, s54
	s_mul_hi_u32 s60, s9, s23
	s_add_u32 s25, s27, s25
	s_mul_i32 s23, s9, s23
	s_addc_u32 s25, s54, s55
	s_addc_u32 s27, s60, 0
	s_add_u32 s23, s25, s23
	s_addc_u32 s25, 0, s27
	s_add_u32 s20, s20, s23
	s_cselect_b32 s23, -1, 0
	s_mul_hi_u32 s27, s21, s20
	s_cmp_lg_u32 s23, 0
	s_mul_i32 s23, s21, s20
	s_addc_u32 s9, s9, s25
	s_mul_i32 s22, s22, s20
	s_mul_i32 s21, s21, s9
	s_mul_hi_u32 s25, s20, s23
	s_add_i32 s21, s27, s21
	s_mul_hi_u32 s27, s9, s23
	s_add_i32 s21, s21, s22
	s_mul_i32 s22, s9, s23
	s_mul_i32 s55, s20, s21
	s_mul_hi_u32 s54, s20, s21
	s_add_u32 s25, s25, s55
	s_addc_u32 s54, 0, s54
	s_mul_hi_u32 s23, s9, s21
	s_add_u32 s22, s25, s22
	s_mul_i32 s21, s9, s21
	s_addc_u32 s22, s54, s27
	s_addc_u32 s23, s23, 0
	s_add_u32 s21, s22, s21
	s_addc_u32 s22, 0, s23
	s_add_u32 s20, s20, s21
	s_cselect_b32 s21, -1, 0
	s_mul_hi_u32 s23, s84, s20
	s_cmp_lg_u32 s21, 0
	s_mul_hi_u32 s21, s61, s20
	s_addc_u32 s9, s9, s22
	s_mul_i32 s20, s61, s20
	s_mul_i32 s25, s84, s9
	s_mul_hi_u32 s22, s84, s9
	s_add_u32 s23, s23, s25
	s_addc_u32 s22, 0, s22
	s_mul_hi_u32 s27, s61, s9
	s_add_u32 s20, s23, s20
	s_mul_i32 s9, s61, s9
	s_addc_u32 s20, s22, s21
	s_addc_u32 s21, s27, 0
	s_add_u32 s9, s20, s9
	s_addc_u32 s20, 0, s21
	s_mul_hi_u32 s21, s49, s9
	s_mul_i32 s20, s49, s20
	s_mul_i32 s9, s49, s9
	s_add_i32 s21, s21, s20
	s_sub_u32 s9, s84, s9
	s_cselect_b32 s20, -1, 0
	s_cmp_lg_u32 s20, 0
	s_subb_u32 s20, s61, s21
	s_sub_u32 s21, s9, s49
	s_cselect_b32 s22, -1, 0
	s_cmp_lg_u32 s22, 0
	s_subb_u32 s22, s20, 0
	;; [unrolled: 4-line block ×3, first 2 shown]
	s_cmp_ge_u32 s21, s49
	s_cselect_b32 s27, -1, 0
	s_cmp_eq_u32 s22, 0
	s_cselect_b32 s27, s27, -1
	s_cmp_lg_u32 s27, 0
	s_cselect_b32 s22, s25, s22
	s_cselect_b32 s23, s23, s21
	s_cmp_ge_u32 s9, s49
	s_cselect_b32 s21, -1, 0
	s_cmp_eq_u32 s20, 0
	s_cselect_b32 s21, s21, -1
	s_cmp_lg_u32 s21, 0
	s_cselect_b32 s21, s22, s20
	s_cselect_b32 s20, s23, s9
	s_cbranch_execnz .LBB171_300
.LBB171_299:                            ;   in Loop: Header=BB171_12 Depth=1
	v_cvt_f32_u32_e32 v2, s49
	s_sub_i32 s20, 0, s49
	v_rcp_iflag_f32_e32 v2, v2
	v_mul_f32_e32 v2, 0x4f7ffffe, v2
	v_cvt_u32_f32_e32 v2, v2
	v_readfirstlane_b32 s9, v2
	s_mul_i32 s20, s20, s9
	s_mul_hi_u32 s20, s9, s20
	s_add_i32 s9, s9, s20
	s_mul_hi_u32 s9, s84, s9
	s_mul_i32 s9, s9, s49
	s_sub_i32 s9, s84, s9
	s_sub_i32 s20, s9, s49
	s_cmp_ge_u32 s9, s49
	s_cselect_b32 s9, s20, s9
	s_sub_i32 s20, s9, s49
	s_cmp_ge_u32 s9, s49
	s_cselect_b32 s58, s20, s9
	s_mov_b64 s[20:21], s[58:59]
.LBB171_300:                            ;   in Loop: Header=BB171_12 Depth=1
	s_sub_u32 s20, s84, s20
	s_subb_u32 s21, s61, s21
	s_mov_b32 s9, exec_lo
                                        ; implicit-def: $vgpr33
	v_cmpx_gt_u64_e64 s[20:21], v[0:1]
	s_cbranch_execz .LBB171_309
; %bb.301:                              ;   in Loop: Header=BB171_12 Depth=1
	v_mov_b32_e32 v5, v1
	v_mov_b32_e32 v4, v0
	s_mov_b32 s22, 0
                                        ; implicit-def: $sgpr23
	s_branch .LBB171_304
.LBB171_302:                            ;   in Loop: Header=BB171_304 Depth=2
	s_or_b32 exec_lo, exec_lo, s25
	s_waitcnt lgkmcnt(0)
	s_barrier
	buffer_gl0_inv
	ds_read_b32 v2, v3 offset:3072
	s_mov_b32 s27, -1
	s_waitcnt lgkmcnt(0)
	s_barrier
	buffer_gl0_inv
	v_cmp_ne_u32_sdwa s25, v2, v3 src0_sel:WORD_0 src1_sel:DWORD
	s_and_b32 vcc_lo, exec_lo, s25
	s_mov_b32 s25, -1
	s_cbranch_vccz .LBB171_307
.LBB171_303:                            ;   in Loop: Header=BB171_304 Depth=2
	s_and_b32 s27, exec_lo, s27
	s_or_b32 s22, s27, s22
	s_andn2_b32 s23, s23, exec_lo
	s_and_b32 s25, s25, exec_lo
	s_or_b32 s23, s23, s25
	s_andn2_b32 exec_lo, exec_lo, s22
	s_cbranch_execz .LBB171_308
.LBB171_304:                            ;   Parent Loop BB171_12 Depth=1
                                        ; =>  This Inner Loop Header: Depth=2
	s_mov_b32 s25, exec_lo
	v_cmpx_gt_u64_e64 s[36:37], v[4:5]
	s_cbranch_execz .LBB171_302
; %bb.305:                              ;   in Loop: Header=BB171_304 Depth=2
	v_mul_lo_u32 v2, v5, s30
	v_mul_lo_u32 v8, v4, s31
	v_mad_u64_u32 v[6:7], null, v4, s30, 0
	v_add3_u32 v7, v7, v8, v2
	v_lshlrev_b64 v[6:7], 1, v[6:7]
	v_add_co_u32 v6, vcc_lo, s33, v6
	v_add_co_ci_u32_e64 v7, null, s35, v7, vcc_lo
	global_load_ushort v2, v[6:7], off
	s_waitcnt vmcnt(0)
	v_add_nc_u32_sdwa v6, sext(v2), v31 dst_sel:DWORD dst_unused:UNUSED_PAD src0_sel:WORD_0 src1_sel:DWORD
	v_and_b32_e32 v6, v6, v32
	v_cmp_eq_u32_e32 vcc_lo, v6, v28
	s_and_b32 exec_lo, exec_lo, vcc_lo
	s_cbranch_execz .LBB171_302
; %bb.306:                              ;   in Loop: Header=BB171_304 Depth=2
	v_perm_b32 v2, v2, 1, 0x5040100
	ds_write_b32 v3, v2 offset:3072
	s_branch .LBB171_302
.LBB171_307:                            ;   in Loop: Header=BB171_304 Depth=2
	v_add_co_u32 v4, vcc_lo, v4, s49
	v_add_co_ci_u32_e64 v5, null, 0, v5, vcc_lo
	s_mov_b32 s25, 0
	v_cmp_le_u64_e32 vcc_lo, s[20:21], v[4:5]
	s_orn2_b32 s27, vcc_lo, exec_lo
	s_branch .LBB171_303
.LBB171_308:                            ;   in Loop: Header=BB171_12 Depth=1
	s_or_b32 exec_lo, exec_lo, s22
	v_lshrrev_b32_e32 v33, 16, v2
	s_andn2_b32 s20, s24, exec_lo
	s_and_b32 s21, s23, exec_lo
	s_or_b32 s24, s20, s21
.LBB171_309:                            ;   in Loop: Header=BB171_12 Depth=1
	s_or_b32 exec_lo, exec_lo, s9
	s_mov_b32 s27, 0
	s_mov_b32 s9, -1
.LBB171_310:                            ;   in Loop: Header=BB171_12 Depth=1
	s_orn2_b32 s20, s24, exec_lo
.LBB171_311:                            ;   in Loop: Header=BB171_12 Depth=1
	s_or_b32 exec_lo, exec_lo, s64
                                        ; implicit-def: $vgpr4_vgpr5
                                        ; implicit-def: $vgpr2
	s_and_saveexec_b32 s24, s20
	s_cbranch_execz .LBB171_469
; %bb.312:                              ;   in Loop: Header=BB171_12 Depth=1
	v_mov_b32_e32 v4, 1
	v_mov_b32_e32 v5, 0
	;; [unrolled: 1-line block ×3, first 2 shown]
	s_xor_b32 s21, s6, -1
	s_mov_b32 s20, 0
	s_and_saveexec_b32 s6, s21
	s_cbranch_execz .LBB171_321
; %bb.313:                              ;   in Loop: Header=BB171_12 Depth=1
	s_mov_b32 s20, exec_lo
	v_cmpx_ge_u64_e64 s[18:19], v[19:20]
	s_xor_b32 s20, exec_lo, s20
	s_cbranch_execz .LBB171_318
; %bb.314:                              ;   in Loop: Header=BB171_12 Depth=1
	ds_read_b64 v[4:5], v3 offset:5120
	v_or_b32_e32 v28, s11, v28
	v_or_b32_e32 v32, s11, v32
	s_waitcnt lgkmcnt(0)
	v_cmp_ne_u64_e32 vcc_lo, 0, v[4:5]
	s_cbranch_vccnz .LBB171_318
; %bb.315:                              ;   in Loop: Header=BB171_12 Depth=1
	s_and_saveexec_b32 s21, s3
; %bb.316:                              ;   in Loop: Header=BB171_12 Depth=1
	v_mov_b32_e32 v4, s18
	v_mov_b32_e32 v5, s19
	ds_write_b64 v3, v[4:5] offset:5128
; %bb.317:                              ;   in Loop: Header=BB171_12 Depth=1
	s_or_b32 exec_lo, exec_lo, s21
	s_waitcnt lgkmcnt(0)
	s_barrier
	buffer_gl0_inv
.LBB171_318:                            ;   in Loop: Header=BB171_12 Depth=1
	s_or_saveexec_b32 s20, s20
	v_mov_b32_e32 v2, 5
	s_mov_b32 s21, 0
	s_xor_b32 exec_lo, exec_lo, s20
; %bb.319:                              ;   in Loop: Header=BB171_12 Depth=1
	v_sub_co_u32 v19, vcc_lo, v19, s18
	v_subrev_co_ci_u32_e64 v20, null, s19, v20, vcc_lo
	v_mov_b32_e32 v2, 0
	s_mov_b32 s21, exec_lo
; %bb.320:                              ;   in Loop: Header=BB171_12 Depth=1
	s_or_b32 exec_lo, exec_lo, s20
	v_mov_b32_e32 v4, v19
	v_mov_b32_e32 v5, v20
	s_and_b32 s20, s21, exec_lo
.LBB171_321:                            ;   in Loop: Header=BB171_12 Depth=1
	s_or_b32 exec_lo, exec_lo, s6
	s_mov_b32 s18, -1
                                        ; implicit-def: $sgpr25
                                        ; implicit-def: $sgpr64
	s_and_saveexec_b32 s6, s20
	s_xor_b32 s6, exec_lo, s6
	s_cbranch_execz .LBB171_466
; %bb.322:                              ;   in Loop: Header=BB171_12 Depth=1
	v_cmp_eq_u64_e32 vcc_lo, 1, v[4:5]
	s_cmp_eq_u64 s[16:17], 1
                                        ; implicit-def: $sgpr64
                                        ; implicit-def: $sgpr25
	s_cselect_b32 s18, -1, 0
	s_and_b32 s65, s18, vcc_lo
	s_mov_b32 s18, -1
	s_and_saveexec_b32 s66, s65
	s_cbranch_execz .LBB171_356
; %bb.323:                              ;   in Loop: Header=BB171_12 Depth=1
	ds_read_b64 v[6:7], v3 offset:5120
	s_waitcnt lgkmcnt(0)
	s_barrier
	buffer_gl0_inv
	v_readfirstlane_b32 s18, v6
	v_readfirstlane_b32 s19, v7
	s_and_saveexec_b32 s20, s10
; %bb.324:                              ;   in Loop: Header=BB171_12 Depth=1
	ds_write_b16 v26, v3
; %bb.325:                              ;   in Loop: Header=BB171_12 Depth=1
	s_or_b32 exec_lo, exec_lo, s20
	s_lshl_b32 s20, 2, s97
	v_or_b32_e32 v32, s11, v32
	v_and_or_b32 v28, v28, s26, s20
	s_mov_b32 s25, -1
	s_mov_b32 s64, 0
	s_cmp_eq_u64 s[18:19], 0
	s_mov_b32 s22, 0
	s_mov_b32 s23, -1
	s_waitcnt lgkmcnt(0)
	s_barrier
	buffer_gl0_inv
                                        ; implicit-def: $vgpr33
	s_cbranch_scc1 .LBB171_341
; %bb.326:                              ;   in Loop: Header=BB171_12 Depth=1
	s_add_u32 s60, s18, s82
	s_addc_u32 s21, s19, s83
	s_mov_b32 s20, s59
	s_cmp_lg_u64 s[20:21], 0
	s_cbranch_scc0 .LBB171_382
; %bb.327:                              ;   in Loop: Header=BB171_12 Depth=1
	v_cvt_f32_u32_e32 v6, s49
	s_sub_u32 s23, 0, s49
	s_subb_u32 s54, 0, 0
	v_fmac_f32_e64 v6, 0x4f800000, 0
	v_rcp_f32_e32 v6, v6
	v_mul_f32_e32 v6, 0x5f7ffffc, v6
	v_mul_f32_e32 v7, 0x2f800000, v6
	v_trunc_f32_e32 v7, v7
	v_fmac_f32_e32 v6, 0xcf800000, v7
	v_cvt_u32_f32_e32 v7, v7
	v_cvt_u32_f32_e32 v6, v6
	v_readfirstlane_b32 s20, v7
	v_readfirstlane_b32 s22, v6
	s_mul_i32 s55, s23, s20
	s_mul_hi_u32 s67, s23, s22
	s_mul_i32 s58, s54, s22
	s_add_i32 s55, s67, s55
	s_mul_i32 s68, s23, s22
	s_add_i32 s55, s55, s58
	s_mul_hi_u32 s67, s22, s68
	s_mul_i32 s70, s22, s55
	s_mul_hi_u32 s69, s20, s68
	s_mul_i32 s58, s20, s68
	s_mul_hi_u32 s68, s22, s55
	s_add_u32 s67, s67, s70
	s_addc_u32 s68, 0, s68
	s_mul_hi_u32 s71, s20, s55
	s_add_u32 s58, s67, s58
	s_mul_i32 s55, s20, s55
	s_addc_u32 s58, s68, s69
	s_addc_u32 s67, s71, 0
	s_add_u32 s55, s58, s55
	s_addc_u32 s58, 0, s67
	s_add_u32 s22, s22, s55
	s_cselect_b32 s55, -1, 0
	s_mul_hi_u32 s67, s23, s22
	s_cmp_lg_u32 s55, 0
	s_mul_i32 s55, s23, s22
	s_addc_u32 s20, s20, s58
	s_mul_i32 s54, s54, s22
	s_mul_i32 s23, s23, s20
	s_mul_hi_u32 s58, s22, s55
	s_add_i32 s23, s67, s23
	s_mul_hi_u32 s67, s20, s55
	s_add_i32 s23, s23, s54
	s_mul_i32 s54, s20, s55
	s_mul_i32 s69, s22, s23
	s_mul_hi_u32 s68, s22, s23
	s_add_u32 s58, s58, s69
	s_addc_u32 s68, 0, s68
	s_mul_hi_u32 s55, s20, s23
	s_add_u32 s54, s58, s54
	s_mul_i32 s23, s20, s23
	s_addc_u32 s54, s68, s67
	s_addc_u32 s55, s55, 0
	s_add_u32 s23, s54, s23
	s_addc_u32 s54, 0, s55
	s_add_u32 s22, s22, s23
	s_cselect_b32 s23, -1, 0
	s_mul_hi_u32 s55, s60, s22
	s_cmp_lg_u32 s23, 0
	s_mul_hi_u32 s23, s21, s22
	s_addc_u32 s20, s20, s54
	s_mul_i32 s22, s21, s22
	s_mul_i32 s58, s60, s20
	s_mul_hi_u32 s54, s60, s20
	s_add_u32 s55, s55, s58
	s_addc_u32 s54, 0, s54
	s_mul_hi_u32 s67, s21, s20
	s_add_u32 s22, s55, s22
	s_mul_i32 s20, s21, s20
	s_addc_u32 s22, s54, s23
	s_addc_u32 s23, s67, 0
	s_add_u32 s20, s22, s20
	s_addc_u32 s22, 0, s23
	s_mul_hi_u32 s23, s49, s20
	s_mul_i32 s22, s49, s22
	s_mul_i32 s20, s49, s20
	s_add_i32 s23, s23, s22
	s_sub_u32 s20, s60, s20
	s_cselect_b32 s22, -1, 0
	s_cmp_lg_u32 s22, 0
	s_subb_u32 s22, s21, s23
	s_sub_u32 s23, s20, s49
	s_cselect_b32 s54, -1, 0
	s_cmp_lg_u32 s54, 0
	s_subb_u32 s54, s22, 0
	s_sub_u32 s55, s23, s49
	s_cselect_b32 s58, -1, 0
	s_cmp_lg_u32 s58, 0
	s_subb_u32 s58, s54, 0
	s_cmp_ge_u32 s23, s49
	s_cselect_b32 s67, -1, 0
	s_cmp_eq_u32 s54, 0
	s_cselect_b32 s67, s67, -1
	s_cmp_lg_u32 s67, 0
	s_cselect_b32 s54, s58, s54
	s_cselect_b32 s55, s55, s23
	s_cmp_ge_u32 s20, s49
	s_cselect_b32 s23, -1, 0
	s_cmp_eq_u32 s22, 0
	s_cselect_b32 s23, s23, -1
	s_cmp_lg_u32 s23, 0
	s_cselect_b32 s23, s54, s22
	s_cselect_b32 s22, s55, s20
	s_cbranch_execnz .LBB171_329
.LBB171_328:                            ;   in Loop: Header=BB171_12 Depth=1
	v_cvt_f32_u32_e32 v6, s49
	s_sub_i32 s22, 0, s49
	v_rcp_iflag_f32_e32 v6, v6
	v_mul_f32_e32 v6, 0x4f7ffffe, v6
	v_cvt_u32_f32_e32 v6, v6
	v_readfirstlane_b32 s20, v6
	s_mul_i32 s22, s22, s20
	s_mul_hi_u32 s22, s20, s22
	s_add_i32 s20, s20, s22
	s_mul_hi_u32 s20, s60, s20
	s_mul_i32 s20, s20, s49
	s_sub_i32 s20, s60, s20
	s_sub_i32 s22, s20, s49
	s_cmp_ge_u32 s20, s49
	s_cselect_b32 s20, s22, s20
	s_sub_i32 s22, s20, s49
	s_cmp_ge_u32 s20, s49
	s_cselect_b32 s58, s22, s20
	s_mov_b64 s[22:23], s[58:59]
.LBB171_329:                            ;   in Loop: Header=BB171_12 Depth=1
	s_sub_u32 s20, s60, s22
	s_subb_u32 s21, s21, s23
	s_mov_b32 s23, 0
	s_mov_b32 s22, 0
	s_mov_b32 s58, exec_lo
                                        ; implicit-def: $vgpr33
	v_cmpx_gt_u64_e64 s[20:21], v[0:1]
	s_cbranch_execz .LBB171_340
; %bb.330:                              ;   in Loop: Header=BB171_12 Depth=1
	v_mov_b32_e32 v7, v1
	v_mov_b32_e32 v8, v25
	;; [unrolled: 1-line block ×3, first 2 shown]
                                        ; implicit-def: $sgpr60
	s_inst_prefetch 0x1
	s_branch .LBB171_333
	.p2align	6
.LBB171_331:                            ;   in Loop: Header=BB171_333 Depth=2
	s_or_b32 exec_lo, exec_lo, s67
	s_waitcnt lgkmcnt(0)
	s_barrier
	buffer_gl0_inv
	ds_read_b32 v9, v3 offset:3072
	s_mov_b32 s54, -1
	s_waitcnt lgkmcnt(0)
	s_barrier
	buffer_gl0_inv
	v_cmp_ne_u32_sdwa s55, v9, v3 src0_sel:WORD_0 src1_sel:DWORD
	s_and_b32 vcc_lo, exec_lo, s55
	s_mov_b32 s55, -1
	s_cbranch_vccz .LBB171_336
.LBB171_332:                            ;   in Loop: Header=BB171_333 Depth=2
	s_and_b32 s44, exec_lo, s54
	s_or_b32 s22, s44, s22
	s_andn2_b32 s44, s60, exec_lo
	s_and_b32 s45, s55, exec_lo
	s_or_b32 s60, s44, s45
	s_andn2_b32 exec_lo, exec_lo, s22
	s_cbranch_execz .LBB171_339
.LBB171_333:                            ;   Parent Loop BB171_12 Depth=1
                                        ; =>  This Inner Loop Header: Depth=2
	s_mov_b32 s67, exec_lo
	v_cmpx_gt_u64_e64 s[18:19], v[6:7]
	s_cbranch_execz .LBB171_331
; %bb.334:                              ;   in Loop: Header=BB171_333 Depth=2
	ds_read_u16 v9, v8
	s_waitcnt lgkmcnt(0)
	v_add_nc_u32_sdwa v10, sext(v9), v31 dst_sel:DWORD dst_unused:UNUSED_PAD src0_sel:WORD_0 src1_sel:DWORD
	v_and_b32_e32 v10, v10, v32
	v_cmp_eq_u32_e32 vcc_lo, v10, v28
	s_and_b32 exec_lo, exec_lo, vcc_lo
	s_cbranch_execz .LBB171_331
; %bb.335:                              ;   in Loop: Header=BB171_333 Depth=2
	v_perm_b32 v9, v9, 1, 0x5040100
	ds_write_b32 v3, v9 offset:3072
	s_branch .LBB171_331
.LBB171_336:                            ;   in Loop: Header=BB171_333 Depth=2
	v_add_co_u32 v6, vcc_lo, v6, s49
	v_add_co_ci_u32_e64 v7, null, 0, v7, vcc_lo
	v_add_nc_u32_e32 v8, s90, v8
	s_mov_b32 s55, 0
	v_cmp_le_u64_e32 vcc_lo, s[20:21], v[6:7]
	s_orn2_b32 s54, vcc_lo, exec_lo
	s_branch .LBB171_332
.LBB171_337:                            ;   in Loop: Header=BB171_12 Depth=1
                                        ; implicit-def: $sgpr24_sgpr25
	s_branch .LBB171_284
.LBB171_338:                            ;   in Loop: Header=BB171_12 Depth=1
                                        ; implicit-def: $sgpr20_sgpr21
	s_branch .LBB171_299
.LBB171_339:                            ;   in Loop: Header=BB171_12 Depth=1
	s_inst_prefetch 0x2
	s_or_b32 exec_lo, exec_lo, s22
	v_lshrrev_b32_e32 v33, 16, v9
	s_and_b32 s22, s60, exec_lo
.LBB171_340:                            ;   in Loop: Header=BB171_12 Depth=1
	s_or_b32 exec_lo, exec_lo, s58
.LBB171_341:                            ;   in Loop: Header=BB171_12 Depth=1
	s_and_b32 vcc_lo, exec_lo, s23
	s_cbranch_vccz .LBB171_355
; %bb.342:                              ;   in Loop: Header=BB171_12 Depth=1
	s_mov_b32 s60, s59
	s_cmp_lg_u64 s[60:61], 0
	s_cbranch_scc0 .LBB171_383
; %bb.343:                              ;   in Loop: Header=BB171_12 Depth=1
	v_cvt_f32_u32_e32 v6, s49
	s_sub_u32 s20, 0, s49
	s_subb_u32 s21, 0, 0
	v_fmac_f32_e64 v6, 0x4f800000, 0
	v_rcp_f32_e32 v6, v6
	v_mul_f32_e32 v6, 0x5f7ffffc, v6
	v_mul_f32_e32 v7, 0x2f800000, v6
	v_trunc_f32_e32 v7, v7
	v_fmac_f32_e32 v6, 0xcf800000, v7
	v_cvt_u32_f32_e32 v7, v7
	v_cvt_u32_f32_e32 v6, v6
	v_readfirstlane_b32 s18, v7
	v_readfirstlane_b32 s19, v6
	s_mul_i32 s23, s20, s18
	s_mul_hi_u32 s54, s20, s19
	s_mul_i32 s25, s21, s19
	s_add_i32 s23, s54, s23
	s_mul_i32 s55, s20, s19
	s_add_i32 s23, s23, s25
	s_mul_hi_u32 s54, s19, s55
	s_mul_i32 s60, s19, s23
	s_mul_hi_u32 s58, s18, s55
	s_mul_i32 s25, s18, s55
	s_mul_hi_u32 s55, s19, s23
	s_add_u32 s54, s54, s60
	s_addc_u32 s55, 0, s55
	s_mul_hi_u32 s64, s18, s23
	s_add_u32 s25, s54, s25
	s_mul_i32 s23, s18, s23
	s_addc_u32 s25, s55, s58
	s_addc_u32 s54, s64, 0
	s_add_u32 s23, s25, s23
	s_addc_u32 s25, 0, s54
	s_add_u32 s19, s19, s23
	s_cselect_b32 s23, -1, 0
	s_mul_hi_u32 s54, s20, s19
	s_cmp_lg_u32 s23, 0
	s_mul_i32 s23, s20, s19
	s_addc_u32 s18, s18, s25
	s_mul_i32 s21, s21, s19
	s_mul_i32 s20, s20, s18
	s_mul_hi_u32 s25, s19, s23
	s_add_i32 s20, s54, s20
	s_mul_hi_u32 s54, s18, s23
	s_add_i32 s20, s20, s21
	s_mul_i32 s21, s18, s23
	s_mul_i32 s58, s19, s20
	s_mul_hi_u32 s55, s19, s20
	s_add_u32 s25, s25, s58
	s_addc_u32 s55, 0, s55
	s_mul_hi_u32 s23, s18, s20
	s_add_u32 s21, s25, s21
	s_mul_i32 s20, s18, s20
	s_addc_u32 s21, s55, s54
	s_addc_u32 s23, s23, 0
	s_add_u32 s20, s21, s20
	s_addc_u32 s21, 0, s23
	s_add_u32 s19, s19, s20
	s_cselect_b32 s20, -1, 0
	s_mul_hi_u32 s23, s84, s19
	s_cmp_lg_u32 s20, 0
	s_mul_hi_u32 s20, s61, s19
	s_addc_u32 s18, s18, s21
	s_mul_i32 s19, s61, s19
	s_mul_i32 s25, s84, s18
	s_mul_hi_u32 s21, s84, s18
	s_add_u32 s23, s23, s25
	s_addc_u32 s21, 0, s21
	s_mul_hi_u32 s54, s61, s18
	s_add_u32 s19, s23, s19
	s_mul_i32 s18, s61, s18
	s_addc_u32 s19, s21, s20
	s_addc_u32 s20, s54, 0
	s_add_u32 s18, s19, s18
	s_addc_u32 s19, 0, s20
	s_mul_hi_u32 s20, s49, s18
	s_mul_i32 s19, s49, s19
	s_mul_i32 s18, s49, s18
	s_add_i32 s20, s20, s19
	s_sub_u32 s18, s84, s18
	s_cselect_b32 s19, -1, 0
	s_cmp_lg_u32 s19, 0
	s_subb_u32 s19, s61, s20
	s_sub_u32 s20, s18, s49
	s_cselect_b32 s21, -1, 0
	s_cmp_lg_u32 s21, 0
	s_subb_u32 s21, s19, 0
	;; [unrolled: 4-line block ×3, first 2 shown]
	s_cmp_ge_u32 s20, s49
	s_cselect_b32 s54, -1, 0
	s_cmp_eq_u32 s21, 0
	s_cselect_b32 s54, s54, -1
	s_cmp_lg_u32 s54, 0
	s_cselect_b32 s21, s25, s21
	s_cselect_b32 s20, s23, s20
	s_cmp_ge_u32 s18, s49
	s_cselect_b32 s23, -1, 0
	s_cmp_eq_u32 s19, 0
	s_cselect_b32 s23, s23, -1
	s_cmp_lg_u32 s23, 0
	s_cselect_b32 s19, s21, s19
	s_cselect_b32 s18, s20, s18
	s_cbranch_execnz .LBB171_345
.LBB171_344:                            ;   in Loop: Header=BB171_12 Depth=1
	v_cvt_f32_u32_e32 v6, s49
	s_sub_i32 s19, 0, s49
	v_rcp_iflag_f32_e32 v6, v6
	v_mul_f32_e32 v6, 0x4f7ffffe, v6
	v_cvt_u32_f32_e32 v6, v6
	v_readfirstlane_b32 s18, v6
	s_mul_i32 s19, s19, s18
	s_mul_hi_u32 s19, s18, s19
	s_add_i32 s18, s18, s19
	s_mul_hi_u32 s18, s84, s18
	s_mul_i32 s18, s18, s49
	s_sub_i32 s18, s84, s18
	s_sub_i32 s19, s18, s49
	s_cmp_ge_u32 s18, s49
	s_cselect_b32 s18, s19, s18
	s_sub_i32 s19, s18, s49
	s_cmp_ge_u32 s18, s49
	s_cselect_b32 s58, s19, s18
	s_mov_b64 s[18:19], s[58:59]
.LBB171_345:                            ;   in Loop: Header=BB171_12 Depth=1
	s_sub_u32 s18, s84, s18
	s_subb_u32 s19, s61, s19
	s_mov_b32 s20, exec_lo
                                        ; implicit-def: $vgpr33
	v_cmpx_gt_u64_e64 s[18:19], v[0:1]
	s_cbranch_execz .LBB171_354
; %bb.346:                              ;   in Loop: Header=BB171_12 Depth=1
	v_mov_b32_e32 v7, v1
	v_mov_b32_e32 v6, v0
	s_mov_b32 s21, 0
                                        ; implicit-def: $sgpr23
	s_branch .LBB171_349
.LBB171_347:                            ;   in Loop: Header=BB171_349 Depth=2
	s_or_b32 exec_lo, exec_lo, s25
	s_waitcnt lgkmcnt(0)
	s_barrier
	buffer_gl0_inv
	ds_read_b32 v8, v3 offset:3072
	s_mov_b32 s54, -1
	s_waitcnt lgkmcnt(0)
	s_barrier
	buffer_gl0_inv
	v_cmp_eq_u32_sdwa s25, v8, v3 src0_sel:WORD_0 src1_sel:DWORD
	s_and_b32 vcc_lo, exec_lo, s25
	s_mov_b32 s25, -1
	s_cbranch_vccnz .LBB171_352
.LBB171_348:                            ;   in Loop: Header=BB171_349 Depth=2
	s_and_b32 s44, exec_lo, s54
	s_or_b32 s21, s44, s21
	s_andn2_b32 s23, s23, exec_lo
	s_and_b32 s25, s25, exec_lo
	s_or_b32 s23, s23, s25
	s_andn2_b32 exec_lo, exec_lo, s21
	s_cbranch_execz .LBB171_353
.LBB171_349:                            ;   Parent Loop BB171_12 Depth=1
                                        ; =>  This Inner Loop Header: Depth=2
	s_mov_b32 s25, exec_lo
	v_cmpx_gt_u64_e64 s[36:37], v[6:7]
	s_cbranch_execz .LBB171_347
; %bb.350:                              ;   in Loop: Header=BB171_349 Depth=2
	v_mul_lo_u32 v10, v7, s30
	v_mul_lo_u32 v11, v6, s31
	v_mad_u64_u32 v[8:9], null, v6, s30, 0
	v_add3_u32 v9, v9, v11, v10
	v_lshlrev_b64 v[8:9], 1, v[8:9]
	v_add_co_u32 v8, vcc_lo, s33, v8
	v_add_co_ci_u32_e64 v9, null, s35, v9, vcc_lo
	global_load_ushort v8, v[8:9], off
	s_waitcnt vmcnt(0)
	v_add_nc_u32_sdwa v9, sext(v8), v31 dst_sel:DWORD dst_unused:UNUSED_PAD src0_sel:WORD_0 src1_sel:DWORD
	v_and_b32_e32 v9, v9, v32
	v_cmp_eq_u32_e32 vcc_lo, v9, v28
	s_and_b32 exec_lo, exec_lo, vcc_lo
	s_cbranch_execz .LBB171_347
; %bb.351:                              ;   in Loop: Header=BB171_349 Depth=2
	v_perm_b32 v8, v8, 1, 0x5040100
	ds_write_b32 v3, v8 offset:3072
	s_branch .LBB171_347
.LBB171_352:                            ;   in Loop: Header=BB171_349 Depth=2
	v_add_co_u32 v6, vcc_lo, v6, s49
	v_add_co_ci_u32_e64 v7, null, 0, v7, vcc_lo
	s_mov_b32 s25, 0
	v_cmp_le_u64_e32 vcc_lo, s[18:19], v[6:7]
	s_orn2_b32 s54, vcc_lo, exec_lo
	s_branch .LBB171_348
.LBB171_353:                            ;   in Loop: Header=BB171_12 Depth=1
	s_or_b32 exec_lo, exec_lo, s21
	v_lshrrev_b32_e32 v33, 16, v8
	s_andn2_b32 s18, s22, exec_lo
	s_and_b32 s19, s23, exec_lo
	s_or_b32 s22, s18, s19
.LBB171_354:                            ;   in Loop: Header=BB171_12 Depth=1
	s_or_b32 exec_lo, exec_lo, s20
	s_mov_b32 s25, 0
	s_mov_b32 s64, -1
.LBB171_355:                            ;   in Loop: Header=BB171_12 Depth=1
	s_orn2_b32 s18, s22, exec_lo
.LBB171_356:                            ;   in Loop: Header=BB171_12 Depth=1
	s_or_b32 exec_lo, exec_lo, s66
	s_mov_b32 s19, 0
	s_and_saveexec_b32 s22, s18
	s_cbranch_execz .LBB171_465
; %bb.357:                              ;   in Loop: Header=BB171_12 Depth=1
	v_mov_b32_e32 v6, 1
	v_mov_b32_e32 v7, 0
	;; [unrolled: 1-line block ×3, first 2 shown]
	s_xor_b32 s20, s65, -1
	s_and_saveexec_b32 s18, s20
	s_cbranch_execz .LBB171_366
; %bb.358:                              ;   in Loop: Header=BB171_12 Depth=1
	s_mov_b32 s19, exec_lo
	v_cmpx_ge_u64_e64 s[16:17], v[4:5]
	s_xor_b32 s19, exec_lo, s19
	s_cbranch_execz .LBB171_363
; %bb.359:                              ;   in Loop: Header=BB171_12 Depth=1
	ds_read_b64 v[6:7], v3 offset:5120
	s_lshl_b32 s20, 2, s97
	v_or_b32_e32 v32, s11, v32
	v_and_or_b32 v28, v28, s26, s20
	s_waitcnt lgkmcnt(0)
	v_cmp_ne_u64_e32 vcc_lo, 0, v[6:7]
	s_cbranch_vccnz .LBB171_363
; %bb.360:                              ;   in Loop: Header=BB171_12 Depth=1
	s_and_saveexec_b32 s20, s3
; %bb.361:                              ;   in Loop: Header=BB171_12 Depth=1
	v_mov_b32_e32 v6, s16
	v_mov_b32_e32 v7, s17
	ds_write_b64 v3, v[6:7] offset:5128
; %bb.362:                              ;   in Loop: Header=BB171_12 Depth=1
	s_or_b32 exec_lo, exec_lo, s20
	s_waitcnt lgkmcnt(0)
	s_barrier
	buffer_gl0_inv
.LBB171_363:                            ;   in Loop: Header=BB171_12 Depth=1
	s_or_saveexec_b32 s19, s19
	v_mov_b32_e32 v2, 5
	s_mov_b32 s20, 0
	s_xor_b32 exec_lo, exec_lo, s19
; %bb.364:                              ;   in Loop: Header=BB171_12 Depth=1
	v_sub_co_u32 v4, vcc_lo, v4, s16
	v_subrev_co_ci_u32_e64 v5, null, s17, v5, vcc_lo
	v_mov_b32_e32 v2, 0
	s_mov_b32 s20, exec_lo
; %bb.365:                              ;   in Loop: Header=BB171_12 Depth=1
	s_or_b32 exec_lo, exec_lo, s19
	v_mov_b32_e32 v7, v5
	v_mov_b32_e32 v6, v4
	s_and_b32 s19, s20, exec_lo
.LBB171_366:                            ;   in Loop: Header=BB171_12 Depth=1
	s_or_b32 exec_lo, exec_lo, s18
	s_mov_b32 s16, -1
                                        ; implicit-def: $sgpr65
                                        ; implicit-def: $sgpr66
	s_and_saveexec_b32 s23, s19
	s_cbranch_execz .LBB171_464
; %bb.367:                              ;   in Loop: Header=BB171_12 Depth=1
	v_cmp_eq_u64_e32 vcc_lo, 1, v[6:7]
	s_cmp_eq_u64 s[14:15], 1
                                        ; implicit-def: $sgpr66
                                        ; implicit-def: $sgpr65
	s_cselect_b32 s16, -1, 0
	s_and_b32 s67, s16, vcc_lo
	s_mov_b32 s16, -1
	s_and_saveexec_b32 s68, s67
	s_cbranch_execz .LBB171_401
; %bb.368:                              ;   in Loop: Header=BB171_12 Depth=1
	ds_read_b64 v[4:5], v3 offset:5120
	s_waitcnt lgkmcnt(0)
	s_barrier
	buffer_gl0_inv
	v_readfirstlane_b32 s16, v4
	v_readfirstlane_b32 s17, v5
	s_and_saveexec_b32 s18, s10
; %bb.369:                              ;   in Loop: Header=BB171_12 Depth=1
	ds_write_b16 v26, v3
; %bb.370:                              ;   in Loop: Header=BB171_12 Depth=1
	s_or_b32 exec_lo, exec_lo, s18
	s_lshl_b32 s18, 1, s97
	v_or_b32_e32 v32, s11, v32
	v_and_or_b32 v28, v28, s26, s18
	s_mov_b32 s65, -1
	s_mov_b32 s66, 0
	s_cmp_eq_u64 s[16:17], 0
	s_mov_b32 s20, 0
	s_mov_b32 s21, -1
	s_waitcnt lgkmcnt(0)
	s_barrier
	buffer_gl0_inv
                                        ; implicit-def: $vgpr33
	s_cbranch_scc1 .LBB171_386
; %bb.371:                              ;   in Loop: Header=BB171_12 Depth=1
	s_add_u32 s60, s16, s82
	s_addc_u32 s19, s17, s83
	s_mov_b32 s18, s59
	s_cmp_lg_u64 s[18:19], 0
	s_cbranch_scc0 .LBB171_418
; %bb.372:                              ;   in Loop: Header=BB171_12 Depth=1
	v_cvt_f32_u32_e32 v4, s49
	s_sub_u32 s21, 0, s49
	s_subb_u32 s54, 0, 0
	v_fmac_f32_e64 v4, 0x4f800000, 0
	v_rcp_f32_e32 v4, v4
	v_mul_f32_e32 v4, 0x5f7ffffc, v4
	v_mul_f32_e32 v5, 0x2f800000, v4
	v_trunc_f32_e32 v5, v5
	v_fmac_f32_e32 v4, 0xcf800000, v5
	v_cvt_u32_f32_e32 v5, v5
	v_cvt_u32_f32_e32 v4, v4
	v_readfirstlane_b32 s18, v5
	v_readfirstlane_b32 s20, v4
	s_mul_i32 s55, s21, s18
	s_mul_hi_u32 s69, s21, s20
	s_mul_i32 s58, s54, s20
	s_add_i32 s55, s69, s55
	s_mul_i32 s70, s21, s20
	s_add_i32 s55, s55, s58
	s_mul_hi_u32 s69, s20, s70
	s_mul_i32 s72, s20, s55
	s_mul_hi_u32 s71, s18, s70
	s_mul_i32 s58, s18, s70
	s_mul_hi_u32 s70, s20, s55
	s_add_u32 s69, s69, s72
	s_addc_u32 s70, 0, s70
	s_mul_hi_u32 s73, s18, s55
	s_add_u32 s58, s69, s58
	s_mul_i32 s55, s18, s55
	s_addc_u32 s58, s70, s71
	s_addc_u32 s69, s73, 0
	s_add_u32 s55, s58, s55
	s_addc_u32 s58, 0, s69
	s_add_u32 s20, s20, s55
	s_cselect_b32 s55, -1, 0
	s_mul_hi_u32 s69, s21, s20
	s_cmp_lg_u32 s55, 0
	s_mul_i32 s55, s21, s20
	s_addc_u32 s18, s18, s58
	s_mul_i32 s54, s54, s20
	s_mul_i32 s21, s21, s18
	s_mul_hi_u32 s58, s20, s55
	s_add_i32 s21, s69, s21
	s_mul_hi_u32 s69, s18, s55
	s_add_i32 s21, s21, s54
	s_mul_i32 s54, s18, s55
	s_mul_i32 s71, s20, s21
	s_mul_hi_u32 s70, s20, s21
	s_add_u32 s58, s58, s71
	s_addc_u32 s70, 0, s70
	s_mul_hi_u32 s55, s18, s21
	s_add_u32 s54, s58, s54
	s_mul_i32 s21, s18, s21
	s_addc_u32 s54, s70, s69
	s_addc_u32 s55, s55, 0
	s_add_u32 s21, s54, s21
	s_addc_u32 s54, 0, s55
	s_add_u32 s20, s20, s21
	s_cselect_b32 s21, -1, 0
	s_mul_hi_u32 s55, s60, s20
	s_cmp_lg_u32 s21, 0
	s_mul_hi_u32 s21, s19, s20
	s_addc_u32 s18, s18, s54
	s_mul_i32 s20, s19, s20
	s_mul_i32 s58, s60, s18
	s_mul_hi_u32 s54, s60, s18
	s_add_u32 s55, s55, s58
	s_addc_u32 s54, 0, s54
	s_mul_hi_u32 s69, s19, s18
	s_add_u32 s20, s55, s20
	s_mul_i32 s18, s19, s18
	s_addc_u32 s20, s54, s21
	s_addc_u32 s21, s69, 0
	s_add_u32 s18, s20, s18
	s_addc_u32 s20, 0, s21
	s_mul_hi_u32 s21, s49, s18
	s_mul_i32 s20, s49, s20
	s_mul_i32 s18, s49, s18
	s_add_i32 s21, s21, s20
	s_sub_u32 s18, s60, s18
	s_cselect_b32 s20, -1, 0
	s_cmp_lg_u32 s20, 0
	s_subb_u32 s20, s19, s21
	s_sub_u32 s21, s18, s49
	s_cselect_b32 s54, -1, 0
	s_cmp_lg_u32 s54, 0
	s_subb_u32 s54, s20, 0
	;; [unrolled: 4-line block ×3, first 2 shown]
	s_cmp_ge_u32 s21, s49
	s_cselect_b32 s69, -1, 0
	s_cmp_eq_u32 s54, 0
	s_cselect_b32 s69, s69, -1
	s_cmp_lg_u32 s69, 0
	s_cselect_b32 s54, s58, s54
	s_cselect_b32 s55, s55, s21
	s_cmp_ge_u32 s18, s49
	s_cselect_b32 s21, -1, 0
	s_cmp_eq_u32 s20, 0
	s_cselect_b32 s21, s21, -1
	s_cmp_lg_u32 s21, 0
	s_cselect_b32 s21, s54, s20
	s_cselect_b32 s20, s55, s18
	s_cbranch_execnz .LBB171_374
.LBB171_373:                            ;   in Loop: Header=BB171_12 Depth=1
	v_cvt_f32_u32_e32 v4, s49
	s_sub_i32 s20, 0, s49
	v_rcp_iflag_f32_e32 v4, v4
	v_mul_f32_e32 v4, 0x4f7ffffe, v4
	v_cvt_u32_f32_e32 v4, v4
	v_readfirstlane_b32 s18, v4
	s_mul_i32 s20, s20, s18
	s_mul_hi_u32 s20, s18, s20
	s_add_i32 s18, s18, s20
	s_mul_hi_u32 s18, s60, s18
	s_mul_i32 s18, s18, s49
	s_sub_i32 s18, s60, s18
	s_sub_i32 s20, s18, s49
	s_cmp_ge_u32 s18, s49
	s_cselect_b32 s18, s20, s18
	s_sub_i32 s20, s18, s49
	s_cmp_ge_u32 s18, s49
	s_cselect_b32 s58, s20, s18
	s_mov_b64 s[20:21], s[58:59]
.LBB171_374:                            ;   in Loop: Header=BB171_12 Depth=1
	s_sub_u32 s18, s60, s20
	s_subb_u32 s19, s19, s21
	s_mov_b32 s21, 0
	s_mov_b32 s20, 0
	s_mov_b32 s58, exec_lo
                                        ; implicit-def: $vgpr33
	v_cmpx_gt_u64_e64 s[18:19], v[0:1]
	s_cbranch_execz .LBB171_385
; %bb.375:                              ;   in Loop: Header=BB171_12 Depth=1
	v_mov_b32_e32 v5, v1
	v_mov_b32_e32 v8, v25
	;; [unrolled: 1-line block ×3, first 2 shown]
                                        ; implicit-def: $sgpr60
	s_inst_prefetch 0x1
	s_branch .LBB171_378
	.p2align	6
.LBB171_376:                            ;   in Loop: Header=BB171_378 Depth=2
	s_or_b32 exec_lo, exec_lo, s69
	s_waitcnt lgkmcnt(0)
	s_barrier
	buffer_gl0_inv
	ds_read_b32 v9, v3 offset:3072
	s_mov_b32 s54, -1
	s_waitcnt lgkmcnt(0)
	s_barrier
	buffer_gl0_inv
	v_cmp_ne_u32_sdwa s55, v9, v3 src0_sel:WORD_0 src1_sel:DWORD
	s_and_b32 vcc_lo, exec_lo, s55
	s_mov_b32 s55, -1
	s_cbranch_vccz .LBB171_381
.LBB171_377:                            ;   in Loop: Header=BB171_378 Depth=2
	s_and_b32 s44, exec_lo, s54
	s_or_b32 s20, s44, s20
	s_andn2_b32 s44, s60, exec_lo
	s_and_b32 s45, s55, exec_lo
	s_or_b32 s60, s44, s45
	s_andn2_b32 exec_lo, exec_lo, s20
	s_cbranch_execz .LBB171_384
.LBB171_378:                            ;   Parent Loop BB171_12 Depth=1
                                        ; =>  This Inner Loop Header: Depth=2
	s_mov_b32 s69, exec_lo
	v_cmpx_gt_u64_e64 s[16:17], v[4:5]
	s_cbranch_execz .LBB171_376
; %bb.379:                              ;   in Loop: Header=BB171_378 Depth=2
	ds_read_u16 v9, v8
	s_waitcnt lgkmcnt(0)
	v_add_nc_u32_sdwa v10, sext(v9), v31 dst_sel:DWORD dst_unused:UNUSED_PAD src0_sel:WORD_0 src1_sel:DWORD
	v_and_b32_e32 v10, v10, v32
	v_cmp_eq_u32_e32 vcc_lo, v10, v28
	s_and_b32 exec_lo, exec_lo, vcc_lo
	s_cbranch_execz .LBB171_376
; %bb.380:                              ;   in Loop: Header=BB171_378 Depth=2
	v_perm_b32 v9, v9, 1, 0x5040100
	ds_write_b32 v3, v9 offset:3072
	s_branch .LBB171_376
.LBB171_381:                            ;   in Loop: Header=BB171_378 Depth=2
	v_add_co_u32 v4, vcc_lo, v4, s49
	v_add_co_ci_u32_e64 v5, null, 0, v5, vcc_lo
	v_add_nc_u32_e32 v8, s90, v8
	s_mov_b32 s55, 0
	v_cmp_le_u64_e32 vcc_lo, s[18:19], v[4:5]
	s_orn2_b32 s54, vcc_lo, exec_lo
	s_branch .LBB171_377
.LBB171_382:                            ;   in Loop: Header=BB171_12 Depth=1
                                        ; implicit-def: $sgpr22_sgpr23
	s_branch .LBB171_328
.LBB171_383:                            ;   in Loop: Header=BB171_12 Depth=1
                                        ; implicit-def: $sgpr18_sgpr19
	s_branch .LBB171_344
.LBB171_384:                            ;   in Loop: Header=BB171_12 Depth=1
	s_inst_prefetch 0x2
	s_or_b32 exec_lo, exec_lo, s20
	v_lshrrev_b32_e32 v33, 16, v9
	s_and_b32 s20, s60, exec_lo
.LBB171_385:                            ;   in Loop: Header=BB171_12 Depth=1
	s_or_b32 exec_lo, exec_lo, s58
.LBB171_386:                            ;   in Loop: Header=BB171_12 Depth=1
	s_and_b32 vcc_lo, exec_lo, s21
	s_cbranch_vccz .LBB171_400
; %bb.387:                              ;   in Loop: Header=BB171_12 Depth=1
	s_mov_b32 s60, s59
	s_cmp_lg_u64 s[60:61], 0
	s_cbranch_scc0 .LBB171_419
; %bb.388:                              ;   in Loop: Header=BB171_12 Depth=1
	v_cvt_f32_u32_e32 v4, s49
	s_sub_u32 s18, 0, s49
	s_subb_u32 s19, 0, 0
	v_fmac_f32_e64 v4, 0x4f800000, 0
	v_rcp_f32_e32 v4, v4
	v_mul_f32_e32 v4, 0x5f7ffffc, v4
	v_mul_f32_e32 v5, 0x2f800000, v4
	v_trunc_f32_e32 v5, v5
	v_fmac_f32_e32 v4, 0xcf800000, v5
	v_cvt_u32_f32_e32 v5, v5
	v_cvt_u32_f32_e32 v4, v4
	v_readfirstlane_b32 s16, v5
	v_readfirstlane_b32 s17, v4
	s_mul_i32 s21, s18, s16
	s_mul_hi_u32 s55, s18, s17
	s_mul_i32 s54, s19, s17
	s_add_i32 s21, s55, s21
	s_mul_i32 s58, s18, s17
	s_add_i32 s21, s21, s54
	s_mul_hi_u32 s55, s17, s58
	s_mul_i32 s65, s17, s21
	s_mul_hi_u32 s60, s16, s58
	s_mul_i32 s54, s16, s58
	s_mul_hi_u32 s58, s17, s21
	s_add_u32 s55, s55, s65
	s_addc_u32 s58, 0, s58
	s_mul_hi_u32 s66, s16, s21
	s_add_u32 s54, s55, s54
	s_mul_i32 s21, s16, s21
	s_addc_u32 s54, s58, s60
	s_addc_u32 s55, s66, 0
	s_add_u32 s21, s54, s21
	s_addc_u32 s54, 0, s55
	s_add_u32 s17, s17, s21
	s_cselect_b32 s21, -1, 0
	s_mul_hi_u32 s55, s18, s17
	s_cmp_lg_u32 s21, 0
	s_mul_i32 s21, s18, s17
	s_addc_u32 s16, s16, s54
	s_mul_i32 s19, s19, s17
	s_mul_i32 s18, s18, s16
	s_mul_hi_u32 s54, s17, s21
	s_add_i32 s18, s55, s18
	s_mul_hi_u32 s55, s16, s21
	s_add_i32 s18, s18, s19
	s_mul_i32 s19, s16, s21
	s_mul_i32 s60, s17, s18
	s_mul_hi_u32 s58, s17, s18
	s_add_u32 s54, s54, s60
	s_addc_u32 s58, 0, s58
	s_mul_hi_u32 s21, s16, s18
	s_add_u32 s19, s54, s19
	s_mul_i32 s18, s16, s18
	s_addc_u32 s19, s58, s55
	s_addc_u32 s21, s21, 0
	s_add_u32 s18, s19, s18
	s_addc_u32 s19, 0, s21
	s_add_u32 s17, s17, s18
	s_cselect_b32 s18, -1, 0
	s_mul_hi_u32 s21, s84, s17
	s_cmp_lg_u32 s18, 0
	s_mul_hi_u32 s18, s61, s17
	s_addc_u32 s16, s16, s19
	s_mul_i32 s17, s61, s17
	s_mul_i32 s54, s84, s16
	s_mul_hi_u32 s19, s84, s16
	s_add_u32 s21, s21, s54
	s_addc_u32 s19, 0, s19
	s_mul_hi_u32 s55, s61, s16
	s_add_u32 s17, s21, s17
	s_mul_i32 s16, s61, s16
	s_addc_u32 s17, s19, s18
	s_addc_u32 s18, s55, 0
	s_add_u32 s16, s17, s16
	s_addc_u32 s17, 0, s18
	s_mul_hi_u32 s18, s49, s16
	s_mul_i32 s17, s49, s17
	s_mul_i32 s16, s49, s16
	s_add_i32 s18, s18, s17
	s_sub_u32 s16, s84, s16
	s_cselect_b32 s17, -1, 0
	s_cmp_lg_u32 s17, 0
	s_subb_u32 s17, s61, s18
	s_sub_u32 s18, s16, s49
	s_cselect_b32 s19, -1, 0
	s_cmp_lg_u32 s19, 0
	s_subb_u32 s19, s17, 0
	s_sub_u32 s21, s18, s49
	s_cselect_b32 s54, -1, 0
	s_cmp_lg_u32 s54, 0
	s_subb_u32 s54, s19, 0
	s_cmp_ge_u32 s18, s49
	s_cselect_b32 s55, -1, 0
	s_cmp_eq_u32 s19, 0
	s_cselect_b32 s55, s55, -1
	s_cmp_lg_u32 s55, 0
	s_cselect_b32 s19, s54, s19
	s_cselect_b32 s18, s21, s18
	s_cmp_ge_u32 s16, s49
	s_cselect_b32 s21, -1, 0
	s_cmp_eq_u32 s17, 0
	s_cselect_b32 s21, s21, -1
	s_cmp_lg_u32 s21, 0
	s_cselect_b32 s17, s19, s17
	s_cselect_b32 s16, s18, s16
	s_cbranch_execnz .LBB171_390
.LBB171_389:                            ;   in Loop: Header=BB171_12 Depth=1
	v_cvt_f32_u32_e32 v4, s49
	s_sub_i32 s17, 0, s49
	v_rcp_iflag_f32_e32 v4, v4
	v_mul_f32_e32 v4, 0x4f7ffffe, v4
	v_cvt_u32_f32_e32 v4, v4
	v_readfirstlane_b32 s16, v4
	s_mul_i32 s17, s17, s16
	s_mul_hi_u32 s17, s16, s17
	s_add_i32 s16, s16, s17
	s_mul_hi_u32 s16, s84, s16
	s_mul_i32 s16, s16, s49
	s_sub_i32 s16, s84, s16
	s_sub_i32 s17, s16, s49
	s_cmp_ge_u32 s16, s49
	s_cselect_b32 s16, s17, s16
	s_sub_i32 s17, s16, s49
	s_cmp_ge_u32 s16, s49
	s_cselect_b32 s58, s17, s16
	s_mov_b64 s[16:17], s[58:59]
.LBB171_390:                            ;   in Loop: Header=BB171_12 Depth=1
	s_sub_u32 s16, s84, s16
	s_subb_u32 s17, s61, s17
	s_mov_b32 s18, exec_lo
                                        ; implicit-def: $vgpr33
	v_cmpx_gt_u64_e64 s[16:17], v[0:1]
	s_cbranch_execz .LBB171_399
; %bb.391:                              ;   in Loop: Header=BB171_12 Depth=1
	v_mov_b32_e32 v5, v1
	v_mov_b32_e32 v4, v0
	s_mov_b32 s19, 0
                                        ; implicit-def: $sgpr21
	s_branch .LBB171_394
.LBB171_392:                            ;   in Loop: Header=BB171_394 Depth=2
	s_or_b32 exec_lo, exec_lo, s58
	s_waitcnt lgkmcnt(0)
	s_barrier
	buffer_gl0_inv
	ds_read_b32 v8, v3 offset:3072
	s_mov_b32 s55, -1
	s_waitcnt lgkmcnt(0)
	s_barrier
	buffer_gl0_inv
	v_cmp_eq_u32_sdwa s54, v8, v3 src0_sel:WORD_0 src1_sel:DWORD
	s_and_b32 vcc_lo, exec_lo, s54
	s_mov_b32 s54, -1
	s_cbranch_vccnz .LBB171_397
.LBB171_393:                            ;   in Loop: Header=BB171_394 Depth=2
	s_and_b32 s44, exec_lo, s55
	s_or_b32 s19, s44, s19
	s_andn2_b32 s21, s21, exec_lo
	s_and_b32 s44, s54, exec_lo
	s_or_b32 s21, s21, s44
	s_andn2_b32 exec_lo, exec_lo, s19
	s_cbranch_execz .LBB171_398
.LBB171_394:                            ;   Parent Loop BB171_12 Depth=1
                                        ; =>  This Inner Loop Header: Depth=2
	s_mov_b32 s58, exec_lo
	v_cmpx_gt_u64_e64 s[36:37], v[4:5]
	s_cbranch_execz .LBB171_392
; %bb.395:                              ;   in Loop: Header=BB171_394 Depth=2
	v_mul_lo_u32 v10, v5, s30
	v_mul_lo_u32 v11, v4, s31
	v_mad_u64_u32 v[8:9], null, v4, s30, 0
	v_add3_u32 v9, v9, v11, v10
	v_lshlrev_b64 v[8:9], 1, v[8:9]
	v_add_co_u32 v8, vcc_lo, s33, v8
	v_add_co_ci_u32_e64 v9, null, s35, v9, vcc_lo
	global_load_ushort v8, v[8:9], off
	s_waitcnt vmcnt(0)
	v_add_nc_u32_sdwa v9, sext(v8), v31 dst_sel:DWORD dst_unused:UNUSED_PAD src0_sel:WORD_0 src1_sel:DWORD
	v_and_b32_e32 v9, v9, v32
	v_cmp_eq_u32_e32 vcc_lo, v9, v28
	s_and_b32 exec_lo, exec_lo, vcc_lo
	s_cbranch_execz .LBB171_392
; %bb.396:                              ;   in Loop: Header=BB171_394 Depth=2
	v_perm_b32 v8, v8, 1, 0x5040100
	ds_write_b32 v3, v8 offset:3072
	s_branch .LBB171_392
.LBB171_397:                            ;   in Loop: Header=BB171_394 Depth=2
	v_add_co_u32 v4, vcc_lo, v4, s49
	v_add_co_ci_u32_e64 v5, null, 0, v5, vcc_lo
	s_mov_b32 s54, 0
	v_cmp_le_u64_e32 vcc_lo, s[16:17], v[4:5]
	s_orn2_b32 s55, vcc_lo, exec_lo
	s_branch .LBB171_393
.LBB171_398:                            ;   in Loop: Header=BB171_12 Depth=1
	s_or_b32 exec_lo, exec_lo, s19
	v_lshrrev_b32_e32 v33, 16, v8
	s_andn2_b32 s16, s20, exec_lo
	s_and_b32 s17, s21, exec_lo
	s_or_b32 s20, s16, s17
.LBB171_399:                            ;   in Loop: Header=BB171_12 Depth=1
	s_or_b32 exec_lo, exec_lo, s18
	s_mov_b32 s65, 0
	s_mov_b32 s66, -1
.LBB171_400:                            ;   in Loop: Header=BB171_12 Depth=1
	s_orn2_b32 s16, s20, exec_lo
.LBB171_401:                            ;   in Loop: Header=BB171_12 Depth=1
	s_or_b32 exec_lo, exec_lo, s68
	s_mov_b32 s17, 0
	s_and_saveexec_b32 s20, s16
	s_cbranch_execz .LBB171_463
; %bb.402:                              ;   in Loop: Header=BB171_12 Depth=1
	v_mov_b32_e32 v4, 1
	v_mov_b32_e32 v5, 0
	;; [unrolled: 1-line block ×3, first 2 shown]
	s_xor_b32 s18, s67, -1
	s_and_saveexec_b32 s16, s18
	s_cbranch_execz .LBB171_411
; %bb.403:                              ;   in Loop: Header=BB171_12 Depth=1
	s_mov_b32 s17, exec_lo
	v_cmpx_ge_u64_e64 s[14:15], v[6:7]
	s_xor_b32 s17, exec_lo, s17
	s_cbranch_execz .LBB171_408
; %bb.404:                              ;   in Loop: Header=BB171_12 Depth=1
	ds_read_b64 v[4:5], v3 offset:5120
	s_lshl_b32 s18, 1, s97
	v_or_b32_e32 v32, s11, v32
	v_and_or_b32 v28, v28, s26, s18
	s_waitcnt lgkmcnt(0)
	v_cmp_ne_u64_e32 vcc_lo, 0, v[4:5]
	s_cbranch_vccnz .LBB171_408
; %bb.405:                              ;   in Loop: Header=BB171_12 Depth=1
	s_and_saveexec_b32 s18, s3
; %bb.406:                              ;   in Loop: Header=BB171_12 Depth=1
	v_mov_b32_e32 v4, s14
	v_mov_b32_e32 v5, s15
	ds_write_b64 v3, v[4:5] offset:5128
; %bb.407:                              ;   in Loop: Header=BB171_12 Depth=1
	s_or_b32 exec_lo, exec_lo, s18
	s_waitcnt lgkmcnt(0)
	s_barrier
	buffer_gl0_inv
.LBB171_408:                            ;   in Loop: Header=BB171_12 Depth=1
	s_or_saveexec_b32 s17, s17
	v_mov_b32_e32 v2, 5
	s_mov_b32 s18, 0
	s_xor_b32 exec_lo, exec_lo, s17
; %bb.409:                              ;   in Loop: Header=BB171_12 Depth=1
	v_sub_co_u32 v6, vcc_lo, v6, s14
	v_subrev_co_ci_u32_e64 v7, null, s15, v7, vcc_lo
	v_mov_b32_e32 v2, 0
	s_mov_b32 s18, exec_lo
; %bb.410:                              ;   in Loop: Header=BB171_12 Depth=1
	s_or_b32 exec_lo, exec_lo, s17
	v_mov_b32_e32 v4, v6
	v_mov_b32_e32 v5, v7
	s_and_b32 s17, s18, exec_lo
.LBB171_411:                            ;   in Loop: Header=BB171_12 Depth=1
	s_or_b32 exec_lo, exec_lo, s16
	s_mov_b32 s14, -1
                                        ; implicit-def: $sgpr69
                                        ; implicit-def: $sgpr60
	s_and_saveexec_b32 s21, s17
	s_cbranch_execz .LBB171_462
; %bb.412:                              ;   in Loop: Header=BB171_12 Depth=1
	v_cmp_eq_u64_e32 vcc_lo, 1, v[4:5]
	s_cmp_eq_u64 s[12:13], 1
	s_mov_b32 s15, -1
	s_cselect_b32 s14, -1, 0
                                        ; implicit-def: $sgpr69
                                        ; implicit-def: $sgpr60
	s_and_b32 s67, s14, vcc_lo
	s_and_saveexec_b32 s68, s67
	s_cbranch_execz .LBB171_450
; %bb.413:                              ;   in Loop: Header=BB171_12 Depth=1
	ds_read_b64 v[6:7], v3 offset:5120
	s_waitcnt lgkmcnt(0)
	s_barrier
	buffer_gl0_inv
	v_readfirstlane_b32 s14, v6
	v_readfirstlane_b32 s15, v7
	s_and_saveexec_b32 s16, s10
; %bb.414:                              ;   in Loop: Header=BB171_12 Depth=1
	ds_write_b16 v26, v3
; %bb.415:                              ;   in Loop: Header=BB171_12 Depth=1
	s_or_b32 exec_lo, exec_lo, s16
	v_and_b32_e32 v28, s26, v28
	v_or_b32_e32 v32, s11, v32
	s_mov_b32 s60, -1
	s_mov_b32 s69, 0
	s_cmp_eq_u64 s[14:15], 0
	s_mov_b32 s18, 0
	s_mov_b32 s19, -1
	s_waitcnt lgkmcnt(0)
	s_barrier
	buffer_gl0_inv
                                        ; implicit-def: $vgpr33
	s_cbranch_scc1 .LBB171_433
; %bb.416:                              ;   in Loop: Header=BB171_12 Depth=1
	s_add_u32 s70, s14, s82
	s_addc_u32 s17, s15, s83
	s_mov_b32 s16, s59
	s_cmp_lg_u64 s[16:17], 0
	s_cbranch_scc0 .LBB171_420
; %bb.417:                              ;   in Loop: Header=BB171_12 Depth=1
	v_cvt_f32_u32_e32 v6, s49
	s_sub_u32 s19, 0, s49
	s_subb_u32 s54, 0, 0
	v_fmac_f32_e64 v6, 0x4f800000, 0
	v_rcp_f32_e32 v6, v6
	v_mul_f32_e32 v6, 0x5f7ffffc, v6
	v_mul_f32_e32 v7, 0x2f800000, v6
	v_trunc_f32_e32 v7, v7
	v_fmac_f32_e32 v6, 0xcf800000, v7
	v_cvt_u32_f32_e32 v7, v7
	v_cvt_u32_f32_e32 v6, v6
	v_readfirstlane_b32 s16, v7
	v_readfirstlane_b32 s18, v6
	s_mul_i32 s55, s19, s16
	s_mul_hi_u32 s71, s19, s18
	s_mul_i32 s58, s54, s18
	s_add_i32 s55, s71, s55
	s_mul_i32 s72, s19, s18
	s_add_i32 s55, s55, s58
	s_mul_hi_u32 s71, s18, s72
	s_mul_i32 s74, s18, s55
	s_mul_hi_u32 s73, s16, s72
	s_mul_i32 s58, s16, s72
	s_mul_hi_u32 s72, s18, s55
	s_add_u32 s71, s71, s74
	s_addc_u32 s72, 0, s72
	s_mul_hi_u32 s75, s16, s55
	s_add_u32 s58, s71, s58
	s_mul_i32 s55, s16, s55
	s_addc_u32 s58, s72, s73
	s_addc_u32 s71, s75, 0
	s_add_u32 s55, s58, s55
	s_addc_u32 s58, 0, s71
	s_add_u32 s18, s18, s55
	s_cselect_b32 s55, -1, 0
	s_mul_hi_u32 s71, s19, s18
	s_cmp_lg_u32 s55, 0
	s_mul_i32 s55, s19, s18
	s_addc_u32 s16, s16, s58
	s_mul_i32 s54, s54, s18
	s_mul_i32 s19, s19, s16
	s_mul_hi_u32 s58, s18, s55
	s_add_i32 s19, s71, s19
	s_mul_hi_u32 s71, s16, s55
	s_add_i32 s19, s19, s54
	s_mul_i32 s54, s16, s55
	s_mul_i32 s73, s18, s19
	s_mul_hi_u32 s72, s18, s19
	s_add_u32 s58, s58, s73
	s_addc_u32 s72, 0, s72
	s_mul_hi_u32 s55, s16, s19
	s_add_u32 s54, s58, s54
	s_mul_i32 s19, s16, s19
	s_addc_u32 s54, s72, s71
	s_addc_u32 s55, s55, 0
	s_add_u32 s19, s54, s19
	s_addc_u32 s54, 0, s55
	s_add_u32 s18, s18, s19
	s_cselect_b32 s19, -1, 0
	s_mul_hi_u32 s55, s70, s18
	s_cmp_lg_u32 s19, 0
	s_mul_hi_u32 s19, s17, s18
	s_addc_u32 s16, s16, s54
	s_mul_i32 s18, s17, s18
	s_mul_i32 s58, s70, s16
	s_mul_hi_u32 s54, s70, s16
	s_add_u32 s55, s55, s58
	s_addc_u32 s54, 0, s54
	s_mul_hi_u32 s71, s17, s16
	s_add_u32 s18, s55, s18
	s_mul_i32 s16, s17, s16
	s_addc_u32 s18, s54, s19
	s_addc_u32 s19, s71, 0
	s_add_u32 s16, s18, s16
	s_addc_u32 s18, 0, s19
	s_mul_hi_u32 s19, s49, s16
	s_mul_i32 s18, s49, s18
	s_mul_i32 s16, s49, s16
	s_add_i32 s19, s19, s18
	s_sub_u32 s16, s70, s16
	s_cselect_b32 s18, -1, 0
	s_cmp_lg_u32 s18, 0
	s_subb_u32 s18, s17, s19
	s_sub_u32 s19, s16, s49
	s_cselect_b32 s54, -1, 0
	s_cmp_lg_u32 s54, 0
	s_subb_u32 s54, s18, 0
	;; [unrolled: 4-line block ×3, first 2 shown]
	s_cmp_ge_u32 s19, s49
	s_cselect_b32 s71, -1, 0
	s_cmp_eq_u32 s54, 0
	s_cselect_b32 s71, s71, -1
	s_cmp_lg_u32 s71, 0
	s_cselect_b32 s54, s58, s54
	s_cselect_b32 s55, s55, s19
	s_cmp_ge_u32 s16, s49
	s_cselect_b32 s19, -1, 0
	s_cmp_eq_u32 s18, 0
	s_cselect_b32 s19, s19, -1
	s_cmp_lg_u32 s19, 0
	s_cselect_b32 s19, s54, s18
	s_cselect_b32 s18, s55, s16
	s_mov_b32 s16, 0
	s_branch .LBB171_421
.LBB171_418:                            ;   in Loop: Header=BB171_12 Depth=1
                                        ; implicit-def: $sgpr20_sgpr21
	s_branch .LBB171_373
.LBB171_419:                            ;   in Loop: Header=BB171_12 Depth=1
                                        ; implicit-def: $sgpr16_sgpr17
	s_branch .LBB171_389
.LBB171_420:                            ;   in Loop: Header=BB171_12 Depth=1
	s_mov_b32 s16, -1
                                        ; implicit-def: $sgpr18_sgpr19
.LBB171_421:                            ;   in Loop: Header=BB171_12 Depth=1
	s_andn2_b32 vcc_lo, exec_lo, s16
	s_cbranch_vccnz .LBB171_423
; %bb.422:                              ;   in Loop: Header=BB171_12 Depth=1
	v_cvt_f32_u32_e32 v6, s49
	s_sub_i32 s18, 0, s49
	v_rcp_iflag_f32_e32 v6, v6
	v_mul_f32_e32 v6, 0x4f7ffffe, v6
	v_cvt_u32_f32_e32 v6, v6
	v_readfirstlane_b32 s16, v6
	s_mul_i32 s18, s18, s16
	s_mul_hi_u32 s18, s16, s18
	s_add_i32 s16, s16, s18
	s_mul_hi_u32 s16, s70, s16
	s_mul_i32 s16, s16, s49
	s_sub_i32 s16, s70, s16
	s_sub_i32 s18, s16, s49
	s_cmp_ge_u32 s16, s49
	s_cselect_b32 s16, s18, s16
	s_sub_i32 s18, s16, s49
	s_cmp_ge_u32 s16, s49
	s_cselect_b32 s58, s18, s16
	s_mov_b64 s[18:19], s[58:59]
.LBB171_423:                            ;   in Loop: Header=BB171_12 Depth=1
	s_sub_u32 s16, s70, s18
	s_subb_u32 s17, s17, s19
	s_mov_b32 s19, 0
	s_mov_b32 s18, 0
	s_mov_b32 s58, exec_lo
                                        ; implicit-def: $vgpr33
	v_cmpx_gt_u64_e64 s[16:17], v[0:1]
	s_cbranch_execz .LBB171_432
; %bb.424:                              ;   in Loop: Header=BB171_12 Depth=1
	v_mov_b32_e32 v7, v1
	v_mov_b32_e32 v8, v25
	;; [unrolled: 1-line block ×3, first 2 shown]
                                        ; implicit-def: $sgpr70
	s_inst_prefetch 0x1
	s_branch .LBB171_427
	.p2align	6
.LBB171_425:                            ;   in Loop: Header=BB171_427 Depth=2
	s_or_b32 exec_lo, exec_lo, s71
	s_waitcnt lgkmcnt(0)
	s_barrier
	buffer_gl0_inv
	ds_read_b32 v9, v3 offset:3072
	s_mov_b32 s54, -1
	s_waitcnt lgkmcnt(0)
	s_barrier
	buffer_gl0_inv
	v_cmp_ne_u32_sdwa s55, v9, v3 src0_sel:WORD_0 src1_sel:DWORD
	s_and_b32 vcc_lo, exec_lo, s55
	s_mov_b32 s55, -1
	s_cbranch_vccz .LBB171_430
.LBB171_426:                            ;   in Loop: Header=BB171_427 Depth=2
	s_and_b32 s44, exec_lo, s54
	s_or_b32 s18, s44, s18
	s_andn2_b32 s44, s70, exec_lo
	s_and_b32 s45, s55, exec_lo
	s_or_b32 s70, s44, s45
	s_andn2_b32 exec_lo, exec_lo, s18
	s_cbranch_execz .LBB171_431
.LBB171_427:                            ;   Parent Loop BB171_12 Depth=1
                                        ; =>  This Inner Loop Header: Depth=2
	s_mov_b32 s71, exec_lo
	v_cmpx_gt_u64_e64 s[14:15], v[6:7]
	s_cbranch_execz .LBB171_425
; %bb.428:                              ;   in Loop: Header=BB171_427 Depth=2
	ds_read_u16 v9, v8
	s_waitcnt lgkmcnt(0)
	v_add_nc_u32_sdwa v10, sext(v9), v31 dst_sel:DWORD dst_unused:UNUSED_PAD src0_sel:WORD_0 src1_sel:DWORD
	v_and_b32_e32 v10, v10, v32
	v_cmp_eq_u32_e32 vcc_lo, v10, v28
	s_and_b32 exec_lo, exec_lo, vcc_lo
	s_cbranch_execz .LBB171_425
; %bb.429:                              ;   in Loop: Header=BB171_427 Depth=2
	v_perm_b32 v9, v9, 1, 0x5040100
	ds_write_b32 v3, v9 offset:3072
	s_branch .LBB171_425
.LBB171_430:                            ;   in Loop: Header=BB171_427 Depth=2
	v_add_co_u32 v6, vcc_lo, v6, s49
	v_add_co_ci_u32_e64 v7, null, 0, v7, vcc_lo
	v_add_nc_u32_e32 v8, s90, v8
	s_mov_b32 s55, 0
	v_cmp_le_u64_e32 vcc_lo, s[16:17], v[6:7]
	s_orn2_b32 s54, vcc_lo, exec_lo
	s_branch .LBB171_426
.LBB171_431:                            ;   in Loop: Header=BB171_12 Depth=1
	s_inst_prefetch 0x2
	s_or_b32 exec_lo, exec_lo, s18
	v_lshrrev_b32_e32 v33, 16, v9
	s_and_b32 s18, s70, exec_lo
.LBB171_432:                            ;   in Loop: Header=BB171_12 Depth=1
	s_or_b32 exec_lo, exec_lo, s58
.LBB171_433:                            ;   in Loop: Header=BB171_12 Depth=1
	s_and_b32 vcc_lo, exec_lo, s19
	s_cbranch_vccz .LBB171_449
; %bb.434:                              ;   in Loop: Header=BB171_12 Depth=1
	s_mov_b32 s60, s59
	s_cmp_lg_u64 s[60:61], 0
	s_cbranch_scc0 .LBB171_436
; %bb.435:                              ;   in Loop: Header=BB171_12 Depth=1
	v_cvt_f32_u32_e32 v6, s49
	s_sub_u32 s16, 0, s49
	s_subb_u32 s17, 0, 0
	v_fmac_f32_e64 v6, 0x4f800000, 0
	v_rcp_f32_e32 v6, v6
	v_mul_f32_e32 v6, 0x5f7ffffc, v6
	v_mul_f32_e32 v7, 0x2f800000, v6
	v_trunc_f32_e32 v7, v7
	v_fmac_f32_e32 v6, 0xcf800000, v7
	v_cvt_u32_f32_e32 v7, v7
	v_cvt_u32_f32_e32 v6, v6
	v_readfirstlane_b32 s14, v7
	v_readfirstlane_b32 s15, v6
	s_mul_i32 s19, s16, s14
	s_mul_hi_u32 s55, s16, s15
	s_mul_i32 s54, s17, s15
	s_add_i32 s19, s55, s19
	s_mul_i32 s58, s16, s15
	s_add_i32 s19, s19, s54
	s_mul_hi_u32 s55, s15, s58
	s_mul_i32 s69, s15, s19
	s_mul_hi_u32 s60, s14, s58
	s_mul_i32 s54, s14, s58
	s_mul_hi_u32 s58, s15, s19
	s_add_u32 s55, s55, s69
	s_addc_u32 s58, 0, s58
	s_mul_hi_u32 s70, s14, s19
	s_add_u32 s54, s55, s54
	s_mul_i32 s19, s14, s19
	s_addc_u32 s54, s58, s60
	s_addc_u32 s55, s70, 0
	s_add_u32 s19, s54, s19
	s_addc_u32 s54, 0, s55
	s_add_u32 s15, s15, s19
	s_cselect_b32 s19, -1, 0
	s_mul_hi_u32 s55, s16, s15
	s_cmp_lg_u32 s19, 0
	s_mul_i32 s19, s16, s15
	s_addc_u32 s14, s14, s54
	s_mul_i32 s17, s17, s15
	s_mul_i32 s16, s16, s14
	s_mul_hi_u32 s54, s15, s19
	s_add_i32 s16, s55, s16
	s_mul_hi_u32 s55, s14, s19
	s_add_i32 s16, s16, s17
	s_mul_i32 s17, s14, s19
	s_mul_i32 s60, s15, s16
	s_mul_hi_u32 s58, s15, s16
	s_add_u32 s54, s54, s60
	s_addc_u32 s58, 0, s58
	s_mul_hi_u32 s19, s14, s16
	s_add_u32 s17, s54, s17
	s_mul_i32 s16, s14, s16
	s_addc_u32 s17, s58, s55
	s_addc_u32 s19, s19, 0
	s_add_u32 s16, s17, s16
	s_addc_u32 s17, 0, s19
	s_add_u32 s15, s15, s16
	s_cselect_b32 s16, -1, 0
	s_mul_hi_u32 s19, s84, s15
	s_cmp_lg_u32 s16, 0
	s_mul_hi_u32 s16, s61, s15
	s_addc_u32 s14, s14, s17
	s_mul_i32 s15, s61, s15
	s_mul_i32 s54, s84, s14
	s_mul_hi_u32 s17, s84, s14
	s_add_u32 s19, s19, s54
	s_addc_u32 s17, 0, s17
	s_mul_hi_u32 s55, s61, s14
	s_add_u32 s15, s19, s15
	s_mul_i32 s14, s61, s14
	s_addc_u32 s15, s17, s16
	s_addc_u32 s16, s55, 0
	s_add_u32 s14, s15, s14
	s_addc_u32 s15, 0, s16
	s_mul_hi_u32 s16, s49, s14
	s_mul_i32 s15, s49, s15
	s_mul_i32 s14, s49, s14
	s_add_i32 s16, s16, s15
	s_sub_u32 s14, s84, s14
	s_cselect_b32 s15, -1, 0
	s_cmp_lg_u32 s15, 0
	s_subb_u32 s15, s61, s16
	s_sub_u32 s16, s14, s49
	s_cselect_b32 s17, -1, 0
	s_cmp_lg_u32 s17, 0
	s_subb_u32 s17, s15, 0
	;; [unrolled: 4-line block ×3, first 2 shown]
	s_cmp_ge_u32 s16, s49
	s_cselect_b32 s55, -1, 0
	s_cmp_eq_u32 s17, 0
	s_cselect_b32 s55, s55, -1
	s_cmp_lg_u32 s55, 0
	s_cselect_b32 s17, s54, s17
	s_cselect_b32 s16, s19, s16
	s_cmp_ge_u32 s14, s49
	s_cselect_b32 s19, -1, 0
	s_cmp_eq_u32 s15, 0
	s_cselect_b32 s19, s19, -1
	s_cmp_lg_u32 s19, 0
	s_cselect_b32 s15, s17, s15
	s_cselect_b32 s14, s16, s14
	s_mov_b32 s16, 0
	s_branch .LBB171_437
.LBB171_436:                            ;   in Loop: Header=BB171_12 Depth=1
	s_mov_b32 s16, -1
                                        ; implicit-def: $sgpr14_sgpr15
.LBB171_437:                            ;   in Loop: Header=BB171_12 Depth=1
	s_andn2_b32 vcc_lo, exec_lo, s16
	s_cbranch_vccnz .LBB171_439
; %bb.438:                              ;   in Loop: Header=BB171_12 Depth=1
	v_cvt_f32_u32_e32 v6, s49
	s_sub_i32 s15, 0, s49
	v_rcp_iflag_f32_e32 v6, v6
	v_mul_f32_e32 v6, 0x4f7ffffe, v6
	v_cvt_u32_f32_e32 v6, v6
	v_readfirstlane_b32 s14, v6
	s_mul_i32 s15, s15, s14
	s_mul_hi_u32 s15, s14, s15
	s_add_i32 s14, s14, s15
	s_mul_hi_u32 s14, s84, s14
	s_mul_i32 s14, s14, s49
	s_sub_i32 s14, s84, s14
	s_sub_i32 s15, s14, s49
	s_cmp_ge_u32 s14, s49
	s_cselect_b32 s14, s15, s14
	s_sub_i32 s15, s14, s49
	s_cmp_ge_u32 s14, s49
	s_cselect_b32 s58, s15, s14
	s_mov_b64 s[14:15], s[58:59]
.LBB171_439:                            ;   in Loop: Header=BB171_12 Depth=1
	s_sub_u32 s14, s84, s14
	s_subb_u32 s15, s61, s15
	s_mov_b32 s16, exec_lo
                                        ; implicit-def: $vgpr33
	v_cmpx_gt_u64_e64 s[14:15], v[0:1]
	s_cbranch_execz .LBB171_448
; %bb.440:                              ;   in Loop: Header=BB171_12 Depth=1
	v_mov_b32_e32 v7, v1
	v_mov_b32_e32 v6, v0
	s_mov_b32 s17, 0
                                        ; implicit-def: $sgpr19
	s_branch .LBB171_443
.LBB171_441:                            ;   in Loop: Header=BB171_443 Depth=2
	s_or_b32 exec_lo, exec_lo, s58
	s_waitcnt lgkmcnt(0)
	s_barrier
	buffer_gl0_inv
	ds_read_b32 v8, v3 offset:3072
	s_mov_b32 s55, -1
	s_waitcnt lgkmcnt(0)
	s_barrier
	buffer_gl0_inv
	v_cmp_eq_u32_sdwa s54, v8, v3 src0_sel:WORD_0 src1_sel:DWORD
	s_and_b32 vcc_lo, exec_lo, s54
	s_mov_b32 s54, -1
	s_cbranch_vccnz .LBB171_446
.LBB171_442:                            ;   in Loop: Header=BB171_443 Depth=2
	s_and_b32 s44, exec_lo, s55
	s_or_b32 s17, s44, s17
	s_andn2_b32 s19, s19, exec_lo
	s_and_b32 s44, s54, exec_lo
	s_or_b32 s19, s19, s44
	s_andn2_b32 exec_lo, exec_lo, s17
	s_cbranch_execz .LBB171_447
.LBB171_443:                            ;   Parent Loop BB171_12 Depth=1
                                        ; =>  This Inner Loop Header: Depth=2
	s_mov_b32 s58, exec_lo
	v_cmpx_gt_u64_e64 s[36:37], v[6:7]
	s_cbranch_execz .LBB171_441
; %bb.444:                              ;   in Loop: Header=BB171_443 Depth=2
	v_mul_lo_u32 v10, v7, s30
	v_mul_lo_u32 v11, v6, s31
	v_mad_u64_u32 v[8:9], null, v6, s30, 0
	v_add3_u32 v9, v9, v11, v10
	v_lshlrev_b64 v[8:9], 1, v[8:9]
	v_add_co_u32 v8, vcc_lo, s33, v8
	v_add_co_ci_u32_e64 v9, null, s35, v9, vcc_lo
	global_load_ushort v8, v[8:9], off
	s_waitcnt vmcnt(0)
	v_add_nc_u32_sdwa v9, sext(v8), v31 dst_sel:DWORD dst_unused:UNUSED_PAD src0_sel:WORD_0 src1_sel:DWORD
	v_and_b32_e32 v9, v9, v32
	v_cmp_eq_u32_e32 vcc_lo, v9, v28
	s_and_b32 exec_lo, exec_lo, vcc_lo
	s_cbranch_execz .LBB171_441
; %bb.445:                              ;   in Loop: Header=BB171_443 Depth=2
	v_perm_b32 v8, v8, 1, 0x5040100
	ds_write_b32 v3, v8 offset:3072
	s_branch .LBB171_441
.LBB171_446:                            ;   in Loop: Header=BB171_443 Depth=2
	v_add_co_u32 v6, vcc_lo, v6, s49
	v_add_co_ci_u32_e64 v7, null, 0, v7, vcc_lo
	s_mov_b32 s54, 0
	v_cmp_le_u64_e32 vcc_lo, s[14:15], v[6:7]
	s_orn2_b32 s55, vcc_lo, exec_lo
	s_branch .LBB171_442
.LBB171_447:                            ;   in Loop: Header=BB171_12 Depth=1
	s_or_b32 exec_lo, exec_lo, s17
	v_lshrrev_b32_e32 v33, 16, v8
	s_andn2_b32 s14, s18, exec_lo
	s_and_b32 s15, s19, exec_lo
	s_or_b32 s18, s14, s15
.LBB171_448:                            ;   in Loop: Header=BB171_12 Depth=1
	s_or_b32 exec_lo, exec_lo, s16
	s_mov_b32 s60, 0
	s_mov_b32 s69, -1
.LBB171_449:                            ;   in Loop: Header=BB171_12 Depth=1
	s_orn2_b32 s15, s18, exec_lo
.LBB171_450:                            ;   in Loop: Header=BB171_12 Depth=1
	s_or_b32 exec_lo, exec_lo, s68
	s_mov_b32 s16, 0
	s_and_saveexec_b32 s14, s15
	s_cbranch_execz .LBB171_461
; %bb.451:                              ;   in Loop: Header=BB171_12 Depth=1
	v_mov_b32_e32 v6, 1
	v_mov_b32_e32 v7, 0
	;; [unrolled: 1-line block ×3, first 2 shown]
	s_xor_b32 s16, s67, -1
	s_and_saveexec_b32 s15, s16
	s_cbranch_execz .LBB171_460
; %bb.452:                              ;   in Loop: Header=BB171_12 Depth=1
	s_mov_b32 s16, exec_lo
	v_cmpx_ge_u64_e64 s[12:13], v[4:5]
	s_xor_b32 s16, exec_lo, s16
	s_cbranch_execz .LBB171_457
; %bb.453:                              ;   in Loop: Header=BB171_12 Depth=1
	ds_read_b64 v[6:7], v3 offset:5120
	v_and_b32_e32 v28, s26, v28
	v_or_b32_e32 v32, s11, v32
	s_waitcnt lgkmcnt(0)
	v_cmp_ne_u64_e32 vcc_lo, 0, v[6:7]
	s_cbranch_vccnz .LBB171_457
; %bb.454:                              ;   in Loop: Header=BB171_12 Depth=1
	s_and_saveexec_b32 s11, s3
; %bb.455:                              ;   in Loop: Header=BB171_12 Depth=1
	v_mov_b32_e32 v6, s12
	v_mov_b32_e32 v7, s13
	ds_write_b64 v3, v[6:7] offset:5128
; %bb.456:                              ;   in Loop: Header=BB171_12 Depth=1
	s_or_b32 exec_lo, exec_lo, s11
	s_waitcnt lgkmcnt(0)
	s_barrier
	buffer_gl0_inv
.LBB171_457:                            ;   in Loop: Header=BB171_12 Depth=1
	s_andn2_saveexec_b32 s11, s16
; %bb.458:                              ;   in Loop: Header=BB171_12 Depth=1
	v_sub_co_u32 v4, vcc_lo, v4, s12
	v_subrev_co_ci_u32_e64 v5, null, s13, v5, vcc_lo
; %bb.459:                              ;   in Loop: Header=BB171_12 Depth=1
	s_or_b32 exec_lo, exec_lo, s11
	v_mov_b32_e32 v7, v5
	v_mov_b32_e32 v2, 5
	v_mov_b32_e32 v6, v4
.LBB171_460:                            ;   in Loop: Header=BB171_12 Depth=1
	s_or_b32 exec_lo, exec_lo, s15
	v_mov_b32_e32 v4, v6
	v_mov_b32_e32 v5, v7
	s_mov_b32 s16, exec_lo
.LBB171_461:                            ;   in Loop: Header=BB171_12 Depth=1
	s_or_b32 exec_lo, exec_lo, s14
	s_orn2_b32 s14, s16, exec_lo
.LBB171_462:                            ;   in Loop: Header=BB171_12 Depth=1
	s_or_b32 exec_lo, exec_lo, s21
	v_mov_b32_e32 v7, v5
	v_mov_b32_e32 v6, v4
	s_andn2_b32 s11, s66, exec_lo
	s_and_b32 s12, s69, exec_lo
	s_andn2_b32 s13, s65, exec_lo
	s_and_b32 s15, s60, exec_lo
	s_or_b32 s66, s11, s12
	s_or_b32 s65, s13, s15
	s_and_b32 s17, s14, exec_lo
.LBB171_463:                            ;   in Loop: Header=BB171_12 Depth=1
	s_or_b32 exec_lo, exec_lo, s20
	s_orn2_b32 s16, s17, exec_lo
.LBB171_464:                            ;   in Loop: Header=BB171_12 Depth=1
	s_or_b32 exec_lo, exec_lo, s23
	v_mov_b32_e32 v4, v6
	v_mov_b32_e32 v5, v7
	s_andn2_b32 s11, s64, exec_lo
	s_and_b32 s12, s66, exec_lo
	s_andn2_b32 s13, s25, exec_lo
	s_and_b32 s14, s65, exec_lo
	s_or_b32 s64, s11, s12
	s_or_b32 s25, s13, s14
	s_and_b32 s19, s16, exec_lo
.LBB171_465:                            ;   in Loop: Header=BB171_12 Depth=1
	s_or_b32 exec_lo, exec_lo, s22
	s_orn2_b32 s18, s19, exec_lo
.LBB171_466:                            ;   in Loop: Header=BB171_12 Depth=1
	s_or_b32 exec_lo, exec_lo, s6
	s_mov_b32 s6, s43
	s_mov_b32 s11, s42
	s_and_saveexec_b32 s12, s18
; %bb.467:                              ;   in Loop: Header=BB171_12 Depth=1
	v_cmp_ne_u32_e32 vcc_lo, 5, v2
	v_cmp_eq_u32_e64 s6, 5, v2
	s_andn2_b32 s11, s42, exec_lo
	s_andn2_b32 s13, s43, exec_lo
	s_and_b32 s14, vcc_lo, exec_lo
	s_and_b32 s6, s6, exec_lo
	s_or_b32 s11, s11, s14
	s_or_b32 s6, s13, s6
; %bb.468:                              ;   in Loop: Header=BB171_12 Depth=1
	s_or_b32 exec_lo, exec_lo, s12
	s_andn2_b32 s9, s9, exec_lo
	s_and_b32 s12, s64, exec_lo
	s_andn2_b32 s13, s27, exec_lo
	s_and_b32 s14, s25, exec_lo
	s_or_b32 s9, s9, s12
	s_or_b32 s27, s13, s14
	s_andn2_b32 s12, s42, exec_lo
	s_and_b32 s11, s11, exec_lo
	s_andn2_b32 s13, s43, exec_lo
	s_and_b32 s6, s6, exec_lo
	s_or_b32 s42, s12, s11
	s_or_b32 s43, s13, s6
.LBB171_469:                            ;   in Loop: Header=BB171_12 Depth=1
	s_or_b32 exec_lo, exec_lo, s24
	s_mov_b32 s64, 0
	s_mov_b32 s65, 0
	s_and_saveexec_b32 s6, s43
.LBB171_470:                            ;   in Loop: Header=BB171_12 Depth=1
	v_mov_b32_e32 v2, 0
	s_or_b32 s42, s42, exec_lo
.LBB171_471:                            ;   in Loop: Header=BB171_12 Depth=1
	s_or_b32 exec_lo, exec_lo, s6
	s_andn2_b32 s6, vcc_hi, exec_lo
	s_and_b32 s9, s9, exec_lo
	s_andn2_b32 s12, s99, exec_lo
	s_and_b32 s13, s27, exec_lo
	v_mov_b32_e32 v20, v5
	v_mov_b32_e32 v19, v4
	s_or_b32 vcc_hi, s6, s9
	s_or_b32 s99, s12, s13
	s_andn2_b32 s6, s41, exec_lo
	s_and_b32 s9, s65, exec_lo
	s_andn2_b32 s12, s40, exec_lo
	s_and_b32 s13, s64, exec_lo
	s_mov_b32 s11, -1
	s_andn2_b32 s104, s104, exec_lo
	s_or_b32 s41, s6, s9
	s_or_b32 s40, s12, s13
	s_and_saveexec_b32 s6, s42
	s_xor_b32 s6, exec_lo, s6
	s_cbranch_execz .LBB171_11
; %bb.472:                              ;   in Loop: Header=BB171_12 Depth=1
	s_mov_b32 s9, -1
	s_mov_b32 s12, exec_lo
	v_cmpx_eq_u32_e32 0, v2
	s_cbranch_execz .LBB171_10
; %bb.473:                              ;   in Loop: Header=BB171_12 Depth=1
	s_xor_b32 s93, s93, 1
	s_add_i32 s13, s97, -2
	s_cmp_eq_u32 s97, 0
	s_mov_b32 s97, s13
	s_cselect_b32 s9, -1, 0
	s_xor_b32 s11, exec_lo, -1
	s_orn2_b32 s9, s9, exec_lo
	s_branch .LBB171_10
.LBB171_474:
	s_or_b32 exec_lo, exec_lo, s91
	s_xor_b32 s7, s98, -1
	s_xor_b32 s9, s95, -1
	s_xor_b32 s10, s96, -1
	s_xor_b32 s11, s92, -1
	s_xor_b32 s6, s94, -1
	s_mov_b32 s8, 0
	s_and_saveexec_b32 s12, s11
	s_xor_b32 s12, exec_lo, s12
	s_cbranch_execnz .LBB171_479
; %bb.475:
	s_andn2_saveexec_b32 s0, s12
	s_cbranch_execnz .LBB171_498
.LBB171_476:
	s_or_b32 exec_lo, exec_lo, s0
	s_and_saveexec_b32 s0, s8
.LBB171_477:
	; divergent unreachable
.LBB171_478:
	s_endpgm
.LBB171_479:
	s_and_saveexec_b32 s11, s10
	s_xor_b32 s13, exec_lo, s11
	s_cbranch_execz .LBB171_496
; %bb.480:
	s_and_saveexec_b32 s10, s9
	s_xor_b32 s14, exec_lo, s10
	s_cbranch_execz .LBB171_494
; %bb.481:
	;; [unrolled: 4-line block ×3, first 2 shown]
	s_and_saveexec_b32 s7, s6
	s_xor_b32 s6, exec_lo, s7
; %bb.483:
	v_xor_b32_e32 v33, 0xffff8000, v28
; %bb.484:
	s_or_b32 exec_lo, exec_lo, s6
	s_and_saveexec_b32 s6, s3
; %bb.485:
	v_mov_b32_e32 v2, 0
	v_mov_b32_e32 v3, v2
	ds_write_b64 v2, v[2:3] offset:5136
; %bb.486:
	s_or_b32 exec_lo, exec_lo, s6
	v_mov_b32_e32 v14, 0
	s_waitcnt lgkmcnt(0)
	s_barrier
	buffer_gl0_inv
	s_and_saveexec_b32 s3, s2
	s_cbranch_execz .LBB171_488
; %bb.487:
	global_load_ushort v14, v[12:13], off
.LBB171_488:
	s_or_b32 exec_lo, exec_lo, s3
	s_clause 0x1
	s_load_dwordx4 s[20:23], s[4:5], 0x298
	s_load_dwordx4 s[24:27], s[4:5], 0x440
	s_add_u32 s3, s36, 31
	s_addc_u32 s7, s37, 0
	s_and_b32 s6, s3, 0xffffffe0
	s_mul_i32 s3, s48, s51
	s_mul_hi_u32 s8, s48, s50
	s_mul_i32 s9, s48, s50
	s_add_i32 s8, s8, s3
	s_sub_u32 s3, s34, s9
	s_subb_u32 s8, 0, s8
	v_cmp_gt_u64_e32 vcc_lo, s[6:7], v[0:1]
	s_waitcnt lgkmcnt(0)
	s_mul_i32 s9, s3, s23
	s_mul_hi_u32 s10, s3, s22
	s_mul_i32 s8, s8, s22
	s_add_i32 s9, s10, s9
	s_mul_i32 s16, s3, s22
	s_add_i32 s17, s9, s8
	s_mul_i32 s8, s48, s21
	s_mul_hi_u32 s9, s48, s20
	s_mul_i32 s3, s52, s29
	s_add_i32 s9, s9, s8
	s_mul_hi_u32 s8, s52, s28
	s_mul_i32 s10, s52, s28
	s_add_i32 s3, s8, s3
	s_sub_u32 s18, s34, s10
	s_subb_u32 s3, 0, s3
	s_mul_i32 s10, s18, s27
	s_mul_hi_u32 s11, s18, s26
	s_mul_i32 s8, s48, s20
	s_add_i32 s10, s11, s10
	s_mul_i32 s3, s3, s26
	s_mul_i32 s11, s52, s25
	s_mul_hi_u32 s20, s52, s24
	s_add_i32 s19, s10, s3
	s_add_i32 s21, s20, s11
	s_lshl_b64 s[22:23], s[8:9], 1
	s_clause 0x1
	s_load_dwordx2 s[8:9], s[4:5], 0x368
	s_load_dwordx2 s[10:11], s[4:5], 0x510
	v_readlane_b32 s4, v42, 2
	v_readlane_b32 s5, v42, 3
	s_mul_i32 s20, s52, s24
	s_mul_i32 s18, s18, s26
	s_add_u32 s3, s4, s22
	s_addc_u32 s4, s5, s23
	s_lshl_b64 s[16:17], s[16:17], 1
	v_readlane_b32 s22, v42, 0
	v_readlane_b32 s23, v42, 1
	s_add_u32 s5, s3, s16
	s_addc_u32 s16, s4, s17
	s_lshl_b64 s[20:21], s[20:21], 3
	s_add_u32 s3, s22, s20
	s_addc_u32 s4, s23, s21
	s_lshl_b64 s[18:19], s[18:19], 3
	s_mov_b32 s21, -1
	s_add_u32 s17, s3, s18
	s_addc_u32 s18, s4, s19
	s_mov_b32 s19, 0
	s_mov_b32 s3, 0
	s_and_saveexec_b32 s20, vcc_lo
	s_cbranch_execnz .LBB171_499
; %bb.489:
	s_or_b32 exec_lo, exec_lo, s20
	s_and_saveexec_b32 s4, s21
	s_cbranch_execnz .LBB171_514
.LBB171_490:
	s_or_b32 exec_lo, exec_lo, s4
	s_and_saveexec_b32 s0, s3
	s_xor_b32 s0, exec_lo, s0
	s_cbranch_execnz .LBB171_537
.LBB171_491:
	s_or_b32 exec_lo, exec_lo, s0
	s_waitcnt lgkmcnt(0)
	s_and_b32 s8, s19, exec_lo
.LBB171_492:
	s_andn2_saveexec_b32 s0, s15
	s_cbranch_execnz .LBB171_539
.LBB171_493:
	s_or_b32 exec_lo, exec_lo, s0
	s_and_b32 s8, s8, exec_lo
.LBB171_494:
	s_andn2_saveexec_b32 s0, s14
	s_cbranch_execnz .LBB171_538
.LBB171_495:
	s_or_b32 exec_lo, exec_lo, s0
	s_and_b32 s8, s8, exec_lo
.LBB171_496:
	s_andn2_saveexec_b32 s0, s13
	s_cbranch_execnz .LBB171_533
.LBB171_497:
	s_or_b32 exec_lo, exec_lo, s0
	s_and_b32 s8, s8, exec_lo
	s_andn2_saveexec_b32 s0, s12
	s_cbranch_execz .LBB171_476
.LBB171_498:
	s_or_b32 s8, s8, exec_lo
	s_trap 2
	s_or_b32 exec_lo, exec_lo, s0
	s_and_saveexec_b32 s0, s8
	s_cbranch_execnz .LBB171_477
	s_branch .LBB171_478
.LBB171_499:
	v_mov_b32_e32 v15, 0x8000
	v_mov_b32_e32 v9, v1
	;; [unrolled: 1-line block ×4, first 2 shown]
	s_mov_b32 s21, 0
	v_add_nc_u32_sdwa v16, sext(v33), v15 dst_sel:DWORD dst_unused:UNUSED_PAD src0_sel:WORD_0 src1_sel:DWORD
                                        ; implicit-def: $sgpr22
                                        ; implicit-def: $vgpr6_vgpr7
	s_branch .LBB171_501
.LBB171_500:                            ;   in Loop: Header=BB171_501 Depth=1
	s_or_b32 exec_lo, exec_lo, s24
	s_xor_b32 s3, s23, -1
	s_and_b32 s4, exec_lo, s4
	v_mov_b32_e32 v9, v5
	v_mov_b32_e32 v14, v17
	s_or_b32 s21, s4, s21
	v_mov_b32_e32 v8, v4
	s_andn2_b32 s4, s22, exec_lo
	s_and_b32 s3, s3, exec_lo
	s_or_b32 s22, s4, s3
	s_andn2_b32 exec_lo, exec_lo, s21
	s_cbranch_execz .LBB171_513
.LBB171_501:                            ; =>This Inner Loop Header: Depth=1
	v_add_co_u32 v4, s3, v8, s49
	v_add_co_ci_u32_e64 v5, null, 0, v9, s3
	v_mov_b32_e32 v17, 0
	s_mov_b32 s4, exec_lo
	v_cmpx_gt_u64_e64 s[36:37], v[4:5]
	s_cbranch_execz .LBB171_503
; %bb.502:                              ;   in Loop: Header=BB171_501 Depth=1
	v_mul_lo_u32 v2, v5, s30
	v_mul_lo_u32 v17, v4, s31
	v_mad_u64_u32 v[10:11], null, v4, s30, 0
	v_add3_u32 v11, v11, v17, v2
	v_lshlrev_b64 v[10:11], 1, v[10:11]
	v_add_co_u32 v10, s3, s33, v10
	v_add_co_ci_u32_e64 v11, null, s35, v11, s3
	global_load_ushort v17, v[10:11], off
.LBB171_503:                            ;   in Loop: Header=BB171_501 Depth=1
	s_or_b32 exec_lo, exec_lo, s4
	s_waitcnt vmcnt(0)
	v_add_nc_u32_sdwa v2, sext(v14), v15 dst_sel:DWORD dst_unused:UNUSED_PAD src0_sel:WORD_0 src1_sel:DWORD
	v_cmp_gt_u32_e64 s3, v2, v16
	v_cndmask_b32_e64 v10, 0, 1, s3
	v_cmp_lt_u32_e64 s3, v2, v16
	v_cndmask_b32_e64 v2, 0, 1, s3
	v_cmp_gt_u64_e64 s3, s[36:37], v[8:9]
	v_cndmask_b32_e64 v2, v2, v10, s1
	v_and_b32_e32 v2, 1, v2
	v_cmp_eq_u32_e64 s4, 1, v2
	s_and_b32 s24, s3, s4
	v_cndmask_b32_e64 v2, 0, 1, s24
	v_cmp_ne_u32_e64 s3, 0, v2
	s_cmp_lg_u32 s3, 0
	s_cselect_b32 s4, -1, 0
	s_and_b32 s4, s0, s4
	s_and_saveexec_b32 s23, s4
	s_cbranch_execz .LBB171_507
; %bb.504:                              ;   in Loop: Header=BB171_501 Depth=1
	s_mov_b32 s27, exec_lo
	s_bcnt1_i32_b32 s25, s3
	v_mbcnt_lo_u32_b32 v10, s27, 0
	s_mov_b32 s26, exec_lo
                                        ; implicit-def: $vgpr6_vgpr7
	v_cmpx_eq_u32_e32 0, v10
	s_cbranch_execz .LBB171_506
; %bb.505:                              ;   in Loop: Header=BB171_501 Depth=1
	s_bcnt1_i32_b32 s4, s27
	s_mul_i32 s4, s25, s4
	v_mov_b32_e32 v2, s4
	s_waitcnt lgkmcnt(0)
	ds_add_rtn_u64 v[6:7], v3, v[2:3] offset:5136
.LBB171_506:                            ;   in Loop: Header=BB171_501 Depth=1
	s_or_b32 exec_lo, exec_lo, s26
	s_waitcnt lgkmcnt(0)
	v_readfirstlane_b32 s27, v7
	v_readfirstlane_b32 s26, v6
	v_mad_u64_u32 v[6:7], null, s25, v10, s[26:27]
.LBB171_507:                            ;   in Loop: Header=BB171_501 Depth=1
	s_or_b32 exec_lo, exec_lo, s23
	s_waitcnt lgkmcnt(0)
	ds_bpermute_b32 v6, v3, v6
	ds_bpermute_b32 v7, v3, v7
	s_mov_b32 s4, -1
	s_mov_b32 s25, -1
	s_and_saveexec_b32 s23, s24
	s_cbranch_execz .LBB171_511
; %bb.508:                              ;   in Loop: Header=BB171_501 Depth=1
	v_and_b32_e32 v2, s3, v23
	s_mov_b32 s24, 0
	s_mov_b32 s25, exec_lo
	v_bcnt_u32_b32 v2, v2, 0
	s_waitcnt lgkmcnt(0)
	v_add_co_u32 v10, s3, v6, v2
	v_add_co_ci_u32_e64 v11, null, 0, v7, s3
	v_cmpx_gt_u64_e64 s[38:39], v[10:11]
; %bb.509:                              ;   in Loop: Header=BB171_501 Depth=1
	v_mul_lo_u32 v2, v11, s8
	v_mul_lo_u32 v20, v10, s9
	v_mad_u64_u32 v[18:19], null, v10, s8, 0
	v_mul_lo_u32 v21, v11, s10
	v_mul_lo_u32 v22, v10, s11
	v_mad_u64_u32 v[10:11], null, v10, s10, 0
	s_mov_b32 s24, exec_lo
	v_add3_u32 v19, v19, v20, v2
	v_add3_u32 v11, v11, v22, v21
	v_lshlrev_b64 v[18:19], 1, v[18:19]
	v_lshlrev_b64 v[10:11], 3, v[10:11]
	v_add_co_u32 v18, s3, s5, v18
	v_add_co_ci_u32_e64 v19, null, s16, v19, s3
	v_add_co_u32 v10, s3, s17, v10
	v_add_co_ci_u32_e64 v11, null, s18, v11, s3
	global_store_short v[18:19], v14, off
	global_store_dwordx2 v[10:11], v[8:9], off
; %bb.510:                              ;   in Loop: Header=BB171_501 Depth=1
	s_or_b32 exec_lo, exec_lo, s25
	s_orn2_b32 s25, s24, exec_lo
.LBB171_511:                            ;   in Loop: Header=BB171_501 Depth=1
	s_or_b32 exec_lo, exec_lo, s23
	s_mov_b32 s23, -1
	s_and_saveexec_b32 s24, s25
	s_cbranch_execz .LBB171_500
; %bb.512:                              ;   in Loop: Header=BB171_501 Depth=1
	v_cmp_le_u64_e64 s3, s[6:7], v[4:5]
	s_xor_b32 s23, exec_lo, -1
	s_orn2_b32 s4, s3, exec_lo
	s_branch .LBB171_500
.LBB171_513:
	s_or_b32 exec_lo, exec_lo, s21
	s_mov_b32 s3, exec_lo
	s_orn2_b32 s21, s22, exec_lo
	s_or_b32 exec_lo, exec_lo, s20
	s_and_saveexec_b32 s4, s21
	s_cbranch_execz .LBB171_490
.LBB171_514:
	v_mov_b32_e32 v2, 0
	s_waitcnt vmcnt(0) lgkmcnt(0)
	s_waitcnt_vscnt null, 0x0
	s_barrier
	buffer_gl0_inv
	s_and_saveexec_b32 s1, s2
	s_cbranch_execz .LBB171_516
; %bb.515:
	global_load_ushort v2, v[12:13], off
.LBB171_516:
	s_or_b32 exec_lo, exec_lo, s1
	s_mov_b32 s1, 0
	s_and_saveexec_b32 s2, vcc_lo
	s_cbranch_execz .LBB171_536
; %bb.517:
	v_mov_b32_e32 v3, 0
	s_mov_b32 s19, 0
                                        ; implicit-def: $sgpr20
                                        ; implicit-def: $vgpr6_vgpr7
	s_branch .LBB171_520
.LBB171_518:                            ;   in Loop: Header=BB171_520 Depth=1
	s_or_b32 exec_lo, exec_lo, s21
	s_orn2_b32 s23, s24, exec_lo
	s_orn2_b32 s22, s22, exec_lo
.LBB171_519:                            ;   in Loop: Header=BB171_520 Depth=1
	s_or_b32 exec_lo, exec_lo, s1
	s_xor_b32 s1, s23, -1
	s_and_b32 s21, exec_lo, s22
	v_mov_b32_e32 v0, v4
	v_mov_b32_e32 v1, v5
	s_or_b32 s19, s21, s19
	v_mov_b32_e32 v2, v10
	s_andn2_b32 s20, s20, exec_lo
	s_and_b32 s1, s1, exec_lo
	s_or_b32 s20, s20, s1
	s_andn2_b32 exec_lo, exec_lo, s19
	s_cbranch_execz .LBB171_534
.LBB171_520:                            ; =>This Inner Loop Header: Depth=1
	v_add_co_u32 v4, vcc_lo, v0, s49
	v_add_co_ci_u32_e64 v5, null, 0, v1, vcc_lo
	v_mov_b32_e32 v10, 0
	s_mov_b32 s1, exec_lo
	v_cmpx_gt_u64_e64 s[36:37], v[4:5]
	s_cbranch_execz .LBB171_522
; %bb.521:                              ;   in Loop: Header=BB171_520 Depth=1
	v_mul_lo_u32 v10, v5, s30
	v_mul_lo_u32 v11, v4, s31
	v_mad_u64_u32 v[8:9], null, v4, s30, 0
	v_add3_u32 v9, v9, v11, v10
	v_lshlrev_b64 v[8:9], 1, v[8:9]
	v_add_co_u32 v8, vcc_lo, s33, v8
	v_add_co_ci_u32_e64 v9, null, s35, v9, vcc_lo
	global_load_ushort v10, v[8:9], off
.LBB171_522:                            ;   in Loop: Header=BB171_520 Depth=1
	s_or_b32 exec_lo, exec_lo, s1
	v_cmp_gt_u64_e32 vcc_lo, s[36:37], v[0:1]
	s_waitcnt vmcnt(0)
	v_cmp_eq_u16_e64 s1, v2, v33
	s_and_b32 s21, vcc_lo, s1
	v_cndmask_b32_e64 v2, 0, 1, s21
	v_cmp_ne_u32_e32 vcc_lo, 0, v2
	s_cmp_lg_u32 vcc_lo, 0
	s_cselect_b32 s1, -1, 0
	s_and_b32 s1, s0, s1
	s_and_saveexec_b32 s22, s1
	s_cbranch_execz .LBB171_526
; %bb.523:                              ;   in Loop: Header=BB171_520 Depth=1
	s_mov_b32 s25, exec_lo
	s_bcnt1_i32_b32 s23, vcc_lo
	v_mbcnt_lo_u32_b32 v8, s25, 0
	s_mov_b32 s24, exec_lo
                                        ; implicit-def: $vgpr6_vgpr7
	v_cmpx_eq_u32_e32 0, v8
; %bb.524:                              ;   in Loop: Header=BB171_520 Depth=1
	s_bcnt1_i32_b32 s1, s25
	s_mul_i32 s1, s23, s1
	v_mov_b32_e32 v2, s1
	ds_add_rtn_u64 v[6:7], v3, v[2:3] offset:5136
; %bb.525:                              ;   in Loop: Header=BB171_520 Depth=1
	s_or_b32 exec_lo, exec_lo, s24
	s_waitcnt lgkmcnt(0)
	v_readfirstlane_b32 s25, v7
	v_readfirstlane_b32 s24, v6
	v_mad_u64_u32 v[6:7], null, s23, v8, s[24:25]
.LBB171_526:                            ;   in Loop: Header=BB171_520 Depth=1
	s_or_b32 exec_lo, exec_lo, s22
	ds_bpermute_b32 v6, v3, v6
	ds_bpermute_b32 v7, v3, v7
	s_cmp_eq_u32 vcc_lo, 0
	s_mov_b32 s22, -1
	s_cselect_b32 s23, -1, 0
	s_waitcnt lgkmcnt(0)
	v_cmp_gt_u64_e64 s1, s[38:39], v[6:7]
	s_or_b32 s24, s23, s1
	s_mov_b32 s23, -1
	s_and_saveexec_b32 s1, s24
	s_cbranch_execz .LBB171_519
; %bb.527:                              ;   in Loop: Header=BB171_520 Depth=1
	v_and_b32_e32 v2, vcc_lo, v23
	v_sub_co_u32 v8, vcc_lo, s38, v6
	v_sub_co_ci_u32_e64 v9, null, s39, v7, vcc_lo
	v_bcnt_u32_b32 v2, v2, 0
	s_mov_b32 s24, -1
	v_bcnt_u32_b32 v2, 0, v2
	v_cmp_gt_u64_e32 vcc_lo, v[8:9], v[2:3]
	s_and_b32 s25, s21, vcc_lo
	s_and_saveexec_b32 s21, s25
	s_cbranch_execz .LBB171_531
; %bb.528:                              ;   in Loop: Header=BB171_520 Depth=1
	v_add_co_u32 v8, vcc_lo, v6, v2
	v_add_co_ci_u32_e64 v9, null, 0, v7, vcc_lo
	s_mov_b32 s23, 0
	s_mov_b32 s24, exec_lo
	v_cmpx_gt_u64_e64 s[38:39], v[8:9]
; %bb.529:                              ;   in Loop: Header=BB171_520 Depth=1
	v_mul_lo_u32 v2, v9, s8
	v_mul_lo_u32 v13, v8, s9
	v_mad_u64_u32 v[11:12], null, v8, s8, 0
	v_mul_lo_u32 v14, v9, s10
	v_mul_lo_u32 v15, v8, s11
	v_mad_u64_u32 v[8:9], null, v8, s10, 0
	s_mov_b32 s23, exec_lo
	v_add3_u32 v12, v12, v13, v2
	v_add3_u32 v9, v9, v15, v14
	v_lshlrev_b64 v[11:12], 1, v[11:12]
	v_lshlrev_b64 v[8:9], 3, v[8:9]
	v_add_co_u32 v11, vcc_lo, s5, v11
	v_add_co_ci_u32_e64 v12, null, s16, v12, vcc_lo
	v_add_co_u32 v8, vcc_lo, s17, v8
	v_add_co_ci_u32_e64 v9, null, s18, v9, vcc_lo
	global_store_short v[11:12], v33, off
	global_store_dwordx2 v[8:9], v[0:1], off
; %bb.530:                              ;   in Loop: Header=BB171_520 Depth=1
	s_or_b32 exec_lo, exec_lo, s24
	s_xor_b32 s24, exec_lo, -1
	s_orn2_b32 s23, s23, exec_lo
.LBB171_531:                            ;   in Loop: Header=BB171_520 Depth=1
	s_or_b32 exec_lo, exec_lo, s21
	s_and_saveexec_b32 s21, s23
	s_cbranch_execz .LBB171_518
; %bb.532:                              ;   in Loop: Header=BB171_520 Depth=1
	v_cmp_le_u64_e32 vcc_lo, s[6:7], v[4:5]
	s_or_b32 s24, s24, exec_lo
	s_orn2_b32 s22, vcc_lo, exec_lo
	s_branch .LBB171_518
.LBB171_533:
	s_or_b32 s8, s8, exec_lo
	s_trap 2
	s_branch .LBB171_497
.LBB171_534:
	s_or_b32 exec_lo, exec_lo, s19
	s_mov_b32 s0, 0
	s_and_saveexec_b32 s1, s20
	s_xor_b32 s1, exec_lo, s1
	s_cbranch_execnz .LBB171_540
.LBB171_535:
	s_or_b32 exec_lo, exec_lo, s1
	s_and_b32 s1, s0, exec_lo
.LBB171_536:
	s_or_b32 exec_lo, exec_lo, s2
	s_and_b32 s19, s1, exec_lo
	s_andn2_b32 s3, s3, exec_lo
	s_or_b32 exec_lo, exec_lo, s4
	s_and_saveexec_b32 s0, s3
	s_xor_b32 s0, exec_lo, s0
	s_cbranch_execz .LBB171_491
.LBB171_537:
	s_or_b32 s19, s19, exec_lo
	s_trap 2
	s_branch .LBB171_491
.LBB171_538:
	s_or_b32 s8, s8, exec_lo
	s_trap 2
	s_branch .LBB171_495
.LBB171_539:
	s_or_b32 s8, s8, exec_lo
	s_trap 2
	s_branch .LBB171_493
.LBB171_540:
	s_mov_b32 s0, exec_lo
	s_trap 2
	s_branch .LBB171_535
	.section	.rodata,"a",@progbits
	.p2align	6, 0x0
	.amdhsa_kernel _ZN2at6native6sbtopk10gatherTopKIsmLi2ELb0EEEvNS_4cuda6detail10TensorInfoIKT_T0_EES8_S8_bS8_S8_NS5_IS6_S8_EES8_NS5_IlS8_EES8_PS6_
		.amdhsa_group_segment_fixed_size 5152
		.amdhsa_private_segment_fixed_size 0
		.amdhsa_kernarg_size 1568
		.amdhsa_user_sgpr_count 6
		.amdhsa_user_sgpr_private_segment_buffer 1
		.amdhsa_user_sgpr_dispatch_ptr 0
		.amdhsa_user_sgpr_queue_ptr 0
		.amdhsa_user_sgpr_kernarg_segment_ptr 1
		.amdhsa_user_sgpr_dispatch_id 0
		.amdhsa_user_sgpr_flat_scratch_init 0
		.amdhsa_user_sgpr_private_segment_size 0
		.amdhsa_wavefront_size32 1
		.amdhsa_uses_dynamic_stack 0
		.amdhsa_system_sgpr_private_segment_wavefront_offset 0
		.amdhsa_system_sgpr_workgroup_id_x 1
		.amdhsa_system_sgpr_workgroup_id_y 1
		.amdhsa_system_sgpr_workgroup_id_z 1
		.amdhsa_system_sgpr_workgroup_info 0
		.amdhsa_system_vgpr_workitem_id 0
		.amdhsa_next_free_vgpr 43
		.amdhsa_next_free_sgpr 105
		.amdhsa_reserve_vcc 1
		.amdhsa_reserve_flat_scratch 0
		.amdhsa_float_round_mode_32 0
		.amdhsa_float_round_mode_16_64 0
		.amdhsa_float_denorm_mode_32 3
		.amdhsa_float_denorm_mode_16_64 3
		.amdhsa_dx10_clamp 1
		.amdhsa_ieee_mode 1
		.amdhsa_fp16_overflow 0
		.amdhsa_workgroup_processor_mode 1
		.amdhsa_memory_ordered 1
		.amdhsa_forward_progress 1
		.amdhsa_shared_vgpr_count 0
		.amdhsa_exception_fp_ieee_invalid_op 0
		.amdhsa_exception_fp_denorm_src 0
		.amdhsa_exception_fp_ieee_div_zero 0
		.amdhsa_exception_fp_ieee_overflow 0
		.amdhsa_exception_fp_ieee_underflow 0
		.amdhsa_exception_fp_ieee_inexact 0
		.amdhsa_exception_int_div_zero 0
	.end_amdhsa_kernel
	.section	.text._ZN2at6native6sbtopk10gatherTopKIsmLi2ELb0EEEvNS_4cuda6detail10TensorInfoIKT_T0_EES8_S8_bS8_S8_NS5_IS6_S8_EES8_NS5_IlS8_EES8_PS6_,"axG",@progbits,_ZN2at6native6sbtopk10gatherTopKIsmLi2ELb0EEEvNS_4cuda6detail10TensorInfoIKT_T0_EES8_S8_bS8_S8_NS5_IS6_S8_EES8_NS5_IlS8_EES8_PS6_,comdat
.Lfunc_end171:
	.size	_ZN2at6native6sbtopk10gatherTopKIsmLi2ELb0EEEvNS_4cuda6detail10TensorInfoIKT_T0_EES8_S8_bS8_S8_NS5_IS6_S8_EES8_NS5_IlS8_EES8_PS6_, .Lfunc_end171-_ZN2at6native6sbtopk10gatherTopKIsmLi2ELb0EEEvNS_4cuda6detail10TensorInfoIKT_T0_EES8_S8_bS8_S8_NS5_IS6_S8_EES8_NS5_IlS8_EES8_PS6_
                                        ; -- End function
	.set _ZN2at6native6sbtopk10gatherTopKIsmLi2ELb0EEEvNS_4cuda6detail10TensorInfoIKT_T0_EES8_S8_bS8_S8_NS5_IS6_S8_EES8_NS5_IlS8_EES8_PS6_.num_vgpr, 43
	.set _ZN2at6native6sbtopk10gatherTopKIsmLi2ELb0EEEvNS_4cuda6detail10TensorInfoIKT_T0_EES8_S8_bS8_S8_NS5_IS6_S8_EES8_NS5_IlS8_EES8_PS6_.num_agpr, 0
	.set _ZN2at6native6sbtopk10gatherTopKIsmLi2ELb0EEEvNS_4cuda6detail10TensorInfoIKT_T0_EES8_S8_bS8_S8_NS5_IS6_S8_EES8_NS5_IlS8_EES8_PS6_.numbered_sgpr, 105
	.set _ZN2at6native6sbtopk10gatherTopKIsmLi2ELb0EEEvNS_4cuda6detail10TensorInfoIKT_T0_EES8_S8_bS8_S8_NS5_IS6_S8_EES8_NS5_IlS8_EES8_PS6_.num_named_barrier, 0
	.set _ZN2at6native6sbtopk10gatherTopKIsmLi2ELb0EEEvNS_4cuda6detail10TensorInfoIKT_T0_EES8_S8_bS8_S8_NS5_IS6_S8_EES8_NS5_IlS8_EES8_PS6_.private_seg_size, 0
	.set _ZN2at6native6sbtopk10gatherTopKIsmLi2ELb0EEEvNS_4cuda6detail10TensorInfoIKT_T0_EES8_S8_bS8_S8_NS5_IS6_S8_EES8_NS5_IlS8_EES8_PS6_.uses_vcc, 1
	.set _ZN2at6native6sbtopk10gatherTopKIsmLi2ELb0EEEvNS_4cuda6detail10TensorInfoIKT_T0_EES8_S8_bS8_S8_NS5_IS6_S8_EES8_NS5_IlS8_EES8_PS6_.uses_flat_scratch, 0
	.set _ZN2at6native6sbtopk10gatherTopKIsmLi2ELb0EEEvNS_4cuda6detail10TensorInfoIKT_T0_EES8_S8_bS8_S8_NS5_IS6_S8_EES8_NS5_IlS8_EES8_PS6_.has_dyn_sized_stack, 0
	.set _ZN2at6native6sbtopk10gatherTopKIsmLi2ELb0EEEvNS_4cuda6detail10TensorInfoIKT_T0_EES8_S8_bS8_S8_NS5_IS6_S8_EES8_NS5_IlS8_EES8_PS6_.has_recursion, 0
	.set _ZN2at6native6sbtopk10gatherTopKIsmLi2ELb0EEEvNS_4cuda6detail10TensorInfoIKT_T0_EES8_S8_bS8_S8_NS5_IS6_S8_EES8_NS5_IlS8_EES8_PS6_.has_indirect_call, 0
	.section	.AMDGPU.csdata,"",@progbits
; Kernel info:
; codeLenInByte = 25916
; TotalNumSgprs: 107
; NumVgprs: 43
; ScratchSize: 0
; MemoryBound: 0
; FloatMode: 240
; IeeeMode: 1
; LDSByteSize: 5152 bytes/workgroup (compile time only)
; SGPRBlocks: 0
; VGPRBlocks: 5
; NumSGPRsForWavesPerEU: 107
; NumVGPRsForWavesPerEU: 43
; Occupancy: 16
; WaveLimiterHint : 1
; COMPUTE_PGM_RSRC2:SCRATCH_EN: 0
; COMPUTE_PGM_RSRC2:USER_SGPR: 6
; COMPUTE_PGM_RSRC2:TRAP_HANDLER: 0
; COMPUTE_PGM_RSRC2:TGID_X_EN: 1
; COMPUTE_PGM_RSRC2:TGID_Y_EN: 1
; COMPUTE_PGM_RSRC2:TGID_Z_EN: 1
; COMPUTE_PGM_RSRC2:TIDIG_COMP_CNT: 0
	.section	.text._ZN2at6native6mbtopk23computeBlockDigitCountsIsmjLi3EEEvNS_4cuda6detail10TensorInfoIKT_T0_EEjPjjS8_iijT1_PSB_Ps,"axG",@progbits,_ZN2at6native6mbtopk23computeBlockDigitCountsIsmjLi3EEEvNS_4cuda6detail10TensorInfoIKT_T0_EEjPjjS8_iijT1_PSB_Ps,comdat
	.protected	_ZN2at6native6mbtopk23computeBlockDigitCountsIsmjLi3EEEvNS_4cuda6detail10TensorInfoIKT_T0_EEjPjjS8_iijT1_PSB_Ps ; -- Begin function _ZN2at6native6mbtopk23computeBlockDigitCountsIsmjLi3EEEvNS_4cuda6detail10TensorInfoIKT_T0_EEjPjjS8_iijT1_PSB_Ps
	.globl	_ZN2at6native6mbtopk23computeBlockDigitCountsIsmjLi3EEEvNS_4cuda6detail10TensorInfoIKT_T0_EEjPjjS8_iijT1_PSB_Ps
	.p2align	8
	.type	_ZN2at6native6mbtopk23computeBlockDigitCountsIsmjLi3EEEvNS_4cuda6detail10TensorInfoIKT_T0_EEjPjjS8_iijT1_PSB_Ps,@function
_ZN2at6native6mbtopk23computeBlockDigitCountsIsmjLi3EEEvNS_4cuda6detail10TensorInfoIKT_T0_EEjPjjS8_iijT1_PSB_Ps: ; @_ZN2at6native6mbtopk23computeBlockDigitCountsIsmjLi3EEEvNS_4cuda6detail10TensorInfoIKT_T0_EEjPjjS8_iijT1_PSB_Ps
; %bb.0:
	s_clause 0x2
	s_load_dwordx4 s[0:3], s[4:5], 0x1c0
	s_load_dword s12, s[4:5], 0x1b0
	s_load_dwordx2 s[10:11], s[4:5], 0x1e0
	s_waitcnt lgkmcnt(0)
	v_cvt_f32_u32_e32 v1, s2
	s_mul_i32 s8, s11, s8
	s_sub_i32 s11, 0, s2
	s_add_i32 s7, s8, s7
	v_rcp_iflag_f32_e32 v1, v1
	s_mul_i32 s24, s7, s10
	s_add_i32 s24, s24, s6
	v_mul_f32_e32 v1, 0x4f7ffffe, v1
	v_cvt_u32_f32_e32 v1, v1
	v_readfirstlane_b32 s9, v1
	s_mul_i32 s11, s11, s9
	s_mul_hi_u32 s7, s9, s11
	s_add_i32 s9, s9, s7
	s_mul_hi_u32 s6, s24, s9
	s_mul_i32 s7, s6, s2
	s_add_i32 s8, s6, 1
	s_sub_i32 s7, s24, s7
	s_sub_i32 s9, s7, s2
	s_cmp_ge_u32 s7, s2
	s_cselect_b32 s6, s8, s6
	s_cselect_b32 s7, s9, s7
	s_add_i32 s8, s6, 1
	s_cmp_ge_u32 s7, s2
	s_mov_b32 s7, 0
	s_cselect_b32 s6, s8, s6
	s_cmp_ge_u32 s6, s12
	s_cbranch_scc1 .LBB172_25
; %bb.1:
	s_clause 0x1
	s_load_dwordx4 s[12:15], s[4:5], 0x10
	s_load_dwordx4 s[8:11], s[4:5], 0x1d0
	s_lshl_b64 s[16:17], s[6:7], 2
	s_mov_b64 s[20:21], 0
	s_waitcnt lgkmcnt(0)
	v_cmp_lt_u64_e64 s18, s[6:7], s[14:15]
	s_add_u32 s22, s8, s16
	s_addc_u32 s23, s9, s17
	s_mov_b64 s[8:9], 0
	s_and_b32 vcc_lo, exec_lo, s18
	s_cbranch_vccz .LBB172_15
; %bb.2:
	v_cmp_lt_u64_e64 s7, s[20:21], s[12:13]
	s_and_b32 vcc_lo, exec_lo, s7
	s_cbranch_vccz .LBB172_16
.LBB172_3:
	v_cmp_gt_u32_e32 vcc_lo, 0x100, v0
	v_lshlrev_b32_e32 v1, 2, v0
	s_and_saveexec_b32 s7, vcc_lo
.LBB172_4:
	v_mov_b32_e32 v2, 0
	ds_write_b32 v1, v2
.LBB172_5:
	s_or_b32 exec_lo, exec_lo, s7
	s_load_dword s7, s[4:5], 0x1a0
	s_mul_i32 s9, s6, s2
	s_mov_b32 s25, 0
	s_sub_i32 s9, s24, s9
	s_waitcnt lgkmcnt(0)
	s_mul_i32 s16, s1, s9
	s_add_i32 s9, s9, 1
	s_lshl_b32 s26, s16, 8
	s_barrier
	buffer_gl0_inv
	s_sub_i32 s16, s7, s26
	s_add_u32 s16, s16, 0xff
	s_addc_u32 s17, 0, 0
	s_lshr_b64 s[16:17], s[16:17], 8
	s_cmp_lt_u32 s9, s2
	s_cselect_b32 s2, s1, s16
	s_cmp_lt_i32 s2, 1
	s_cbranch_scc1 .LBB172_23
; %bb.6:
	s_clause 0x2
	s_load_dwordx2 s[28:29], s[4:5], 0xe0
	s_load_dwordx4 s[16:19], s[4:5], 0xd0
	s_load_dwordx2 s[30:31], s[4:5], 0x0
	s_load_dword s1, s[22:23], 0x0
	s_mul_i32 s9, s20, s15
	s_mul_hi_u32 s15, s20, s14
	s_mul_i32 s14, s20, s14
	s_add_i32 s15, s15, s9
	s_mul_i32 s13, s8, s13
	s_mul_hi_u32 s22, s8, s12
	s_sub_u32 s6, s6, s14
	s_subb_u32 s9, 0, s15
	s_add_i32 s22, s22, s13
	s_load_dwordx2 s[4:5], s[4:5], 0x1b8
	s_mul_i32 s12, s8, s12
	v_add_nc_u32_e32 v2, s26, v0
	s_waitcnt lgkmcnt(0)
	s_mul_i32 s13, s6, s29
	s_mul_hi_u32 s14, s6, s28
	s_mul_i32 s9, s9, s28
	s_add_i32 s13, s14, s13
	s_mul_i32 s15, s8, s17
	s_add_i32 s13, s13, s9
	s_mul_hi_u32 s17, s8, s16
	s_sub_u32 s12, s20, s12
	s_mul_i32 s8, s8, s16
	s_subb_u32 s14, s21, s22
	s_add_i32 s9, s17, s15
	s_mul_i32 s15, s12, s19
	s_mul_hi_u32 s16, s12, s18
	s_mul_i32 s14, s14, s18
	s_add_i32 s15, s16, s15
	s_lshl_b64 s[8:9], s[8:9], 1
	s_add_i32 s15, s15, s14
	s_mul_i32 s14, s12, s18
	s_add_u32 s16, s30, s8
	s_addc_u32 s17, s31, s9
	s_lshl_b64 s[8:9], s[14:15], 1
	s_mul_i32 s12, s6, s28
	s_add_u32 s6, s16, s8
	s_addc_u32 s14, s17, s9
	s_lshl_b64 s[8:9], s[12:13], 1
	s_add_u32 s8, s6, s8
	s_addc_u32 s9, s14, s9
	s_and_b32 s6, s0, 0xff
	s_cmp_eq_u32 s2, 1
	s_cbranch_scc1 .LBB172_18
; %bb.7:
	v_mov_b32_e32 v3, 1
	v_mov_b32_e32 v4, v2
	s_and_b32 s12, s2, 0x7ffffffe
	s_mov_b32 s13, 0
	s_branch .LBB172_9
.LBB172_8:                              ;   in Loop: Header=BB172_9 Depth=1
	s_or_b32 exec_lo, exec_lo, s14
	v_add_nc_u32_e32 v4, 0x200, v4
	s_add_i32 s13, s13, 2
	s_cmp_eq_u32 s12, s13
	s_cbranch_scc1 .LBB172_17
.LBB172_9:                              ; =>This Inner Loop Header: Depth=1
	s_mov_b32 s14, exec_lo
	v_cmpx_gt_u32_e64 s7, v4
	s_cbranch_execz .LBB172_12
; %bb.10:                               ;   in Loop: Header=BB172_9 Depth=1
	v_mad_u64_u32 v[5:6], null, s4, v4, 0
	v_mad_u64_u32 v[6:7], null, s5, v4, v[6:7]
	v_lshlrev_b64 v[5:6], 1, v[5:6]
	v_add_co_u32 v5, s0, s8, v5
	v_add_co_ci_u32_e64 v6, null, s9, v6, s0
	global_load_sshort v5, v[5:6], off
	s_waitcnt vmcnt(0)
	v_add_nc_u32_e32 v5, 0x8000, v5
	v_xor_b32_e32 v6, s1, v5
	v_and_b32_e32 v6, s3, v6
	v_cmp_eq_u32_e64 s0, 0, v6
	s_and_b32 exec_lo, exec_lo, s0
; %bb.11:                               ;   in Loop: Header=BB172_9 Depth=1
	v_bfe_u32 v5, v5, s6, 8
	v_lshlrev_b32_e32 v5, 2, v5
	ds_add_u32 v5, v3
.LBB172_12:                             ;   in Loop: Header=BB172_9 Depth=1
	s_or_b32 exec_lo, exec_lo, s14
	v_add_nc_u32_e32 v5, 0x100, v4
	s_mov_b32 s14, exec_lo
	v_cmpx_gt_u32_e64 s7, v5
	s_cbranch_execz .LBB172_8
; %bb.13:                               ;   in Loop: Header=BB172_9 Depth=1
	v_mad_u64_u32 v[6:7], null, s4, v5, 0
	v_mad_u64_u32 v[7:8], null, s5, v5, v[7:8]
	v_lshlrev_b64 v[5:6], 1, v[6:7]
	v_add_co_u32 v5, s0, s8, v5
	v_add_co_ci_u32_e64 v6, null, s9, v6, s0
	global_load_sshort v5, v[5:6], off
	s_waitcnt vmcnt(0)
	v_add_nc_u32_e32 v5, 0x8000, v5
	v_xor_b32_e32 v6, s1, v5
	v_and_b32_e32 v6, s3, v6
	v_cmp_eq_u32_e64 s0, 0, v6
	s_and_b32 exec_lo, exec_lo, s0
	s_cbranch_execz .LBB172_8
; %bb.14:                               ;   in Loop: Header=BB172_9 Depth=1
	v_bfe_u32 v5, v5, s6, 8
	v_lshlrev_b32_e32 v5, 2, v5
	ds_add_u32 v5, v3
	s_branch .LBB172_8
.LBB172_15:
	v_cvt_f32_u32_e32 v1, s14
	s_sub_i32 s9, 0, s14
	s_mov_b32 s21, 0
	v_rcp_iflag_f32_e32 v1, v1
	v_mul_f32_e32 v1, 0x4f7ffffe, v1
	v_cvt_u32_f32_e32 v1, v1
	v_readfirstlane_b32 s7, v1
	s_mul_i32 s9, s9, s7
	s_mul_hi_u32 s9, s7, s9
	s_add_i32 s7, s7, s9
	s_mul_hi_u32 s7, s6, s7
	s_mul_i32 s9, s7, s14
	s_add_i32 s16, s7, 1
	s_sub_i32 s9, s6, s9
	s_sub_i32 s17, s9, s14
	s_cmp_ge_u32 s9, s14
	s_cselect_b32 s7, s16, s7
	s_cselect_b32 s9, s17, s9
	s_add_i32 s16, s7, 1
	s_cmp_ge_u32 s9, s14
	s_cselect_b32 s20, s16, s7
	v_cmp_lt_u64_e64 s7, s[20:21], s[12:13]
	s_and_b32 vcc_lo, exec_lo, s7
	s_cbranch_vccnz .LBB172_3
.LBB172_16:
	v_cvt_f32_u32_e32 v1, s12
	s_sub_i32 s8, 0, s12
	v_rcp_iflag_f32_e32 v1, v1
	v_mul_f32_e32 v1, 0x4f7ffffe, v1
	v_cvt_u32_f32_e32 v1, v1
	v_readfirstlane_b32 s7, v1
	s_mul_i32 s8, s8, s7
	s_mul_hi_u32 s8, s7, s8
	s_add_i32 s7, s7, s8
	s_mul_hi_u32 s7, s20, s7
	s_mul_i32 s8, s7, s12
	s_add_i32 s9, s7, 1
	s_sub_i32 s8, s20, s8
	s_sub_i32 s16, s8, s12
	s_cmp_ge_u32 s8, s12
	s_cselect_b32 s7, s9, s7
	s_cselect_b32 s8, s16, s8
	s_add_i32 s9, s7, 1
	s_cmp_ge_u32 s8, s12
	s_cselect_b32 s8, s9, s7
	v_cmp_gt_u32_e32 vcc_lo, 0x100, v0
	v_lshlrev_b32_e32 v1, 2, v0
	s_and_saveexec_b32 s7, vcc_lo
	s_cbranch_execnz .LBB172_4
	s_branch .LBB172_5
.LBB172_17:
	s_lshl_b32 s25, s12, 8
.LBB172_18:
	s_bitcmp0_b32 s2, 0
	s_cbranch_scc1 .LBB172_23
; %bb.19:
	v_add_nc_u32_e32 v2, s25, v2
	s_mov_b32 s2, exec_lo
	v_cmpx_gt_u32_e64 s7, v2
	s_cbranch_execz .LBB172_22
; %bb.20:
	v_mad_u64_u32 v[3:4], null, s4, v2, 0
	v_mad_u64_u32 v[4:5], null, s5, v2, v[4:5]
	v_lshlrev_b64 v[2:3], 1, v[3:4]
	v_add_co_u32 v2, s0, s8, v2
	v_add_co_ci_u32_e64 v3, null, s9, v3, s0
	global_load_sshort v2, v[2:3], off
	s_waitcnt vmcnt(0)
	v_add_nc_u32_e32 v2, 0x8000, v2
	v_xor_b32_e32 v3, s1, v2
	v_and_b32_e32 v3, s3, v3
	v_cmp_eq_u32_e64 s0, 0, v3
	s_and_b32 exec_lo, exec_lo, s0
	s_cbranch_execz .LBB172_22
; %bb.21:
	v_bfe_u32 v2, v2, s6, 8
	v_mov_b32_e32 v3, 1
	v_lshlrev_b32_e32 v2, 2, v2
	ds_add_u32 v2, v3
.LBB172_22:
	s_or_b32 exec_lo, exec_lo, s2
.LBB172_23:
	s_waitcnt lgkmcnt(0)
	s_barrier
	buffer_gl0_inv
	s_and_saveexec_b32 s0, vcc_lo
	s_cbranch_execz .LBB172_25
; %bb.24:
	ds_read_b32 v2, v1
	v_lshl_or_b32 v0, s24, 8, v0
	v_mov_b32_e32 v1, 0
	v_lshlrev_b64 v[0:1], 1, v[0:1]
	v_add_co_u32 v0, vcc_lo, s10, v0
	v_add_co_ci_u32_e64 v1, null, s11, v1, vcc_lo
	s_waitcnt lgkmcnt(0)
	global_store_short v[0:1], v2, off
.LBB172_25:
	s_endpgm
	.section	.rodata,"a",@progbits
	.p2align	6, 0x0
	.amdhsa_kernel _ZN2at6native6mbtopk23computeBlockDigitCountsIsmjLi3EEEvNS_4cuda6detail10TensorInfoIKT_T0_EEjPjjS8_iijT1_PSB_Ps
		.amdhsa_group_segment_fixed_size 1024
		.amdhsa_private_segment_fixed_size 0
		.amdhsa_kernarg_size 736
		.amdhsa_user_sgpr_count 6
		.amdhsa_user_sgpr_private_segment_buffer 1
		.amdhsa_user_sgpr_dispatch_ptr 0
		.amdhsa_user_sgpr_queue_ptr 0
		.amdhsa_user_sgpr_kernarg_segment_ptr 1
		.amdhsa_user_sgpr_dispatch_id 0
		.amdhsa_user_sgpr_flat_scratch_init 0
		.amdhsa_user_sgpr_private_segment_size 0
		.amdhsa_wavefront_size32 1
		.amdhsa_uses_dynamic_stack 0
		.amdhsa_system_sgpr_private_segment_wavefront_offset 0
		.amdhsa_system_sgpr_workgroup_id_x 1
		.amdhsa_system_sgpr_workgroup_id_y 1
		.amdhsa_system_sgpr_workgroup_id_z 1
		.amdhsa_system_sgpr_workgroup_info 0
		.amdhsa_system_vgpr_workitem_id 0
		.amdhsa_next_free_vgpr 9
		.amdhsa_next_free_sgpr 32
		.amdhsa_reserve_vcc 1
		.amdhsa_reserve_flat_scratch 0
		.amdhsa_float_round_mode_32 0
		.amdhsa_float_round_mode_16_64 0
		.amdhsa_float_denorm_mode_32 3
		.amdhsa_float_denorm_mode_16_64 3
		.amdhsa_dx10_clamp 1
		.amdhsa_ieee_mode 1
		.amdhsa_fp16_overflow 0
		.amdhsa_workgroup_processor_mode 1
		.amdhsa_memory_ordered 1
		.amdhsa_forward_progress 1
		.amdhsa_shared_vgpr_count 0
		.amdhsa_exception_fp_ieee_invalid_op 0
		.amdhsa_exception_fp_denorm_src 0
		.amdhsa_exception_fp_ieee_div_zero 0
		.amdhsa_exception_fp_ieee_overflow 0
		.amdhsa_exception_fp_ieee_underflow 0
		.amdhsa_exception_fp_ieee_inexact 0
		.amdhsa_exception_int_div_zero 0
	.end_amdhsa_kernel
	.section	.text._ZN2at6native6mbtopk23computeBlockDigitCountsIsmjLi3EEEvNS_4cuda6detail10TensorInfoIKT_T0_EEjPjjS8_iijT1_PSB_Ps,"axG",@progbits,_ZN2at6native6mbtopk23computeBlockDigitCountsIsmjLi3EEEvNS_4cuda6detail10TensorInfoIKT_T0_EEjPjjS8_iijT1_PSB_Ps,comdat
.Lfunc_end172:
	.size	_ZN2at6native6mbtopk23computeBlockDigitCountsIsmjLi3EEEvNS_4cuda6detail10TensorInfoIKT_T0_EEjPjjS8_iijT1_PSB_Ps, .Lfunc_end172-_ZN2at6native6mbtopk23computeBlockDigitCountsIsmjLi3EEEvNS_4cuda6detail10TensorInfoIKT_T0_EEjPjjS8_iijT1_PSB_Ps
                                        ; -- End function
	.set _ZN2at6native6mbtopk23computeBlockDigitCountsIsmjLi3EEEvNS_4cuda6detail10TensorInfoIKT_T0_EEjPjjS8_iijT1_PSB_Ps.num_vgpr, 9
	.set _ZN2at6native6mbtopk23computeBlockDigitCountsIsmjLi3EEEvNS_4cuda6detail10TensorInfoIKT_T0_EEjPjjS8_iijT1_PSB_Ps.num_agpr, 0
	.set _ZN2at6native6mbtopk23computeBlockDigitCountsIsmjLi3EEEvNS_4cuda6detail10TensorInfoIKT_T0_EEjPjjS8_iijT1_PSB_Ps.numbered_sgpr, 32
	.set _ZN2at6native6mbtopk23computeBlockDigitCountsIsmjLi3EEEvNS_4cuda6detail10TensorInfoIKT_T0_EEjPjjS8_iijT1_PSB_Ps.num_named_barrier, 0
	.set _ZN2at6native6mbtopk23computeBlockDigitCountsIsmjLi3EEEvNS_4cuda6detail10TensorInfoIKT_T0_EEjPjjS8_iijT1_PSB_Ps.private_seg_size, 0
	.set _ZN2at6native6mbtopk23computeBlockDigitCountsIsmjLi3EEEvNS_4cuda6detail10TensorInfoIKT_T0_EEjPjjS8_iijT1_PSB_Ps.uses_vcc, 1
	.set _ZN2at6native6mbtopk23computeBlockDigitCountsIsmjLi3EEEvNS_4cuda6detail10TensorInfoIKT_T0_EEjPjjS8_iijT1_PSB_Ps.uses_flat_scratch, 0
	.set _ZN2at6native6mbtopk23computeBlockDigitCountsIsmjLi3EEEvNS_4cuda6detail10TensorInfoIKT_T0_EEjPjjS8_iijT1_PSB_Ps.has_dyn_sized_stack, 0
	.set _ZN2at6native6mbtopk23computeBlockDigitCountsIsmjLi3EEEvNS_4cuda6detail10TensorInfoIKT_T0_EEjPjjS8_iijT1_PSB_Ps.has_recursion, 0
	.set _ZN2at6native6mbtopk23computeBlockDigitCountsIsmjLi3EEEvNS_4cuda6detail10TensorInfoIKT_T0_EEjPjjS8_iijT1_PSB_Ps.has_indirect_call, 0
	.section	.AMDGPU.csdata,"",@progbits
; Kernel info:
; codeLenInByte = 1292
; TotalNumSgprs: 34
; NumVgprs: 9
; ScratchSize: 0
; MemoryBound: 0
; FloatMode: 240
; IeeeMode: 1
; LDSByteSize: 1024 bytes/workgroup (compile time only)
; SGPRBlocks: 0
; VGPRBlocks: 1
; NumSGPRsForWavesPerEU: 34
; NumVGPRsForWavesPerEU: 9
; Occupancy: 16
; WaveLimiterHint : 1
; COMPUTE_PGM_RSRC2:SCRATCH_EN: 0
; COMPUTE_PGM_RSRC2:USER_SGPR: 6
; COMPUTE_PGM_RSRC2:TRAP_HANDLER: 0
; COMPUTE_PGM_RSRC2:TGID_X_EN: 1
; COMPUTE_PGM_RSRC2:TGID_Y_EN: 1
; COMPUTE_PGM_RSRC2:TGID_Z_EN: 1
; COMPUTE_PGM_RSRC2:TIDIG_COMP_CNT: 0
	.section	.text._ZN2at6native6mbtopk10gatherTopKIsmLi3EEEvNS_4cuda6detail10TensorInfoIKT_T0_EES8_S8_bjS8_NS5_IS6_S8_EES8_NS5_IlS8_EES8_jjPS6_PjSD_j,"axG",@progbits,_ZN2at6native6mbtopk10gatherTopKIsmLi3EEEvNS_4cuda6detail10TensorInfoIKT_T0_EES8_S8_bjS8_NS5_IS6_S8_EES8_NS5_IlS8_EES8_jjPS6_PjSD_j,comdat
	.protected	_ZN2at6native6mbtopk10gatherTopKIsmLi3EEEvNS_4cuda6detail10TensorInfoIKT_T0_EES8_S8_bjS8_NS5_IS6_S8_EES8_NS5_IlS8_EES8_jjPS6_PjSD_j ; -- Begin function _ZN2at6native6mbtopk10gatherTopKIsmLi3EEEvNS_4cuda6detail10TensorInfoIKT_T0_EES8_S8_bjS8_NS5_IS6_S8_EES8_NS5_IlS8_EES8_jjPS6_PjSD_j
	.globl	_ZN2at6native6mbtopk10gatherTopKIsmLi3EEEvNS_4cuda6detail10TensorInfoIKT_T0_EES8_S8_bjS8_NS5_IS6_S8_EES8_NS5_IlS8_EES8_jjPS6_PjSD_j
	.p2align	8
	.type	_ZN2at6native6mbtopk10gatherTopKIsmLi3EEEvNS_4cuda6detail10TensorInfoIKT_T0_EES8_S8_bjS8_NS5_IS6_S8_EES8_NS5_IlS8_EES8_jjPS6_PjSD_j,@function
_ZN2at6native6mbtopk10gatherTopKIsmLi3EEEvNS_4cuda6detail10TensorInfoIKT_T0_EES8_S8_bjS8_NS5_IS6_S8_EES8_NS5_IlS8_EES8_jjPS6_PjSD_j: ; @_ZN2at6native6mbtopk10gatherTopKIsmLi3EEEvNS_4cuda6detail10TensorInfoIKT_T0_EES8_S8_bjS8_NS5_IS6_S8_EES8_NS5_IlS8_EES8_jjPS6_PjSD_j
; %bb.0:
	s_clause 0x1
	s_load_dwordx2 s[0:1], s[4:5], 0x538
	s_load_dword s2, s[4:5], 0x530
	s_waitcnt lgkmcnt(0)
	s_mul_i32 s1, s1, s8
	s_add_i32 s1, s1, s7
	s_mul_i32 s0, s1, s0
	s_add_i32 s0, s0, s6
	s_cmp_ge_u32 s0, s2
	s_cbranch_scc1 .LBB173_54
; %bb.1:
	s_clause 0x2
	s_load_dwordx2 s[6:7], s[4:5], 0x510
	s_load_dwordx4 s[8:11], s[4:5], 0x1a0
	s_load_dwordx4 s[12:15], s[4:5], 0x10
	s_mov_b32 s35, 0
	s_waitcnt lgkmcnt(0)
	v_cvt_f32_u32_e32 v1, s7
	s_sub_i32 s2, 0, s7
	s_lshl_b32 s33, s6, 8
	v_rcp_iflag_f32_e32 v1, v1
	v_mul_f32_e32 v1, 0x4f7ffffe, v1
	v_cvt_u32_f32_e32 v1, v1
	v_readfirstlane_b32 s1, v1
	s_mul_i32 s2, s2, s1
	s_mul_hi_u32 s2, s1, s2
	s_add_i32 s1, s1, s2
	s_mul_hi_u32 s1, s0, s1
	s_mul_i32 s2, s1, s7
	s_add_i32 s3, s1, 1
	s_sub_i32 s2, s0, s2
	s_sub_i32 s16, s2, s7
	s_cmp_ge_u32 s2, s7
	s_cselect_b32 s1, s3, s1
	s_cselect_b32 s2, s16, s2
	s_add_i32 s3, s1, 1
	s_cmp_ge_u32 s2, s7
	s_cselect_b32 s34, s3, s1
	s_mul_i32 s20, s34, s7
	s_sub_i32 s72, s0, s20
	s_add_i32 s0, s72, 1
	s_cmp_lt_u32 s0, s7
	s_cbranch_scc1 .LBB173_3
; %bb.2:
	s_mul_i32 s0, s72, s33
	s_sub_u32 s0, s8, s0
	s_subb_u32 s1, s9, 0
	s_add_u32 s0, s0, 0xff
	s_addc_u32 s1, s1, 0
	s_ashr_i32 s2, s1, 31
	s_lshr_b32 s2, s2, 24
	s_add_u32 s0, s0, s2
	s_addc_u32 s1, s1, 0
	s_lshr_b64 s[0:1], s[0:1], 8
	s_mov_b32 s6, s0
.LBB173_3:
	v_cmp_lt_u64_e64 s0, s[34:35], s[14:15]
	s_mov_b64 s[48:49], 0
	s_mov_b64 s[50:51], 0
	s_and_b32 vcc_lo, exec_lo, s0
	s_cbranch_vccnz .LBB173_5
; %bb.4:
	v_cvt_f32_u32_e32 v1, s14
	s_sub_i32 s1, 0, s14
	s_mov_b32 s51, 0
	v_rcp_iflag_f32_e32 v1, v1
	v_mul_f32_e32 v1, 0x4f7ffffe, v1
	v_cvt_u32_f32_e32 v1, v1
	v_readfirstlane_b32 s0, v1
	s_mul_i32 s1, s1, s0
	s_mul_hi_u32 s1, s0, s1
	s_add_i32 s0, s0, s1
	s_mul_hi_u32 s0, s34, s0
	s_mul_i32 s1, s0, s14
	s_add_i32 s2, s0, 1
	s_sub_i32 s1, s34, s1
	s_sub_i32 s3, s1, s14
	s_cmp_ge_u32 s1, s14
	s_cselect_b32 s0, s2, s0
	s_cselect_b32 s1, s3, s1
	s_add_i32 s2, s0, 1
	s_cmp_ge_u32 s1, s14
	s_cselect_b32 s50, s2, s0
.LBB173_5:
	s_load_dwordx4 s[24:27], s[4:5], 0x1d0
	v_cmp_lt_u64_e64 s0, s[50:51], s[12:13]
	s_and_b32 vcc_lo, exec_lo, s0
	s_cbranch_vccnz .LBB173_7
; %bb.6:
	v_cvt_f32_u32_e32 v1, s12
	s_sub_i32 s1, 0, s12
	v_rcp_iflag_f32_e32 v1, v1
	v_mul_f32_e32 v1, 0x4f7ffffe, v1
	v_cvt_u32_f32_e32 v1, v1
	v_readfirstlane_b32 s0, v1
	s_mul_i32 s1, s1, s0
	s_mul_hi_u32 s1, s0, s1
	s_add_i32 s0, s0, s1
	s_mul_hi_u32 s0, s50, s0
	s_mul_i32 s1, s0, s12
	s_add_i32 s2, s0, 1
	s_sub_i32 s1, s50, s1
	s_sub_i32 s3, s1, s12
	s_cmp_ge_u32 s1, s12
	s_cselect_b32 s0, s2, s0
	s_cselect_b32 s1, s3, s1
	s_add_i32 s2, s0, 1
	s_cmp_ge_u32 s1, s12
	s_cselect_b32 s48, s2, s0
.LBB173_7:
	s_waitcnt lgkmcnt(0)
	v_cmp_lt_u64_e64 s0, s[34:35], s[26:27]
	s_mov_b64 s[52:53], 0
	s_mov_b64 s[60:61], 0
	s_and_b32 vcc_lo, exec_lo, s0
	s_cbranch_vccnz .LBB173_9
; %bb.8:
	v_cvt_f32_u32_e32 v1, s26
	s_sub_i32 s1, 0, s26
	s_mov_b32 s61, 0
	v_rcp_iflag_f32_e32 v1, v1
	v_mul_f32_e32 v1, 0x4f7ffffe, v1
	v_cvt_u32_f32_e32 v1, v1
	v_readfirstlane_b32 s0, v1
	s_mul_i32 s1, s1, s0
	s_mul_hi_u32 s1, s0, s1
	s_add_i32 s0, s0, s1
	s_mul_hi_u32 s0, s34, s0
	s_mul_i32 s1, s0, s26
	s_add_i32 s2, s0, 1
	s_sub_i32 s1, s34, s1
	s_sub_i32 s3, s1, s26
	s_cmp_ge_u32 s1, s26
	s_cselect_b32 s0, s2, s0
	s_cselect_b32 s1, s3, s1
	s_add_i32 s2, s0, 1
	s_cmp_ge_u32 s1, s26
	s_cselect_b32 s60, s2, s0
.LBB173_9:
	s_load_dwordx4 s[28:31], s[4:5], 0x378
	v_cmp_lt_u64_e64 s0, s[60:61], s[24:25]
	s_and_b32 vcc_lo, exec_lo, s0
	s_cbranch_vccnz .LBB173_11
; %bb.10:
	v_cvt_f32_u32_e32 v1, s24
	s_sub_i32 s1, 0, s24
	v_rcp_iflag_f32_e32 v1, v1
	v_mul_f32_e32 v1, 0x4f7ffffe, v1
	v_cvt_u32_f32_e32 v1, v1
	v_readfirstlane_b32 s0, v1
	s_mul_i32 s1, s1, s0
	s_mul_hi_u32 s1, s0, s1
	s_add_i32 s0, s0, s1
	s_mul_hi_u32 s0, s60, s0
	s_mul_i32 s1, s0, s24
	s_add_i32 s2, s0, 1
	s_sub_i32 s1, s60, s1
	s_sub_i32 s3, s1, s24
	s_cmp_ge_u32 s1, s24
	s_cselect_b32 s0, s2, s0
	s_cselect_b32 s1, s3, s1
	s_add_i32 s2, s0, 1
	s_cmp_ge_u32 s1, s24
	s_cselect_b32 s52, s2, s0
.LBB173_11:
	s_waitcnt lgkmcnt(0)
	v_cmp_lt_u64_e64 s0, s[34:35], s[30:31]
	s_mov_b64 s[54:55], 0
	s_mov_b64 s[64:65], 0
	s_and_b32 vcc_lo, exec_lo, s0
	s_cbranch_vccnz .LBB173_13
; %bb.12:
	v_cvt_f32_u32_e32 v1, s30
	s_sub_i32 s1, 0, s30
	s_mov_b32 s65, 0
	v_rcp_iflag_f32_e32 v1, v1
	v_mul_f32_e32 v1, 0x4f7ffffe, v1
	v_cvt_u32_f32_e32 v1, v1
	v_readfirstlane_b32 s0, v1
	s_mul_i32 s1, s1, s0
	s_mul_hi_u32 s1, s0, s1
	s_add_i32 s0, s0, s1
	s_mul_hi_u32 s0, s34, s0
	s_mul_i32 s1, s0, s30
	s_add_i32 s2, s0, 1
	s_sub_i32 s1, s34, s1
	s_sub_i32 s3, s1, s30
	s_cmp_ge_u32 s1, s30
	s_cselect_b32 s0, s2, s0
	s_cselect_b32 s1, s3, s1
	s_add_i32 s2, s0, 1
	s_cmp_ge_u32 s1, s30
	s_cselect_b32 s64, s2, s0
.LBB173_13:
	s_clause 0x5
	s_load_dwordx2 s[62:63], s[4:5], 0xe0
	s_load_dwordx4 s[44:47], s[4:5], 0xd0
	s_load_dwordx2 s[58:59], s[4:5], 0x2a0
	s_load_dwordx4 s[40:43], s[4:5], 0x290
	;; [unrolled: 2-line block ×3, first 2 shown]
	v_cmp_lt_u64_e64 s0, s[64:65], s[28:29]
	s_and_b32 vcc_lo, exec_lo, s0
	s_cbranch_vccnz .LBB173_15
; %bb.14:
	v_cvt_f32_u32_e32 v1, s28
	s_sub_i32 s1, 0, s28
	v_rcp_iflag_f32_e32 v1, v1
	v_mul_f32_e32 v1, 0x4f7ffffe, v1
	v_cvt_u32_f32_e32 v1, v1
	v_readfirstlane_b32 s0, v1
	s_mul_i32 s1, s1, s0
	s_mul_hi_u32 s1, s0, s1
	s_add_i32 s0, s0, s1
	s_mul_hi_u32 s0, s64, s0
	s_mul_i32 s1, s0, s28
	s_add_i32 s2, s0, 1
	s_sub_i32 s1, s64, s1
	s_sub_i32 s3, s1, s28
	s_cmp_ge_u32 s1, s28
	s_cselect_b32 s0, s2, s0
	s_cselect_b32 s1, s3, s1
	s_add_i32 s2, s0, 1
	s_cmp_ge_u32 s1, s28
	s_cselect_b32 s54, s2, s0
.LBB173_15:
	s_clause 0x1
	s_load_dwordx4 s[0:3], s[4:5], 0x518
	s_load_dwordx2 s[66:67], s[4:5], 0x0
	s_lshl_b64 s[16:17], s[34:35], 1
	v_mov_b32_e32 v1, 0
	s_mov_b32 s21, 0
	s_waitcnt lgkmcnt(0)
	s_add_u32 s0, s0, s16
	s_addc_u32 s1, s1, s17
	global_load_ushort v8, v1, s[0:1]
	v_cmp_ne_u32_e64 s0, 0, v0
	v_cmp_eq_u32_e64 s1, 0, v0
	s_and_saveexec_b32 s35, s1
	s_cbranch_execz .LBB173_31
; %bb.16:
	s_load_dwordx2 s[22:23], s[4:5], 0x528
	s_lshl_b64 s[68:69], s[20:21], 2
	s_mov_b32 s20, 0
	s_add_u32 s16, s2, s68
	s_addc_u32 s17, s3, s69
	s_mov_b32 s49, 0
	s_waitcnt lgkmcnt(0)
	s_add_u32 s18, s22, s68
	s_addc_u32 s19, s23, s69
	s_cmp_lt_u32 s7, 4
	s_cbranch_scc1 .LBB173_28
; %bb.17:
	s_mov_b32 s53, 0
.LBB173_18:                             ; =>This Inner Loop Header: Depth=1
	s_add_u32 s16, s2, s68
	s_addc_u32 s17, s3, s69
	s_add_u32 s70, s22, s68
	s_load_dwordx4 s[16:19], s[16:17], 0x0
	s_addc_u32 s71, s23, s69
	s_cmp_ge_u32 s53, s72
	s_cbranch_scc0 .LBB173_25
; %bb.19:                               ;   in Loop: Header=BB173_18 Depth=1
	s_add_i32 s55, s53, 1
	s_cmp_ge_u32 s55, s72
	s_cbranch_scc0 .LBB173_26
.LBB173_20:                             ;   in Loop: Header=BB173_18 Depth=1
	s_add_i32 s55, s55, 1
	s_cmp_ge_u32 s55, s72
	s_cbranch_scc0 .LBB173_27
.LBB173_21:                             ;   in Loop: Header=BB173_18 Depth=1
	s_add_i32 s55, s55, 1
	s_cmp_ge_u32 s55, s72
	s_cbranch_scc1 .LBB173_23
.LBB173_22:                             ;   in Loop: Header=BB173_18 Depth=1
	s_load_dword s70, s[70:71], 0xc
	s_waitcnt lgkmcnt(0)
	s_add_i32 s21, s21, s19
	s_add_i32 s20, s70, s20
.LBB173_23:                             ;   in Loop: Header=BB173_18 Depth=1
	s_waitcnt lgkmcnt(0)
	s_add_i32 s16, s16, s49
	s_add_i32 s16, s16, s17
	;; [unrolled: 1-line block ×4, first 2 shown]
	s_add_u32 s2, s2, 16
	s_addc_u32 s3, s3, 0
	s_add_u32 s22, s22, 16
	s_addc_u32 s23, s23, 0
	s_add_i32 s70, s55, 4
	s_add_u32 s18, s22, s68
	s_addc_u32 s19, s23, s69
	s_add_u32 s16, s2, s68
	s_addc_u32 s17, s3, s69
	s_add_i32 s55, s55, 1
	s_cmp_ge_u32 s70, s7
	s_cbranch_scc1 .LBB173_29
; %bb.24:                               ;   in Loop: Header=BB173_18 Depth=1
	s_mov_b32 s53, s55
	s_branch .LBB173_18
.LBB173_25:                             ;   in Loop: Header=BB173_18 Depth=1
	s_load_dword s55, s[70:71], 0x0
	s_waitcnt lgkmcnt(0)
	s_add_i32 s21, s16, s21
	s_add_i32 s20, s55, s20
	;; [unrolled: 1-line block ×3, first 2 shown]
	s_cmp_ge_u32 s55, s72
	s_cbranch_scc1 .LBB173_20
.LBB173_26:                             ;   in Loop: Header=BB173_18 Depth=1
	s_load_dword s73, s[70:71], 0x4
	s_waitcnt lgkmcnt(0)
	s_add_i32 s21, s21, s17
	s_add_i32 s20, s73, s20
	;; [unrolled: 1-line block ×3, first 2 shown]
	s_cmp_ge_u32 s55, s72
	s_cbranch_scc1 .LBB173_21
.LBB173_27:                             ;   in Loop: Header=BB173_18 Depth=1
	s_load_dword s73, s[70:71], 0x8
	s_waitcnt lgkmcnt(0)
	s_add_i32 s21, s21, s18
	s_add_i32 s20, s73, s20
	;; [unrolled: 1-line block ×3, first 2 shown]
	s_cmp_ge_u32 s55, s72
	s_cbranch_scc0 .LBB173_22
	s_branch .LBB173_23
.LBB173_28:
	s_mov_b32 s2, 0
	s_cmp_ge_u32 s2, s7
	s_cbranch_scc0 .LBB173_52
	s_branch .LBB173_30
.LBB173_29:
	s_add_i32 s2, s53, 4
	s_cmp_ge_u32 s2, s7
	s_cbranch_scc0 .LBB173_52
.LBB173_30:
	v_mov_b32_e32 v1, s20
	v_mov_b32_e32 v2, s49
	;; [unrolled: 1-line block ×4, first 2 shown]
	ds_write_b96 v4, v[1:3] offset:1056
.LBB173_31:
	s_or_b32 exec_lo, exec_lo, s35
	s_clause 0x1
	s_load_dwordx4 s[16:19], s[4:5], 0x1b8
	s_load_dwordx4 s[20:23], s[4:5], 0x360
	s_cmp_eq_u32 s6, 0
	s_waitcnt vmcnt(0) lgkmcnt(0)
	s_barrier
	buffer_gl0_inv
	s_cbranch_scc1 .LBB173_54
; %bb.32:
	s_mul_i32 s2, s64, s31
	s_mul_hi_u32 s3, s64, s30
	s_mul_i32 s7, s64, s30
	s_add_i32 s3, s3, s2
	s_sub_u32 s2, s34, s7
	s_subb_u32 s3, 0, s3
	s_mul_i32 s7, s2, s57
	s_mul_hi_u32 s30, s2, s56
	s_mul_i32 s3, s3, s56
	s_add_i32 s7, s30, s7
	s_mul_hi_u32 s35, s52, s40
	s_add_i32 s3, s7, s3
	s_mul_i32 s7, s52, s25
	s_mul_hi_u32 s25, s52, s24
	s_mul_i32 s24, s52, s24
	s_add_i32 s25, s25, s7
	s_sub_u32 s24, s60, s24
	s_subb_u32 s25, s61, s25
	s_mul_i32 s7, s24, s43
	s_mul_hi_u32 s30, s24, s42
	s_mul_i32 s25, s25, s42
	s_add_i32 s7, s30, s7
	s_mul_i32 s30, s52, s41
	s_add_i32 s31, s7, s25
	s_mul_i32 s7, s60, s27
	s_mul_hi_u32 s25, s60, s26
	s_mul_i32 s26, s60, s26
	s_add_i32 s35, s35, s30
	s_add_i32 s25, s25, s7
	s_sub_u32 s41, s34, s26
	s_subb_u32 s25, 0, s25
	s_mul_i32 s7, s41, s59
	s_mul_hi_u32 s26, s41, s58
	s_mul_i32 s25, s25, s58
	s_add_i32 s7, s26, s7
	s_mul_hi_u32 s27, s48, s44
	s_add_i32 s25, s7, s25
	s_mul_i32 s7, s48, s13
	s_mul_hi_u32 s13, s48, s12
	s_mul_i32 s12, s48, s12
	s_add_i32 s13, s13, s7
	s_sub_u32 s7, s50, s12
	s_subb_u32 s13, s51, s13
	s_mul_i32 s12, s7, s47
	s_mul_hi_u32 s26, s7, s46
	s_mul_i32 s13, s13, s46
	s_add_i32 s12, s26, s12
	s_mul_i32 s26, s48, s45
	s_add_i32 s13, s12, s13
	s_mul_i32 s12, s50, s15
	s_mul_hi_u32 s15, s50, s14
	s_mul_i32 s14, s50, s14
	s_add_i32 s27, s27, s26
	s_add_i32 s15, s15, s12
	s_sub_u32 s14, s34, s14
	s_subb_u32 s15, 0, s15
	s_mul_i32 s12, s14, s63
	s_mul_hi_u32 s26, s14, s62
	s_mul_i32 s15, s15, s62
	s_add_i32 s12, s26, s12
	s_mul_hi_u32 s26, s54, s28
	s_add_i32 s15, s12, s15
	s_mul_i32 s12, s54, s29
	s_mul_i32 s28, s54, s28
	s_add_i32 s26, s26, s12
	s_sub_u32 s28, s64, s28
	s_mul_i32 s12, s7, s46
	s_mul_i32 s7, s28, s39
	s_mul_hi_u32 s29, s28, s38
	s_subb_u32 s26, s65, s26
	s_add_i32 s7, s29, s7
	s_mul_i32 s29, s26, s38
	s_mul_i32 s26, s48, s44
	s_add_i32 s29, s7, s29
	s_mul_i32 s7, s54, s37
	s_mul_hi_u32 s30, s54, s36
	s_lshl_b64 s[26:27], s[26:27], 1
	s_add_i32 s37, s30, s7
	s_add_u32 s7, s66, s26
	s_addc_u32 s26, s67, s27
	s_lshl_b64 s[12:13], s[12:13], 1
	s_mul_i32 s14, s14, s62
	s_add_u32 s7, s7, s12
	s_addc_u32 s26, s26, s13
	s_lshl_b64 s[12:13], s[14:15], 1
	s_mul_i32 s34, s52, s40
	s_add_u32 s7, s7, s12
	v_mov_b32_e32 v5, 0
	s_addc_u32 s12, s26, s13
	s_lshl_b64 s[14:15], s[34:35], 1
	s_mul_i32 s30, s24, s42
	s_add_u32 s13, s18, s14
	s_addc_u32 s18, s19, s15
	s_lshl_b64 s[14:15], s[30:31], 1
	s_mul_i32 s24, s41, s58
	ds_read_b96 v[1:3], v5 offset:1056
	s_add_u32 s13, s13, s14
	s_addc_u32 s18, s18, s15
	s_lshl_b64 s[14:15], s[24:25], 1
	s_mul_i32 s36, s54, s36
	s_add_u32 s13, s13, s14
	s_addc_u32 s14, s18, s15
	s_lshl_b64 s[18:19], s[36:37], 3
	s_mul_i32 s28, s28, s38
	;; [unrolled: 4-line block ×3, first 2 shown]
	s_add_u32 s15, s15, s18
	s_addc_u32 s18, s22, s19
	s_lshl_b64 s[2:3], s[2:3], 3
	v_add_nc_u32_e32 v4, -1, v0
	s_add_u32 s15, s15, s2
	s_addc_u32 s18, s18, s3
	s_clause 0x1
	s_load_dword s3, s[4:5], 0x1b0
	s_load_dwordx2 s[4:5], s[4:5], 0x508
	v_lshrrev_b32_e32 v6, 3, v0
	v_lshrrev_b32_e32 v7, 3, v4
	s_waitcnt lgkmcnt(0)
	v_add_nc_u32_e32 v1, v1, v2
	v_mov_b32_e32 v9, 0x8000
	v_and_b32_e32 v13, 0xfc, v0
	v_and_b32_e32 v2, 28, v6
	;; [unrolled: 1-line block ×3, first 2 shown]
	v_mad_u64_u32 v[6:7], null, s72, s33, v[0:1]
	v_lshlrev_b32_e32 v14, 5, v0
	v_mbcnt_lo_u32_b32 v11, -1, 0
	v_add_nc_u32_sdwa v10, sext(v8), v9 dst_sel:DWORD dst_unused:UNUSED_PAD src0_sel:WORD_0 src1_sel:DWORD
	v_lshl_add_u32 v12, v0, 2, v2
	v_cmp_gt_u32_e64 s2, 32, v0
	v_lshl_add_u32 v0, v4, 2, v15
	v_add_nc_u32_e32 v13, v13, v14
	v_and_b32_e32 v14, 15, v11
	v_bfe_i32 v15, v11, 4, 1
	v_add_nc_u32_e32 v16, -1, v11
	v_mov_b32_e32 v4, v6
	s_bitcmp1_b32 s3, 0
                                        ; implicit-def: $vgpr17
	s_cselect_b32 s3, -1, 0
	s_branch .LBB173_35
.LBB173_33:                             ;   in Loop: Header=BB173_35 Depth=1
	s_or_b32 exec_lo, exec_lo, s19
	v_add_nc_u32_e32 v1, v2, v1
.LBB173_34:                             ;   in Loop: Header=BB173_35 Depth=1
	v_add_nc_u32_e32 v3, v18, v3
	v_add_nc_u32_e32 v4, 0x100, v4
	s_add_i32 s6, s6, -1
	s_cmp_lg_u32 s6, 0
	s_cbranch_scc0 .LBB173_54
.LBB173_35:                             ; =>This Inner Loop Header: Depth=1
	v_mov_b32_e32 v2, v5
	v_mov_b32_e32 v6, v5
	s_mov_b32 s19, exec_lo
	v_cmpx_gt_u64_e64 s[8:9], v[4:5]
	s_cbranch_execz .LBB173_37
; %bb.36:                               ;   in Loop: Header=BB173_35 Depth=1
	v_mad_u64_u32 v[6:7], null, s16, v4, 0
	v_mov_b32_e32 v2, v7
	v_mad_u64_u32 v[17:18], null, s17, v4, v[2:3]
	v_mov_b32_e32 v7, v17
	v_lshlrev_b64 v[6:7], 1, v[6:7]
	v_add_co_u32 v6, vcc_lo, s7, v6
	v_add_co_ci_u32_e64 v7, null, s12, v7, vcc_lo
	global_load_ushort v17, v[6:7], off
	s_waitcnt vmcnt(0)
	v_add_nc_u32_sdwa v2, sext(v17), v9 dst_sel:DWORD dst_unused:UNUSED_PAD src0_sel:WORD_0 src1_sel:DWORD
	v_cmp_gt_u32_e32 vcc_lo, v2, v10
	v_cndmask_b32_e64 v6, 0, 1, vcc_lo
	v_cmp_lt_u32_e32 vcc_lo, v2, v10
	v_cndmask_b32_e64 v2, 0, 1, vcc_lo
	v_cmp_eq_u16_e32 vcc_lo, v17, v8
	v_cndmask_b32_e64 v2, v2, v6, s3
	v_cndmask_b32_e64 v6, 0, 1, vcc_lo
	v_and_b32_e32 v2, 1, v2
.LBB173_37:                             ;   in Loop: Header=BB173_35 Depth=1
	s_or_b32 exec_lo, exec_lo, s19
	ds_write_b32 v12, v2
	s_waitcnt lgkmcnt(0)
	s_barrier
	buffer_gl0_inv
	s_and_saveexec_b32 s19, s2
	s_cbranch_execz .LBB173_39
; %bb.38:                               ;   in Loop: Header=BB173_35 Depth=1
	ds_read2_b32 v[18:19], v13 offset1:1
	ds_read2_b32 v[20:21], v13 offset0:2 offset1:3
	ds_read2_b32 v[22:23], v13 offset0:4 offset1:5
	;; [unrolled: 1-line block ×3, first 2 shown]
	v_cmp_ne_u32_e32 vcc_lo, 0, v14
	; wave barrier
	s_waitcnt lgkmcnt(3)
	v_add_nc_u32_e32 v7, v19, v18
	s_waitcnt lgkmcnt(2)
	v_add3_u32 v7, v7, v20, v21
	s_waitcnt lgkmcnt(1)
	v_add3_u32 v7, v7, v22, v23
	;; [unrolled: 2-line block ×3, first 2 shown]
	v_mov_b32_dpp v19, v7 row_shr:1 row_mask:0xf bank_mask:0xf
	v_cndmask_b32_e32 v19, 0, v19, vcc_lo
	v_cmp_lt_u32_e32 vcc_lo, 1, v14
	v_add_nc_u32_e32 v7, v19, v7
	v_mov_b32_dpp v19, v7 row_shr:2 row_mask:0xf bank_mask:0xf
	v_cndmask_b32_e32 v19, 0, v19, vcc_lo
	v_cmp_lt_u32_e32 vcc_lo, 3, v14
	v_add_nc_u32_e32 v7, v7, v19
	;; [unrolled: 4-line block ×3, first 2 shown]
	v_mov_b32_dpp v19, v7 row_shr:8 row_mask:0xf bank_mask:0xf
	v_cndmask_b32_e32 v19, 0, v19, vcc_lo
	v_cmp_gt_i32_e32 vcc_lo, 0, v16
	v_add_nc_u32_e32 v7, v7, v19
	v_cndmask_b32_e32 v20, v16, v11, vcc_lo
	ds_swizzle_b32 v19, v7 offset:swizzle(BROADCAST,32,15)
	v_lshlrev_b32_e32 v20, 2, v20
	s_waitcnt lgkmcnt(0)
	v_and_b32_e32 v19, v15, v19
	v_add_nc_u32_e32 v7, v7, v19
	ds_bpermute_b32 v7, v20, v7
	s_waitcnt lgkmcnt(0)
	v_add_nc_u32_e32 v7, v7, v18
	v_cndmask_b32_e64 v7, v7, v2, s1
	ds_write_b32 v13, v7
	; wave barrier
	ds_read2_b32 v[18:19], v13 offset0:1 offset1:2
	ds_read2_b32 v[20:21], v13 offset0:3 offset1:4
	;; [unrolled: 1-line block ×3, first 2 shown]
	ds_read_b32 v24, v13 offset:28
	s_waitcnt lgkmcnt(3)
	v_add_nc_u32_e32 v7, v18, v7
	v_add_nc_u32_e32 v18, v19, v7
	s_waitcnt lgkmcnt(2)
	v_add_nc_u32_e32 v19, v20, v18
	v_add_nc_u32_e32 v20, v21, v19
	;; [unrolled: 3-line block ×3, first 2 shown]
	s_waitcnt lgkmcnt(0)
	v_add_nc_u32_e32 v23, v24, v22
	ds_write2_b32 v13, v7, v18 offset0:1 offset1:2
	ds_write2_b32 v13, v19, v20 offset0:3 offset1:4
	;; [unrolled: 1-line block ×3, first 2 shown]
	ds_write_b32 v13, v23 offset:28
.LBB173_39:                             ;   in Loop: Header=BB173_35 Depth=1
	s_or_b32 exec_lo, exec_lo, s19
	v_mov_b32_e32 v7, 0
	s_waitcnt lgkmcnt(0)
	s_barrier
	buffer_gl0_inv
	s_and_saveexec_b32 s19, s0
; %bb.40:                               ;   in Loop: Header=BB173_35 Depth=1
	ds_read_b32 v7, v0
; %bb.41:                               ;   in Loop: Header=BB173_35 Depth=1
	s_or_b32 exec_lo, exec_lo, s19
	ds_read_b32 v18, v5 offset:1048
	s_mov_b32 s19, exec_lo
	s_waitcnt lgkmcnt(0)
	s_barrier
	buffer_gl0_inv
	v_cmpx_ne_u32_e32 0, v2
	s_cbranch_execz .LBB173_43
; %bb.42:                               ;   in Loop: Header=BB173_35 Depth=1
	v_add_nc_u32_e32 v24, v7, v3
	v_mad_u64_u32 v[19:20], null, s20, v24, 0
	v_mad_u64_u32 v[21:22], null, s4, v24, 0
	v_mov_b32_e32 v2, v20
	v_mov_b32_e32 v7, v22
	v_mad_u64_u32 v[22:23], null, s21, v24, v[2:3]
	v_mad_u64_u32 v[23:24], null, s5, v24, v[7:8]
	v_mov_b32_e32 v20, v22
	v_mov_b32_e32 v22, v23
	v_lshlrev_b64 v[19:20], 1, v[19:20]
	v_lshlrev_b64 v[21:22], 3, v[21:22]
	v_add_co_u32 v19, vcc_lo, s13, v19
	v_add_co_ci_u32_e64 v20, null, s14, v20, vcc_lo
	v_add_co_u32 v21, vcc_lo, s15, v21
	v_add_co_ci_u32_e64 v22, null, s18, v22, vcc_lo
	global_store_short v[19:20], v17, off
	global_store_dwordx2 v[21:22], v[4:5], off
.LBB173_43:                             ;   in Loop: Header=BB173_35 Depth=1
	s_or_b32 exec_lo, exec_lo, s19
	v_mov_b32_e32 v2, v5
	v_cmp_le_u64_e32 vcc_lo, s[10:11], v[1:2]
	s_cbranch_vccnz .LBB173_34
; %bb.44:                               ;   in Loop: Header=BB173_35 Depth=1
	ds_write_b32 v12, v6
	s_waitcnt lgkmcnt(0)
	s_waitcnt_vscnt null, 0x0
	s_barrier
	buffer_gl0_inv
	s_and_saveexec_b32 s19, s2
	s_cbranch_execz .LBB173_46
; %bb.45:                               ;   in Loop: Header=BB173_35 Depth=1
	ds_read2_b32 v[19:20], v13 offset1:1
	ds_read2_b32 v[21:22], v13 offset0:2 offset1:3
	ds_read2_b32 v[23:24], v13 offset0:4 offset1:5
	;; [unrolled: 1-line block ×3, first 2 shown]
	v_cmp_ne_u32_e32 vcc_lo, 0, v14
	; wave barrier
	s_waitcnt lgkmcnt(3)
	v_add_nc_u32_e32 v2, v20, v19
	s_waitcnt lgkmcnt(2)
	v_add3_u32 v2, v2, v21, v22
	s_waitcnt lgkmcnt(1)
	v_add3_u32 v2, v2, v23, v24
	;; [unrolled: 2-line block ×3, first 2 shown]
	v_mov_b32_dpp v7, v2 row_shr:1 row_mask:0xf bank_mask:0xf
	v_cndmask_b32_e32 v7, 0, v7, vcc_lo
	v_cmp_lt_u32_e32 vcc_lo, 1, v14
	v_add_nc_u32_e32 v2, v7, v2
	v_mov_b32_dpp v7, v2 row_shr:2 row_mask:0xf bank_mask:0xf
	v_cndmask_b32_e32 v7, 0, v7, vcc_lo
	v_cmp_lt_u32_e32 vcc_lo, 3, v14
	v_add_nc_u32_e32 v2, v2, v7
	;; [unrolled: 4-line block ×3, first 2 shown]
	v_mov_b32_dpp v7, v2 row_shr:8 row_mask:0xf bank_mask:0xf
	v_cndmask_b32_e32 v7, 0, v7, vcc_lo
	v_cmp_gt_i32_e32 vcc_lo, 0, v16
	v_add_nc_u32_e32 v2, v2, v7
	v_cndmask_b32_e32 v20, v16, v11, vcc_lo
	ds_swizzle_b32 v7, v2 offset:swizzle(BROADCAST,32,15)
	v_lshlrev_b32_e32 v20, 2, v20
	s_waitcnt lgkmcnt(0)
	v_and_b32_e32 v7, v15, v7
	v_add_nc_u32_e32 v2, v2, v7
	ds_bpermute_b32 v2, v20, v2
	s_waitcnt lgkmcnt(0)
	v_add_nc_u32_e32 v2, v2, v19
	v_cndmask_b32_e64 v2, v2, v6, s1
	ds_write_b32 v13, v2
	; wave barrier
	ds_read2_b32 v[19:20], v13 offset0:1 offset1:2
	ds_read2_b32 v[21:22], v13 offset0:3 offset1:4
	;; [unrolled: 1-line block ×3, first 2 shown]
	ds_read_b32 v7, v13 offset:28
	s_waitcnt lgkmcnt(3)
	v_add_nc_u32_e32 v2, v19, v2
	v_add_nc_u32_e32 v19, v20, v2
	s_waitcnt lgkmcnt(2)
	v_add_nc_u32_e32 v20, v21, v19
	v_add_nc_u32_e32 v21, v22, v20
	;; [unrolled: 3-line block ×3, first 2 shown]
	s_waitcnt lgkmcnt(0)
	v_add_nc_u32_e32 v7, v7, v23
	ds_write2_b32 v13, v2, v19 offset0:1 offset1:2
	ds_write2_b32 v13, v20, v21 offset0:3 offset1:4
	;; [unrolled: 1-line block ×3, first 2 shown]
	ds_write_b32 v13, v7 offset:28
.LBB173_46:                             ;   in Loop: Header=BB173_35 Depth=1
	s_or_b32 exec_lo, exec_lo, s19
	v_mov_b32_e32 v7, 0
	s_waitcnt lgkmcnt(0)
	s_barrier
	buffer_gl0_inv
	s_and_saveexec_b32 s19, s0
; %bb.47:                               ;   in Loop: Header=BB173_35 Depth=1
	ds_read_b32 v7, v0
; %bb.48:                               ;   in Loop: Header=BB173_35 Depth=1
	s_or_b32 exec_lo, exec_lo, s19
	ds_read_b32 v2, v5 offset:1048
	s_mov_b32 s19, exec_lo
	s_waitcnt lgkmcnt(0)
	s_barrier
	buffer_gl0_inv
	v_cmpx_ne_u32_e32 0, v6
	s_cbranch_execz .LBB173_33
; %bb.49:                               ;   in Loop: Header=BB173_35 Depth=1
	v_add_nc_u32_e32 v6, v7, v1
	v_mov_b32_e32 v7, v5
	v_cmp_gt_u64_e32 vcc_lo, s[10:11], v[6:7]
	s_and_b32 exec_lo, exec_lo, vcc_lo
	s_cbranch_execz .LBB173_33
; %bb.50:                               ;   in Loop: Header=BB173_35 Depth=1
	v_mad_u64_u32 v[19:20], null, s20, v6, 0
	v_mad_u64_u32 v[21:22], null, s4, v6, 0
	v_mov_b32_e32 v7, v20
	v_mov_b32_e32 v20, v22
	v_mad_u64_u32 v[22:23], null, s21, v6, v[7:8]
	v_mad_u64_u32 v[6:7], null, s5, v6, v[20:21]
	v_mov_b32_e32 v20, v22
	v_mov_b32_e32 v22, v6
	v_lshlrev_b64 v[6:7], 1, v[19:20]
	v_lshlrev_b64 v[19:20], 3, v[21:22]
	v_add_co_u32 v6, vcc_lo, s13, v6
	v_add_co_ci_u32_e64 v7, null, s14, v7, vcc_lo
	v_add_co_u32 v19, vcc_lo, s15, v19
	v_add_co_ci_u32_e64 v20, null, s18, v20, vcc_lo
	global_store_short v[6:7], v17, off
	global_store_dwordx2 v[19:20], v[4:5], off
	s_branch .LBB173_33
	.p2align	6
.LBB173_51:                             ;   in Loop: Header=BB173_52 Depth=1
	s_add_u32 s16, s16, 4
	s_addc_u32 s17, s17, 0
	s_waitcnt lgkmcnt(0)
	s_add_i32 s49, s3, s49
	s_add_u32 s18, s18, 4
	s_addc_u32 s19, s19, 0
	s_add_i32 s2, s2, 1
	s_cmp_lt_u32 s2, s7
	s_cbranch_scc0 .LBB173_30
.LBB173_52:                             ; =>This Inner Loop Header: Depth=1
	s_load_dword s3, s[16:17], 0x0
	s_cmp_ge_u32 s2, s72
	s_cbranch_scc1 .LBB173_51
; %bb.53:                               ;   in Loop: Header=BB173_52 Depth=1
	s_load_dword s22, s[18:19], 0x0
	s_waitcnt lgkmcnt(0)
	s_add_i32 s21, s3, s21
	s_add_i32 s20, s22, s20
	s_branch .LBB173_51
.LBB173_54:
	s_endpgm
	.section	.rodata,"a",@progbits
	.p2align	6, 0x0
	.amdhsa_kernel _ZN2at6native6mbtopk10gatherTopKIsmLi3EEEvNS_4cuda6detail10TensorInfoIKT_T0_EES8_S8_bjS8_NS5_IS6_S8_EES8_NS5_IlS8_EES8_jjPS6_PjSD_j
		.amdhsa_group_segment_fixed_size 1068
		.amdhsa_private_segment_fixed_size 0
		.amdhsa_kernarg_size 1592
		.amdhsa_user_sgpr_count 6
		.amdhsa_user_sgpr_private_segment_buffer 1
		.amdhsa_user_sgpr_dispatch_ptr 0
		.amdhsa_user_sgpr_queue_ptr 0
		.amdhsa_user_sgpr_kernarg_segment_ptr 1
		.amdhsa_user_sgpr_dispatch_id 0
		.amdhsa_user_sgpr_flat_scratch_init 0
		.amdhsa_user_sgpr_private_segment_size 0
		.amdhsa_wavefront_size32 1
		.amdhsa_uses_dynamic_stack 0
		.amdhsa_system_sgpr_private_segment_wavefront_offset 0
		.amdhsa_system_sgpr_workgroup_id_x 1
		.amdhsa_system_sgpr_workgroup_id_y 1
		.amdhsa_system_sgpr_workgroup_id_z 1
		.amdhsa_system_sgpr_workgroup_info 0
		.amdhsa_system_vgpr_workitem_id 0
		.amdhsa_next_free_vgpr 27
		.amdhsa_next_free_sgpr 74
		.amdhsa_reserve_vcc 1
		.amdhsa_reserve_flat_scratch 0
		.amdhsa_float_round_mode_32 0
		.amdhsa_float_round_mode_16_64 0
		.amdhsa_float_denorm_mode_32 3
		.amdhsa_float_denorm_mode_16_64 3
		.amdhsa_dx10_clamp 1
		.amdhsa_ieee_mode 1
		.amdhsa_fp16_overflow 0
		.amdhsa_workgroup_processor_mode 1
		.amdhsa_memory_ordered 1
		.amdhsa_forward_progress 1
		.amdhsa_shared_vgpr_count 0
		.amdhsa_exception_fp_ieee_invalid_op 0
		.amdhsa_exception_fp_denorm_src 0
		.amdhsa_exception_fp_ieee_div_zero 0
		.amdhsa_exception_fp_ieee_overflow 0
		.amdhsa_exception_fp_ieee_underflow 0
		.amdhsa_exception_fp_ieee_inexact 0
		.amdhsa_exception_int_div_zero 0
	.end_amdhsa_kernel
	.section	.text._ZN2at6native6mbtopk10gatherTopKIsmLi3EEEvNS_4cuda6detail10TensorInfoIKT_T0_EES8_S8_bjS8_NS5_IS6_S8_EES8_NS5_IlS8_EES8_jjPS6_PjSD_j,"axG",@progbits,_ZN2at6native6mbtopk10gatherTopKIsmLi3EEEvNS_4cuda6detail10TensorInfoIKT_T0_EES8_S8_bjS8_NS5_IS6_S8_EES8_NS5_IlS8_EES8_jjPS6_PjSD_j,comdat
.Lfunc_end173:
	.size	_ZN2at6native6mbtopk10gatherTopKIsmLi3EEEvNS_4cuda6detail10TensorInfoIKT_T0_EES8_S8_bjS8_NS5_IS6_S8_EES8_NS5_IlS8_EES8_jjPS6_PjSD_j, .Lfunc_end173-_ZN2at6native6mbtopk10gatherTopKIsmLi3EEEvNS_4cuda6detail10TensorInfoIKT_T0_EES8_S8_bjS8_NS5_IS6_S8_EES8_NS5_IlS8_EES8_jjPS6_PjSD_j
                                        ; -- End function
	.set _ZN2at6native6mbtopk10gatherTopKIsmLi3EEEvNS_4cuda6detail10TensorInfoIKT_T0_EES8_S8_bjS8_NS5_IS6_S8_EES8_NS5_IlS8_EES8_jjPS6_PjSD_j.num_vgpr, 27
	.set _ZN2at6native6mbtopk10gatherTopKIsmLi3EEEvNS_4cuda6detail10TensorInfoIKT_T0_EES8_S8_bjS8_NS5_IS6_S8_EES8_NS5_IlS8_EES8_jjPS6_PjSD_j.num_agpr, 0
	.set _ZN2at6native6mbtopk10gatherTopKIsmLi3EEEvNS_4cuda6detail10TensorInfoIKT_T0_EES8_S8_bjS8_NS5_IS6_S8_EES8_NS5_IlS8_EES8_jjPS6_PjSD_j.numbered_sgpr, 74
	.set _ZN2at6native6mbtopk10gatherTopKIsmLi3EEEvNS_4cuda6detail10TensorInfoIKT_T0_EES8_S8_bjS8_NS5_IS6_S8_EES8_NS5_IlS8_EES8_jjPS6_PjSD_j.num_named_barrier, 0
	.set _ZN2at6native6mbtopk10gatherTopKIsmLi3EEEvNS_4cuda6detail10TensorInfoIKT_T0_EES8_S8_bjS8_NS5_IS6_S8_EES8_NS5_IlS8_EES8_jjPS6_PjSD_j.private_seg_size, 0
	.set _ZN2at6native6mbtopk10gatherTopKIsmLi3EEEvNS_4cuda6detail10TensorInfoIKT_T0_EES8_S8_bjS8_NS5_IS6_S8_EES8_NS5_IlS8_EES8_jjPS6_PjSD_j.uses_vcc, 1
	.set _ZN2at6native6mbtopk10gatherTopKIsmLi3EEEvNS_4cuda6detail10TensorInfoIKT_T0_EES8_S8_bjS8_NS5_IS6_S8_EES8_NS5_IlS8_EES8_jjPS6_PjSD_j.uses_flat_scratch, 0
	.set _ZN2at6native6mbtopk10gatherTopKIsmLi3EEEvNS_4cuda6detail10TensorInfoIKT_T0_EES8_S8_bjS8_NS5_IS6_S8_EES8_NS5_IlS8_EES8_jjPS6_PjSD_j.has_dyn_sized_stack, 0
	.set _ZN2at6native6mbtopk10gatherTopKIsmLi3EEEvNS_4cuda6detail10TensorInfoIKT_T0_EES8_S8_bjS8_NS5_IS6_S8_EES8_NS5_IlS8_EES8_jjPS6_PjSD_j.has_recursion, 0
	.set _ZN2at6native6mbtopk10gatherTopKIsmLi3EEEvNS_4cuda6detail10TensorInfoIKT_T0_EES8_S8_bjS8_NS5_IS6_S8_EES8_NS5_IlS8_EES8_jjPS6_PjSD_j.has_indirect_call, 0
	.section	.AMDGPU.csdata,"",@progbits
; Kernel info:
; codeLenInByte = 3472
; TotalNumSgprs: 76
; NumVgprs: 27
; ScratchSize: 0
; MemoryBound: 0
; FloatMode: 240
; IeeeMode: 1
; LDSByteSize: 1068 bytes/workgroup (compile time only)
; SGPRBlocks: 0
; VGPRBlocks: 3
; NumSGPRsForWavesPerEU: 76
; NumVGPRsForWavesPerEU: 27
; Occupancy: 16
; WaveLimiterHint : 1
; COMPUTE_PGM_RSRC2:SCRATCH_EN: 0
; COMPUTE_PGM_RSRC2:USER_SGPR: 6
; COMPUTE_PGM_RSRC2:TRAP_HANDLER: 0
; COMPUTE_PGM_RSRC2:TGID_X_EN: 1
; COMPUTE_PGM_RSRC2:TGID_Y_EN: 1
; COMPUTE_PGM_RSRC2:TGID_Z_EN: 1
; COMPUTE_PGM_RSRC2:TIDIG_COMP_CNT: 0
	.section	.text._ZN2at6native6sbtopk10gatherTopKIsmLi3ELb0EEEvNS_4cuda6detail10TensorInfoIKT_T0_EES8_S8_bS8_S8_NS5_IS6_S8_EES8_NS5_IlS8_EES8_PS6_,"axG",@progbits,_ZN2at6native6sbtopk10gatherTopKIsmLi3ELb0EEEvNS_4cuda6detail10TensorInfoIKT_T0_EES8_S8_bS8_S8_NS5_IS6_S8_EES8_NS5_IlS8_EES8_PS6_,comdat
	.protected	_ZN2at6native6sbtopk10gatherTopKIsmLi3ELb0EEEvNS_4cuda6detail10TensorInfoIKT_T0_EES8_S8_bS8_S8_NS5_IS6_S8_EES8_NS5_IlS8_EES8_PS6_ ; -- Begin function _ZN2at6native6sbtopk10gatherTopKIsmLi3ELb0EEEvNS_4cuda6detail10TensorInfoIKT_T0_EES8_S8_bS8_S8_NS5_IS6_S8_EES8_NS5_IlS8_EES8_PS6_
	.globl	_ZN2at6native6sbtopk10gatherTopKIsmLi3ELb0EEEvNS_4cuda6detail10TensorInfoIKT_T0_EES8_S8_bS8_S8_NS5_IS6_S8_EES8_NS5_IlS8_EES8_PS6_
	.p2align	8
	.type	_ZN2at6native6sbtopk10gatherTopKIsmLi3ELb0EEEvNS_4cuda6detail10TensorInfoIKT_T0_EES8_S8_bS8_S8_NS5_IS6_S8_EES8_NS5_IlS8_EES8_PS6_,@function
_ZN2at6native6sbtopk10gatherTopKIsmLi3ELb0EEEvNS_4cuda6detail10TensorInfoIKT_T0_EES8_S8_bS8_S8_NS5_IS6_S8_EES8_NS5_IlS8_EES8_PS6_: ; @_ZN2at6native6sbtopk10gatherTopKIsmLi3ELb0EEEvNS_4cuda6detail10TensorInfoIKT_T0_EES8_S8_bS8_S8_NS5_IS6_S8_EES8_NS5_IlS8_EES8_PS6_
; %bb.0:
	s_clause 0x1
	s_load_dwordx2 s[18:19], s[4:5], 0x520
	s_load_dwordx4 s[28:31], s[4:5], 0x1b8
	s_add_u32 s16, s4, 0x520
	s_addc_u32 s17, s5, 0
	s_mov_b32 s35, 0
	s_waitcnt lgkmcnt(0)
	s_mul_i32 s0, s19, s8
	s_add_i32 s0, s0, s7
	s_mul_i32 s0, s0, s18
	s_add_i32 s34, s0, s6
	v_cmp_le_u64_e64 s0, s[28:29], s[34:35]
	s_and_b32 vcc_lo, exec_lo, s0
	s_cbranch_vccnz .LBB174_484
; %bb.1:
	s_load_dwordx4 s[8:11], s[4:5], 0x10
	s_mov_b64 s[0:1], 0
	s_mov_b64 s[20:21], 0
	s_waitcnt lgkmcnt(0)
	v_cmp_lt_u64_e64 s2, s[34:35], s[10:11]
	s_and_b32 vcc_lo, exec_lo, s2
	s_cbranch_vccnz .LBB174_3
; %bb.2:
	v_cvt_f32_u32_e32 v1, s10
	s_sub_i32 s2, 0, s10
	s_mov_b32 s21, 0
	v_rcp_iflag_f32_e32 v1, v1
	v_mul_f32_e32 v1, 0x4f7ffffe, v1
	v_cvt_u32_f32_e32 v1, v1
	v_readfirstlane_b32 s1, v1
	s_mul_i32 s2, s2, s1
	s_mul_hi_u32 s2, s1, s2
	s_add_i32 s1, s1, s2
	s_mul_hi_u32 s1, s34, s1
	s_mul_i32 s2, s1, s10
	s_add_i32 s3, s1, 1
	s_sub_i32 s2, s34, s2
	s_sub_i32 s7, s2, s10
	s_cmp_ge_u32 s2, s10
	s_cselect_b32 s1, s3, s1
	s_cselect_b32 s2, s7, s2
	s_add_i32 s3, s1, 1
	s_cmp_ge_u32 s2, s10
	s_cselect_b32 s20, s3, s1
.LBB174_3:
	s_load_dwordx4 s[12:15], s[4:5], 0x1d8
	v_cmp_lt_u64_e64 s1, s[20:21], s[8:9]
	s_and_b32 vcc_lo, exec_lo, s1
	s_cbranch_vccnz .LBB174_5
; %bb.4:
	v_cvt_f32_u32_e32 v1, s8
	s_sub_i32 s1, 0, s8
	v_rcp_iflag_f32_e32 v1, v1
	v_mul_f32_e32 v1, 0x4f7ffffe, v1
	v_cvt_u32_f32_e32 v1, v1
	v_readfirstlane_b32 s0, v1
	s_mul_i32 s1, s1, s0
	s_mul_hi_u32 s1, s0, s1
	s_add_i32 s0, s0, s1
	s_mul_hi_u32 s0, s20, s0
	s_mul_i32 s1, s0, s8
	s_add_i32 s2, s0, 1
	s_sub_i32 s1, s20, s1
	s_sub_i32 s3, s1, s8
	s_cmp_ge_u32 s1, s8
	s_cselect_b32 s0, s2, s0
	s_cselect_b32 s1, s3, s1
	s_add_i32 s2, s0, 1
	s_cmp_ge_u32 s1, s8
	s_cselect_b32 s0, s2, s0
.LBB174_5:
	s_waitcnt lgkmcnt(0)
	v_cmp_lt_u64_e64 s1, s[34:35], s[14:15]
	s_mov_b64 s[22:23], 0
	s_mov_b64 s[56:57], 0
	s_and_b32 vcc_lo, exec_lo, s1
	s_cbranch_vccnz .LBB174_7
; %bb.6:
	v_cvt_f32_u32_e32 v1, s14
	s_sub_i32 s2, 0, s14
	s_mov_b32 s57, 0
	v_rcp_iflag_f32_e32 v1, v1
	v_mul_f32_e32 v1, 0x4f7ffffe, v1
	v_cvt_u32_f32_e32 v1, v1
	v_readfirstlane_b32 s1, v1
	s_mul_i32 s2, s2, s1
	s_mul_hi_u32 s2, s1, s2
	s_add_i32 s1, s1, s2
	s_mul_hi_u32 s1, s34, s1
	s_mul_i32 s2, s1, s14
	s_add_i32 s3, s1, 1
	s_sub_i32 s2, s34, s2
	s_sub_i32 s7, s2, s14
	s_cmp_ge_u32 s2, s14
	s_cselect_b32 s1, s3, s1
	s_cselect_b32 s2, s7, s2
	s_add_i32 s3, s1, 1
	s_cmp_ge_u32 s2, s14
	s_cselect_b32 s56, s3, s1
.LBB174_7:
	s_load_dwordx4 s[44:47], s[4:5], 0x380
	v_cmp_lt_u64_e64 s1, s[56:57], s[12:13]
	s_and_b32 vcc_lo, exec_lo, s1
	s_cbranch_vccnz .LBB174_9
; %bb.8:
	v_cvt_f32_u32_e32 v1, s12
	s_sub_i32 s2, 0, s12
	v_rcp_iflag_f32_e32 v1, v1
	v_mul_f32_e32 v1, 0x4f7ffffe, v1
	v_cvt_u32_f32_e32 v1, v1
	v_readfirstlane_b32 s1, v1
	s_mul_i32 s2, s2, s1
	s_mul_hi_u32 s2, s1, s2
	s_add_i32 s1, s1, s2
	s_mul_hi_u32 s1, s56, s1
	s_mul_i32 s2, s1, s12
	s_add_i32 s3, s1, 1
	s_sub_i32 s2, s56, s2
	s_sub_i32 s7, s2, s12
	s_cmp_ge_u32 s2, s12
	s_cselect_b32 s1, s3, s1
	s_cselect_b32 s2, s7, s2
	s_add_i32 s3, s1, 1
	s_cmp_ge_u32 s2, s12
	s_cselect_b32 s22, s3, s1
.LBB174_9:
                                        ; implicit-def: $vgpr42 : SGPR spill to VGPR lane
	s_waitcnt lgkmcnt(0)
	v_cmp_lt_u64_e64 s1, s[34:35], s[46:47]
	v_writelane_b32 v42, s22, 0
	s_mov_b64 s[26:27], 0
	s_mov_b64 s[62:63], 0
	v_writelane_b32 v42, s23, 1
	s_clause 0x1
	s_load_dwordx2 s[22:23], s[4:5], 0xe0
	s_load_dwordx4 s[12:15], s[4:5], 0xd0
	s_and_b32 vcc_lo, exec_lo, s1
	s_cbranch_vccnz .LBB174_11
; %bb.10:
	v_cvt_f32_u32_e32 v1, s46
	s_sub_i32 s2, 0, s46
	s_mov_b32 s63, 0
	v_rcp_iflag_f32_e32 v1, v1
	v_mul_f32_e32 v1, 0x4f7ffffe, v1
	v_cvt_u32_f32_e32 v1, v1
	v_readfirstlane_b32 s1, v1
	s_mul_i32 s2, s2, s1
	s_mul_hi_u32 s2, s1, s2
	s_add_i32 s1, s1, s2
	s_mul_hi_u32 s1, s34, s1
	s_mul_i32 s2, s1, s46
	s_add_i32 s3, s1, 1
	s_sub_i32 s2, s34, s2
	s_sub_i32 s7, s2, s46
	s_cmp_ge_u32 s2, s46
	s_cselect_b32 s1, s3, s1
	s_cselect_b32 s2, s7, s2
	s_add_i32 s3, s1, 1
	s_cmp_ge_u32 s2, s46
	s_cselect_b32 s62, s3, s1
.LBB174_11:
	s_load_dwordx2 s[24:25], s[4:5], 0x0
	v_cmp_lt_u64_e64 s1, s[62:63], s[44:45]
	s_and_b32 vcc_lo, exec_lo, s1
	s_cbranch_vccnz .LBB174_13
; %bb.12:
	v_cvt_f32_u32_e32 v1, s44
	s_sub_i32 s2, 0, s44
	v_rcp_iflag_f32_e32 v1, v1
	v_mul_f32_e32 v1, 0x4f7ffffe, v1
	v_cvt_u32_f32_e32 v1, v1
	v_readfirstlane_b32 s1, v1
	s_mul_i32 s2, s2, s1
	s_mul_hi_u32 s2, s1, s2
	s_add_i32 s1, s1, s2
	s_mul_hi_u32 s1, s62, s1
	s_mul_i32 s2, s1, s44
	s_add_i32 s3, s1, 1
	s_sub_i32 s2, s62, s2
	s_sub_i32 s7, s2, s44
	s_cmp_ge_u32 s2, s44
	s_cselect_b32 s1, s3, s1
	s_cselect_b32 s2, s7, s2
	s_add_i32 s3, s1, 1
	s_cmp_ge_u32 s2, s44
	s_cselect_b32 s26, s3, s1
.LBB174_13:
	s_clause 0x1
	s_load_dwordx2 s[2:3], s[4:5], 0x370
	s_load_dwordx4 s[36:39], s[4:5], 0x1a0
	v_writelane_b32 v42, s26, 2
	s_mov_b32 s71, 0
	v_writelane_b32 v42, s27, 3
	s_waitcnt lgkmcnt(0)
	v_writelane_b32 v42, s2, 4
	v_writelane_b32 v42, s3, 5
	v_cmp_eq_u32_e64 s3, 0, v0
	s_and_saveexec_b32 s1, s3
	s_cbranch_execz .LBB174_15
; %bb.14:
	v_mov_b32_e32 v1, 0
	v_mov_b32_e32 v3, s36
	;; [unrolled: 1-line block ×4, first 2 shown]
	ds_write_b32 v1, v1 offset:5144
	ds_write_b128 v1, v[1:4] offset:5120
.LBB174_15:
	s_or_b32 exec_lo, exec_lo, s1
	s_mul_i32 s1, s0, s9
	s_mul_hi_u32 s2, s0, s8
	s_mul_i32 s7, s0, s8
	s_add_i32 s2, s2, s1
	s_sub_u32 s7, s20, s7
	s_subb_u32 s2, s21, s2
	s_mul_i32 s1, s7, s15
	s_mul_hi_u32 s8, s7, s14
	s_mul_i32 s2, s2, s14
	s_add_i32 s1, s8, s1
	s_mul_i32 s8, s0, s13
	s_mul_hi_u32 s13, s0, s12
	s_add_i32 s9, s1, s2
	s_add_i32 s1, s13, s8
	s_mul_i32 s2, s20, s11
	s_mul_hi_u32 s8, s20, s10
	s_mul_i32 s10, s20, s10
	s_add_i32 s2, s8, s2
	s_sub_u32 s10, s34, s10
	s_mul_i32 s8, s7, s14
	s_mul_i32 s7, s10, s23
	s_mul_hi_u32 s11, s10, s22
	s_subb_u32 s2, 0, s2
	s_mul_i32 s0, s0, s12
	s_add_i32 s7, s11, s7
	s_mul_i32 s2, s2, s22
	s_lshl_b64 s[0:1], s[0:1], 1
	s_load_dword s13, s[4:5], 0x1b0
	s_add_i32 s11, s7, s2
	v_mad_u64_u32 v[1:2], null, s30, v0, 0
	s_add_u32 s2, s24, s0
	s_addc_u32 s7, s25, s1
	s_lshl_b64 s[0:1], s[8:9], 1
	s_mul_i32 s10, s10, s22
	s_add_u32 s2, s2, s0
	s_addc_u32 s7, s7, s1
	s_lshl_b64 s[0:1], s[10:11], 1
	v_mad_u64_u32 v[2:3], null, s31, v0, v[2:3]
	s_add_u32 s29, s2, s0
	s_addc_u32 s33, s7, s1
	s_waitcnt lgkmcnt(0)
	s_barrier
	buffer_gl0_inv
	s_load_dword s7, s[16:17], 0xc
	v_mbcnt_lo_u32_b32 v24, -1, 0
	v_lshlrev_b64 v[4:5], 1, v[1:2]
	v_cmp_gt_u32_e32 vcc_lo, 32, v0
	v_mov_b32_e32 v3, 0
	v_add_nc_u32_e32 v2, 2, v0
	v_cmp_gt_i32_e64 s2, 4, v24
	s_bitcmp1_b32 s13, 0
	v_lshlrev_b32_e32 v25, 1, v0
	s_cselect_b32 s60, -1, 0
	v_mov_b32_e32 v1, v3
	s_and_b32 s90, vcc_lo, s2
	v_add_co_u32 v12, vcc_lo, s29, v4
	v_add_co_ci_u32_e64 v13, null, s33, v5, vcc_lo
	v_lshlrev_b64 v[4:5], v24, -1
	v_cmp_gt_u64_e32 vcc_lo, s[36:37], v[2:3]
	s_xor_b32 s61, s60, -1
	v_cmp_lt_u64_e64 s91, 0x600, s[36:37]
	s_waitcnt lgkmcnt(0)
	s_and_b32 s35, s7, 0xffff
	v_cmp_gt_u64_e64 s2, s[36:37], v[0:1]
	s_bfe_u32 s8, s35, 0x80008
	v_not_b32_e32 v23, v4
	v_cndmask_b32_e64 v2, v2, s36, vcc_lo
	v_not_b32_e32 v4, v0
	s_lshl_b32 s92, s8, 3
	s_bfe_u32 s8, s7, 0xb0005
	v_cndmask_b32_e64 v5, 0, s37, vcc_lo
	s_cmp_gt_u32 s35, 31
	v_add_co_u32 v4, vcc_lo, v2, v4
	s_cselect_b32 s93, -1, 0
	s_add_u32 s94, s35, -1
	s_addc_u32 s95, 0, -1
	s_add_u32 s96, s94, s36
	v_add_co_ci_u32_e64 v5, null, -1, v5, vcc_lo
	s_addc_u32 s73, s95, s37
	s_cmp_lt_u32 s6, s18
	v_and_b32_e32 v16, -2, v4
	s_cselect_b32 s7, 12, 18
	v_cmp_lt_u64_e64 s1, 1, v[4:5]
	s_add_u32 s74, s16, s7
	v_mov_b32_e32 v17, v5
	s_movk_i32 s6, 0x3e0
	s_addc_u32 s75, s17, 0
	s_add_i32 s8, s8, -1
	v_and_or_b32 v27, v0, s6, 0xc00
	s_and_b32 s6, s8, 0xffff
	s_bfe_u32 s98, s35, 0x30005
	v_writelane_b32 v42, s1, 6
	s_cmp_gt_u32 s6, 6
	v_cmp_ne_u64_e64 s1, v[4:5], v[16:17]
	v_mov_b32_e32 v19, s38
	v_cmp_eq_u32_e64 s0, 0, v24
	v_lshlrev_b32_e32 v14, 2, v0
	v_mov_b32_e32 v15, v3
	v_cmp_gt_u32_e64 s10, 2, v0
	v_add_nc_u32_e32 v26, 0xc00, v25
	v_add_co_u32 v18, vcc_lo, v16, v0
	v_lshlrev_b32_e32 v29, 3, v0
	v_lshl_or_b32 v30, v24, 3, 0xc00
	v_mov_b32_e32 v20, s39
	v_mov_b32_e32 v31, 0x8000
	;; [unrolled: 1-line block ×5, first 2 shown]
	s_cselect_b32 s104, -1, 0
	s_cmp_lg_u32 s98, 0
	s_mov_b32 s97, s30
	s_mov_b32 s99, s31
	s_cselect_b32 vcc_hi, -1, 0
	s_lshl_b32 s68, s35, 1
	s_mov_b32 s55, 14
	s_mov_b32 s69, 0
	;; [unrolled: 1-line block ×3, first 2 shown]
	v_add_co_ci_u32_e64 v2, null, 0, v5, vcc_lo
	v_writelane_b32 v42, s1, 7
                                        ; implicit-def: $sgpr64
                                        ; implicit-def: $sgpr54
                                        ; implicit-def: $sgpr53
                                        ; implicit-def: $sgpr66
                                        ; implicit-def: $sgpr52
                                        ; implicit-def: $sgpr48
                                        ; implicit-def: $sgpr49
                                        ; implicit-def: $sgpr67
                                        ; implicit-def: $sgpr59
                                        ; implicit-def: $sgpr58
	s_branch .LBB174_18
.LBB174_16:                             ;   in Loop: Header=BB174_18 Depth=1
	s_or_b32 exec_lo, exec_lo, s8
	v_mov_b32_e32 v20, v5
	v_mov_b32_e32 v19, v4
	s_andn2_b32 s1, s58, exec_lo
	s_and_b32 s7, s11, exec_lo
	s_andn2_b32 s59, s59, exec_lo
	s_or_b32 s58, s1, s7
	s_andn2_b32 s67, s67, exec_lo
	s_andn2_b32 s49, s49, exec_lo
	;; [unrolled: 1-line block ×3, first 2 shown]
	s_orn2_b32 s11, s9, exec_lo
.LBB174_17:                             ;   in Loop: Header=BB174_18 Depth=1
	s_or_b32 exec_lo, exec_lo, s6
	s_and_b32 s6, exec_lo, s11
	s_or_b32 s69, s6, s69
	s_andn2_b32 s6, s52, exec_lo
	s_and_b32 s8, s58, exec_lo
	s_andn2_b32 s9, s66, exec_lo
	s_or_b32 s52, s6, s8
	s_and_b32 s6, s59, exec_lo
	s_andn2_b32 s8, s53, exec_lo
	s_and_b32 s11, s67, exec_lo
	s_or_b32 s66, s9, s6
	s_or_b32 s53, s8, s11
	s_andn2_b32 s6, s54, exec_lo
	s_and_b32 s8, s49, exec_lo
	s_andn2_b32 s9, s64, exec_lo
	s_and_b32 s11, s48, exec_lo
	s_or_b32 s54, s6, s8
	s_or_b32 s64, s9, s11
	s_andn2_b32 exec_lo, exec_lo, s69
	s_cbranch_execz .LBB174_480
.LBB174_18:                             ; =>This Loop Header: Depth=1
                                        ;     Child Loop BB174_23 Depth 2
                                        ;     Child Loop BB174_37 Depth 2
	;; [unrolled: 1-line block ×25, first 2 shown]
	ds_read_b128 v[4:7], v3 offset:5120
	s_waitcnt lgkmcnt(0)
	v_readfirstlane_b32 s77, v5
	v_readfirstlane_b32 s76, v4
	s_cmp_lg_u64 s[76:77], 0
	s_cbranch_scc1 .LBB174_50
; %bb.19:                               ;   in Loop: Header=BB174_18 Depth=1
	s_and_b32 vcc_lo, exec_lo, s91
	s_cbranch_vccz .LBB174_31
; %bb.20:                               ;   in Loop: Header=BB174_18 Depth=1
	v_cmp_gt_u64_e32 vcc_lo, 0x601, v[6:7]
	s_mov_b32 s11, 0
	s_mov_b32 s6, 0
	s_cbranch_vccz .LBB174_32
; %bb.21:                               ;   in Loop: Header=BB174_18 Depth=1
	global_load_ushort v2, v3, s[74:75]
	global_load_ushort v6, v[12:13], off
	v_mov_b32_e32 v5, v1
	v_mov_b32_e32 v4, v0
	s_mov_b32 s12, 0
	s_waitcnt vmcnt(1)
	v_and_b32_e32 v2, 0xffff, v2
	s_branch .LBB174_23
.LBB174_22:                             ;   in Loop: Header=BB174_23 Depth=2
	s_or_b32 exec_lo, exec_lo, s8
	v_mov_b32_e32 v6, v7
	s_andn2_b32 exec_lo, exec_lo, s12
	s_cbranch_execz .LBB174_104
.LBB174_23:                             ;   Parent Loop BB174_18 Depth=1
                                        ; =>  This Inner Loop Header: Depth=2
	v_add_co_u32 v4, vcc_lo, v4, v2
	v_add_co_ci_u32_e64 v5, null, 0, v5, vcc_lo
	s_waitcnt lgkmcnt(0)
	v_mov_b32_e32 v8, 0
	v_mov_b32_e32 v7, 0
	s_mov_b32 s9, exec_lo
	v_cmp_le_u64_e32 vcc_lo, s[36:37], v[4:5]
	v_cmpx_gt_u64_e64 s[36:37], v[4:5]
	s_cbranch_execz .LBB174_25
; %bb.24:                               ;   in Loop: Header=BB174_23 Depth=2
	v_mul_lo_u32 v7, v5, s30
	v_mul_lo_u32 v11, v4, s31
	v_mad_u64_u32 v[9:10], null, v4, s30, 0
	v_add3_u32 v10, v10, v11, v7
	v_lshlrev_b64 v[9:10], 1, v[9:10]
	v_add_co_u32 v9, s6, s29, v9
	v_add_co_ci_u32_e64 v10, null, s33, v10, s6
	global_load_ushort v7, v[9:10], off
.LBB174_25:                             ;   in Loop: Header=BB174_23 Depth=2
	s_or_b32 exec_lo, exec_lo, s9
	s_waitcnt vmcnt(0)
	v_add_nc_u32_sdwa v9, sext(v6), v31 dst_sel:DWORD dst_unused:UNUSED_PAD src0_sel:WORD_0 src1_sel:DWORD
	v_and_b32_e32 v9, v9, v32
	v_cmp_eq_u32_e64 s6, v9, v28
	s_cmp_lg_u32 s6, 0
	s_cselect_b32 s8, -1, 0
	s_and_b32 s8, s0, s8
	s_and_saveexec_b32 s13, s8
	s_cbranch_execz .LBB174_29
; %bb.26:                               ;   in Loop: Header=BB174_23 Depth=2
	s_mov_b32 s15, exec_lo
	s_bcnt1_i32_b32 s8, s6
	v_mbcnt_lo_u32_b32 v8, s15, 0
	s_mov_b32 s14, exec_lo
                                        ; implicit-def: $vgpr9
	v_cmpx_eq_u32_e32 0, v8
; %bb.27:                               ;   in Loop: Header=BB174_23 Depth=2
	s_bcnt1_i32_b32 s9, s15
	s_mul_i32 s9, s8, s9
	v_mov_b32_e32 v9, s9
	ds_add_rtn_u32 v9, v3, v9 offset:5144
; %bb.28:                               ;   in Loop: Header=BB174_23 Depth=2
	s_or_b32 exec_lo, exec_lo, s14
	s_waitcnt lgkmcnt(0)
	v_readfirstlane_b32 s9, v9
	v_mad_u32_u24 v8, s8, v8, s9
.LBB174_29:                             ;   in Loop: Header=BB174_23 Depth=2
	s_or_b32 exec_lo, exec_lo, s13
	ds_bpermute_b32 v8, v3, v8
	s_and_b32 s8, exec_lo, vcc_lo
	s_or_b32 s12, s8, s12
	s_and_saveexec_b32 s8, s6
	s_cbranch_execz .LBB174_22
; %bb.30:                               ;   in Loop: Header=BB174_23 Depth=2
	v_and_b32_e32 v9, s6, v23
	v_bcnt_u32_b32 v9, v9, 0
	v_lshlrev_b32_e32 v9, 1, v9
	s_waitcnt lgkmcnt(0)
	v_lshl_add_u32 v8, v8, 1, v9
	ds_write_b16 v8, v6
	s_branch .LBB174_22
.LBB174_31:                             ;   in Loop: Header=BB174_18 Depth=1
	s_mov_b32 s11, -1
	s_mov_b32 s6, 0
.LBB174_32:                             ;   in Loop: Header=BB174_18 Depth=1
	s_and_b32 vcc_lo, exec_lo, s11
	s_cbranch_vccz .LBB174_48
.LBB174_33:                             ;   in Loop: Header=BB174_18 Depth=1
	s_and_saveexec_b32 s9, s2
	s_cbranch_execz .LBB174_45
; %bb.34:                               ;   in Loop: Header=BB174_18 Depth=1
	global_load_ushort v4, v3, s[74:75]
	global_load_ushort v10, v[12:13], off
	v_mov_b32_e32 v8, v0
	s_mov_b32 s11, exec_lo
	s_waitcnt vmcnt(1)
	v_add_nc_u32_sdwa v2, v4, v0 dst_sel:DWORD dst_unused:UNUSED_PAD src0_sel:WORD_0 src1_sel:DWORD
	v_readfirstlane_b32 s6, v4
	v_cmpx_gt_u64_e64 s[36:37], v[2:3]
	s_cbranch_execz .LBB174_44
; %bb.35:                               ;   in Loop: Header=BB174_18 Depth=1
	s_and_b32 s12, s6, 0xffff
	v_readlane_b32 s1, v42, 6
	v_mov_b32_e32 v7, v1
	s_cmp_eq_u32 s12, 1
	v_mov_b32_e32 v5, v3
	v_mov_b32_e32 v6, v0
	;; [unrolled: 1-line block ×3, first 2 shown]
	s_cselect_b32 s6, -1, 0
                                        ; implicit-def: $vgpr8_vgpr9
	s_and_b32 s8, s1, s6
	s_mov_b32 s6, -1
	s_and_saveexec_b32 s13, s8
	s_cbranch_execz .LBB174_39
; %bb.36:                               ;   in Loop: Header=BB174_18 Depth=1
	v_add_co_u32 v4, s6, v2, 1
	v_add_co_ci_u32_e64 v5, null, 0, 0, s6
	v_mov_b32_e32 v8, v16
	s_waitcnt vmcnt(0)
	v_lshlrev_b32_e32 v21, 16, v10
	v_mov_b32_e32 v9, v17
	v_mov_b32_e32 v7, v5
	;; [unrolled: 1-line block ×6, first 2 shown]
	s_mov_b32 s14, 0
.LBB174_37:                             ;   Parent Loop BB174_18 Depth=1
                                        ; =>  This Inner Loop Header: Depth=2
	v_mul_lo_u32 v10, v5, s97
	v_mul_lo_u32 v22, v4, s99
	v_mad_u64_u32 v[34:35], null, v4, s97, 0
	v_mul_lo_u32 v38, v7, s30
	v_mul_lo_u32 v39, v6, s31
	v_mad_u64_u32 v[36:37], null, v6, s30, 0
	v_add3_u32 v35, v35, v22, v10
	v_add3_u32 v37, v37, v39, v38
	v_lshlrev_b64 v[34:35], 1, v[34:35]
	v_lshlrev_b64 v[36:37], 1, v[36:37]
	v_add_co_u32 v34, vcc_lo, s29, v34
	v_add_co_ci_u32_e64 v35, null, s33, v35, vcc_lo
	v_add_co_u32 v36, vcc_lo, s29, v36
	v_add_co_ci_u32_e64 v37, null, s33, v37, vcc_lo
	s_clause 0x1
	global_load_ushort v22, v[34:35], off
	global_load_ushort v10, v[36:37], off
	v_add_co_u32 v8, vcc_lo, v8, -2
	v_add_co_ci_u32_e64 v9, null, -1, v9, vcc_lo
	v_add_co_u32 v6, vcc_lo, v6, 2
	v_add_co_ci_u32_e64 v7, null, 0, v7, vcc_lo
	v_cmp_eq_u64_e64 s6, 0, v[8:9]
	v_add_co_u32 v4, vcc_lo, v4, 2
	v_add_co_ci_u32_e64 v5, null, 0, v5, vcc_lo
	s_or_b32 s14, s6, s14
	s_waitcnt vmcnt(1)
	v_alignbit_b32 v21, v22, v21, 16
	s_waitcnt vmcnt(0)
	v_perm_b32 v22, v10, v22, 0x5040100
	ds_write_b32 v11, v21
	v_add_nc_u32_e32 v11, 4, v11
	v_mov_b32_e32 v21, v22
	s_andn2_b32 exec_lo, exec_lo, s14
	s_cbranch_execnz .LBB174_37
; %bb.38:                               ;   in Loop: Header=BB174_18 Depth=1
	s_or_b32 exec_lo, exec_lo, s14
	v_add_co_u32 v4, vcc_lo, v2, v16
	v_readlane_b32 s1, v42, 7
	v_add_co_ci_u32_e64 v5, null, 0, v17, vcc_lo
	v_add_co_u32 v8, vcc_lo, v4, -1
	v_mov_b32_e32 v6, v18
	s_orn2_b32 s6, s1, exec_lo
	v_add_co_ci_u32_e64 v2, null, -1, v5, vcc_lo
	v_mov_b32_e32 v7, v19
.LBB174_39:                             ;   in Loop: Header=BB174_18 Depth=1
	s_or_b32 exec_lo, exec_lo, s13
	s_and_saveexec_b32 s13, s6
	s_cbranch_execz .LBB174_43
; %bb.40:                               ;   in Loop: Header=BB174_18 Depth=1
	s_sub_u32 s14, 0, s12
	s_subb_u32 s16, 0, 0
	s_mov_b32 s15, 0
	s_inst_prefetch 0x1
	.p2align	6
.LBB174_41:                             ;   Parent Loop BB174_18 Depth=1
                                        ; =>  This Inner Loop Header: Depth=2
	v_mov_b32_e32 v8, v5
	v_mov_b32_e32 v7, v4
	v_lshlrev_b32_e32 v6, 1, v6
	v_mul_lo_u32 v2, v8, s30
	v_mul_lo_u32 v9, v7, s31
	v_mad_u64_u32 v[4:5], null, v7, s30, 0
	s_waitcnt vmcnt(0)
	ds_write_b16 v6, v10
	v_add3_u32 v5, v5, v9, v2
	v_lshlrev_b64 v[4:5], 1, v[4:5]
	v_add_co_u32 v4, vcc_lo, s29, v4
	v_add_co_ci_u32_e64 v5, null, s33, v5, vcc_lo
	global_load_ushort v2, v[4:5], off
	v_add_co_u32 v4, vcc_lo, v7, s12
	v_add_co_ci_u32_e64 v5, null, 0, v8, vcc_lo
	v_mov_b32_e32 v6, v7
	v_mov_b32_e32 v7, v8
	v_add_co_u32 v8, s6, s14, v4
	v_cmp_le_u64_e32 vcc_lo, s[36:37], v[4:5]
	v_add_co_ci_u32_e64 v7, null, s16, v5, s6
	s_or_b32 s15, vcc_lo, s15
	s_waitcnt vmcnt(0)
	v_mov_b32_e32 v10, v2
	s_andn2_b32 exec_lo, exec_lo, s15
	s_cbranch_execnz .LBB174_41
; %bb.42:                               ;   in Loop: Header=BB174_18 Depth=1
	s_inst_prefetch 0x2
	s_or_b32 exec_lo, exec_lo, s15
	v_mov_b32_e32 v10, v2
.LBB174_43:                             ;   in Loop: Header=BB174_18 Depth=1
	s_or_b32 exec_lo, exec_lo, s13
.LBB174_44:                             ;   in Loop: Header=BB174_18 Depth=1
	s_or_b32 exec_lo, exec_lo, s11
	v_lshlrev_b32_e32 v2, 1, v8
	s_waitcnt vmcnt(0)
	ds_write_b16 v2, v10
.LBB174_45:                             ;   in Loop: Header=BB174_18 Depth=1
	s_or_b32 exec_lo, exec_lo, s9
	s_waitcnt lgkmcnt(0)
	s_barrier
	buffer_gl0_inv
	s_and_saveexec_b32 s6, s3
; %bb.46:                               ;   in Loop: Header=BB174_18 Depth=1
	v_mov_b32_e32 v4, s36
	v_mov_b32_e32 v5, s37
	ds_write_b64 v3, v[4:5] offset:5120
; %bb.47:                               ;   in Loop: Header=BB174_18 Depth=1
	s_or_b32 exec_lo, exec_lo, s6
	s_mov_b32 s6, -1
	s_waitcnt lgkmcnt(0)
	s_barrier
.LBB174_48:                             ;   in Loop: Header=BB174_18 Depth=1
	s_and_b32 vcc_lo, exec_lo, s6
	s_mov_b64 s[76:77], 0
	s_cbranch_vccz .LBB174_50
; %bb.49:                               ;   in Loop: Header=BB174_18 Depth=1
	buffer_gl0_inv
	ds_read_b64 v[4:5], v3 offset:5120
	s_waitcnt lgkmcnt(0)
	v_readfirstlane_b32 s76, v4
.LBB174_50:                             ;   in Loop: Header=BB174_18 Depth=1
	s_cmp_lt_i32 s76, 1
	s_mov_b32 s6, -1
                                        ; implicit-def: $vgpr4_vgpr5
                                        ; implicit-def: $vgpr8_vgpr9
	s_cbranch_scc1 .LBB174_60
; %bb.51:                               ;   in Loop: Header=BB174_18 Depth=1
	s_and_b32 vcc_lo, exec_lo, s6
	s_cbranch_vccnz .LBB174_74
.LBB174_52:                             ;   in Loop: Header=BB174_18 Depth=1
	s_lshl_b32 s6, s65, 7
	s_and_saveexec_b32 s8, s0
	s_cbranch_execz .LBB174_54
.LBB174_53:                             ;   in Loop: Header=BB174_18 Depth=1
	v_lshl_add_u32 v2, s6, 3, v27
	ds_write_b128 v2, v[4:7]
	ds_write_b128 v2, v[8:11] offset:16
.LBB174_54:                             ;   in Loop: Header=BB174_18 Depth=1
	s_or_b32 exec_lo, exec_lo, s8
	s_waitcnt lgkmcnt(0)
	s_barrier
	buffer_gl0_inv
	s_and_saveexec_b32 s9, s90
	s_cbranch_execz .LBB174_88
; %bb.55:                               ;   in Loop: Header=BB174_18 Depth=1
	v_mov_b32_e32 v4, 0
	v_mov_b32_e32 v5, 0
	s_andn2_b32 vcc_lo, exec_lo, s93
	s_cbranch_vccnz .LBB174_87
; %bb.56:                               ;   in Loop: Header=BB174_18 Depth=1
	v_mov_b32_e32 v4, 0
	v_mov_b32_e32 v5, 0
	s_andn2_b32 vcc_lo, exec_lo, s104
	s_cbranch_vccnz .LBB174_84
; %bb.57:                               ;   in Loop: Header=BB174_18 Depth=1
	v_lshl_add_u32 v2, s65, 10, v30
	s_mov_b32 s11, 0
	s_inst_prefetch 0x1
	.p2align	6
.LBB174_58:                             ;   Parent Loop BB174_18 Depth=1
                                        ; =>  This Inner Loop Header: Depth=2
	ds_read2_b64 v[6:9], v2 offset1:4
	ds_read2_b64 v[34:37], v2 offset0:8 offset1:12
	ds_read2_b64 v[38:41], v2 offset0:16 offset1:20
	s_add_i32 s11, s11, 8
	s_cmp_eq_u32 s92, s11
	s_waitcnt lgkmcnt(2)
	v_add_co_u32 v4, vcc_lo, v6, v4
	v_add_co_ci_u32_e64 v5, null, v7, v5, vcc_lo
	v_add_co_u32 v8, vcc_lo, v8, v4
	v_add_co_ci_u32_e64 v9, null, v9, v5, vcc_lo
	ds_read2_b64 v[4:7], v2 offset0:24 offset1:28
	s_waitcnt lgkmcnt(2)
	v_add_co_u32 v8, vcc_lo, v34, v8
	v_add_co_ci_u32_e64 v9, null, v35, v9, vcc_lo
	v_add_nc_u32_e32 v2, 0x100, v2
	v_add_co_u32 v8, vcc_lo, v36, v8
	v_add_co_ci_u32_e64 v9, null, v37, v9, vcc_lo
	s_waitcnt lgkmcnt(1)
	v_add_co_u32 v8, vcc_lo, v38, v8
	v_add_co_ci_u32_e64 v9, null, v39, v9, vcc_lo
	v_add_co_u32 v8, vcc_lo, v40, v8
	v_add_co_ci_u32_e64 v9, null, v41, v9, vcc_lo
	s_waitcnt lgkmcnt(0)
	v_add_co_u32 v4, vcc_lo, v4, v8
	v_add_co_ci_u32_e64 v5, null, v5, v9, vcc_lo
	v_add_co_u32 v4, vcc_lo, v6, v4
	v_add_co_ci_u32_e64 v5, null, v7, v5, vcc_lo
	s_cbranch_scc0 .LBB174_58
; %bb.59:                               ;   in Loop: Header=BB174_18 Depth=1
	s_inst_prefetch 0x2
	s_mov_b32 s11, s92
	s_andn2_b32 vcc_lo, exec_lo, vcc_hi
	s_cbranch_vccz .LBB174_85
	s_branch .LBB174_87
.LBB174_60:                             ;   in Loop: Header=BB174_18 Depth=1
	global_load_ushort v2, v3, s[74:75]
	s_mov_b32 s8, s71
	s_mov_b32 s9, s37
	s_waitcnt vmcnt(0)
	v_readfirstlane_b32 s6, v2
	s_and_b32 s6, 0xffff, s6
	s_lshl_b32 s50, s6, 2
	s_cmp_lg_u64 s[8:9], 0
	s_cbranch_scc0 .LBB174_83
; %bb.61:                               ;   in Loop: Header=BB174_18 Depth=1
	v_cvt_f32_u32_e32 v4, s50
	s_sub_u32 s9, 0, s50
	s_subb_u32 s11, 0, 0
	v_fmac_f32_e64 v4, 0x4f800000, 0
	v_rcp_f32_e32 v4, v4
	v_mul_f32_e32 v4, 0x5f7ffffc, v4
	v_mul_f32_e32 v5, 0x2f800000, v4
	v_trunc_f32_e32 v5, v5
	v_fmac_f32_e32 v4, 0xcf800000, v5
	v_cvt_u32_f32_e32 v5, v5
	v_cvt_u32_f32_e32 v4, v4
	v_readfirstlane_b32 s6, v5
	v_readfirstlane_b32 s8, v4
	s_mul_i32 s12, s9, s6
	s_mul_hi_u32 s14, s9, s8
	s_mul_i32 s13, s11, s8
	s_add_i32 s12, s14, s12
	s_mul_i32 s15, s9, s8
	s_add_i32 s12, s12, s13
	s_mul_hi_u32 s14, s8, s15
	s_mul_i32 s17, s8, s12
	s_mul_hi_u32 s16, s6, s15
	s_mul_i32 s13, s6, s15
	s_mul_hi_u32 s15, s8, s12
	s_add_u32 s14, s14, s17
	s_addc_u32 s15, 0, s15
	s_mul_hi_u32 s18, s6, s12
	s_add_u32 s13, s14, s13
	s_mul_i32 s12, s6, s12
	s_addc_u32 s13, s15, s16
	s_addc_u32 s14, s18, 0
	s_add_u32 s12, s13, s12
	s_addc_u32 s13, 0, s14
	s_add_u32 s8, s8, s12
	s_cselect_b32 s12, -1, 0
	s_mul_hi_u32 s14, s9, s8
	s_cmp_lg_u32 s12, 0
	s_mul_i32 s12, s9, s8
	s_addc_u32 s6, s6, s13
	s_mul_i32 s11, s11, s8
	s_mul_i32 s9, s9, s6
	s_mul_hi_u32 s13, s8, s12
	s_add_i32 s9, s14, s9
	s_mul_hi_u32 s14, s6, s12
	s_add_i32 s9, s9, s11
	s_mul_i32 s11, s6, s12
	s_mul_i32 s16, s8, s9
	s_mul_hi_u32 s15, s8, s9
	s_add_u32 s13, s13, s16
	s_addc_u32 s15, 0, s15
	s_mul_hi_u32 s12, s6, s9
	s_add_u32 s11, s13, s11
	s_mul_i32 s9, s6, s9
	s_addc_u32 s11, s15, s14
	s_addc_u32 s12, s12, 0
	s_add_u32 s9, s11, s9
	s_addc_u32 s11, 0, s12
	s_add_u32 s8, s8, s9
	s_cselect_b32 s9, -1, 0
	s_mul_hi_u32 s12, s36, s8
	s_cmp_lg_u32 s9, 0
	s_mul_hi_u32 s9, s37, s8
	s_addc_u32 s6, s6, s11
	s_mul_i32 s8, s37, s8
	s_mul_i32 s13, s36, s6
	s_mul_hi_u32 s11, s36, s6
	s_add_u32 s12, s12, s13
	s_addc_u32 s11, 0, s11
	s_mul_hi_u32 s14, s37, s6
	s_add_u32 s8, s12, s8
	s_mul_i32 s6, s37, s6
	s_addc_u32 s8, s11, s9
	s_addc_u32 s9, s14, 0
	s_add_u32 s6, s8, s6
	s_addc_u32 s8, 0, s9
	s_mul_hi_u32 s9, s50, s6
	s_mul_i32 s8, s50, s8
	s_mul_i32 s6, s50, s6
	s_add_i32 s9, s9, s8
	s_sub_u32 s6, s36, s6
	s_cselect_b32 s8, -1, 0
	s_cmp_lg_u32 s8, 0
	s_subb_u32 s8, s37, s9
	s_sub_u32 s9, s6, s50
	s_cselect_b32 s11, -1, 0
	s_cmp_lg_u32 s11, 0
	s_subb_u32 s11, s8, 0
	;; [unrolled: 4-line block ×3, first 2 shown]
	s_cmp_ge_u32 s9, s50
	s_cselect_b32 s14, -1, 0
	s_cmp_eq_u32 s11, 0
	s_cselect_b32 s14, s14, -1
	s_cmp_lg_u32 s14, 0
	s_cselect_b32 s11, s13, s11
	s_cselect_b32 s9, s12, s9
	s_cmp_ge_u32 s6, s50
	s_cselect_b32 s12, -1, 0
	s_cmp_eq_u32 s8, 0
	s_cselect_b32 s12, s12, -1
	s_cmp_lg_u32 s12, 0
	s_cselect_b32 s13, s11, s8
	s_cselect_b32 s12, s9, s6
	s_cbranch_execnz .LBB174_63
.LBB174_62:                             ;   in Loop: Header=BB174_18 Depth=1
	v_cvt_f32_u32_e32 v4, s50
	s_sub_i32 s8, 0, s50
	v_rcp_iflag_f32_e32 v4, v4
	v_mul_f32_e32 v4, 0x4f7ffffe, v4
	v_cvt_u32_f32_e32 v4, v4
	v_readfirstlane_b32 s6, v4
	s_mul_i32 s8, s8, s6
	s_mul_hi_u32 s8, s6, s8
	s_add_i32 s6, s6, s8
	s_mul_hi_u32 s6, s36, s6
	s_mul_i32 s6, s6, s50
	s_sub_i32 s6, s36, s6
	s_sub_i32 s8, s6, s50
	s_cmp_ge_u32 s6, s50
	s_cselect_b32 s6, s8, s6
	s_sub_i32 s8, s6, s50
	s_cmp_ge_u32 s6, s50
	s_cselect_b32 s70, s8, s6
	s_mov_b64 s[12:13], s[70:71]
.LBB174_63:                             ;   in Loop: Header=BB174_18 Depth=1
	v_mov_b32_e32 v4, 0
	v_mov_b32_e32 v6, 0
	;; [unrolled: 1-line block ×8, first 2 shown]
	s_sub_u32 s78, s36, s12
	s_subb_u32 s79, s37, s13
	s_mov_b32 s51, exec_lo
	v_cmpx_gt_u64_e64 s[78:79], v[14:15]
	s_cbranch_execz .LBB174_67
; %bb.64:                               ;   in Loop: Header=BB174_18 Depth=1
	v_mov_b32_e32 v22, v15
	v_mov_b32_e32 v21, v14
	s_mov_b64 s[80:81], 0
	s_mov_b32 s70, 0
	s_mov_b64 s[82:83], 0
	s_mov_b64 s[84:85], 0
	;; [unrolled: 1-line block ×3, first 2 shown]
.LBB174_65:                             ;   Parent Loop BB174_18 Depth=1
                                        ; =>  This Inner Loop Header: Depth=2
	v_mul_lo_u32 v6, v22, s30
	v_mul_lo_u32 v7, v21, s31
	v_mad_u64_u32 v[4:5], null, v21, s30, 0
	s_lshl_b64 s[8:9], s[30:31], 1
	v_add_co_u32 v21, s24, v21, s50
	v_add_co_ci_u32_e64 v22, null, 0, v22, s24
	v_add3_u32 v5, v5, v7, v6
	v_cmp_le_u64_e64 s24, s[78:79], v[21:22]
	v_lshlrev_b64 v[4:5], 1, v[4:5]
	v_add_co_u32 v4, vcc_lo, s29, v4
	v_add_co_ci_u32_e64 v5, null, s33, v5, vcc_lo
	v_add_co_u32 v6, vcc_lo, v4, s8
	v_add_co_ci_u32_e64 v7, null, s9, v5, vcc_lo
	s_clause 0x1
	global_load_sshort v8, v[4:5], off
	global_load_sshort v9, v[6:7], off
	v_add_co_u32 v4, vcc_lo, v6, s8
	v_add_co_ci_u32_e64 v5, null, s9, v7, vcc_lo
	v_add_co_u32 v6, vcc_lo, v4, s8
	v_add_co_ci_u32_e64 v7, null, s9, v5, vcc_lo
	s_clause 0x1
	global_load_sshort v4, v[4:5], off
	global_load_sshort v5, v[6:7], off
	s_waitcnt vmcnt(3)
	v_add_nc_u32_e32 v6, 0x8000, v8
	v_and_b32_e32 v7, v6, v32
	v_bfe_u32 v6, v6, s55, 2
	v_cmp_eq_u32_e32 vcc_lo, v7, v28
	v_cmp_eq_u32_e64 s6, 0, v6
	v_cmp_eq_u32_e64 s9, 1, v6
	;; [unrolled: 1-line block ×4, first 2 shown]
	s_waitcnt vmcnt(2)
	v_add_nc_u32_e32 v6, 0x8000, v9
	s_waitcnt vmcnt(1)
	v_add_nc_u32_e32 v4, 0x8000, v4
	s_and_b32 s6, vcc_lo, s6
	v_and_b32_e32 v7, v6, v32
	v_bfe_u32 v6, v6, s55, 2
	v_cmp_eq_u32_e64 s13, v7, v28
	v_cmp_eq_u32_e64 s14, 0, v6
	;; [unrolled: 1-line block ×5, first 2 shown]
	v_and_b32_e32 v6, v4, v32
	v_bfe_u32 v4, v4, s55, 2
	s_and_b32 s8, s13, s14
	v_cmp_eq_u32_e64 s18, v6, v28
	v_cmp_eq_u32_e64 s19, 0, v4
	;; [unrolled: 1-line block ×5, first 2 shown]
	v_cndmask_b32_e64 v4, 0, 1, s6
	v_cmp_ne_u32_e64 s6, 0, v4
	s_waitcnt vmcnt(0)
	v_add_nc_u32_e32 v4, 0x8000, v5
	v_and_b32_e32 v5, v4, v32
	v_bfe_u32 v4, v4, s55, 2
	v_cmp_eq_u32_e64 s23, v5, v28
	v_cmp_eq_u32_e64 s14, 0, v4
	;; [unrolled: 1-line block ×5, first 2 shown]
	v_cndmask_b32_e64 v4, 0, 1, s8
	s_and_b32 s8, s18, s19
	s_and_b32 s14, s23, s14
	v_cmp_ne_u32_e64 s19, 0, v4
	v_cndmask_b32_e64 v4, 0, 1, s8
	s_bcnt1_i32_b32 s8, s6
	v_cmp_ne_u32_e64 s6, 0, v4
	v_cndmask_b32_e64 v4, 0, 1, s14
	s_bcnt1_i32_b32 s14, s19
	s_add_i32 s8, s14, s8
	s_bcnt1_i32_b32 s6, s6
	v_cmp_ne_u32_e64 s14, 0, v4
	s_add_i32 s6, s8, s6
	s_bcnt1_i32_b32 s8, s14
	s_add_i32 s6, s6, s8
	s_add_u32 s86, s86, s6
	s_addc_u32 s87, s87, 0
	s_and_b32 s6, vcc_lo, s9
	s_and_b32 s8, s13, s15
	v_cndmask_b32_e64 v4, 0, 1, s6
	s_and_b32 s14, s18, s20
	s_and_b32 s15, s23, s25
	v_cmp_ne_u32_e64 s6, 0, v4
	v_cndmask_b32_e64 v4, 0, 1, s8
	s_bcnt1_i32_b32 s6, s6
	v_cmp_ne_u32_e64 s9, 0, v4
	v_cndmask_b32_e64 v4, 0, 1, s14
	s_bcnt1_i32_b32 s8, s9
	v_cmp_ne_u32_e64 s14, 0, v4
	v_cndmask_b32_e64 v4, 0, 1, s15
	s_add_i32 s6, s8, s6
	s_bcnt1_i32_b32 s9, s14
	v_cmp_ne_u32_e64 s15, 0, v4
	s_add_i32 s6, s6, s9
	s_bcnt1_i32_b32 s14, s15
	s_add_i32 s6, s6, s14
	s_add_u32 s84, s84, s6
	s_addc_u32 s85, s85, 0
	s_and_b32 s6, vcc_lo, s11
	s_and_b32 s8, s13, s16
	v_cndmask_b32_e64 v4, 0, 1, s6
	s_and_b32 s11, s18, s21
	s_and_b32 s14, s23, s26
	v_mov_b32_e32 v6, s84
	v_mov_b32_e32 v7, s85
	v_cmp_ne_u32_e64 s6, 0, v4
	v_cndmask_b32_e64 v4, 0, 1, s8
	s_bcnt1_i32_b32 s6, s6
	v_cmp_ne_u32_e64 s9, 0, v4
	v_cndmask_b32_e64 v4, 0, 1, s11
	s_bcnt1_i32_b32 s8, s9
	v_cmp_ne_u32_e64 s11, 0, v4
	v_cndmask_b32_e64 v4, 0, 1, s14
	s_add_i32 s6, s8, s6
	s_bcnt1_i32_b32 s9, s11
	v_cmp_ne_u32_e64 s14, 0, v4
	s_add_i32 s6, s6, s9
	s_bcnt1_i32_b32 s11, s14
	s_add_i32 s6, s6, s11
	s_add_u32 s82, s82, s6
	s_addc_u32 s83, s83, 0
	s_and_b32 s6, vcc_lo, s12
	s_and_b32 s8, s13, s17
	v_cndmask_b32_e64 v4, 0, 1, s6
	s_and_b32 s9, s18, s22
	s_and_b32 s11, s23, s27
	v_mov_b32_e32 v8, s82
	v_mov_b32_e32 v9, s83
	v_cmp_ne_u32_e32 vcc_lo, 0, v4
	v_cndmask_b32_e64 v4, 0, 1, s8
	s_bcnt1_i32_b32 s8, vcc_lo
	v_cmp_ne_u32_e64 s6, 0, v4
	v_cndmask_b32_e64 v4, 0, 1, s9
	s_bcnt1_i32_b32 s6, s6
	v_cmp_ne_u32_e64 s9, 0, v4
	v_cndmask_b32_e64 v4, 0, 1, s11
	s_add_i32 s6, s6, s8
	s_bcnt1_i32_b32 s9, s9
	v_cmp_ne_u32_e64 s11, 0, v4
	s_add_i32 s6, s6, s9
	v_mov_b32_e32 v4, s86
	v_mov_b32_e32 v5, s87
	s_bcnt1_i32_b32 s11, s11
	s_add_i32 s6, s6, s11
	s_add_u32 s80, s80, s6
	s_addc_u32 s81, s81, 0
	v_mov_b32_e32 v10, s80
	v_mov_b32_e32 v11, s81
	s_or_b32 s70, s24, s70
	s_andn2_b32 exec_lo, exec_lo, s70
	s_cbranch_execnz .LBB174_65
; %bb.66:                               ;   in Loop: Header=BB174_18 Depth=1
	s_or_b32 exec_lo, exec_lo, s70
.LBB174_67:                             ;   in Loop: Header=BB174_18 Depth=1
	s_or_b32 exec_lo, exec_lo, s51
	v_add_co_u32 v21, s6, s78, v0
	v_and_b32_e32 v2, 0xffff, v2
	v_add_co_ci_u32_e64 v22, null, s79, 0, s6
	s_mov_b32 s12, exec_lo
	v_cmpx_gt_u64_e64 s[36:37], v[21:22]
	s_cbranch_execz .LBB174_73
; %bb.68:                               ;   in Loop: Header=BB174_18 Depth=1
	v_mul_lo_u32 v36, v22, s30
	v_mul_lo_u32 v37, v21, s31
	v_mad_u64_u32 v[34:35], null, v21, s30, 0
	s_mov_b32 s13, 0
	v_add3_u32 v35, v35, v37, v36
	v_lshlrev_b64 v[34:35], 1, v[34:35]
	v_add_co_u32 v34, vcc_lo, s29, v34
	v_add_co_ci_u32_e64 v35, null, s33, v35, vcc_lo
	global_load_ushort v35, v[34:35], off
	s_branch .LBB174_70
.LBB174_69:                             ;   in Loop: Header=BB174_70 Depth=2
	s_or_b32 exec_lo, exec_lo, s9
	s_waitcnt vmcnt(0)
	v_add_nc_u32_sdwa v35, sext(v35), v31 dst_sel:DWORD dst_unused:UNUSED_PAD src0_sel:WORD_0 src1_sel:DWORD
	s_and_b32 s8, exec_lo, vcc_lo
	s_or_b32 s13, s8, s13
	v_and_b32_e32 v36, v35, v32
	v_bfe_u32 v35, v35, s55, 2
	v_cmp_eq_u32_e64 s6, v36, v28
	v_cmp_eq_u32_e64 s9, 0, v35
	v_cmp_eq_u32_e32 vcc_lo, 1, v35
	v_cmp_eq_u32_e64 s11, 2, v35
	s_and_b32 s8, s6, s9
	v_cndmask_b32_e64 v36, 0, 1, s8
	s_and_b32 s8, s6, vcc_lo
	v_cmp_eq_u32_e32 vcc_lo, 3, v35
	v_cndmask_b32_e64 v37, 0, 1, s8
	s_and_b32 s8, s6, s11
	v_cmp_ne_u32_e64 s9, 0, v36
	v_cndmask_b32_e64 v35, 0, 1, s8
	s_and_b32 s6, s6, vcc_lo
	v_cmp_ne_u32_e64 s11, 0, v37
	v_cndmask_b32_e64 v36, 0, 1, s6
	s_bcnt1_i32_b32 s6, s9
	v_cmp_ne_u32_e32 vcc_lo, 0, v35
	v_add_co_u32 v4, s6, v4, s6
	s_bcnt1_i32_b32 s8, s11
	v_add_co_ci_u32_e64 v5, null, 0, v5, s6
	v_add_co_u32 v6, s6, v6, s8
	v_add_co_ci_u32_e64 v7, null, 0, v7, s6
	s_bcnt1_i32_b32 s6, vcc_lo
	v_cmp_ne_u32_e32 vcc_lo, 0, v36
	v_add_co_u32 v8, s6, v8, s6
	v_add_co_ci_u32_e64 v9, null, 0, v9, s6
	s_bcnt1_i32_b32 s6, vcc_lo
	v_mov_b32_e32 v35, v34
	v_add_co_u32 v10, vcc_lo, v10, s6
	v_add_co_ci_u32_e64 v11, null, 0, v11, vcc_lo
	s_andn2_b32 exec_lo, exec_lo, s13
	s_cbranch_execz .LBB174_72
.LBB174_70:                             ;   Parent Loop BB174_18 Depth=1
                                        ; =>  This Inner Loop Header: Depth=2
	v_add_co_u32 v21, vcc_lo, v21, v2
	v_add_co_ci_u32_e64 v22, null, 0, v22, vcc_lo
	v_mov_b32_e32 v34, 0
	s_mov_b32 s9, exec_lo
	v_cmp_le_u64_e32 vcc_lo, s[36:37], v[21:22]
	v_cmpx_gt_u64_e64 s[36:37], v[21:22]
	s_cbranch_execz .LBB174_69
; %bb.71:                               ;   in Loop: Header=BB174_70 Depth=2
	v_mul_lo_u32 v34, v22, s30
	v_mul_lo_u32 v38, v21, s31
	v_mad_u64_u32 v[36:37], null, v21, s30, 0
	v_add3_u32 v37, v37, v38, v34
	v_lshlrev_b64 v[36:37], 1, v[36:37]
	v_add_co_u32 v36, s6, s29, v36
	v_add_co_ci_u32_e64 v37, null, s33, v37, s6
	global_load_ushort v34, v[36:37], off
	s_branch .LBB174_69
.LBB174_72:                             ;   in Loop: Header=BB174_18 Depth=1
	s_or_b32 exec_lo, exec_lo, s13
.LBB174_73:                             ;   in Loop: Header=BB174_18 Depth=1
	s_or_b32 exec_lo, exec_lo, s12
	s_branch .LBB174_52
.LBB174_74:                             ;   in Loop: Header=BB174_18 Depth=1
	global_load_ushort v2, v3, s[74:75]
	v_mov_b32_e32 v6, 0
	v_mov_b32_e32 v8, 0
	;; [unrolled: 1-line block ×6, first 2 shown]
	s_mov_b32 s70, exec_lo
	s_waitcnt vmcnt(0)
	v_readfirstlane_b32 s6, v2
	s_and_b32 s50, 0xffff, s6
	s_lshl_b32 s51, s50, 2
	v_cvt_f32_u32_e32 v4, s51
	s_sub_i32 s8, 0, s51
	v_rcp_iflag_f32_e32 v4, v4
	v_mul_f32_e32 v4, 0x4f7ffffe, v4
	v_cvt_u32_f32_e32 v4, v4
	v_readfirstlane_b32 s6, v4
	v_mov_b32_e32 v4, 0
	v_mov_b32_e32 v5, 0
	s_mul_i32 s8, s8, s6
	s_mul_hi_u32 s8, s6, s8
	s_add_i32 s6, s6, s8
	s_mul_hi_u32 s6, s76, s6
	s_mul_i32 s8, s6, s51
	s_add_i32 s9, s6, 1
	s_sub_i32 s8, s76, s8
	s_sub_i32 s11, s8, s51
	s_cmp_ge_u32 s8, s51
	s_cselect_b32 s6, s9, s6
	s_cselect_b32 s8, s11, s8
	s_add_i32 s9, s6, 1
	s_cmp_ge_u32 s8, s51
	s_cselect_b32 s6, s9, s6
	s_mul_hi_u32 s79, s50, s6
	s_mul_i32 s78, s50, s6
	s_lshl_b64 s[80:81], s[78:79], 2
	v_cmpx_gt_u64_e64 s[80:81], v[14:15]
	s_cbranch_execz .LBB174_78
; %bb.75:                               ;   in Loop: Header=BB174_18 Depth=1
	v_mov_b32_e32 v22, v15
	v_mov_b32_e32 v34, v29
	v_mov_b32_e32 v21, v14
	s_lshl_b32 s72, s50, 3
	s_mov_b64 s[82:83], 0
	s_mov_b32 s77, 0
	s_mov_b64 s[84:85], 0
	s_mov_b64 s[86:87], 0
	;; [unrolled: 1-line block ×3, first 2 shown]
.LBB174_76:                             ;   Parent Loop BB174_18 Depth=1
                                        ; =>  This Inner Loop Header: Depth=2
	ds_read_b64 v[4:5], v34
	v_add_nc_u32_e32 v34, s72, v34
	s_waitcnt lgkmcnt(0)
	v_add_nc_u32_sdwa v6, sext(v4), v31 dst_sel:DWORD dst_unused:UNUSED_PAD src0_sel:WORD_0 src1_sel:DWORD
	v_add_nc_u32_sdwa v4, sext(v4), v31 dst_sel:DWORD dst_unused:UNUSED_PAD src0_sel:WORD_1 src1_sel:DWORD
	v_add_nc_u32_sdwa v7, sext(v5), v31 dst_sel:DWORD dst_unused:UNUSED_PAD src0_sel:WORD_0 src1_sel:DWORD
	v_add_nc_u32_sdwa v5, sext(v5), v31 dst_sel:DWORD dst_unused:UNUSED_PAD src0_sel:WORD_1 src1_sel:DWORD
	v_and_b32_e32 v8, v6, v32
	v_bfe_u32 v6, v6, s55, 2
	v_cmp_eq_u32_e32 vcc_lo, v8, v28
	v_and_b32_e32 v8, v4, v32
	v_bfe_u32 v4, v4, s55, 2
	v_cmp_eq_u32_e64 s12, 0, v6
	v_cmp_eq_u32_e64 s13, 1, v6
	;; [unrolled: 1-line block ×8, first 2 shown]
	v_bfe_u32 v4, v7, s55, 2
	v_and_b32_e32 v8, v7, v32
	s_and_b32 s8, vcc_lo, s12
	v_cmp_eq_u32_e64 s15, 3, v6
	v_cmp_eq_u32_e64 s20, 0, v4
	;; [unrolled: 1-line block ×5, first 2 shown]
	v_bfe_u32 v4, v5, s55, 2
	v_cmp_eq_u32_e64 s9, v8, v28
	v_and_b32_e32 v8, v5, v32
	v_cmp_eq_u32_e64 s24, 0, v4
	v_cmp_eq_u32_e64 s25, 1, v4
	;; [unrolled: 1-line block ×4, first 2 shown]
	v_cndmask_b32_e64 v4, 0, 1, s8
	s_and_b32 s8, s6, s16
	v_cmp_eq_u32_e64 s11, v8, v28
	v_cmp_ne_u32_e64 s12, 0, v4
	v_cndmask_b32_e64 v4, 0, 1, s8
	s_and_b32 s8, s9, s20
	v_cmp_ne_u32_e64 s16, 0, v4
	v_cndmask_b32_e64 v4, 0, 1, s8
	s_and_b32 s8, s11, s24
	v_cmp_ne_u32_e64 s20, 0, v4
	v_cndmask_b32_e64 v4, 0, 1, s8
	s_bcnt1_i32_b32 s8, s12
	s_bcnt1_i32_b32 s12, s16
	;; [unrolled: 1-line block ×3, first 2 shown]
	v_cmp_ne_u32_e64 s24, 0, v4
	s_add_i32 s8, s12, s8
	s_add_i32 s8, s8, s16
	s_bcnt1_i32_b32 s20, s24
	s_add_i32 s8, s8, s20
	s_add_u32 s88, s88, s8
	s_addc_u32 s89, s89, 0
	s_and_b32 s8, vcc_lo, s13
	v_cndmask_b32_e64 v4, 0, 1, s8
	s_and_b32 s8, s6, s17
	v_cmp_ne_u32_e64 s12, 0, v4
	v_cndmask_b32_e64 v4, 0, 1, s8
	s_and_b32 s8, s9, s21
	v_cmp_ne_u32_e64 s13, 0, v4
	;; [unrolled: 3-line block ×3, first 2 shown]
	v_cndmask_b32_e64 v4, 0, 1, s8
	s_bcnt1_i32_b32 s8, s12
	s_bcnt1_i32_b32 s12, s13
	;; [unrolled: 1-line block ×3, first 2 shown]
	v_cmp_ne_u32_e64 s17, 0, v4
	s_add_i32 s8, s12, s8
	s_add_i32 s8, s8, s13
	s_bcnt1_i32_b32 s16, s17
	s_add_i32 s8, s8, s16
	s_add_u32 s86, s86, s8
	s_addc_u32 s87, s87, 0
	s_and_b32 s8, vcc_lo, s14
	v_mov_b32_e32 v6, s86
	v_cndmask_b32_e64 v4, 0, 1, s8
	s_and_b32 s8, s6, s18
	v_mov_b32_e32 v7, s87
	v_cmp_ne_u32_e64 s12, 0, v4
	v_cndmask_b32_e64 v4, 0, 1, s8
	s_and_b32 s8, s9, s22
	v_cmp_ne_u32_e64 s13, 0, v4
	v_cndmask_b32_e64 v4, 0, 1, s8
	s_and_b32 s8, s11, s26
	v_cmp_ne_u32_e64 s14, 0, v4
	v_cndmask_b32_e64 v4, 0, 1, s8
	s_bcnt1_i32_b32 s8, s12
	s_bcnt1_i32_b32 s12, s13
	;; [unrolled: 1-line block ×3, first 2 shown]
	v_cmp_ne_u32_e64 s16, 0, v4
	s_add_i32 s8, s12, s8
	v_add_co_u32 v21, s12, v21, s51
	s_add_i32 s8, s8, s13
	s_bcnt1_i32_b32 s14, s16
	v_add_co_ci_u32_e64 v22, null, 0, v22, s12
	s_add_i32 s8, s8, s14
	s_add_u32 s84, s84, s8
	s_addc_u32 s85, s85, 0
	s_and_b32 s8, vcc_lo, s15
	s_and_b32 s6, s6, s19
	v_cndmask_b32_e64 v4, 0, 1, s8
	s_and_b32 s8, s9, s23
	v_cmp_le_u64_e64 s12, s[80:81], v[21:22]
	v_mov_b32_e32 v8, s84
	v_mov_b32_e32 v9, s85
	v_cmp_ne_u32_e32 vcc_lo, 0, v4
	v_cndmask_b32_e64 v4, 0, 1, s6
	v_cmp_ne_u32_e64 s6, 0, v4
	v_cndmask_b32_e64 v4, 0, 1, s8
	s_and_b32 s8, s11, s27
	s_bcnt1_i32_b32 s6, s6
	v_cmp_ne_u32_e64 s9, 0, v4
	v_cndmask_b32_e64 v4, 0, 1, s8
	s_bcnt1_i32_b32 s8, vcc_lo
	s_add_i32 s6, s6, s8
	s_bcnt1_i32_b32 s9, s9
	v_cmp_ne_u32_e64 s11, 0, v4
	s_add_i32 s6, s6, s9
	v_mov_b32_e32 v4, s88
	v_mov_b32_e32 v5, s89
	s_bcnt1_i32_b32 s11, s11
	s_add_i32 s6, s6, s11
	s_add_u32 s82, s82, s6
	s_addc_u32 s83, s83, 0
	v_mov_b32_e32 v10, s82
	v_mov_b32_e32 v11, s83
	s_or_b32 s77, s12, s77
	s_andn2_b32 exec_lo, exec_lo, s77
	s_cbranch_execnz .LBB174_76
; %bb.77:                               ;   in Loop: Header=BB174_18 Depth=1
	s_or_b32 exec_lo, exec_lo, s77
.LBB174_78:                             ;   in Loop: Header=BB174_18 Depth=1
	s_or_b32 exec_lo, exec_lo, s70
	v_add_co_u32 v21, s6, s80, v0
	v_and_b32_e32 v2, 0xffff, v2
	v_add_co_ci_u32_e64 v22, null, s81, 0, s6
	s_and_b32 s70, s76, 0x7fffffff
	s_mov_b32 s14, exec_lo
	v_cmpx_gt_u64_e64 s[70:71], v[21:22]
	s_cbranch_execz .LBB174_82
; %bb.79:                               ;   in Loop: Header=BB174_18 Depth=1
	v_lshl_add_u32 v34, s78, 3, v25
	s_lshl_b32 s16, s50, 1
	s_mov_b32 s15, 0
.LBB174_80:                             ;   Parent Loop BB174_18 Depth=1
                                        ; =>  This Inner Loop Header: Depth=2
	ds_read_i16 v35, v34
	v_add_co_u32 v21, vcc_lo, v21, v2
	v_add_co_ci_u32_e64 v22, null, 0, v22, vcc_lo
	v_add_nc_u32_e32 v34, s16, v34
	v_cmp_le_u64_e32 vcc_lo, s[70:71], v[21:22]
	s_waitcnt lgkmcnt(0)
	v_add_nc_u32_e32 v35, 0x8000, v35
	v_and_b32_e32 v36, v35, v32
	v_bfe_u32 v35, v35, s55, 2
	v_cmp_eq_u32_e64 s6, v36, v28
	v_cmp_eq_u32_e64 s9, 0, v35
	;; [unrolled: 1-line block ×5, first 2 shown]
	s_and_b32 s8, s6, s9
	v_cndmask_b32_e64 v35, 0, 1, s8
	s_and_b32 s8, s6, s11
	v_cndmask_b32_e64 v36, 0, 1, s8
	s_and_b32 s8, s6, s12
	s_and_b32 s6, s6, s13
	v_cndmask_b32_e64 v37, 0, 1, s8
	v_cndmask_b32_e64 v38, 0, 1, s6
	v_cmp_ne_u32_e64 s6, 0, v35
	v_cmp_ne_u32_e64 s9, 0, v36
	;; [unrolled: 1-line block ×4, first 2 shown]
	s_bcnt1_i32_b32 s6, s6
	s_bcnt1_i32_b32 s8, s9
	v_add_co_u32 v4, s6, v4, s6
	s_bcnt1_i32_b32 s9, s11
	v_add_co_ci_u32_e64 v5, null, 0, v5, s6
	v_add_co_u32 v6, s6, v6, s8
	s_bcnt1_i32_b32 s11, s12
	v_add_co_ci_u32_e64 v7, null, 0, v7, s6
	v_add_co_u32 v8, s6, v8, s9
	v_add_co_ci_u32_e64 v9, null, 0, v9, s6
	v_add_co_u32 v10, s6, v10, s11
	v_add_co_ci_u32_e64 v11, null, 0, v11, s6
	s_or_b32 s15, vcc_lo, s15
	s_andn2_b32 exec_lo, exec_lo, s15
	s_cbranch_execnz .LBB174_80
; %bb.81:                               ;   in Loop: Header=BB174_18 Depth=1
	s_or_b32 exec_lo, exec_lo, s15
.LBB174_82:                             ;   in Loop: Header=BB174_18 Depth=1
	s_or_b32 exec_lo, exec_lo, s14
	s_lshl_b32 s6, s65, 7
	s_and_saveexec_b32 s8, s0
	s_cbranch_execnz .LBB174_53
	s_branch .LBB174_54
.LBB174_83:                             ;   in Loop: Header=BB174_18 Depth=1
                                        ; implicit-def: $sgpr12_sgpr13
	s_branch .LBB174_62
.LBB174_84:                             ;   in Loop: Header=BB174_18 Depth=1
	s_mov_b32 s11, 0
	s_andn2_b32 vcc_lo, exec_lo, vcc_hi
	s_cbranch_vccnz .LBB174_87
.LBB174_85:                             ;   in Loop: Header=BB174_18 Depth=1
	s_lshl_b32 s8, s65, 10
	s_lshl_b32 s11, s11, 5
	v_add3_u32 v2, s8, s11, v30
	s_mov_b32 s11, s98
.LBB174_86:                             ;   Parent Loop BB174_18 Depth=1
                                        ; =>  This Inner Loop Header: Depth=2
	ds_read_b64 v[6:7], v2
	v_add_nc_u32_e32 v2, 32, v2
	s_add_i32 s11, s11, -1
	s_cmp_lg_u32 s11, 0
	s_waitcnt lgkmcnt(0)
	v_add_co_u32 v4, vcc_lo, v6, v4
	v_add_co_ci_u32_e64 v5, null, v7, v5, vcc_lo
	s_cbranch_scc1 .LBB174_86
.LBB174_87:                             ;   in Loop: Header=BB174_18 Depth=1
	v_add_lshl_u32 v2, s6, v24, 3
	ds_write_b64 v2, v[4:5] offset:3072
.LBB174_88:                             ;   in Loop: Header=BB174_18 Depth=1
	s_or_b32 exec_lo, exec_lo, s9
	s_lshl_b32 s6, s6, 3
	s_waitcnt lgkmcnt(0)
	v_mov_b32_e32 v2, s6
	s_barrier
	buffer_gl0_inv
	v_cmp_eq_u64_e64 s9, 1, v[19:20]
	s_lshl_b32 s11, 3, s55
	ds_read_b128 v[4:7], v2 offset:3072
	ds_read_b128 v[8:11], v2 offset:3088
	s_mov_b32 s78, -1
	s_not_b32 s26, s11
	s_mov_b32 s27, 0
	s_andn2_b32 vcc_lo, exec_lo, s61
	s_mov_b32 s51, 0
	s_mov_b32 s50, 0
                                        ; implicit-def: $sgpr76
                                        ; implicit-def: $sgpr77
                                        ; implicit-def: $vgpr2
	s_waitcnt lgkmcnt(1)
	v_readfirstlane_b32 s13, v5
	v_readfirstlane_b32 s12, v4
	;; [unrolled: 1-line block ×4, first 2 shown]
	s_waitcnt lgkmcnt(0)
	v_readfirstlane_b32 s17, v9
	v_readfirstlane_b32 s16, v8
	;; [unrolled: 1-line block ×4, first 2 shown]
                                        ; implicit-def: $vgpr4_vgpr5
                                        ; implicit-def: $vgpr8
                                        ; implicit-def: $vgpr9
                                        ; implicit-def: $vgpr10
	s_cbranch_vccnz .LBB174_283
; %bb.89:                               ;   in Loop: Header=BB174_18 Depth=1
	s_cmp_eq_u64 s[12:13], 1
	v_mov_b32_e32 v8, v28
	v_mov_b32_e32 v9, v32
	;; [unrolled: 1-line block ×3, first 2 shown]
	s_cselect_b32 s6, -1, 0
	s_mov_b32 s20, -1
	s_and_b32 s6, s6, s9
                                        ; implicit-def: $sgpr77
                                        ; implicit-def: $sgpr76
	s_and_saveexec_b32 s50, s6
	s_cbranch_execz .LBB174_124
; %bb.90:                               ;   in Loop: Header=BB174_18 Depth=1
	ds_read_b64 v[4:5], v3 offset:5120
	s_waitcnt lgkmcnt(0)
	s_barrier
	buffer_gl0_inv
	v_readfirstlane_b32 s20, v4
	v_readfirstlane_b32 s21, v5
	s_and_saveexec_b32 s8, s10
; %bb.91:                               ;   in Loop: Header=BB174_18 Depth=1
	ds_write_b16 v26, v3
; %bb.92:                               ;   in Loop: Header=BB174_18 Depth=1
	s_or_b32 exec_lo, exec_lo, s8
	v_and_b32_e32 v8, s26, v28
	v_or_b32_e32 v9, s11, v32
	s_mov_b32 s76, -1
	s_mov_b32 s77, 0
	s_cmp_eq_u64 s[20:21], 0
	s_mov_b32 s24, 0
	s_mov_b32 s25, -1
	s_waitcnt lgkmcnt(0)
	s_barrier
	buffer_gl0_inv
                                        ; implicit-def: $vgpr10
	s_cbranch_scc1 .LBB174_109
; %bb.93:                               ;   in Loop: Header=BB174_18 Depth=1
	s_add_u32 s51, s20, s94
	s_addc_u32 s23, s21, s95
	s_mov_b32 s22, s71
	s_cmp_lg_u64 s[22:23], 0
	s_cbranch_scc0 .LBB174_150
; %bb.94:                               ;   in Loop: Header=BB174_18 Depth=1
	v_cvt_f32_u32_e32 v2, s35
	s_sub_u32 s8, 0, s35
	s_subb_u32 s22, 0, 0
	v_fmac_f32_e64 v2, 0x4f800000, 0
	v_rcp_f32_e32 v2, v2
	v_mul_f32_e32 v2, 0x5f7ffffc, v2
	v_mul_f32_e32 v4, 0x2f800000, v2
	v_trunc_f32_e32 v4, v4
	v_fmac_f32_e32 v2, 0xcf800000, v4
	v_cvt_u32_f32_e32 v4, v4
	v_cvt_u32_f32_e32 v2, v2
	v_readfirstlane_b32 s1, v4
	v_readfirstlane_b32 s7, v2
	s_mul_i32 s24, s8, s1
	s_mul_hi_u32 s28, s8, s7
	s_mul_i32 s25, s22, s7
	s_add_i32 s24, s28, s24
	s_mul_i32 s40, s8, s7
	s_add_i32 s24, s24, s25
	s_mul_hi_u32 s28, s7, s40
	s_mul_i32 s42, s7, s24
	s_mul_hi_u32 s41, s1, s40
	s_mul_i32 s25, s1, s40
	s_mul_hi_u32 s40, s7, s24
	s_add_u32 s28, s28, s42
	s_addc_u32 s40, 0, s40
	s_mul_hi_u32 s43, s1, s24
	s_add_u32 s25, s28, s25
	s_mul_i32 s24, s1, s24
	s_addc_u32 s25, s40, s41
	s_addc_u32 s28, s43, 0
	s_add_u32 s24, s25, s24
	s_addc_u32 s25, 0, s28
	s_add_u32 s7, s7, s24
	s_cselect_b32 s24, -1, 0
	s_mul_hi_u32 s28, s8, s7
	s_cmp_lg_u32 s24, 0
	s_mul_i32 s24, s8, s7
	s_addc_u32 s1, s1, s25
	s_mul_i32 s22, s22, s7
	s_mul_i32 s8, s8, s1
	s_mul_hi_u32 s25, s7, s24
	s_add_i32 s8, s28, s8
	s_mul_hi_u32 s28, s1, s24
	s_add_i32 s8, s8, s22
	s_mul_i32 s22, s1, s24
	s_mul_i32 s41, s7, s8
	s_mul_hi_u32 s40, s7, s8
	s_add_u32 s25, s25, s41
	s_addc_u32 s40, 0, s40
	s_mul_hi_u32 s24, s1, s8
	s_add_u32 s22, s25, s22
	s_mul_i32 s8, s1, s8
	s_addc_u32 s22, s40, s28
	s_addc_u32 s24, s24, 0
	s_add_u32 s8, s22, s8
	s_addc_u32 s22, 0, s24
	s_add_u32 s7, s7, s8
	s_cselect_b32 s8, -1, 0
	s_mul_hi_u32 s24, s51, s7
	s_cmp_lg_u32 s8, 0
	s_mul_hi_u32 s8, s23, s7
	s_addc_u32 s1, s1, s22
	s_mul_i32 s7, s23, s7
	s_mul_i32 s25, s51, s1
	s_mul_hi_u32 s22, s51, s1
	s_add_u32 s24, s24, s25
	s_addc_u32 s22, 0, s22
	s_mul_hi_u32 s28, s23, s1
	s_add_u32 s7, s24, s7
	s_mul_i32 s1, s23, s1
	s_addc_u32 s7, s22, s8
	s_addc_u32 s8, s28, 0
	s_add_u32 s1, s7, s1
	s_addc_u32 s7, 0, s8
	s_mul_hi_u32 s8, s35, s1
	s_mul_i32 s7, s35, s7
	s_mul_i32 s1, s35, s1
	s_add_i32 s8, s8, s7
	s_sub_u32 s1, s51, s1
	s_cselect_b32 s7, -1, 0
	s_cmp_lg_u32 s7, 0
	s_subb_u32 s7, s23, s8
	s_sub_u32 s8, s1, s35
	s_cselect_b32 s22, -1, 0
	s_cmp_lg_u32 s22, 0
	s_subb_u32 s22, s7, 0
	;; [unrolled: 4-line block ×3, first 2 shown]
	s_cmp_ge_u32 s8, s35
	s_cselect_b32 s28, -1, 0
	s_cmp_eq_u32 s22, 0
	s_cselect_b32 s28, s28, -1
	s_cmp_lg_u32 s28, 0
	s_cselect_b32 s22, s25, s22
	s_cselect_b32 s8, s24, s8
	s_cmp_ge_u32 s1, s35
	s_cselect_b32 s24, -1, 0
	s_cmp_eq_u32 s7, 0
	s_cselect_b32 s24, s24, -1
	s_cmp_lg_u32 s24, 0
	s_cselect_b32 s25, s22, s7
	s_cselect_b32 s24, s8, s1
	s_cbranch_execnz .LBB174_96
.LBB174_95:                             ;   in Loop: Header=BB174_18 Depth=1
	v_cvt_f32_u32_e32 v2, s35
	s_sub_i32 s7, 0, s35
	v_rcp_iflag_f32_e32 v2, v2
	v_mul_f32_e32 v2, 0x4f7ffffe, v2
	v_cvt_u32_f32_e32 v2, v2
	v_readfirstlane_b32 s1, v2
	s_mul_i32 s7, s7, s1
	s_mul_hi_u32 s7, s1, s7
	s_add_i32 s1, s1, s7
	s_mul_hi_u32 s1, s51, s1
	s_mul_i32 s1, s1, s35
	s_sub_i32 s1, s51, s1
	s_sub_i32 s7, s1, s35
	s_cmp_ge_u32 s1, s35
	s_cselect_b32 s1, s7, s1
	s_sub_i32 s7, s1, s35
	s_cmp_ge_u32 s1, s35
	s_cselect_b32 s70, s7, s1
	s_mov_b64 s[24:25], s[70:71]
.LBB174_96:                             ;   in Loop: Header=BB174_18 Depth=1
	s_sub_u32 s22, s51, s24
	s_subb_u32 s23, s23, s25
	s_mov_b32 s25, 0
	s_mov_b32 s24, 0
	s_mov_b32 s51, exec_lo
                                        ; implicit-def: $vgpr10
	v_cmpx_gt_u64_e64 s[22:23], v[0:1]
	s_cbranch_execz .LBB174_108
; %bb.97:                               ;   in Loop: Header=BB174_18 Depth=1
	v_mov_b32_e32 v5, v1
	v_mov_b32_e32 v2, v25
	;; [unrolled: 1-line block ×3, first 2 shown]
                                        ; implicit-def: $sgpr70
	s_inst_prefetch 0x1
	s_branch .LBB174_100
	.p2align	6
.LBB174_98:                             ;   in Loop: Header=BB174_100 Depth=2
	s_or_b32 exec_lo, exec_lo, s8
	s_waitcnt lgkmcnt(0)
	s_barrier
	buffer_gl0_inv
	ds_read_b32 v6, v3 offset:3072
	s_mov_b32 s8, -1
	s_mov_b32 s72, -1
	s_waitcnt lgkmcnt(0)
	s_barrier
	buffer_gl0_inv
	v_cmp_ne_u32_sdwa s1, v6, v3 src0_sel:WORD_0 src1_sel:DWORD
	s_and_b32 vcc_lo, exec_lo, s1
	s_cbranch_vccz .LBB174_103
.LBB174_99:                             ;   in Loop: Header=BB174_100 Depth=2
	s_and_b32 s1, exec_lo, s8
	s_or_b32 s24, s1, s24
	s_andn2_b32 s1, s70, exec_lo
	s_and_b32 s7, s72, exec_lo
	s_or_b32 s70, s1, s7
	s_andn2_b32 exec_lo, exec_lo, s24
	s_cbranch_execz .LBB174_107
.LBB174_100:                            ;   Parent Loop BB174_18 Depth=1
                                        ; =>  This Inner Loop Header: Depth=2
	s_mov_b32 s8, exec_lo
	v_cmpx_gt_u64_e64 s[20:21], v[4:5]
	s_cbranch_execz .LBB174_98
; %bb.101:                              ;   in Loop: Header=BB174_100 Depth=2
	ds_read_u16 v6, v2
	s_waitcnt lgkmcnt(0)
	v_add_nc_u32_sdwa v7, sext(v6), v31 dst_sel:DWORD dst_unused:UNUSED_PAD src0_sel:WORD_0 src1_sel:DWORD
	v_and_b32_e32 v7, v7, v9
	v_cmp_eq_u32_e32 vcc_lo, v7, v8
	s_and_b32 exec_lo, exec_lo, vcc_lo
	s_cbranch_execz .LBB174_98
; %bb.102:                              ;   in Loop: Header=BB174_100 Depth=2
	v_perm_b32 v6, v6, 1, 0x5040100
	ds_write_b32 v3, v6 offset:3072
	s_branch .LBB174_98
.LBB174_103:                            ;   in Loop: Header=BB174_100 Depth=2
	v_add_co_u32 v4, vcc_lo, v4, s35
	v_add_co_ci_u32_e64 v5, null, 0, v5, vcc_lo
	v_add_nc_u32_e32 v2, s68, v2
	s_mov_b32 s72, 0
	v_cmp_le_u64_e32 vcc_lo, s[22:23], v[4:5]
	s_orn2_b32 s8, vcc_lo, exec_lo
	s_branch .LBB174_99
.LBB174_104:                            ;   in Loop: Header=BB174_18 Depth=1
	s_or_b32 exec_lo, exec_lo, s12
	s_waitcnt lgkmcnt(0)
	s_barrier
	buffer_gl0_inv
	s_and_saveexec_b32 s6, s3
	s_cbranch_execz .LBB174_106
; %bb.105:                              ;   in Loop: Header=BB174_18 Depth=1
	ds_read_b32 v4, v3 offset:5144
	s_waitcnt lgkmcnt(0)
	v_ashrrev_i32_e32 v5, 31, v4
	ds_write_b64 v3, v[4:5] offset:5120
.LBB174_106:                            ;   in Loop: Header=BB174_18 Depth=1
	s_or_b32 exec_lo, exec_lo, s6
	s_waitcnt lgkmcnt(0)
	s_mov_b32 s6, -1
	s_barrier
	s_and_b32 vcc_lo, exec_lo, s11
	s_cbranch_vccnz .LBB174_33
	s_branch .LBB174_48
.LBB174_107:                            ;   in Loop: Header=BB174_18 Depth=1
	s_inst_prefetch 0x2
	s_or_b32 exec_lo, exec_lo, s24
	v_lshrrev_b32_e32 v10, 16, v6
	s_and_b32 s24, s70, exec_lo
.LBB174_108:                            ;   in Loop: Header=BB174_18 Depth=1
	s_or_b32 exec_lo, exec_lo, s51
.LBB174_109:                            ;   in Loop: Header=BB174_18 Depth=1
	s_and_b32 vcc_lo, exec_lo, s25
	s_cbranch_vccz .LBB174_123
; %bb.110:                              ;   in Loop: Header=BB174_18 Depth=1
	s_mov_b32 s72, s71
	s_cmp_lg_u64 s[72:73], 0
	s_cbranch_scc0 .LBB174_151
; %bb.111:                              ;   in Loop: Header=BB174_18 Depth=1
	v_cvt_f32_u32_e32 v2, s35
	s_sub_u32 s8, 0, s35
	s_subb_u32 s20, 0, 0
	v_fmac_f32_e64 v2, 0x4f800000, 0
	v_rcp_f32_e32 v2, v2
	v_mul_f32_e32 v2, 0x5f7ffffc, v2
	v_mul_f32_e32 v4, 0x2f800000, v2
	v_trunc_f32_e32 v4, v4
	v_fmac_f32_e32 v2, 0xcf800000, v4
	v_cvt_u32_f32_e32 v4, v4
	v_cvt_u32_f32_e32 v2, v2
	v_readfirstlane_b32 s1, v4
	v_readfirstlane_b32 s7, v2
	s_mul_i32 s21, s8, s1
	s_mul_hi_u32 s23, s8, s7
	s_mul_i32 s22, s20, s7
	s_add_i32 s21, s23, s21
	s_mul_i32 s25, s8, s7
	s_add_i32 s21, s21, s22
	s_mul_hi_u32 s23, s7, s25
	s_mul_i32 s40, s7, s21
	s_mul_hi_u32 s28, s1, s25
	s_mul_i32 s22, s1, s25
	s_mul_hi_u32 s25, s7, s21
	s_add_u32 s23, s23, s40
	s_addc_u32 s25, 0, s25
	s_mul_hi_u32 s41, s1, s21
	s_add_u32 s22, s23, s22
	s_mul_i32 s21, s1, s21
	s_addc_u32 s22, s25, s28
	s_addc_u32 s23, s41, 0
	s_add_u32 s21, s22, s21
	s_addc_u32 s22, 0, s23
	s_add_u32 s7, s7, s21
	s_cselect_b32 s21, -1, 0
	s_mul_hi_u32 s23, s8, s7
	s_cmp_lg_u32 s21, 0
	s_mul_i32 s21, s8, s7
	s_addc_u32 s1, s1, s22
	s_mul_i32 s20, s20, s7
	s_mul_i32 s8, s8, s1
	s_mul_hi_u32 s22, s7, s21
	s_add_i32 s8, s23, s8
	s_mul_hi_u32 s23, s1, s21
	s_add_i32 s8, s8, s20
	s_mul_i32 s20, s1, s21
	s_mul_i32 s28, s7, s8
	s_mul_hi_u32 s25, s7, s8
	s_add_u32 s22, s22, s28
	s_addc_u32 s25, 0, s25
	s_mul_hi_u32 s21, s1, s8
	s_add_u32 s20, s22, s20
	s_mul_i32 s8, s1, s8
	s_addc_u32 s20, s25, s23
	s_addc_u32 s21, s21, 0
	s_add_u32 s8, s20, s8
	s_addc_u32 s20, 0, s21
	s_add_u32 s7, s7, s8
	s_cselect_b32 s8, -1, 0
	s_mul_hi_u32 s21, s96, s7
	s_cmp_lg_u32 s8, 0
	s_mul_hi_u32 s8, s73, s7
	s_addc_u32 s1, s1, s20
	s_mul_i32 s7, s73, s7
	s_mul_i32 s22, s96, s1
	s_mul_hi_u32 s20, s96, s1
	s_add_u32 s21, s21, s22
	s_addc_u32 s20, 0, s20
	s_mul_hi_u32 s23, s73, s1
	s_add_u32 s7, s21, s7
	s_mul_i32 s1, s73, s1
	s_addc_u32 s7, s20, s8
	s_addc_u32 s8, s23, 0
	s_add_u32 s1, s7, s1
	s_addc_u32 s7, 0, s8
	s_mul_hi_u32 s8, s35, s1
	s_mul_i32 s7, s35, s7
	s_mul_i32 s1, s35, s1
	s_add_i32 s8, s8, s7
	s_sub_u32 s1, s96, s1
	s_cselect_b32 s7, -1, 0
	s_cmp_lg_u32 s7, 0
	s_subb_u32 s7, s73, s8
	s_sub_u32 s8, s1, s35
	s_cselect_b32 s20, -1, 0
	s_cmp_lg_u32 s20, 0
	s_subb_u32 s20, s7, 0
	;; [unrolled: 4-line block ×3, first 2 shown]
	s_cmp_ge_u32 s8, s35
	s_cselect_b32 s23, -1, 0
	s_cmp_eq_u32 s20, 0
	s_cselect_b32 s23, s23, -1
	s_cmp_lg_u32 s23, 0
	s_cselect_b32 s20, s22, s20
	s_cselect_b32 s8, s21, s8
	s_cmp_ge_u32 s1, s35
	s_cselect_b32 s21, -1, 0
	s_cmp_eq_u32 s7, 0
	s_cselect_b32 s21, s21, -1
	s_cmp_lg_u32 s21, 0
	s_cselect_b32 s21, s20, s7
	s_cselect_b32 s20, s8, s1
	s_cbranch_execnz .LBB174_113
.LBB174_112:                            ;   in Loop: Header=BB174_18 Depth=1
	v_cvt_f32_u32_e32 v2, s35
	s_sub_i32 s7, 0, s35
	v_rcp_iflag_f32_e32 v2, v2
	v_mul_f32_e32 v2, 0x4f7ffffe, v2
	v_cvt_u32_f32_e32 v2, v2
	v_readfirstlane_b32 s1, v2
	s_mul_i32 s7, s7, s1
	s_mul_hi_u32 s7, s1, s7
	s_add_i32 s1, s1, s7
	s_mul_hi_u32 s1, s96, s1
	s_mul_i32 s1, s1, s35
	s_sub_i32 s1, s96, s1
	s_sub_i32 s7, s1, s35
	s_cmp_ge_u32 s1, s35
	s_cselect_b32 s1, s7, s1
	s_sub_i32 s7, s1, s35
	s_cmp_ge_u32 s1, s35
	s_cselect_b32 s70, s7, s1
	s_mov_b64 s[20:21], s[70:71]
.LBB174_113:                            ;   in Loop: Header=BB174_18 Depth=1
	s_sub_u32 s20, s96, s20
	s_subb_u32 s21, s73, s21
	s_mov_b32 s22, exec_lo
                                        ; implicit-def: $vgpr10
	v_cmpx_gt_u64_e64 s[20:21], v[0:1]
	s_cbranch_execz .LBB174_122
; %bb.114:                              ;   in Loop: Header=BB174_18 Depth=1
	v_mov_b32_e32 v5, v1
	v_mov_b32_e32 v4, v0
	s_mov_b32 s23, 0
                                        ; implicit-def: $sgpr25
	s_branch .LBB174_117
.LBB174_115:                            ;   in Loop: Header=BB174_117 Depth=2
	s_or_b32 exec_lo, exec_lo, s51
	s_waitcnt lgkmcnt(0)
	s_barrier
	buffer_gl0_inv
	ds_read_b32 v2, v3 offset:3072
	s_mov_b32 s28, -1
	s_mov_b32 s8, -1
	s_waitcnt lgkmcnt(0)
	s_barrier
	buffer_gl0_inv
	v_cmp_ne_u32_sdwa s1, v2, v3 src0_sel:WORD_0 src1_sel:DWORD
	s_and_b32 vcc_lo, exec_lo, s1
	s_cbranch_vccz .LBB174_120
.LBB174_116:                            ;   in Loop: Header=BB174_117 Depth=2
	s_and_b32 s1, exec_lo, s28
	s_or_b32 s23, s1, s23
	s_andn2_b32 s1, s25, exec_lo
	s_and_b32 s7, s8, exec_lo
	s_or_b32 s25, s1, s7
	s_andn2_b32 exec_lo, exec_lo, s23
	s_cbranch_execz .LBB174_121
.LBB174_117:                            ;   Parent Loop BB174_18 Depth=1
                                        ; =>  This Inner Loop Header: Depth=2
	s_mov_b32 s51, exec_lo
	v_cmpx_gt_u64_e64 s[36:37], v[4:5]
	s_cbranch_execz .LBB174_115
; %bb.118:                              ;   in Loop: Header=BB174_117 Depth=2
	v_mul_lo_u32 v2, v5, s30
	v_mul_lo_u32 v10, v4, s31
	v_mad_u64_u32 v[6:7], null, v4, s30, 0
	v_add3_u32 v7, v7, v10, v2
	v_lshlrev_b64 v[6:7], 1, v[6:7]
	v_add_co_u32 v6, vcc_lo, s29, v6
	v_add_co_ci_u32_e64 v7, null, s33, v7, vcc_lo
	global_load_ushort v2, v[6:7], off
	s_waitcnt vmcnt(0)
	v_add_nc_u32_sdwa v6, sext(v2), v31 dst_sel:DWORD dst_unused:UNUSED_PAD src0_sel:WORD_0 src1_sel:DWORD
	v_and_b32_e32 v6, v6, v9
	v_cmp_eq_u32_e32 vcc_lo, v6, v8
	s_and_b32 exec_lo, exec_lo, vcc_lo
	s_cbranch_execz .LBB174_115
; %bb.119:                              ;   in Loop: Header=BB174_117 Depth=2
	v_perm_b32 v2, v2, 1, 0x5040100
	ds_write_b32 v3, v2 offset:3072
	s_branch .LBB174_115
.LBB174_120:                            ;   in Loop: Header=BB174_117 Depth=2
	v_add_co_u32 v4, vcc_lo, v4, s35
	v_add_co_ci_u32_e64 v5, null, 0, v5, vcc_lo
	s_mov_b32 s8, 0
	v_cmp_le_u64_e32 vcc_lo, s[20:21], v[4:5]
	s_orn2_b32 s28, vcc_lo, exec_lo
	s_branch .LBB174_116
.LBB174_121:                            ;   in Loop: Header=BB174_18 Depth=1
	s_or_b32 exec_lo, exec_lo, s23
	v_lshrrev_b32_e32 v10, 16, v2
	s_andn2_b32 s1, s24, exec_lo
	s_and_b32 s7, s25, exec_lo
	s_or_b32 s24, s1, s7
.LBB174_122:                            ;   in Loop: Header=BB174_18 Depth=1
	s_or_b32 exec_lo, exec_lo, s22
	s_mov_b32 s76, 0
	s_mov_b32 s77, -1
.LBB174_123:                            ;   in Loop: Header=BB174_18 Depth=1
	s_orn2_b32 s20, s24, exec_lo
.LBB174_124:                            ;   in Loop: Header=BB174_18 Depth=1
	s_or_b32 exec_lo, exec_lo, s50
	s_mov_b32 s78, 0
	s_mov_b32 s51, 0
	;; [unrolled: 1-line block ×3, first 2 shown]
                                        ; implicit-def: $vgpr4_vgpr5
                                        ; implicit-def: $vgpr2
	s_and_saveexec_b32 s79, s20
	s_cbranch_execz .LBB174_282
; %bb.125:                              ;   in Loop: Header=BB174_18 Depth=1
	v_mov_b32_e32 v4, 1
	v_mov_b32_e32 v5, 0
	;; [unrolled: 1-line block ×3, first 2 shown]
	s_xor_b32 s1, s6, -1
	s_mov_b32 s21, 0
	s_and_saveexec_b32 s6, s1
	s_cbranch_execz .LBB174_134
; %bb.126:                              ;   in Loop: Header=BB174_18 Depth=1
	s_mov_b32 s1, exec_lo
	v_cmpx_ge_u64_e64 s[12:13], v[19:20]
	s_xor_b32 s20, exec_lo, s1
	s_cbranch_execz .LBB174_131
; %bb.127:                              ;   in Loop: Header=BB174_18 Depth=1
	ds_read_b64 v[4:5], v3 offset:5120
	v_and_b32_e32 v8, s26, v8
	v_or_b32_e32 v9, s11, v9
	s_waitcnt lgkmcnt(0)
	v_cmp_ne_u64_e32 vcc_lo, 0, v[4:5]
	s_cbranch_vccnz .LBB174_131
; %bb.128:                              ;   in Loop: Header=BB174_18 Depth=1
	s_and_saveexec_b32 s8, s3
; %bb.129:                              ;   in Loop: Header=BB174_18 Depth=1
	v_mov_b32_e32 v4, s12
	v_mov_b32_e32 v5, s13
	ds_write_b64 v3, v[4:5] offset:5128
; %bb.130:                              ;   in Loop: Header=BB174_18 Depth=1
	s_or_b32 exec_lo, exec_lo, s8
	s_waitcnt lgkmcnt(0)
	s_barrier
	buffer_gl0_inv
.LBB174_131:                            ;   in Loop: Header=BB174_18 Depth=1
	s_or_saveexec_b32 s20, s20
	v_mov_b32_e32 v4, v19
	v_mov_b32_e32 v2, 8
	;; [unrolled: 1-line block ×3, first 2 shown]
	s_xor_b32 exec_lo, exec_lo, s20
; %bb.132:                              ;   in Loop: Header=BB174_18 Depth=1
	v_sub_co_u32 v4, vcc_lo, v19, s12
	v_subrev_co_ci_u32_e64 v5, null, s13, v20, vcc_lo
	v_mov_b32_e32 v2, 0
	s_mov_b32 s21, exec_lo
; %bb.133:                              ;   in Loop: Header=BB174_18 Depth=1
	s_or_b32 exec_lo, exec_lo, s20
	s_and_b32 s21, s21, exec_lo
.LBB174_134:                            ;   in Loop: Header=BB174_18 Depth=1
	s_or_b32 exec_lo, exec_lo, s6
	s_mov_b32 s20, -1
                                        ; implicit-def: $sgpr50
                                        ; implicit-def: $sgpr51
	s_and_saveexec_b32 s1, s21
	s_xor_b32 s6, exec_lo, s1
	s_cbranch_execz .LBB174_279
; %bb.135:                              ;   in Loop: Header=BB174_18 Depth=1
	v_cmp_eq_u64_e32 vcc_lo, 1, v[4:5]
	s_cmp_eq_u64 s[14:15], 1
                                        ; implicit-def: $sgpr51
                                        ; implicit-def: $sgpr50
	s_cselect_b32 s8, -1, 0
	s_and_b32 s81, s8, vcc_lo
	s_and_saveexec_b32 s80, s81
	s_cbranch_execz .LBB174_169
; %bb.136:                              ;   in Loop: Header=BB174_18 Depth=1
	ds_read_b64 v[6:7], v3 offset:5120
	s_waitcnt lgkmcnt(0)
	s_barrier
	buffer_gl0_inv
	v_readfirstlane_b32 s20, v6
	v_readfirstlane_b32 s21, v7
	s_and_saveexec_b32 s8, s10
; %bb.137:                              ;   in Loop: Header=BB174_18 Depth=1
	ds_write_b16 v26, v3
; %bb.138:                              ;   in Loop: Header=BB174_18 Depth=1
	s_or_b32 exec_lo, exec_lo, s8
	s_lshl_b32 s8, 1, s55
	v_or_b32_e32 v9, s11, v9
	v_and_or_b32 v8, v8, s26, s8
	s_mov_b32 s50, -1
	s_mov_b32 s51, 0
	s_cmp_eq_u64 s[20:21], 0
	s_mov_b32 s24, 0
	s_mov_b32 s25, -1
	s_waitcnt lgkmcnt(0)
	s_barrier
	buffer_gl0_inv
                                        ; implicit-def: $vgpr10
	s_cbranch_scc1 .LBB174_154
; %bb.139:                              ;   in Loop: Header=BB174_18 Depth=1
	s_add_u32 s72, s20, s94
	s_addc_u32 s23, s21, s95
	s_mov_b32 s22, s71
	s_cmp_lg_u64 s[22:23], 0
	s_cbranch_scc0 .LBB174_195
; %bb.140:                              ;   in Loop: Header=BB174_18 Depth=1
	v_cvt_f32_u32_e32 v6, s35
	s_sub_u32 s24, 0, s35
	s_subb_u32 s25, 0, 0
	v_fmac_f32_e64 v6, 0x4f800000, 0
	v_rcp_f32_e32 v6, v6
	v_mul_f32_e32 v6, 0x5f7ffffc, v6
	v_mul_f32_e32 v7, 0x2f800000, v6
	v_trunc_f32_e32 v7, v7
	v_fmac_f32_e32 v6, 0xcf800000, v7
	v_cvt_u32_f32_e32 v7, v7
	v_cvt_u32_f32_e32 v6, v6
	v_readfirstlane_b32 s8, v7
	v_readfirstlane_b32 s22, v6
	s_mul_i32 s28, s24, s8
	s_mul_hi_u32 s82, s24, s22
	s_mul_i32 s70, s25, s22
	s_add_i32 s28, s82, s28
	s_mul_i32 s83, s24, s22
	s_add_i32 s28, s28, s70
	s_mul_hi_u32 s82, s22, s83
	s_mul_i32 s85, s22, s28
	s_mul_hi_u32 s84, s8, s83
	s_mul_i32 s70, s8, s83
	s_mul_hi_u32 s83, s22, s28
	s_add_u32 s82, s82, s85
	s_addc_u32 s83, 0, s83
	s_mul_hi_u32 s86, s8, s28
	s_add_u32 s70, s82, s70
	s_mul_i32 s28, s8, s28
	s_addc_u32 s70, s83, s84
	s_addc_u32 s82, s86, 0
	s_add_u32 s28, s70, s28
	s_addc_u32 s70, 0, s82
	s_add_u32 s22, s22, s28
	s_cselect_b32 s28, -1, 0
	s_mul_hi_u32 s82, s24, s22
	s_cmp_lg_u32 s28, 0
	s_mul_i32 s28, s24, s22
	s_addc_u32 s8, s8, s70
	s_mul_i32 s25, s25, s22
	s_mul_i32 s24, s24, s8
	s_mul_hi_u32 s70, s22, s28
	s_add_i32 s24, s82, s24
	s_mul_hi_u32 s82, s8, s28
	s_add_i32 s24, s24, s25
	s_mul_i32 s25, s8, s28
	s_mul_i32 s84, s22, s24
	s_mul_hi_u32 s83, s22, s24
	s_add_u32 s70, s70, s84
	s_addc_u32 s83, 0, s83
	s_mul_hi_u32 s28, s8, s24
	s_add_u32 s25, s70, s25
	s_mul_i32 s24, s8, s24
	s_addc_u32 s25, s83, s82
	s_addc_u32 s28, s28, 0
	s_add_u32 s24, s25, s24
	s_addc_u32 s25, 0, s28
	s_add_u32 s22, s22, s24
	s_cselect_b32 s24, -1, 0
	s_mul_hi_u32 s28, s72, s22
	s_cmp_lg_u32 s24, 0
	s_mul_hi_u32 s24, s23, s22
	s_addc_u32 s8, s8, s25
	s_mul_i32 s22, s23, s22
	s_mul_i32 s70, s72, s8
	s_mul_hi_u32 s25, s72, s8
	s_add_u32 s28, s28, s70
	s_addc_u32 s25, 0, s25
	s_mul_hi_u32 s82, s23, s8
	s_add_u32 s22, s28, s22
	s_mul_i32 s8, s23, s8
	s_addc_u32 s22, s25, s24
	s_addc_u32 s24, s82, 0
	s_add_u32 s8, s22, s8
	s_addc_u32 s22, 0, s24
	s_mul_hi_u32 s24, s35, s8
	s_mul_i32 s22, s35, s22
	s_mul_i32 s8, s35, s8
	s_add_i32 s24, s24, s22
	s_sub_u32 s8, s72, s8
	s_cselect_b32 s22, -1, 0
	s_cmp_lg_u32 s22, 0
	s_subb_u32 s22, s23, s24
	s_sub_u32 s24, s8, s35
	s_cselect_b32 s25, -1, 0
	s_cmp_lg_u32 s25, 0
	s_subb_u32 s25, s22, 0
	;; [unrolled: 4-line block ×3, first 2 shown]
	s_cmp_ge_u32 s24, s35
	s_cselect_b32 s82, -1, 0
	s_cmp_eq_u32 s25, 0
	s_cselect_b32 s82, s82, -1
	s_cmp_lg_u32 s82, 0
	s_cselect_b32 s25, s70, s25
	s_cselect_b32 s24, s28, s24
	s_cmp_ge_u32 s8, s35
	s_cselect_b32 s28, -1, 0
	s_cmp_eq_u32 s22, 0
	s_cselect_b32 s28, s28, -1
	s_cmp_lg_u32 s28, 0
	s_cselect_b32 s25, s25, s22
	s_cselect_b32 s24, s24, s8
	s_cbranch_execnz .LBB174_142
.LBB174_141:                            ;   in Loop: Header=BB174_18 Depth=1
	v_cvt_f32_u32_e32 v6, s35
	s_sub_i32 s22, 0, s35
	v_rcp_iflag_f32_e32 v6, v6
	v_mul_f32_e32 v6, 0x4f7ffffe, v6
	v_cvt_u32_f32_e32 v6, v6
	v_readfirstlane_b32 s8, v6
	s_mul_i32 s22, s22, s8
	s_mul_hi_u32 s22, s8, s22
	s_add_i32 s8, s8, s22
	s_mul_hi_u32 s8, s72, s8
	s_mul_i32 s8, s8, s35
	s_sub_i32 s8, s72, s8
	s_sub_i32 s22, s8, s35
	s_cmp_ge_u32 s8, s35
	s_cselect_b32 s8, s22, s8
	s_sub_i32 s22, s8, s35
	s_cmp_ge_u32 s8, s35
	s_cselect_b32 s70, s22, s8
	s_mov_b64 s[24:25], s[70:71]
.LBB174_142:                            ;   in Loop: Header=BB174_18 Depth=1
	s_sub_u32 s22, s72, s24
	s_subb_u32 s23, s23, s25
	s_mov_b32 s25, 0
	s_mov_b32 s24, 0
	s_mov_b32 s70, exec_lo
                                        ; implicit-def: $vgpr10
	v_cmpx_gt_u64_e64 s[22:23], v[0:1]
	s_cbranch_execz .LBB174_153
; %bb.143:                              ;   in Loop: Header=BB174_18 Depth=1
	v_mov_b32_e32 v7, v1
	v_mov_b32_e32 v10, v25
	;; [unrolled: 1-line block ×3, first 2 shown]
                                        ; implicit-def: $sgpr72
	s_inst_prefetch 0x1
	s_branch .LBB174_146
	.p2align	6
.LBB174_144:                            ;   in Loop: Header=BB174_146 Depth=2
	s_or_b32 exec_lo, exec_lo, s82
	s_waitcnt lgkmcnt(0)
	s_barrier
	buffer_gl0_inv
	ds_read_b32 v11, v3 offset:3072
	s_mov_b32 s8, -1
	s_mov_b32 s82, -1
	s_waitcnt lgkmcnt(0)
	s_barrier
	buffer_gl0_inv
	v_cmp_ne_u32_sdwa s28, v11, v3 src0_sel:WORD_0 src1_sel:DWORD
	s_and_b32 vcc_lo, exec_lo, s28
	s_cbranch_vccz .LBB174_149
.LBB174_145:                            ;   in Loop: Header=BB174_146 Depth=2
	s_and_b32 s1, exec_lo, s8
	s_or_b32 s24, s1, s24
	s_andn2_b32 s1, s72, exec_lo
	s_and_b32 s7, s82, exec_lo
	s_or_b32 s72, s1, s7
	s_andn2_b32 exec_lo, exec_lo, s24
	s_cbranch_execz .LBB174_152
.LBB174_146:                            ;   Parent Loop BB174_18 Depth=1
                                        ; =>  This Inner Loop Header: Depth=2
	s_mov_b32 s82, exec_lo
	v_cmpx_gt_u64_e64 s[20:21], v[6:7]
	s_cbranch_execz .LBB174_144
; %bb.147:                              ;   in Loop: Header=BB174_146 Depth=2
	ds_read_u16 v11, v10
	s_waitcnt lgkmcnt(0)
	v_add_nc_u32_sdwa v21, sext(v11), v31 dst_sel:DWORD dst_unused:UNUSED_PAD src0_sel:WORD_0 src1_sel:DWORD
	v_and_b32_e32 v21, v21, v9
	v_cmp_eq_u32_e32 vcc_lo, v21, v8
	s_and_b32 exec_lo, exec_lo, vcc_lo
	s_cbranch_execz .LBB174_144
; %bb.148:                              ;   in Loop: Header=BB174_146 Depth=2
	v_perm_b32 v11, v11, 1, 0x5040100
	ds_write_b32 v3, v11 offset:3072
	s_branch .LBB174_144
.LBB174_149:                            ;   in Loop: Header=BB174_146 Depth=2
	v_add_co_u32 v6, vcc_lo, v6, s35
	v_add_co_ci_u32_e64 v7, null, 0, v7, vcc_lo
	v_add_nc_u32_e32 v10, s68, v10
	s_mov_b32 s82, 0
	v_cmp_le_u64_e32 vcc_lo, s[22:23], v[6:7]
	s_orn2_b32 s8, vcc_lo, exec_lo
	s_branch .LBB174_145
.LBB174_150:                            ;   in Loop: Header=BB174_18 Depth=1
                                        ; implicit-def: $sgpr24_sgpr25
	s_branch .LBB174_95
.LBB174_151:                            ;   in Loop: Header=BB174_18 Depth=1
                                        ; implicit-def: $sgpr20_sgpr21
	s_branch .LBB174_112
.LBB174_152:                            ;   in Loop: Header=BB174_18 Depth=1
	s_inst_prefetch 0x2
	s_or_b32 exec_lo, exec_lo, s24
	v_lshrrev_b32_e32 v10, 16, v11
	s_and_b32 s24, s72, exec_lo
.LBB174_153:                            ;   in Loop: Header=BB174_18 Depth=1
	s_or_b32 exec_lo, exec_lo, s70
.LBB174_154:                            ;   in Loop: Header=BB174_18 Depth=1
	s_and_b32 vcc_lo, exec_lo, s25
	s_cbranch_vccz .LBB174_168
; %bb.155:                              ;   in Loop: Header=BB174_18 Depth=1
	s_mov_b32 s72, s71
	s_cmp_lg_u64 s[72:73], 0
	s_cbranch_scc0 .LBB174_196
; %bb.156:                              ;   in Loop: Header=BB174_18 Depth=1
	v_cvt_f32_u32_e32 v6, s35
	s_sub_u32 s21, 0, s35
	s_subb_u32 s22, 0, 0
	v_fmac_f32_e64 v6, 0x4f800000, 0
	v_rcp_f32_e32 v6, v6
	v_mul_f32_e32 v6, 0x5f7ffffc, v6
	v_mul_f32_e32 v7, 0x2f800000, v6
	v_trunc_f32_e32 v7, v7
	v_fmac_f32_e32 v6, 0xcf800000, v7
	v_cvt_u32_f32_e32 v7, v7
	v_cvt_u32_f32_e32 v6, v6
	v_readfirstlane_b32 s8, v7
	v_readfirstlane_b32 s20, v6
	s_mul_i32 s23, s21, s8
	s_mul_hi_u32 s28, s21, s20
	s_mul_i32 s25, s22, s20
	s_add_i32 s23, s28, s23
	s_mul_i32 s50, s21, s20
	s_add_i32 s23, s23, s25
	s_mul_hi_u32 s28, s20, s50
	s_mul_i32 s70, s20, s23
	s_mul_hi_u32 s51, s8, s50
	s_mul_i32 s25, s8, s50
	s_mul_hi_u32 s50, s20, s23
	s_add_u32 s28, s28, s70
	s_addc_u32 s50, 0, s50
	s_mul_hi_u32 s72, s8, s23
	s_add_u32 s25, s28, s25
	s_mul_i32 s23, s8, s23
	s_addc_u32 s25, s50, s51
	s_addc_u32 s28, s72, 0
	s_add_u32 s23, s25, s23
	s_addc_u32 s25, 0, s28
	s_add_u32 s20, s20, s23
	s_cselect_b32 s23, -1, 0
	s_mul_hi_u32 s28, s21, s20
	s_cmp_lg_u32 s23, 0
	s_mul_i32 s23, s21, s20
	s_addc_u32 s8, s8, s25
	s_mul_i32 s22, s22, s20
	s_mul_i32 s21, s21, s8
	s_mul_hi_u32 s25, s20, s23
	s_add_i32 s21, s28, s21
	s_mul_hi_u32 s28, s8, s23
	s_add_i32 s21, s21, s22
	s_mul_i32 s22, s8, s23
	s_mul_i32 s51, s20, s21
	s_mul_hi_u32 s50, s20, s21
	s_add_u32 s25, s25, s51
	s_addc_u32 s50, 0, s50
	s_mul_hi_u32 s23, s8, s21
	s_add_u32 s22, s25, s22
	s_mul_i32 s21, s8, s21
	s_addc_u32 s22, s50, s28
	s_addc_u32 s23, s23, 0
	s_add_u32 s21, s22, s21
	s_addc_u32 s22, 0, s23
	s_add_u32 s20, s20, s21
	s_cselect_b32 s21, -1, 0
	s_mul_hi_u32 s23, s96, s20
	s_cmp_lg_u32 s21, 0
	s_mul_hi_u32 s21, s73, s20
	s_addc_u32 s8, s8, s22
	s_mul_i32 s20, s73, s20
	s_mul_i32 s25, s96, s8
	s_mul_hi_u32 s22, s96, s8
	s_add_u32 s23, s23, s25
	s_addc_u32 s22, 0, s22
	s_mul_hi_u32 s28, s73, s8
	s_add_u32 s20, s23, s20
	s_mul_i32 s8, s73, s8
	s_addc_u32 s20, s22, s21
	s_addc_u32 s21, s28, 0
	s_add_u32 s8, s20, s8
	s_addc_u32 s20, 0, s21
	s_mul_hi_u32 s21, s35, s8
	s_mul_i32 s20, s35, s20
	s_mul_i32 s8, s35, s8
	s_add_i32 s21, s21, s20
	s_sub_u32 s8, s96, s8
	s_cselect_b32 s20, -1, 0
	s_cmp_lg_u32 s20, 0
	s_subb_u32 s20, s73, s21
	s_sub_u32 s21, s8, s35
	s_cselect_b32 s22, -1, 0
	s_cmp_lg_u32 s22, 0
	s_subb_u32 s22, s20, 0
	;; [unrolled: 4-line block ×3, first 2 shown]
	s_cmp_ge_u32 s21, s35
	s_cselect_b32 s28, -1, 0
	s_cmp_eq_u32 s22, 0
	s_cselect_b32 s28, s28, -1
	s_cmp_lg_u32 s28, 0
	s_cselect_b32 s22, s25, s22
	s_cselect_b32 s23, s23, s21
	s_cmp_ge_u32 s8, s35
	s_cselect_b32 s21, -1, 0
	s_cmp_eq_u32 s20, 0
	s_cselect_b32 s21, s21, -1
	s_cmp_lg_u32 s21, 0
	s_cselect_b32 s21, s22, s20
	s_cselect_b32 s20, s23, s8
	s_cbranch_execnz .LBB174_158
.LBB174_157:                            ;   in Loop: Header=BB174_18 Depth=1
	v_cvt_f32_u32_e32 v6, s35
	s_sub_i32 s20, 0, s35
	v_rcp_iflag_f32_e32 v6, v6
	v_mul_f32_e32 v6, 0x4f7ffffe, v6
	v_cvt_u32_f32_e32 v6, v6
	v_readfirstlane_b32 s8, v6
	s_mul_i32 s20, s20, s8
	s_mul_hi_u32 s20, s8, s20
	s_add_i32 s8, s8, s20
	s_mul_hi_u32 s8, s96, s8
	s_mul_i32 s8, s8, s35
	s_sub_i32 s8, s96, s8
	s_sub_i32 s20, s8, s35
	s_cmp_ge_u32 s8, s35
	s_cselect_b32 s8, s20, s8
	s_sub_i32 s20, s8, s35
	s_cmp_ge_u32 s8, s35
	s_cselect_b32 s70, s20, s8
	s_mov_b64 s[20:21], s[70:71]
.LBB174_158:                            ;   in Loop: Header=BB174_18 Depth=1
	s_sub_u32 s20, s96, s20
	s_subb_u32 s21, s73, s21
	s_mov_b32 s22, exec_lo
                                        ; implicit-def: $vgpr10
	v_cmpx_gt_u64_e64 s[20:21], v[0:1]
	s_cbranch_execz .LBB174_167
; %bb.159:                              ;   in Loop: Header=BB174_18 Depth=1
	v_mov_b32_e32 v7, v1
	v_mov_b32_e32 v6, v0
	s_mov_b32 s23, 0
                                        ; implicit-def: $sgpr25
	s_branch .LBB174_162
.LBB174_160:                            ;   in Loop: Header=BB174_162 Depth=2
	s_or_b32 exec_lo, exec_lo, s50
	s_waitcnt lgkmcnt(0)
	s_barrier
	buffer_gl0_inv
	ds_read_b32 v10, v3 offset:3072
	s_mov_b32 s28, -1
	s_waitcnt lgkmcnt(0)
	s_barrier
	buffer_gl0_inv
	v_cmp_eq_u32_sdwa s8, v10, v3 src0_sel:WORD_0 src1_sel:DWORD
	s_and_b32 vcc_lo, exec_lo, s8
	s_mov_b32 s8, -1
	s_cbranch_vccnz .LBB174_165
.LBB174_161:                            ;   in Loop: Header=BB174_162 Depth=2
	s_and_b32 s1, exec_lo, s28
	s_or_b32 s23, s1, s23
	s_andn2_b32 s1, s25, exec_lo
	s_and_b32 s7, s8, exec_lo
	s_or_b32 s25, s1, s7
	s_andn2_b32 exec_lo, exec_lo, s23
	s_cbranch_execz .LBB174_166
.LBB174_162:                            ;   Parent Loop BB174_18 Depth=1
                                        ; =>  This Inner Loop Header: Depth=2
	s_mov_b32 s50, exec_lo
	v_cmpx_gt_u64_e64 s[36:37], v[6:7]
	s_cbranch_execz .LBB174_160
; %bb.163:                              ;   in Loop: Header=BB174_162 Depth=2
	v_mul_lo_u32 v21, v7, s30
	v_mul_lo_u32 v22, v6, s31
	v_mad_u64_u32 v[10:11], null, v6, s30, 0
	v_add3_u32 v11, v11, v22, v21
	v_lshlrev_b64 v[10:11], 1, v[10:11]
	v_add_co_u32 v10, vcc_lo, s29, v10
	v_add_co_ci_u32_e64 v11, null, s33, v11, vcc_lo
	global_load_ushort v10, v[10:11], off
	s_waitcnt vmcnt(0)
	v_add_nc_u32_sdwa v11, sext(v10), v31 dst_sel:DWORD dst_unused:UNUSED_PAD src0_sel:WORD_0 src1_sel:DWORD
	v_and_b32_e32 v11, v11, v9
	v_cmp_eq_u32_e32 vcc_lo, v11, v8
	s_and_b32 exec_lo, exec_lo, vcc_lo
	s_cbranch_execz .LBB174_160
; %bb.164:                              ;   in Loop: Header=BB174_162 Depth=2
	v_perm_b32 v10, v10, 1, 0x5040100
	ds_write_b32 v3, v10 offset:3072
	s_branch .LBB174_160
.LBB174_165:                            ;   in Loop: Header=BB174_162 Depth=2
	v_add_co_u32 v6, vcc_lo, v6, s35
	v_add_co_ci_u32_e64 v7, null, 0, v7, vcc_lo
	s_mov_b32 s8, 0
	v_cmp_le_u64_e32 vcc_lo, s[20:21], v[6:7]
	s_orn2_b32 s28, vcc_lo, exec_lo
	s_branch .LBB174_161
.LBB174_166:                            ;   in Loop: Header=BB174_18 Depth=1
	s_or_b32 exec_lo, exec_lo, s23
	v_lshrrev_b32_e32 v10, 16, v10
	s_andn2_b32 s1, s24, exec_lo
	s_and_b32 s7, s25, exec_lo
	s_or_b32 s24, s1, s7
.LBB174_167:                            ;   in Loop: Header=BB174_18 Depth=1
	s_or_b32 exec_lo, exec_lo, s22
	s_mov_b32 s50, 0
	s_mov_b32 s51, -1
.LBB174_168:                            ;   in Loop: Header=BB174_18 Depth=1
	s_orn2_b32 s20, s24, exec_lo
.LBB174_169:                            ;   in Loop: Header=BB174_18 Depth=1
	s_or_b32 exec_lo, exec_lo, s80
	s_mov_b32 s21, 0
	s_and_saveexec_b32 s80, s20
	s_cbranch_execz .LBB174_278
; %bb.170:                              ;   in Loop: Header=BB174_18 Depth=1
	v_mov_b32_e32 v6, 1
	v_mov_b32_e32 v7, 0
	;; [unrolled: 1-line block ×3, first 2 shown]
	s_xor_b32 s8, s81, -1
	s_and_saveexec_b32 s20, s8
	s_cbranch_execz .LBB174_179
; %bb.171:                              ;   in Loop: Header=BB174_18 Depth=1
	s_mov_b32 s8, exec_lo
	v_cmpx_ge_u64_e64 s[14:15], v[4:5]
	s_xor_b32 s21, exec_lo, s8
	s_cbranch_execz .LBB174_176
; %bb.172:                              ;   in Loop: Header=BB174_18 Depth=1
	ds_read_b64 v[6:7], v3 offset:5120
	s_lshl_b32 s8, 1, s55
	v_or_b32_e32 v9, s11, v9
	v_and_or_b32 v8, v8, s26, s8
	s_waitcnt lgkmcnt(0)
	v_cmp_ne_u64_e32 vcc_lo, 0, v[6:7]
	s_cbranch_vccnz .LBB174_176
; %bb.173:                              ;   in Loop: Header=BB174_18 Depth=1
	s_and_saveexec_b32 s8, s3
; %bb.174:                              ;   in Loop: Header=BB174_18 Depth=1
	v_mov_b32_e32 v6, s14
	v_mov_b32_e32 v7, s15
	ds_write_b64 v3, v[6:7] offset:5128
; %bb.175:                              ;   in Loop: Header=BB174_18 Depth=1
	s_or_b32 exec_lo, exec_lo, s8
	s_waitcnt lgkmcnt(0)
	s_barrier
	buffer_gl0_inv
.LBB174_176:                            ;   in Loop: Header=BB174_18 Depth=1
	s_or_saveexec_b32 s21, s21
	v_mov_b32_e32 v2, 8
	s_mov_b32 s22, 0
	s_xor_b32 exec_lo, exec_lo, s21
; %bb.177:                              ;   in Loop: Header=BB174_18 Depth=1
	v_sub_co_u32 v4, vcc_lo, v4, s14
	v_subrev_co_ci_u32_e64 v5, null, s15, v5, vcc_lo
	v_mov_b32_e32 v2, 0
	s_mov_b32 s22, exec_lo
; %bb.178:                              ;   in Loop: Header=BB174_18 Depth=1
	s_or_b32 exec_lo, exec_lo, s21
	v_mov_b32_e32 v7, v5
	v_mov_b32_e32 v6, v4
	s_and_b32 s21, s22, exec_lo
.LBB174_179:                            ;   in Loop: Header=BB174_18 Depth=1
	s_or_b32 exec_lo, exec_lo, s20
	s_mov_b32 s20, -1
                                        ; implicit-def: $sgpr82
                                        ; implicit-def: $sgpr83
	s_and_saveexec_b32 s81, s21
	s_cbranch_execz .LBB174_277
; %bb.180:                              ;   in Loop: Header=BB174_18 Depth=1
	v_cmp_eq_u64_e32 vcc_lo, 1, v[6:7]
	s_cmp_eq_u64 s[16:17], 1
                                        ; implicit-def: $sgpr83
                                        ; implicit-def: $sgpr82
	s_cselect_b32 s8, -1, 0
	s_and_b32 s85, s8, vcc_lo
	s_and_saveexec_b32 s84, s85
	s_cbranch_execz .LBB174_214
; %bb.181:                              ;   in Loop: Header=BB174_18 Depth=1
	ds_read_b64 v[4:5], v3 offset:5120
	s_waitcnt lgkmcnt(0)
	s_barrier
	buffer_gl0_inv
	v_readfirstlane_b32 s20, v4
	v_readfirstlane_b32 s21, v5
	s_and_saveexec_b32 s8, s10
; %bb.182:                              ;   in Loop: Header=BB174_18 Depth=1
	ds_write_b16 v26, v3
; %bb.183:                              ;   in Loop: Header=BB174_18 Depth=1
	s_or_b32 exec_lo, exec_lo, s8
	s_lshl_b32 s8, 2, s55
	v_or_b32_e32 v9, s11, v9
	v_and_or_b32 v8, v8, s26, s8
	s_mov_b32 s82, -1
	s_mov_b32 s83, 0
	s_cmp_eq_u64 s[20:21], 0
	s_mov_b32 s24, 0
	s_mov_b32 s25, -1
	s_waitcnt lgkmcnt(0)
	s_barrier
	buffer_gl0_inv
                                        ; implicit-def: $vgpr10
	s_cbranch_scc1 .LBB174_199
; %bb.184:                              ;   in Loop: Header=BB174_18 Depth=1
	s_add_u32 s72, s20, s94
	s_addc_u32 s23, s21, s95
	s_mov_b32 s22, s71
	s_cmp_lg_u64 s[22:23], 0
	s_cbranch_scc0 .LBB174_231
; %bb.185:                              ;   in Loop: Header=BB174_18 Depth=1
	v_cvt_f32_u32_e32 v4, s35
	s_sub_u32 s24, 0, s35
	s_subb_u32 s25, 0, 0
	v_fmac_f32_e64 v4, 0x4f800000, 0
	v_rcp_f32_e32 v4, v4
	v_mul_f32_e32 v4, 0x5f7ffffc, v4
	v_mul_f32_e32 v5, 0x2f800000, v4
	v_trunc_f32_e32 v5, v5
	v_fmac_f32_e32 v4, 0xcf800000, v5
	v_cvt_u32_f32_e32 v5, v5
	v_cvt_u32_f32_e32 v4, v4
	v_readfirstlane_b32 s8, v5
	v_readfirstlane_b32 s22, v4
	s_mul_i32 s28, s24, s8
	s_mul_hi_u32 s86, s24, s22
	s_mul_i32 s70, s25, s22
	s_add_i32 s28, s86, s28
	s_mul_i32 s87, s24, s22
	s_add_i32 s28, s28, s70
	s_mul_hi_u32 s86, s22, s87
	s_mul_i32 s89, s22, s28
	s_mul_hi_u32 s88, s8, s87
	s_mul_i32 s70, s8, s87
	s_mul_hi_u32 s87, s22, s28
	s_add_u32 s86, s86, s89
	s_addc_u32 s87, 0, s87
	s_mul_hi_u32 vcc_lo, s8, s28
	s_add_u32 s70, s86, s70
	s_mul_i32 s28, s8, s28
	s_addc_u32 s70, s87, s88
	s_addc_u32 s86, vcc_lo, 0
	s_add_u32 s28, s70, s28
	s_addc_u32 s70, 0, s86
	s_add_u32 s22, s22, s28
	s_cselect_b32 s28, -1, 0
	s_mul_hi_u32 s86, s24, s22
	s_cmp_lg_u32 s28, 0
	s_mul_i32 s28, s24, s22
	s_addc_u32 s8, s8, s70
	s_mul_i32 s25, s25, s22
	s_mul_i32 s24, s24, s8
	s_mul_hi_u32 s70, s22, s28
	s_add_i32 s24, s86, s24
	s_mul_hi_u32 s86, s8, s28
	s_add_i32 s24, s24, s25
	s_mul_i32 s25, s8, s28
	s_mul_i32 s88, s22, s24
	s_mul_hi_u32 s87, s22, s24
	s_add_u32 s70, s70, s88
	s_addc_u32 s87, 0, s87
	s_mul_hi_u32 s28, s8, s24
	s_add_u32 s25, s70, s25
	s_mul_i32 s24, s8, s24
	s_addc_u32 s25, s87, s86
	s_addc_u32 s28, s28, 0
	s_add_u32 s24, s25, s24
	s_addc_u32 s25, 0, s28
	s_add_u32 s22, s22, s24
	s_cselect_b32 s24, -1, 0
	s_mul_hi_u32 s28, s72, s22
	s_cmp_lg_u32 s24, 0
	s_mul_hi_u32 s24, s23, s22
	s_addc_u32 s8, s8, s25
	s_mul_i32 s22, s23, s22
	s_mul_i32 s70, s72, s8
	s_mul_hi_u32 s25, s72, s8
	s_add_u32 s28, s28, s70
	s_addc_u32 s25, 0, s25
	s_mul_hi_u32 s86, s23, s8
	s_add_u32 s22, s28, s22
	s_mul_i32 s8, s23, s8
	s_addc_u32 s22, s25, s24
	s_addc_u32 s24, s86, 0
	s_add_u32 s8, s22, s8
	s_addc_u32 s22, 0, s24
	s_mul_hi_u32 s24, s35, s8
	s_mul_i32 s22, s35, s22
	s_mul_i32 s8, s35, s8
	s_add_i32 s24, s24, s22
	s_sub_u32 s8, s72, s8
	s_cselect_b32 s22, -1, 0
	s_cmp_lg_u32 s22, 0
	s_subb_u32 s22, s23, s24
	s_sub_u32 s24, s8, s35
	s_cselect_b32 s25, -1, 0
	s_cmp_lg_u32 s25, 0
	s_subb_u32 s25, s22, 0
	;; [unrolled: 4-line block ×3, first 2 shown]
	s_cmp_ge_u32 s24, s35
	s_cselect_b32 s86, -1, 0
	s_cmp_eq_u32 s25, 0
	s_cselect_b32 s86, s86, -1
	s_cmp_lg_u32 s86, 0
	s_cselect_b32 s25, s70, s25
	s_cselect_b32 s24, s28, s24
	s_cmp_ge_u32 s8, s35
	s_cselect_b32 s28, -1, 0
	s_cmp_eq_u32 s22, 0
	s_cselect_b32 s28, s28, -1
	s_cmp_lg_u32 s28, 0
	s_cselect_b32 s25, s25, s22
	s_cselect_b32 s24, s24, s8
	s_cbranch_execnz .LBB174_187
.LBB174_186:                            ;   in Loop: Header=BB174_18 Depth=1
	v_cvt_f32_u32_e32 v4, s35
	s_sub_i32 s22, 0, s35
	v_rcp_iflag_f32_e32 v4, v4
	v_mul_f32_e32 v4, 0x4f7ffffe, v4
	v_cvt_u32_f32_e32 v4, v4
	v_readfirstlane_b32 s8, v4
	s_mul_i32 s22, s22, s8
	s_mul_hi_u32 s22, s8, s22
	s_add_i32 s8, s8, s22
	s_mul_hi_u32 s8, s72, s8
	s_mul_i32 s8, s8, s35
	s_sub_i32 s8, s72, s8
	s_sub_i32 s22, s8, s35
	s_cmp_ge_u32 s8, s35
	s_cselect_b32 s8, s22, s8
	s_sub_i32 s22, s8, s35
	s_cmp_ge_u32 s8, s35
	s_cselect_b32 s70, s22, s8
	s_mov_b64 s[24:25], s[70:71]
.LBB174_187:                            ;   in Loop: Header=BB174_18 Depth=1
	s_sub_u32 s22, s72, s24
	s_subb_u32 s23, s23, s25
	s_mov_b32 s25, 0
	s_mov_b32 s24, 0
	s_mov_b32 s70, exec_lo
                                        ; implicit-def: $vgpr10
	v_cmpx_gt_u64_e64 s[22:23], v[0:1]
	s_cbranch_execz .LBB174_198
; %bb.188:                              ;   in Loop: Header=BB174_18 Depth=1
	v_mov_b32_e32 v5, v1
	v_mov_b32_e32 v10, v25
	;; [unrolled: 1-line block ×3, first 2 shown]
                                        ; implicit-def: $sgpr72
	s_inst_prefetch 0x1
	s_branch .LBB174_191
	.p2align	6
.LBB174_189:                            ;   in Loop: Header=BB174_191 Depth=2
	s_or_b32 exec_lo, exec_lo, s86
	s_waitcnt lgkmcnt(0)
	s_barrier
	buffer_gl0_inv
	ds_read_b32 v11, v3 offset:3072
	s_mov_b32 s8, -1
	s_mov_b32 s86, -1
	s_waitcnt lgkmcnt(0)
	s_barrier
	buffer_gl0_inv
	v_cmp_ne_u32_sdwa s28, v11, v3 src0_sel:WORD_0 src1_sel:DWORD
	s_and_b32 vcc_lo, exec_lo, s28
	s_cbranch_vccz .LBB174_194
.LBB174_190:                            ;   in Loop: Header=BB174_191 Depth=2
	s_and_b32 s1, exec_lo, s8
	s_or_b32 s24, s1, s24
	s_andn2_b32 s1, s72, exec_lo
	s_and_b32 s7, s86, exec_lo
	s_or_b32 s72, s1, s7
	s_andn2_b32 exec_lo, exec_lo, s24
	s_cbranch_execz .LBB174_197
.LBB174_191:                            ;   Parent Loop BB174_18 Depth=1
                                        ; =>  This Inner Loop Header: Depth=2
	s_mov_b32 s86, exec_lo
	v_cmpx_gt_u64_e64 s[20:21], v[4:5]
	s_cbranch_execz .LBB174_189
; %bb.192:                              ;   in Loop: Header=BB174_191 Depth=2
	ds_read_u16 v11, v10
	s_waitcnt lgkmcnt(0)
	v_add_nc_u32_sdwa v21, sext(v11), v31 dst_sel:DWORD dst_unused:UNUSED_PAD src0_sel:WORD_0 src1_sel:DWORD
	v_and_b32_e32 v21, v21, v9
	v_cmp_eq_u32_e32 vcc_lo, v21, v8
	s_and_b32 exec_lo, exec_lo, vcc_lo
	s_cbranch_execz .LBB174_189
; %bb.193:                              ;   in Loop: Header=BB174_191 Depth=2
	v_perm_b32 v11, v11, 1, 0x5040100
	ds_write_b32 v3, v11 offset:3072
	s_branch .LBB174_189
.LBB174_194:                            ;   in Loop: Header=BB174_191 Depth=2
	v_add_co_u32 v4, vcc_lo, v4, s35
	v_add_co_ci_u32_e64 v5, null, 0, v5, vcc_lo
	v_add_nc_u32_e32 v10, s68, v10
	s_mov_b32 s86, 0
	v_cmp_le_u64_e32 vcc_lo, s[22:23], v[4:5]
	s_orn2_b32 s8, vcc_lo, exec_lo
	s_branch .LBB174_190
.LBB174_195:                            ;   in Loop: Header=BB174_18 Depth=1
                                        ; implicit-def: $sgpr24_sgpr25
	s_branch .LBB174_141
.LBB174_196:                            ;   in Loop: Header=BB174_18 Depth=1
                                        ; implicit-def: $sgpr20_sgpr21
	s_branch .LBB174_157
.LBB174_197:                            ;   in Loop: Header=BB174_18 Depth=1
	s_inst_prefetch 0x2
	s_or_b32 exec_lo, exec_lo, s24
	v_lshrrev_b32_e32 v10, 16, v11
	s_and_b32 s24, s72, exec_lo
.LBB174_198:                            ;   in Loop: Header=BB174_18 Depth=1
	s_or_b32 exec_lo, exec_lo, s70
.LBB174_199:                            ;   in Loop: Header=BB174_18 Depth=1
	s_and_b32 vcc_lo, exec_lo, s25
	s_cbranch_vccz .LBB174_213
; %bb.200:                              ;   in Loop: Header=BB174_18 Depth=1
	s_mov_b32 s72, s71
	s_cmp_lg_u64 s[72:73], 0
	s_cbranch_scc0 .LBB174_232
; %bb.201:                              ;   in Loop: Header=BB174_18 Depth=1
	v_cvt_f32_u32_e32 v4, s35
	s_sub_u32 s21, 0, s35
	s_subb_u32 s22, 0, 0
	v_fmac_f32_e64 v4, 0x4f800000, 0
	v_rcp_f32_e32 v4, v4
	v_mul_f32_e32 v4, 0x5f7ffffc, v4
	v_mul_f32_e32 v5, 0x2f800000, v4
	v_trunc_f32_e32 v5, v5
	v_fmac_f32_e32 v4, 0xcf800000, v5
	v_cvt_u32_f32_e32 v5, v5
	v_cvt_u32_f32_e32 v4, v4
	v_readfirstlane_b32 s8, v5
	v_readfirstlane_b32 s20, v4
	s_mul_i32 s23, s21, s8
	s_mul_hi_u32 s28, s21, s20
	s_mul_i32 s25, s22, s20
	s_add_i32 s23, s28, s23
	s_mul_i32 s70, s21, s20
	s_add_i32 s23, s23, s25
	s_mul_hi_u32 s28, s20, s70
	s_mul_i32 s82, s20, s23
	s_mul_hi_u32 s72, s8, s70
	s_mul_i32 s25, s8, s70
	s_mul_hi_u32 s70, s20, s23
	s_add_u32 s28, s28, s82
	s_addc_u32 s70, 0, s70
	s_mul_hi_u32 s83, s8, s23
	s_add_u32 s25, s28, s25
	s_mul_i32 s23, s8, s23
	s_addc_u32 s25, s70, s72
	s_addc_u32 s28, s83, 0
	s_add_u32 s23, s25, s23
	s_addc_u32 s25, 0, s28
	s_add_u32 s20, s20, s23
	s_cselect_b32 s23, -1, 0
	s_mul_hi_u32 s28, s21, s20
	s_cmp_lg_u32 s23, 0
	s_mul_i32 s23, s21, s20
	s_addc_u32 s8, s8, s25
	s_mul_i32 s22, s22, s20
	s_mul_i32 s21, s21, s8
	s_mul_hi_u32 s25, s20, s23
	s_add_i32 s21, s28, s21
	s_mul_hi_u32 s28, s8, s23
	s_add_i32 s21, s21, s22
	s_mul_i32 s22, s8, s23
	s_mul_i32 s72, s20, s21
	s_mul_hi_u32 s70, s20, s21
	s_add_u32 s25, s25, s72
	s_addc_u32 s70, 0, s70
	s_mul_hi_u32 s23, s8, s21
	s_add_u32 s22, s25, s22
	s_mul_i32 s21, s8, s21
	s_addc_u32 s22, s70, s28
	s_addc_u32 s23, s23, 0
	s_add_u32 s21, s22, s21
	s_addc_u32 s22, 0, s23
	s_add_u32 s20, s20, s21
	s_cselect_b32 s21, -1, 0
	s_mul_hi_u32 s23, s96, s20
	s_cmp_lg_u32 s21, 0
	s_mul_hi_u32 s21, s73, s20
	s_addc_u32 s8, s8, s22
	s_mul_i32 s20, s73, s20
	s_mul_i32 s25, s96, s8
	s_mul_hi_u32 s22, s96, s8
	s_add_u32 s23, s23, s25
	s_addc_u32 s22, 0, s22
	s_mul_hi_u32 s28, s73, s8
	s_add_u32 s20, s23, s20
	s_mul_i32 s8, s73, s8
	s_addc_u32 s20, s22, s21
	s_addc_u32 s21, s28, 0
	s_add_u32 s8, s20, s8
	s_addc_u32 s20, 0, s21
	s_mul_hi_u32 s21, s35, s8
	s_mul_i32 s20, s35, s20
	s_mul_i32 s8, s35, s8
	s_add_i32 s21, s21, s20
	s_sub_u32 s8, s96, s8
	s_cselect_b32 s20, -1, 0
	s_cmp_lg_u32 s20, 0
	s_subb_u32 s20, s73, s21
	s_sub_u32 s21, s8, s35
	s_cselect_b32 s22, -1, 0
	s_cmp_lg_u32 s22, 0
	s_subb_u32 s22, s20, 0
	;; [unrolled: 4-line block ×3, first 2 shown]
	s_cmp_ge_u32 s21, s35
	s_cselect_b32 s28, -1, 0
	s_cmp_eq_u32 s22, 0
	s_cselect_b32 s28, s28, -1
	s_cmp_lg_u32 s28, 0
	s_cselect_b32 s22, s25, s22
	s_cselect_b32 s23, s23, s21
	s_cmp_ge_u32 s8, s35
	s_cselect_b32 s21, -1, 0
	s_cmp_eq_u32 s20, 0
	s_cselect_b32 s21, s21, -1
	s_cmp_lg_u32 s21, 0
	s_cselect_b32 s21, s22, s20
	s_cselect_b32 s20, s23, s8
	s_cbranch_execnz .LBB174_203
.LBB174_202:                            ;   in Loop: Header=BB174_18 Depth=1
	v_cvt_f32_u32_e32 v4, s35
	s_sub_i32 s20, 0, s35
	v_rcp_iflag_f32_e32 v4, v4
	v_mul_f32_e32 v4, 0x4f7ffffe, v4
	v_cvt_u32_f32_e32 v4, v4
	v_readfirstlane_b32 s8, v4
	s_mul_i32 s20, s20, s8
	s_mul_hi_u32 s20, s8, s20
	s_add_i32 s8, s8, s20
	s_mul_hi_u32 s8, s96, s8
	s_mul_i32 s8, s8, s35
	s_sub_i32 s8, s96, s8
	s_sub_i32 s20, s8, s35
	s_cmp_ge_u32 s8, s35
	s_cselect_b32 s8, s20, s8
	s_sub_i32 s20, s8, s35
	s_cmp_ge_u32 s8, s35
	s_cselect_b32 s70, s20, s8
	s_mov_b64 s[20:21], s[70:71]
.LBB174_203:                            ;   in Loop: Header=BB174_18 Depth=1
	s_sub_u32 s20, s96, s20
	s_subb_u32 s21, s73, s21
	s_mov_b32 s22, exec_lo
                                        ; implicit-def: $vgpr10
	v_cmpx_gt_u64_e64 s[20:21], v[0:1]
	s_cbranch_execz .LBB174_212
; %bb.204:                              ;   in Loop: Header=BB174_18 Depth=1
	v_mov_b32_e32 v5, v1
	v_mov_b32_e32 v4, v0
	s_mov_b32 s23, 0
                                        ; implicit-def: $sgpr25
	s_branch .LBB174_207
.LBB174_205:                            ;   in Loop: Header=BB174_207 Depth=2
	s_or_b32 exec_lo, exec_lo, s70
	s_waitcnt lgkmcnt(0)
	s_barrier
	buffer_gl0_inv
	ds_read_b32 v10, v3 offset:3072
	s_mov_b32 s28, -1
	s_waitcnt lgkmcnt(0)
	s_barrier
	buffer_gl0_inv
	v_cmp_eq_u32_sdwa s8, v10, v3 src0_sel:WORD_0 src1_sel:DWORD
	s_and_b32 vcc_lo, exec_lo, s8
	s_mov_b32 s8, -1
	s_cbranch_vccnz .LBB174_210
.LBB174_206:                            ;   in Loop: Header=BB174_207 Depth=2
	s_and_b32 s1, exec_lo, s28
	s_or_b32 s23, s1, s23
	s_andn2_b32 s1, s25, exec_lo
	s_and_b32 s7, s8, exec_lo
	s_or_b32 s25, s1, s7
	s_andn2_b32 exec_lo, exec_lo, s23
	s_cbranch_execz .LBB174_211
.LBB174_207:                            ;   Parent Loop BB174_18 Depth=1
                                        ; =>  This Inner Loop Header: Depth=2
	s_mov_b32 s70, exec_lo
	v_cmpx_gt_u64_e64 s[36:37], v[4:5]
	s_cbranch_execz .LBB174_205
; %bb.208:                              ;   in Loop: Header=BB174_207 Depth=2
	v_mul_lo_u32 v21, v5, s30
	v_mul_lo_u32 v22, v4, s31
	v_mad_u64_u32 v[10:11], null, v4, s30, 0
	v_add3_u32 v11, v11, v22, v21
	v_lshlrev_b64 v[10:11], 1, v[10:11]
	v_add_co_u32 v10, vcc_lo, s29, v10
	v_add_co_ci_u32_e64 v11, null, s33, v11, vcc_lo
	global_load_ushort v10, v[10:11], off
	s_waitcnt vmcnt(0)
	v_add_nc_u32_sdwa v11, sext(v10), v31 dst_sel:DWORD dst_unused:UNUSED_PAD src0_sel:WORD_0 src1_sel:DWORD
	v_and_b32_e32 v11, v11, v9
	v_cmp_eq_u32_e32 vcc_lo, v11, v8
	s_and_b32 exec_lo, exec_lo, vcc_lo
	s_cbranch_execz .LBB174_205
; %bb.209:                              ;   in Loop: Header=BB174_207 Depth=2
	v_perm_b32 v10, v10, 1, 0x5040100
	ds_write_b32 v3, v10 offset:3072
	s_branch .LBB174_205
.LBB174_210:                            ;   in Loop: Header=BB174_207 Depth=2
	v_add_co_u32 v4, vcc_lo, v4, s35
	v_add_co_ci_u32_e64 v5, null, 0, v5, vcc_lo
	s_mov_b32 s8, 0
	v_cmp_le_u64_e32 vcc_lo, s[20:21], v[4:5]
	s_orn2_b32 s28, vcc_lo, exec_lo
	s_branch .LBB174_206
.LBB174_211:                            ;   in Loop: Header=BB174_18 Depth=1
	s_or_b32 exec_lo, exec_lo, s23
	v_lshrrev_b32_e32 v10, 16, v10
	s_andn2_b32 s1, s24, exec_lo
	s_and_b32 s7, s25, exec_lo
	s_or_b32 s24, s1, s7
.LBB174_212:                            ;   in Loop: Header=BB174_18 Depth=1
	s_or_b32 exec_lo, exec_lo, s22
	s_mov_b32 s82, 0
	s_mov_b32 s83, -1
.LBB174_213:                            ;   in Loop: Header=BB174_18 Depth=1
	s_orn2_b32 s20, s24, exec_lo
.LBB174_214:                            ;   in Loop: Header=BB174_18 Depth=1
	s_or_b32 exec_lo, exec_lo, s84
	s_mov_b32 s21, 0
	s_and_saveexec_b32 s84, s20
	s_cbranch_execz .LBB174_276
; %bb.215:                              ;   in Loop: Header=BB174_18 Depth=1
	v_mov_b32_e32 v4, 1
	v_mov_b32_e32 v5, 0
	;; [unrolled: 1-line block ×3, first 2 shown]
	s_xor_b32 s8, s85, -1
	s_and_saveexec_b32 s20, s8
	s_cbranch_execz .LBB174_224
; %bb.216:                              ;   in Loop: Header=BB174_18 Depth=1
	s_mov_b32 s8, exec_lo
	v_cmpx_ge_u64_e64 s[16:17], v[6:7]
	s_xor_b32 s21, exec_lo, s8
	s_cbranch_execz .LBB174_221
; %bb.217:                              ;   in Loop: Header=BB174_18 Depth=1
	ds_read_b64 v[4:5], v3 offset:5120
	s_lshl_b32 s8, 2, s55
	v_or_b32_e32 v9, s11, v9
	v_and_or_b32 v8, v8, s26, s8
	s_waitcnt lgkmcnt(0)
	v_cmp_ne_u64_e32 vcc_lo, 0, v[4:5]
	s_cbranch_vccnz .LBB174_221
; %bb.218:                              ;   in Loop: Header=BB174_18 Depth=1
	s_and_saveexec_b32 s8, s3
; %bb.219:                              ;   in Loop: Header=BB174_18 Depth=1
	v_mov_b32_e32 v4, s16
	v_mov_b32_e32 v5, s17
	ds_write_b64 v3, v[4:5] offset:5128
; %bb.220:                              ;   in Loop: Header=BB174_18 Depth=1
	s_or_b32 exec_lo, exec_lo, s8
	s_waitcnt lgkmcnt(0)
	s_barrier
	buffer_gl0_inv
.LBB174_221:                            ;   in Loop: Header=BB174_18 Depth=1
	s_or_saveexec_b32 s21, s21
	v_mov_b32_e32 v2, 8
	s_mov_b32 s22, 0
	s_xor_b32 exec_lo, exec_lo, s21
; %bb.222:                              ;   in Loop: Header=BB174_18 Depth=1
	v_sub_co_u32 v6, vcc_lo, v6, s16
	v_subrev_co_ci_u32_e64 v7, null, s17, v7, vcc_lo
	v_mov_b32_e32 v2, 0
	s_mov_b32 s22, exec_lo
; %bb.223:                              ;   in Loop: Header=BB174_18 Depth=1
	s_or_b32 exec_lo, exec_lo, s21
	v_mov_b32_e32 v4, v6
	v_mov_b32_e32 v5, v7
	s_and_b32 s21, s22, exec_lo
.LBB174_224:                            ;   in Loop: Header=BB174_18 Depth=1
	s_or_b32 exec_lo, exec_lo, s20
	s_mov_b32 s20, -1
                                        ; implicit-def: $sgpr88
                                        ; implicit-def: $sgpr72
	s_and_saveexec_b32 s85, s21
	s_cbranch_execz .LBB174_275
; %bb.225:                              ;   in Loop: Header=BB174_18 Depth=1
	v_cmp_eq_u64_e32 vcc_lo, 1, v[4:5]
	s_cmp_eq_u64 s[18:19], 1
	s_mov_b32 s21, -1
	s_cselect_b32 s8, -1, 0
                                        ; implicit-def: $sgpr88
                                        ; implicit-def: $sgpr72
	s_and_b32 s86, s8, vcc_lo
	s_and_saveexec_b32 s87, s86
	s_cbranch_execz .LBB174_263
; %bb.226:                              ;   in Loop: Header=BB174_18 Depth=1
	ds_read_b64 v[6:7], v3 offset:5120
	s_waitcnt lgkmcnt(0)
	s_barrier
	buffer_gl0_inv
	v_readfirstlane_b32 s20, v6
	v_readfirstlane_b32 s21, v7
	s_and_saveexec_b32 s8, s10
; %bb.227:                              ;   in Loop: Header=BB174_18 Depth=1
	ds_write_b16 v26, v3
; %bb.228:                              ;   in Loop: Header=BB174_18 Depth=1
	s_or_b32 exec_lo, exec_lo, s8
	v_or_b32_e32 v8, s11, v8
	v_or_b32_e32 v9, s11, v9
	s_mov_b32 s72, -1
	s_mov_b32 s88, 0
	s_cmp_eq_u64 s[20:21], 0
	s_mov_b32 s24, 0
	s_mov_b32 s25, -1
	s_waitcnt lgkmcnt(0)
	s_barrier
	buffer_gl0_inv
                                        ; implicit-def: $vgpr10
	s_cbranch_scc1 .LBB174_246
; %bb.229:                              ;   in Loop: Header=BB174_18 Depth=1
	s_add_u32 s89, s20, s94
	s_addc_u32 s23, s21, s95
	s_mov_b32 s22, s71
	s_mov_b32 s42, s60
	s_cmp_lg_u64 s[22:23], 0
	s_cbranch_scc0 .LBB174_233
; %bb.230:                              ;   in Loop: Header=BB174_18 Depth=1
	v_cvt_f32_u32_e32 v6, s35
	s_sub_u32 s24, 0, s35
	s_subb_u32 s25, 0, 0
	v_fmac_f32_e64 v6, 0x4f800000, 0
	v_rcp_f32_e32 v6, v6
	v_mul_f32_e32 v6, 0x5f7ffffc, v6
	v_mul_f32_e32 v7, 0x2f800000, v6
	v_trunc_f32_e32 v7, v7
	v_fmac_f32_e32 v6, 0xcf800000, v7
	v_cvt_u32_f32_e32 v7, v7
	v_cvt_u32_f32_e32 v6, v6
	v_readfirstlane_b32 s8, v7
	v_readfirstlane_b32 s22, v6
	s_mul_i32 s28, s24, s8
	s_mul_hi_u32 vcc_lo, s24, s22
	s_mul_i32 s70, s25, s22
	s_add_i32 s28, vcc_lo, s28
	s_mul_i32 s60, s24, s22
	s_add_i32 s28, s28, s70
	s_mul_hi_u32 vcc_lo, s22, s60
	s_mul_i32 s1, s22, s28
	s_mul_hi_u32 s70, s22, s28
	s_mul_hi_u32 s7, s8, s60
	s_mul_i32 s60, s8, s60
	s_add_u32 s1, vcc_lo, s1
	s_addc_u32 s41, 0, s70
	s_mul_hi_u32 s40, s8, s28
	s_add_u32 s1, s1, s60
	s_mul_i32 s28, s8, s28
	s_addc_u32 s1, s41, s7
	s_addc_u32 s7, s40, 0
	s_add_u32 s1, s1, s28
	s_addc_u32 s7, 0, s7
	s_add_u32 s1, s22, s1
	s_cselect_b32 s22, -1, 0
	s_mul_hi_u32 s28, s24, s1
	s_cmp_lg_u32 s22, 0
	s_mul_i32 s25, s25, s1
	s_addc_u32 s7, s8, s7
	s_mul_i32 s8, s24, s1
	s_mul_i32 s24, s24, s7
	s_mul_hi_u32 s22, s1, s8
	s_add_i32 s24, s28, s24
	s_mul_hi_u32 s28, s7, s8
	s_add_i32 s24, s24, s25
	s_mul_i32 s8, s7, s8
	s_mul_i32 s41, s1, s24
	s_mul_hi_u32 s40, s1, s24
	s_add_u32 s22, s22, s41
	s_addc_u32 s40, 0, s40
	s_mul_hi_u32 s25, s7, s24
	s_add_u32 s8, s22, s8
	s_mul_i32 s24, s7, s24
	s_addc_u32 s8, s40, s28
	s_addc_u32 s22, s25, 0
	s_add_u32 s8, s8, s24
	s_addc_u32 s22, 0, s22
	s_add_u32 s1, s1, s8
	s_cselect_b32 s8, -1, 0
	s_mul_hi_u32 s24, s89, s1
	s_cmp_lg_u32 s8, 0
	s_mul_hi_u32 s8, s23, s1
	s_addc_u32 s7, s7, s22
	s_mul_i32 s1, s23, s1
	s_mul_i32 s25, s89, s7
	s_mul_hi_u32 s22, s89, s7
	s_add_u32 s24, s24, s25
	s_addc_u32 s22, 0, s22
	s_mul_hi_u32 s28, s23, s7
	s_add_u32 s1, s24, s1
	s_mul_i32 s7, s23, s7
	s_addc_u32 s1, s22, s8
	s_addc_u32 s8, s28, 0
	s_add_u32 s1, s1, s7
	s_addc_u32 s7, 0, s8
	s_mul_hi_u32 s8, s35, s1
	s_mul_i32 s7, s35, s7
	s_mul_i32 s1, s35, s1
	s_add_i32 s8, s8, s7
	s_sub_u32 s1, s89, s1
	s_cselect_b32 s7, -1, 0
	s_cmp_lg_u32 s7, 0
	s_subb_u32 s7, s23, s8
	s_sub_u32 s8, s1, s35
	s_cselect_b32 s22, -1, 0
	s_cmp_lg_u32 s22, 0
	s_subb_u32 s22, s7, 0
	;; [unrolled: 4-line block ×3, first 2 shown]
	s_cmp_ge_u32 s8, s35
	s_cselect_b32 s28, -1, 0
	s_cmp_eq_u32 s22, 0
	s_cselect_b32 s28, s28, -1
	s_cmp_lg_u32 s28, 0
	s_cselect_b32 s22, s25, s22
	s_cselect_b32 s8, s24, s8
	s_cmp_ge_u32 s1, s35
	s_cselect_b32 s24, -1, 0
	s_cmp_eq_u32 s7, 0
	s_cselect_b32 s24, s24, -1
	s_cmp_lg_u32 s24, 0
	s_cselect_b32 s25, s22, s7
	s_cselect_b32 s24, s8, s1
	s_mov_b32 s8, 0
	s_branch .LBB174_234
.LBB174_231:                            ;   in Loop: Header=BB174_18 Depth=1
                                        ; implicit-def: $sgpr24_sgpr25
	s_branch .LBB174_186
.LBB174_232:                            ;   in Loop: Header=BB174_18 Depth=1
                                        ; implicit-def: $sgpr20_sgpr21
	s_branch .LBB174_202
.LBB174_233:                            ;   in Loop: Header=BB174_18 Depth=1
	s_mov_b32 s8, -1
                                        ; implicit-def: $sgpr24_sgpr25
.LBB174_234:                            ;   in Loop: Header=BB174_18 Depth=1
	s_andn2_b32 vcc_lo, exec_lo, s8
	s_cbranch_vccnz .LBB174_236
; %bb.235:                              ;   in Loop: Header=BB174_18 Depth=1
	v_cvt_f32_u32_e32 v6, s35
	s_sub_i32 s22, 0, s35
	v_rcp_iflag_f32_e32 v6, v6
	v_mul_f32_e32 v6, 0x4f7ffffe, v6
	v_cvt_u32_f32_e32 v6, v6
	v_readfirstlane_b32 s8, v6
	s_mul_i32 s22, s22, s8
	s_mul_hi_u32 s22, s8, s22
	s_add_i32 s8, s8, s22
	s_mul_hi_u32 s8, s89, s8
	s_mul_i32 s8, s8, s35
	s_sub_i32 s8, s89, s8
	s_sub_i32 s22, s8, s35
	s_cmp_ge_u32 s8, s35
	s_cselect_b32 s8, s22, s8
	s_sub_i32 s22, s8, s35
	s_cmp_ge_u32 s8, s35
	s_cselect_b32 s70, s22, s8
	s_mov_b64 s[24:25], s[70:71]
.LBB174_236:                            ;   in Loop: Header=BB174_18 Depth=1
	s_sub_u32 s22, s89, s24
	s_subb_u32 s23, s23, s25
	s_mov_b32 s25, 0
	s_mov_b32 s24, 0
	s_mov_b32 s70, exec_lo
                                        ; implicit-def: $vgpr10
	v_cmpx_gt_u64_e64 s[22:23], v[0:1]
	s_mov_b32 s60, s42
	s_cbranch_execz .LBB174_245
; %bb.237:                              ;   in Loop: Header=BB174_18 Depth=1
	v_mov_b32_e32 v7, v1
	v_mov_b32_e32 v10, v25
	;; [unrolled: 1-line block ×3, first 2 shown]
                                        ; implicit-def: $sgpr89
	s_inst_prefetch 0x1
	s_branch .LBB174_240
	.p2align	6
.LBB174_238:                            ;   in Loop: Header=BB174_240 Depth=2
	s_or_b32 exec_lo, exec_lo, s8
	s_waitcnt lgkmcnt(0)
	s_barrier
	buffer_gl0_inv
	ds_read_b32 v11, v3 offset:3072
	s_mov_b32 s8, -1
	s_mov_b32 s28, -1
	s_waitcnt lgkmcnt(0)
	s_barrier
	buffer_gl0_inv
	v_cmp_ne_u32_sdwa s1, v11, v3 src0_sel:WORD_0 src1_sel:DWORD
	s_and_b32 vcc_lo, exec_lo, s1
	s_cbranch_vccz .LBB174_243
.LBB174_239:                            ;   in Loop: Header=BB174_240 Depth=2
	s_and_b32 s1, exec_lo, s8
	s_or_b32 s24, s1, s24
	s_andn2_b32 s1, s89, exec_lo
	s_and_b32 s7, s28, exec_lo
	s_or_b32 s89, s1, s7
	s_andn2_b32 exec_lo, exec_lo, s24
	s_cbranch_execz .LBB174_244
.LBB174_240:                            ;   Parent Loop BB174_18 Depth=1
                                        ; =>  This Inner Loop Header: Depth=2
	s_mov_b32 s8, exec_lo
	v_cmpx_gt_u64_e64 s[20:21], v[6:7]
	s_cbranch_execz .LBB174_238
; %bb.241:                              ;   in Loop: Header=BB174_240 Depth=2
	ds_read_u16 v11, v10
	s_waitcnt lgkmcnt(0)
	v_add_nc_u32_sdwa v21, sext(v11), v31 dst_sel:DWORD dst_unused:UNUSED_PAD src0_sel:WORD_0 src1_sel:DWORD
	v_and_b32_e32 v21, v21, v9
	v_cmp_eq_u32_e32 vcc_lo, v21, v8
	s_and_b32 exec_lo, exec_lo, vcc_lo
	s_cbranch_execz .LBB174_238
; %bb.242:                              ;   in Loop: Header=BB174_240 Depth=2
	v_perm_b32 v11, v11, 1, 0x5040100
	ds_write_b32 v3, v11 offset:3072
	s_branch .LBB174_238
.LBB174_243:                            ;   in Loop: Header=BB174_240 Depth=2
	v_add_co_u32 v6, vcc_lo, v6, s35
	v_add_co_ci_u32_e64 v7, null, 0, v7, vcc_lo
	v_add_nc_u32_e32 v10, s68, v10
	s_mov_b32 s28, 0
	v_cmp_le_u64_e32 vcc_lo, s[22:23], v[6:7]
	s_orn2_b32 s8, vcc_lo, exec_lo
	s_branch .LBB174_239
.LBB174_244:                            ;   in Loop: Header=BB174_18 Depth=1
	s_inst_prefetch 0x2
	s_or_b32 exec_lo, exec_lo, s24
	v_lshrrev_b32_e32 v10, 16, v11
	s_and_b32 s24, s89, exec_lo
.LBB174_245:                            ;   in Loop: Header=BB174_18 Depth=1
	s_or_b32 exec_lo, exec_lo, s70
.LBB174_246:                            ;   in Loop: Header=BB174_18 Depth=1
	s_and_b32 vcc_lo, exec_lo, s25
	s_cbranch_vccz .LBB174_262
; %bb.247:                              ;   in Loop: Header=BB174_18 Depth=1
	s_mov_b32 s72, s71
	s_cmp_lg_u64 s[72:73], 0
	s_cbranch_scc0 .LBB174_249
; %bb.248:                              ;   in Loop: Header=BB174_18 Depth=1
	v_cvt_f32_u32_e32 v6, s35
	s_sub_u32 s8, 0, s35
	s_subb_u32 s20, 0, 0
	v_fmac_f32_e64 v6, 0x4f800000, 0
	v_rcp_f32_e32 v6, v6
	v_mul_f32_e32 v6, 0x5f7ffffc, v6
	v_mul_f32_e32 v7, 0x2f800000, v6
	v_trunc_f32_e32 v7, v7
	v_fmac_f32_e32 v6, 0xcf800000, v7
	v_cvt_u32_f32_e32 v7, v7
	v_cvt_u32_f32_e32 v6, v6
	v_readfirstlane_b32 s1, v7
	v_readfirstlane_b32 s7, v6
	s_mul_i32 s21, s8, s1
	s_mul_hi_u32 s23, s8, s7
	s_mul_i32 s22, s20, s7
	s_add_i32 s21, s23, s21
	s_mul_i32 s25, s8, s7
	s_add_i32 s21, s21, s22
	s_mul_hi_u32 s23, s7, s25
	s_mul_i32 s40, s7, s21
	s_mul_hi_u32 s28, s1, s25
	s_mul_i32 s22, s1, s25
	s_mul_hi_u32 s25, s7, s21
	s_add_u32 s23, s23, s40
	s_addc_u32 s25, 0, s25
	s_mul_hi_u32 s41, s1, s21
	s_add_u32 s22, s23, s22
	s_mul_i32 s21, s1, s21
	s_addc_u32 s22, s25, s28
	s_addc_u32 s23, s41, 0
	s_add_u32 s21, s22, s21
	s_addc_u32 s22, 0, s23
	s_add_u32 s7, s7, s21
	s_cselect_b32 s21, -1, 0
	s_mul_hi_u32 s23, s8, s7
	s_cmp_lg_u32 s21, 0
	s_mul_i32 s21, s8, s7
	s_addc_u32 s1, s1, s22
	s_mul_i32 s20, s20, s7
	s_mul_i32 s8, s8, s1
	s_mul_hi_u32 s22, s7, s21
	s_add_i32 s8, s23, s8
	s_mul_hi_u32 s23, s1, s21
	s_add_i32 s8, s8, s20
	s_mul_i32 s20, s1, s21
	s_mul_i32 s28, s7, s8
	s_mul_hi_u32 s25, s7, s8
	s_add_u32 s22, s22, s28
	s_addc_u32 s25, 0, s25
	s_mul_hi_u32 s21, s1, s8
	s_add_u32 s20, s22, s20
	s_mul_i32 s8, s1, s8
	s_addc_u32 s20, s25, s23
	s_addc_u32 s21, s21, 0
	s_add_u32 s8, s20, s8
	s_addc_u32 s20, 0, s21
	s_add_u32 s7, s7, s8
	s_cselect_b32 s8, -1, 0
	s_mul_hi_u32 s21, s96, s7
	s_cmp_lg_u32 s8, 0
	s_mul_hi_u32 s8, s73, s7
	s_addc_u32 s1, s1, s20
	s_mul_i32 s7, s73, s7
	s_mul_i32 s22, s96, s1
	s_mul_hi_u32 s20, s96, s1
	s_add_u32 s21, s21, s22
	s_addc_u32 s20, 0, s20
	s_mul_hi_u32 s23, s73, s1
	s_add_u32 s7, s21, s7
	s_mul_i32 s1, s73, s1
	s_addc_u32 s7, s20, s8
	s_addc_u32 s8, s23, 0
	s_add_u32 s1, s7, s1
	s_addc_u32 s7, 0, s8
	s_mul_hi_u32 s8, s35, s1
	s_mul_i32 s7, s35, s7
	s_mul_i32 s1, s35, s1
	s_add_i32 s8, s8, s7
	s_sub_u32 s1, s96, s1
	s_cselect_b32 s7, -1, 0
	s_cmp_lg_u32 s7, 0
	s_subb_u32 s7, s73, s8
	s_sub_u32 s8, s1, s35
	s_cselect_b32 s20, -1, 0
	s_cmp_lg_u32 s20, 0
	s_subb_u32 s20, s7, 0
	;; [unrolled: 4-line block ×3, first 2 shown]
	s_cmp_ge_u32 s8, s35
	s_cselect_b32 s23, -1, 0
	s_cmp_eq_u32 s20, 0
	s_cselect_b32 s23, s23, -1
	s_cmp_lg_u32 s23, 0
	s_cselect_b32 s20, s22, s20
	s_cselect_b32 s8, s21, s8
	s_cmp_ge_u32 s1, s35
	s_cselect_b32 s21, -1, 0
	s_cmp_eq_u32 s7, 0
	s_cselect_b32 s21, s21, -1
	s_cmp_lg_u32 s21, 0
	s_cselect_b32 s21, s20, s7
	s_cselect_b32 s20, s8, s1
	s_mov_b32 s8, 0
	s_branch .LBB174_250
.LBB174_249:                            ;   in Loop: Header=BB174_18 Depth=1
	s_mov_b32 s8, -1
                                        ; implicit-def: $sgpr20_sgpr21
.LBB174_250:                            ;   in Loop: Header=BB174_18 Depth=1
	s_andn2_b32 vcc_lo, exec_lo, s8
	s_cbranch_vccnz .LBB174_252
; %bb.251:                              ;   in Loop: Header=BB174_18 Depth=1
	v_cvt_f32_u32_e32 v6, s35
	s_sub_i32 s7, 0, s35
	v_rcp_iflag_f32_e32 v6, v6
	v_mul_f32_e32 v6, 0x4f7ffffe, v6
	v_cvt_u32_f32_e32 v6, v6
	v_readfirstlane_b32 s1, v6
	s_mul_i32 s7, s7, s1
	s_mul_hi_u32 s7, s1, s7
	s_add_i32 s1, s1, s7
	s_mul_hi_u32 s1, s96, s1
	s_mul_i32 s1, s1, s35
	s_sub_i32 s1, s96, s1
	s_sub_i32 s7, s1, s35
	s_cmp_ge_u32 s1, s35
	s_cselect_b32 s1, s7, s1
	s_sub_i32 s7, s1, s35
	s_cmp_ge_u32 s1, s35
	s_cselect_b32 s70, s7, s1
	s_mov_b64 s[20:21], s[70:71]
.LBB174_252:                            ;   in Loop: Header=BB174_18 Depth=1
	s_sub_u32 s20, s96, s20
	s_subb_u32 s21, s73, s21
	s_mov_b32 s22, exec_lo
                                        ; implicit-def: $vgpr10
	v_cmpx_gt_u64_e64 s[20:21], v[0:1]
	s_cbranch_execz .LBB174_261
; %bb.253:                              ;   in Loop: Header=BB174_18 Depth=1
	v_mov_b32_e32 v7, v1
	v_mov_b32_e32 v6, v0
	s_mov_b32 s23, 0
                                        ; implicit-def: $sgpr25
	s_branch .LBB174_256
.LBB174_254:                            ;   in Loop: Header=BB174_256 Depth=2
	s_or_b32 exec_lo, exec_lo, s70
	s_waitcnt lgkmcnt(0)
	s_barrier
	buffer_gl0_inv
	ds_read_b32 v10, v3 offset:3072
	s_mov_b32 s28, -1
	s_mov_b32 s8, -1
	s_waitcnt lgkmcnt(0)
	s_barrier
	buffer_gl0_inv
	v_cmp_eq_u32_sdwa s1, v10, v3 src0_sel:WORD_0 src1_sel:DWORD
	s_and_b32 vcc_lo, exec_lo, s1
	s_cbranch_vccnz .LBB174_259
.LBB174_255:                            ;   in Loop: Header=BB174_256 Depth=2
	s_and_b32 s1, exec_lo, s28
	s_or_b32 s23, s1, s23
	s_andn2_b32 s1, s25, exec_lo
	s_and_b32 s7, s8, exec_lo
	s_or_b32 s25, s1, s7
	s_andn2_b32 exec_lo, exec_lo, s23
	s_cbranch_execz .LBB174_260
.LBB174_256:                            ;   Parent Loop BB174_18 Depth=1
                                        ; =>  This Inner Loop Header: Depth=2
	s_mov_b32 s70, exec_lo
	v_cmpx_gt_u64_e64 s[36:37], v[6:7]
	s_cbranch_execz .LBB174_254
; %bb.257:                              ;   in Loop: Header=BB174_256 Depth=2
	v_mul_lo_u32 v21, v7, s30
	v_mul_lo_u32 v22, v6, s31
	v_mad_u64_u32 v[10:11], null, v6, s30, 0
	v_add3_u32 v11, v11, v22, v21
	v_lshlrev_b64 v[10:11], 1, v[10:11]
	v_add_co_u32 v10, vcc_lo, s29, v10
	v_add_co_ci_u32_e64 v11, null, s33, v11, vcc_lo
	global_load_ushort v10, v[10:11], off
	s_waitcnt vmcnt(0)
	v_add_nc_u32_sdwa v11, sext(v10), v31 dst_sel:DWORD dst_unused:UNUSED_PAD src0_sel:WORD_0 src1_sel:DWORD
	v_and_b32_e32 v11, v11, v9
	v_cmp_eq_u32_e32 vcc_lo, v11, v8
	s_and_b32 exec_lo, exec_lo, vcc_lo
	s_cbranch_execz .LBB174_254
; %bb.258:                              ;   in Loop: Header=BB174_256 Depth=2
	v_perm_b32 v10, v10, 1, 0x5040100
	ds_write_b32 v3, v10 offset:3072
	s_branch .LBB174_254
.LBB174_259:                            ;   in Loop: Header=BB174_256 Depth=2
	v_add_co_u32 v6, vcc_lo, v6, s35
	v_add_co_ci_u32_e64 v7, null, 0, v7, vcc_lo
	s_mov_b32 s8, 0
	v_cmp_le_u64_e32 vcc_lo, s[20:21], v[6:7]
	s_orn2_b32 s28, vcc_lo, exec_lo
	s_branch .LBB174_255
.LBB174_260:                            ;   in Loop: Header=BB174_18 Depth=1
	s_or_b32 exec_lo, exec_lo, s23
	v_lshrrev_b32_e32 v10, 16, v10
	s_andn2_b32 s1, s24, exec_lo
	s_and_b32 s7, s25, exec_lo
	s_or_b32 s24, s1, s7
.LBB174_261:                            ;   in Loop: Header=BB174_18 Depth=1
	s_or_b32 exec_lo, exec_lo, s22
	s_mov_b32 s72, 0
	s_mov_b32 s88, -1
.LBB174_262:                            ;   in Loop: Header=BB174_18 Depth=1
	s_orn2_b32 s21, s24, exec_lo
.LBB174_263:                            ;   in Loop: Header=BB174_18 Depth=1
	s_or_b32 exec_lo, exec_lo, s87
	s_mov_b32 s22, 0
	s_and_saveexec_b32 s20, s21
	s_cbranch_execz .LBB174_274
; %bb.264:                              ;   in Loop: Header=BB174_18 Depth=1
	v_mov_b32_e32 v6, 1
	v_mov_b32_e32 v7, 0
	v_mov_b32_e32 v2, 1
	s_xor_b32 s1, s86, -1
	s_and_saveexec_b32 s21, s1
	s_cbranch_execz .LBB174_273
; %bb.265:                              ;   in Loop: Header=BB174_18 Depth=1
	s_mov_b32 s1, exec_lo
	v_cmpx_ge_u64_e64 s[18:19], v[4:5]
	s_xor_b32 s22, exec_lo, s1
	s_cbranch_execz .LBB174_270
; %bb.266:                              ;   in Loop: Header=BB174_18 Depth=1
	ds_read_b64 v[6:7], v3 offset:5120
	v_or_b32_e32 v8, s11, v8
	v_or_b32_e32 v9, s11, v9
	s_waitcnt lgkmcnt(0)
	v_cmp_ne_u64_e32 vcc_lo, 0, v[6:7]
	s_cbranch_vccnz .LBB174_270
; %bb.267:                              ;   in Loop: Header=BB174_18 Depth=1
	s_and_saveexec_b32 s8, s3
; %bb.268:                              ;   in Loop: Header=BB174_18 Depth=1
	v_mov_b32_e32 v6, s18
	v_mov_b32_e32 v7, s19
	ds_write_b64 v3, v[6:7] offset:5128
; %bb.269:                              ;   in Loop: Header=BB174_18 Depth=1
	s_or_b32 exec_lo, exec_lo, s8
	s_waitcnt lgkmcnt(0)
	s_barrier
	buffer_gl0_inv
.LBB174_270:                            ;   in Loop: Header=BB174_18 Depth=1
	s_andn2_saveexec_b32 s22, s22
; %bb.271:                              ;   in Loop: Header=BB174_18 Depth=1
	v_sub_co_u32 v4, vcc_lo, v4, s18
	v_subrev_co_ci_u32_e64 v5, null, s19, v5, vcc_lo
; %bb.272:                              ;   in Loop: Header=BB174_18 Depth=1
	s_or_b32 exec_lo, exec_lo, s22
	v_mov_b32_e32 v7, v5
	v_mov_b32_e32 v2, 8
	;; [unrolled: 1-line block ×3, first 2 shown]
.LBB174_273:                            ;   in Loop: Header=BB174_18 Depth=1
	s_or_b32 exec_lo, exec_lo, s21
	v_mov_b32_e32 v4, v6
	v_mov_b32_e32 v5, v7
	s_mov_b32 s22, exec_lo
.LBB174_274:                            ;   in Loop: Header=BB174_18 Depth=1
	s_or_b32 exec_lo, exec_lo, s20
	s_orn2_b32 s20, s22, exec_lo
.LBB174_275:                            ;   in Loop: Header=BB174_18 Depth=1
	s_or_b32 exec_lo, exec_lo, s85
	v_mov_b32_e32 v7, v5
	v_mov_b32_e32 v6, v4
	s_andn2_b32 s8, s83, exec_lo
	s_and_b32 s21, s88, exec_lo
	s_andn2_b32 s22, s82, exec_lo
	s_and_b32 s23, s72, exec_lo
	s_or_b32 s83, s8, s21
	s_or_b32 s82, s22, s23
	s_and_b32 s21, s20, exec_lo
.LBB174_276:                            ;   in Loop: Header=BB174_18 Depth=1
	s_or_b32 exec_lo, exec_lo, s84
	s_orn2_b32 s20, s21, exec_lo
.LBB174_277:                            ;   in Loop: Header=BB174_18 Depth=1
	s_or_b32 exec_lo, exec_lo, s81
	v_mov_b32_e32 v4, v6
	v_mov_b32_e32 v5, v7
	s_andn2_b32 s8, s51, exec_lo
	s_and_b32 s21, s83, exec_lo
	s_andn2_b32 s22, s50, exec_lo
	s_and_b32 s23, s82, exec_lo
	s_or_b32 s51, s8, s21
	s_or_b32 s50, s22, s23
	s_and_b32 s21, s20, exec_lo
.LBB174_278:                            ;   in Loop: Header=BB174_18 Depth=1
	s_or_b32 exec_lo, exec_lo, s80
	s_orn2_b32 s20, s21, exec_lo
.LBB174_279:                            ;   in Loop: Header=BB174_18 Depth=1
	s_or_b32 exec_lo, exec_lo, s6
	s_mov_b32 s6, 0
	s_mov_b32 s21, 0
	s_and_saveexec_b32 s8, s20
	s_xor_b32 s8, exec_lo, s8
; %bb.280:                              ;   in Loop: Header=BB174_18 Depth=1
	v_cmp_ne_u32_e32 vcc_lo, 8, v2
	v_cmp_eq_u32_e64 s6, 8, v2
	s_and_b32 s21, vcc_lo, exec_lo
	s_and_b32 s6, s6, exec_lo
; %bb.281:                              ;   in Loop: Header=BB174_18 Depth=1
	s_or_b32 exec_lo, exec_lo, s8
	s_andn2_b32 s8, s77, exec_lo
	s_and_b32 s20, s51, exec_lo
	s_andn2_b32 s22, s76, exec_lo
	s_and_b32 s23, s50, exec_lo
	s_or_b32 s77, s8, s20
	s_or_b32 s76, s22, s23
	s_and_b32 s50, s21, exec_lo
	s_and_b32 s51, s6, exec_lo
.LBB174_282:                            ;   in Loop: Header=BB174_18 Depth=1
	s_or_b32 exec_lo, exec_lo, s79
.LBB174_283:                            ;   in Loop: Header=BB174_18 Depth=1
	s_and_b32 vcc_lo, exec_lo, s78
	s_cbranch_vccz .LBB174_299
; %bb.284:                              ;   in Loop: Header=BB174_18 Depth=1
	s_cmp_eq_u64 s[18:19], 1
	s_mov_b32 s20, -1
	s_cselect_b32 s6, -1, 0
                                        ; implicit-def: $sgpr27
	s_and_b32 s6, s6, s9
                                        ; implicit-def: $sgpr9
	s_and_saveexec_b32 s76, s6
	s_cbranch_execz .LBB174_317
; %bb.285:                              ;   in Loop: Header=BB174_18 Depth=1
	ds_read_b64 v[4:5], v3 offset:5120
	s_waitcnt lgkmcnt(0)
	s_barrier
	buffer_gl0_inv
	v_readfirstlane_b32 s20, v4
	v_readfirstlane_b32 s21, v5
	s_and_saveexec_b32 s8, s10
; %bb.286:                              ;   in Loop: Header=BB174_18 Depth=1
	ds_write_b16 v26, v3
; %bb.287:                              ;   in Loop: Header=BB174_18 Depth=1
	s_or_b32 exec_lo, exec_lo, s8
	v_or_b32_e32 v28, s11, v28
	v_or_b32_e32 v32, s11, v32
	s_mov_b32 s27, -1
	s_mov_b32 s9, 0
	s_cmp_eq_u64 s[20:21], 0
	s_mov_b32 s24, 0
	s_mov_b32 s25, -1
	s_waitcnt lgkmcnt(0)
	s_barrier
	buffer_gl0_inv
                                        ; implicit-def: $vgpr33
	s_cbranch_scc1 .LBB174_302
; %bb.288:                              ;   in Loop: Header=BB174_18 Depth=1
	s_add_u32 s72, s20, s94
	s_addc_u32 s23, s21, s95
	s_mov_b32 s22, s71
	s_cmp_lg_u64 s[22:23], 0
	s_cbranch_scc0 .LBB174_343
; %bb.289:                              ;   in Loop: Header=BB174_18 Depth=1
	v_cvt_f32_u32_e32 v2, s35
	s_sub_u32 s24, 0, s35
	s_subb_u32 s25, 0, 0
	v_fmac_f32_e64 v2, 0x4f800000, 0
	v_rcp_f32_e32 v2, v2
	v_mul_f32_e32 v2, 0x5f7ffffc, v2
	v_mul_f32_e32 v4, 0x2f800000, v2
	v_trunc_f32_e32 v4, v4
	v_fmac_f32_e32 v2, 0xcf800000, v4
	v_cvt_u32_f32_e32 v4, v4
	v_cvt_u32_f32_e32 v2, v2
	v_readfirstlane_b32 s8, v4
	v_readfirstlane_b32 s22, v2
	s_mul_i32 s28, s24, s8
	s_mul_hi_u32 s77, s24, s22
	s_mul_i32 s70, s25, s22
	s_add_i32 s28, s77, s28
	s_mul_i32 s78, s24, s22
	s_add_i32 s28, s28, s70
	s_mul_hi_u32 s77, s22, s78
	s_mul_i32 s80, s22, s28
	s_mul_hi_u32 s79, s8, s78
	s_mul_i32 s70, s8, s78
	s_mul_hi_u32 s78, s22, s28
	s_add_u32 s77, s77, s80
	s_addc_u32 s78, 0, s78
	s_mul_hi_u32 s81, s8, s28
	s_add_u32 s70, s77, s70
	s_mul_i32 s28, s8, s28
	s_addc_u32 s70, s78, s79
	s_addc_u32 s77, s81, 0
	s_add_u32 s28, s70, s28
	s_addc_u32 s70, 0, s77
	s_add_u32 s22, s22, s28
	s_cselect_b32 s28, -1, 0
	s_mul_hi_u32 s77, s24, s22
	s_cmp_lg_u32 s28, 0
	s_mul_i32 s28, s24, s22
	s_addc_u32 s8, s8, s70
	s_mul_i32 s25, s25, s22
	s_mul_i32 s24, s24, s8
	s_mul_hi_u32 s70, s22, s28
	s_add_i32 s24, s77, s24
	s_mul_hi_u32 s77, s8, s28
	s_add_i32 s24, s24, s25
	s_mul_i32 s25, s8, s28
	s_mul_i32 s79, s22, s24
	s_mul_hi_u32 s78, s22, s24
	s_add_u32 s70, s70, s79
	s_addc_u32 s78, 0, s78
	s_mul_hi_u32 s28, s8, s24
	s_add_u32 s25, s70, s25
	s_mul_i32 s24, s8, s24
	s_addc_u32 s25, s78, s77
	s_addc_u32 s28, s28, 0
	s_add_u32 s24, s25, s24
	s_addc_u32 s25, 0, s28
	s_add_u32 s22, s22, s24
	s_cselect_b32 s24, -1, 0
	s_mul_hi_u32 s28, s72, s22
	s_cmp_lg_u32 s24, 0
	s_mul_hi_u32 s24, s23, s22
	s_addc_u32 s8, s8, s25
	s_mul_i32 s22, s23, s22
	s_mul_i32 s70, s72, s8
	s_mul_hi_u32 s25, s72, s8
	s_add_u32 s28, s28, s70
	s_addc_u32 s25, 0, s25
	s_mul_hi_u32 s77, s23, s8
	s_add_u32 s22, s28, s22
	s_mul_i32 s8, s23, s8
	s_addc_u32 s22, s25, s24
	s_addc_u32 s24, s77, 0
	s_add_u32 s8, s22, s8
	s_addc_u32 s22, 0, s24
	s_mul_hi_u32 s24, s35, s8
	s_mul_i32 s22, s35, s22
	s_mul_i32 s8, s35, s8
	s_add_i32 s24, s24, s22
	s_sub_u32 s8, s72, s8
	s_cselect_b32 s22, -1, 0
	s_cmp_lg_u32 s22, 0
	s_subb_u32 s22, s23, s24
	s_sub_u32 s24, s8, s35
	s_cselect_b32 s25, -1, 0
	s_cmp_lg_u32 s25, 0
	s_subb_u32 s25, s22, 0
	;; [unrolled: 4-line block ×3, first 2 shown]
	s_cmp_ge_u32 s24, s35
	s_cselect_b32 s77, -1, 0
	s_cmp_eq_u32 s25, 0
	s_cselect_b32 s77, s77, -1
	s_cmp_lg_u32 s77, 0
	s_cselect_b32 s25, s70, s25
	s_cselect_b32 s24, s28, s24
	s_cmp_ge_u32 s8, s35
	s_cselect_b32 s28, -1, 0
	s_cmp_eq_u32 s22, 0
	s_cselect_b32 s28, s28, -1
	s_cmp_lg_u32 s28, 0
	s_cselect_b32 s25, s25, s22
	s_cselect_b32 s24, s24, s8
	s_cbranch_execnz .LBB174_291
.LBB174_290:                            ;   in Loop: Header=BB174_18 Depth=1
	v_cvt_f32_u32_e32 v2, s35
	s_sub_i32 s22, 0, s35
	v_rcp_iflag_f32_e32 v2, v2
	v_mul_f32_e32 v2, 0x4f7ffffe, v2
	v_cvt_u32_f32_e32 v2, v2
	v_readfirstlane_b32 s8, v2
	s_mul_i32 s22, s22, s8
	s_mul_hi_u32 s22, s8, s22
	s_add_i32 s8, s8, s22
	s_mul_hi_u32 s8, s72, s8
	s_mul_i32 s8, s8, s35
	s_sub_i32 s8, s72, s8
	s_sub_i32 s22, s8, s35
	s_cmp_ge_u32 s8, s35
	s_cselect_b32 s8, s22, s8
	s_sub_i32 s22, s8, s35
	s_cmp_ge_u32 s8, s35
	s_cselect_b32 s70, s22, s8
	s_mov_b64 s[24:25], s[70:71]
.LBB174_291:                            ;   in Loop: Header=BB174_18 Depth=1
	s_sub_u32 s22, s72, s24
	s_subb_u32 s23, s23, s25
	s_mov_b32 s25, 0
	s_mov_b32 s24, 0
	s_mov_b32 s70, exec_lo
                                        ; implicit-def: $vgpr33
	v_cmpx_gt_u64_e64 s[22:23], v[0:1]
	s_cbranch_execz .LBB174_301
; %bb.292:                              ;   in Loop: Header=BB174_18 Depth=1
	v_mov_b32_e32 v5, v1
	v_mov_b32_e32 v2, v25
	;; [unrolled: 1-line block ×3, first 2 shown]
                                        ; implicit-def: $sgpr72
	s_inst_prefetch 0x1
	s_branch .LBB174_295
	.p2align	6
.LBB174_293:                            ;   in Loop: Header=BB174_295 Depth=2
	s_or_b32 exec_lo, exec_lo, s77
	s_waitcnt lgkmcnt(0)
	s_barrier
	buffer_gl0_inv
	ds_read_b32 v6, v3 offset:3072
	s_mov_b32 s8, -1
	s_waitcnt lgkmcnt(0)
	s_barrier
	buffer_gl0_inv
	v_cmp_ne_u32_sdwa s28, v6, v3 src0_sel:WORD_0 src1_sel:DWORD
	s_and_b32 vcc_lo, exec_lo, s28
	s_mov_b32 s28, -1
	s_cbranch_vccz .LBB174_298
.LBB174_294:                            ;   in Loop: Header=BB174_295 Depth=2
	s_and_b32 s1, exec_lo, s8
	s_or_b32 s24, s1, s24
	s_andn2_b32 s1, s72, exec_lo
	s_and_b32 s7, s28, exec_lo
	s_or_b32 s72, s1, s7
	s_andn2_b32 exec_lo, exec_lo, s24
	s_cbranch_execz .LBB174_300
.LBB174_295:                            ;   Parent Loop BB174_18 Depth=1
                                        ; =>  This Inner Loop Header: Depth=2
	s_mov_b32 s77, exec_lo
	v_cmpx_gt_u64_e64 s[20:21], v[4:5]
	s_cbranch_execz .LBB174_293
; %bb.296:                              ;   in Loop: Header=BB174_295 Depth=2
	ds_read_u16 v6, v2
	s_waitcnt lgkmcnt(0)
	v_add_nc_u32_sdwa v7, sext(v6), v31 dst_sel:DWORD dst_unused:UNUSED_PAD src0_sel:WORD_0 src1_sel:DWORD
	v_and_b32_e32 v7, v7, v32
	v_cmp_eq_u32_e32 vcc_lo, v7, v28
	s_and_b32 exec_lo, exec_lo, vcc_lo
	s_cbranch_execz .LBB174_293
; %bb.297:                              ;   in Loop: Header=BB174_295 Depth=2
	v_perm_b32 v6, v6, 1, 0x5040100
	ds_write_b32 v3, v6 offset:3072
	s_branch .LBB174_293
.LBB174_298:                            ;   in Loop: Header=BB174_295 Depth=2
	v_add_co_u32 v4, vcc_lo, v4, s35
	v_add_co_ci_u32_e64 v5, null, 0, v5, vcc_lo
	v_add_nc_u32_e32 v2, s68, v2
	s_mov_b32 s28, 0
	v_cmp_le_u64_e32 vcc_lo, s[22:23], v[4:5]
	s_orn2_b32 s8, vcc_lo, exec_lo
	s_branch .LBB174_294
.LBB174_299:                            ;   in Loop: Header=BB174_18 Depth=1
	v_mov_b32_e32 v28, v8
	v_mov_b32_e32 v32, v9
	v_mov_b32_e32 v33, v10
	s_mov_b32 s9, 0
	s_and_saveexec_b32 s6, s51
	s_cbranch_execnz .LBB174_476
	s_branch .LBB174_477
.LBB174_300:                            ;   in Loop: Header=BB174_18 Depth=1
	s_inst_prefetch 0x2
	s_or_b32 exec_lo, exec_lo, s24
	v_lshrrev_b32_e32 v33, 16, v6
	s_and_b32 s24, s72, exec_lo
.LBB174_301:                            ;   in Loop: Header=BB174_18 Depth=1
	s_or_b32 exec_lo, exec_lo, s70
.LBB174_302:                            ;   in Loop: Header=BB174_18 Depth=1
	s_and_b32 vcc_lo, exec_lo, s25
	s_cbranch_vccz .LBB174_316
; %bb.303:                              ;   in Loop: Header=BB174_18 Depth=1
	s_mov_b32 s72, s71
	s_cmp_lg_u64 s[72:73], 0
	s_cbranch_scc0 .LBB174_344
; %bb.304:                              ;   in Loop: Header=BB174_18 Depth=1
	v_cvt_f32_u32_e32 v2, s35
	s_sub_u32 s20, 0, s35
	s_subb_u32 s21, 0, 0
	v_fmac_f32_e64 v2, 0x4f800000, 0
	v_rcp_f32_e32 v2, v2
	v_mul_f32_e32 v2, 0x5f7ffffc, v2
	v_mul_f32_e32 v4, 0x2f800000, v2
	v_trunc_f32_e32 v4, v4
	v_fmac_f32_e32 v2, 0xcf800000, v4
	v_cvt_u32_f32_e32 v4, v4
	v_cvt_u32_f32_e32 v2, v2
	v_readfirstlane_b32 s8, v4
	v_readfirstlane_b32 s9, v2
	s_mul_i32 s22, s20, s8
	s_mul_hi_u32 s25, s20, s9
	s_mul_i32 s23, s21, s9
	s_add_i32 s22, s25, s22
	s_mul_i32 s27, s20, s9
	s_add_i32 s22, s22, s23
	s_mul_hi_u32 s25, s9, s27
	s_mul_i32 s70, s9, s22
	s_mul_hi_u32 s28, s8, s27
	s_mul_i32 s23, s8, s27
	s_mul_hi_u32 s27, s9, s22
	s_add_u32 s25, s25, s70
	s_addc_u32 s27, 0, s27
	s_mul_hi_u32 s72, s8, s22
	s_add_u32 s23, s25, s23
	s_mul_i32 s22, s8, s22
	s_addc_u32 s23, s27, s28
	s_addc_u32 s25, s72, 0
	s_add_u32 s22, s23, s22
	s_addc_u32 s23, 0, s25
	s_add_u32 s9, s9, s22
	s_cselect_b32 s22, -1, 0
	s_mul_hi_u32 s25, s20, s9
	s_cmp_lg_u32 s22, 0
	s_mul_i32 s22, s20, s9
	s_addc_u32 s8, s8, s23
	s_mul_i32 s21, s21, s9
	s_mul_i32 s20, s20, s8
	s_mul_hi_u32 s23, s9, s22
	s_add_i32 s20, s25, s20
	s_mul_hi_u32 s25, s8, s22
	s_add_i32 s20, s20, s21
	s_mul_i32 s21, s8, s22
	s_mul_i32 s28, s9, s20
	s_mul_hi_u32 s27, s9, s20
	s_add_u32 s23, s23, s28
	s_addc_u32 s27, 0, s27
	s_mul_hi_u32 s22, s8, s20
	s_add_u32 s21, s23, s21
	s_mul_i32 s20, s8, s20
	s_addc_u32 s21, s27, s25
	s_addc_u32 s22, s22, 0
	s_add_u32 s20, s21, s20
	s_addc_u32 s21, 0, s22
	s_add_u32 s9, s9, s20
	s_cselect_b32 s20, -1, 0
	s_mul_hi_u32 s22, s96, s9
	s_cmp_lg_u32 s20, 0
	s_mul_hi_u32 s20, s73, s9
	s_addc_u32 s8, s8, s21
	s_mul_i32 s9, s73, s9
	s_mul_i32 s23, s96, s8
	s_mul_hi_u32 s21, s96, s8
	s_add_u32 s22, s22, s23
	s_addc_u32 s21, 0, s21
	s_mul_hi_u32 s25, s73, s8
	s_add_u32 s9, s22, s9
	s_mul_i32 s8, s73, s8
	s_addc_u32 s9, s21, s20
	s_addc_u32 s20, s25, 0
	s_add_u32 s8, s9, s8
	s_addc_u32 s9, 0, s20
	s_mul_hi_u32 s20, s35, s8
	s_mul_i32 s9, s35, s9
	s_mul_i32 s8, s35, s8
	s_add_i32 s20, s20, s9
	s_sub_u32 s8, s96, s8
	s_cselect_b32 s9, -1, 0
	s_cmp_lg_u32 s9, 0
	s_subb_u32 s9, s73, s20
	s_sub_u32 s20, s8, s35
	s_cselect_b32 s21, -1, 0
	s_cmp_lg_u32 s21, 0
	s_subb_u32 s21, s9, 0
	;; [unrolled: 4-line block ×3, first 2 shown]
	s_cmp_ge_u32 s20, s35
	s_cselect_b32 s25, -1, 0
	s_cmp_eq_u32 s21, 0
	s_cselect_b32 s25, s25, -1
	s_cmp_lg_u32 s25, 0
	s_cselect_b32 s21, s23, s21
	s_cselect_b32 s20, s22, s20
	s_cmp_ge_u32 s8, s35
	s_cselect_b32 s22, -1, 0
	s_cmp_eq_u32 s9, 0
	s_cselect_b32 s22, s22, -1
	s_cmp_lg_u32 s22, 0
	s_cselect_b32 s21, s21, s9
	s_cselect_b32 s20, s20, s8
	s_cbranch_execnz .LBB174_306
.LBB174_305:                            ;   in Loop: Header=BB174_18 Depth=1
	v_cvt_f32_u32_e32 v2, s35
	s_sub_i32 s9, 0, s35
	v_rcp_iflag_f32_e32 v2, v2
	v_mul_f32_e32 v2, 0x4f7ffffe, v2
	v_cvt_u32_f32_e32 v2, v2
	v_readfirstlane_b32 s8, v2
	s_mul_i32 s9, s9, s8
	s_mul_hi_u32 s9, s8, s9
	s_add_i32 s8, s8, s9
	s_mul_hi_u32 s8, s96, s8
	s_mul_i32 s8, s8, s35
	s_sub_i32 s8, s96, s8
	s_sub_i32 s9, s8, s35
	s_cmp_ge_u32 s8, s35
	s_cselect_b32 s8, s9, s8
	s_sub_i32 s9, s8, s35
	s_cmp_ge_u32 s8, s35
	s_cselect_b32 s70, s9, s8
	s_mov_b64 s[20:21], s[70:71]
.LBB174_306:                            ;   in Loop: Header=BB174_18 Depth=1
	s_sub_u32 s20, s96, s20
	s_subb_u32 s21, s73, s21
	s_mov_b32 s9, exec_lo
                                        ; implicit-def: $vgpr33
	v_cmpx_gt_u64_e64 s[20:21], v[0:1]
	s_cbranch_execz .LBB174_315
; %bb.307:                              ;   in Loop: Header=BB174_18 Depth=1
	v_mov_b32_e32 v5, v1
	v_mov_b32_e32 v4, v0
	s_mov_b32 s22, 0
                                        ; implicit-def: $sgpr23
	s_branch .LBB174_310
.LBB174_308:                            ;   in Loop: Header=BB174_310 Depth=2
	s_or_b32 exec_lo, exec_lo, s25
	s_waitcnt lgkmcnt(0)
	s_barrier
	buffer_gl0_inv
	ds_read_b32 v2, v3 offset:3072
	s_mov_b32 s25, -1
	s_waitcnt lgkmcnt(0)
	s_barrier
	buffer_gl0_inv
	v_cmp_ne_u32_sdwa s8, v2, v3 src0_sel:WORD_0 src1_sel:DWORD
	s_and_b32 vcc_lo, exec_lo, s8
	s_mov_b32 s8, -1
	s_cbranch_vccz .LBB174_313
.LBB174_309:                            ;   in Loop: Header=BB174_310 Depth=2
	s_and_b32 s1, exec_lo, s25
	s_or_b32 s22, s1, s22
	s_andn2_b32 s1, s23, exec_lo
	s_and_b32 s7, s8, exec_lo
	s_or_b32 s23, s1, s7
	s_andn2_b32 exec_lo, exec_lo, s22
	s_cbranch_execz .LBB174_314
.LBB174_310:                            ;   Parent Loop BB174_18 Depth=1
                                        ; =>  This Inner Loop Header: Depth=2
	s_mov_b32 s25, exec_lo
	v_cmpx_gt_u64_e64 s[36:37], v[4:5]
	s_cbranch_execz .LBB174_308
; %bb.311:                              ;   in Loop: Header=BB174_310 Depth=2
	v_mul_lo_u32 v2, v5, s30
	v_mul_lo_u32 v8, v4, s31
	v_mad_u64_u32 v[6:7], null, v4, s30, 0
	v_add3_u32 v7, v7, v8, v2
	v_lshlrev_b64 v[6:7], 1, v[6:7]
	v_add_co_u32 v6, vcc_lo, s29, v6
	v_add_co_ci_u32_e64 v7, null, s33, v7, vcc_lo
	global_load_ushort v2, v[6:7], off
	s_waitcnt vmcnt(0)
	v_add_nc_u32_sdwa v6, sext(v2), v31 dst_sel:DWORD dst_unused:UNUSED_PAD src0_sel:WORD_0 src1_sel:DWORD
	v_and_b32_e32 v6, v6, v32
	v_cmp_eq_u32_e32 vcc_lo, v6, v28
	s_and_b32 exec_lo, exec_lo, vcc_lo
	s_cbranch_execz .LBB174_308
; %bb.312:                              ;   in Loop: Header=BB174_310 Depth=2
	v_perm_b32 v2, v2, 1, 0x5040100
	ds_write_b32 v3, v2 offset:3072
	s_branch .LBB174_308
.LBB174_313:                            ;   in Loop: Header=BB174_310 Depth=2
	v_add_co_u32 v4, vcc_lo, v4, s35
	v_add_co_ci_u32_e64 v5, null, 0, v5, vcc_lo
	s_mov_b32 s8, 0
	v_cmp_le_u64_e32 vcc_lo, s[20:21], v[4:5]
	s_orn2_b32 s25, vcc_lo, exec_lo
	s_branch .LBB174_309
.LBB174_314:                            ;   in Loop: Header=BB174_18 Depth=1
	s_or_b32 exec_lo, exec_lo, s22
	v_lshrrev_b32_e32 v33, 16, v2
	s_andn2_b32 s1, s24, exec_lo
	s_and_b32 s7, s23, exec_lo
	s_or_b32 s24, s1, s7
.LBB174_315:                            ;   in Loop: Header=BB174_18 Depth=1
	s_or_b32 exec_lo, exec_lo, s9
	s_mov_b32 s27, 0
	s_mov_b32 s9, -1
.LBB174_316:                            ;   in Loop: Header=BB174_18 Depth=1
	s_orn2_b32 s20, s24, exec_lo
.LBB174_317:                            ;   in Loop: Header=BB174_18 Depth=1
	s_or_b32 exec_lo, exec_lo, s76
                                        ; implicit-def: $vgpr4_vgpr5
                                        ; implicit-def: $vgpr2
	s_and_saveexec_b32 s24, s20
	s_cbranch_execz .LBB174_475
; %bb.318:                              ;   in Loop: Header=BB174_18 Depth=1
	v_mov_b32_e32 v4, 1
	v_mov_b32_e32 v5, 0
	;; [unrolled: 1-line block ×3, first 2 shown]
	s_xor_b32 s8, s6, -1
	s_mov_b32 s20, 0
	s_and_saveexec_b32 s6, s8
	s_cbranch_execz .LBB174_327
; %bb.319:                              ;   in Loop: Header=BB174_18 Depth=1
	s_mov_b32 s8, exec_lo
	v_cmpx_ge_u64_e64 s[18:19], v[19:20]
	s_xor_b32 s20, exec_lo, s8
	s_cbranch_execz .LBB174_324
; %bb.320:                              ;   in Loop: Header=BB174_18 Depth=1
	ds_read_b64 v[4:5], v3 offset:5120
	v_or_b32_e32 v28, s11, v28
	v_or_b32_e32 v32, s11, v32
	s_waitcnt lgkmcnt(0)
	v_cmp_ne_u64_e32 vcc_lo, 0, v[4:5]
	s_cbranch_vccnz .LBB174_324
; %bb.321:                              ;   in Loop: Header=BB174_18 Depth=1
	s_and_saveexec_b32 s8, s3
; %bb.322:                              ;   in Loop: Header=BB174_18 Depth=1
	v_mov_b32_e32 v4, s18
	v_mov_b32_e32 v5, s19
	ds_write_b64 v3, v[4:5] offset:5128
; %bb.323:                              ;   in Loop: Header=BB174_18 Depth=1
	s_or_b32 exec_lo, exec_lo, s8
	s_waitcnt lgkmcnt(0)
	s_barrier
	buffer_gl0_inv
.LBB174_324:                            ;   in Loop: Header=BB174_18 Depth=1
	s_or_saveexec_b32 s20, s20
	v_mov_b32_e32 v2, 5
	s_mov_b32 s21, 0
	s_xor_b32 exec_lo, exec_lo, s20
; %bb.325:                              ;   in Loop: Header=BB174_18 Depth=1
	v_sub_co_u32 v19, vcc_lo, v19, s18
	v_subrev_co_ci_u32_e64 v20, null, s19, v20, vcc_lo
	v_mov_b32_e32 v2, 0
	s_mov_b32 s21, exec_lo
; %bb.326:                              ;   in Loop: Header=BB174_18 Depth=1
	s_or_b32 exec_lo, exec_lo, s20
	v_mov_b32_e32 v4, v19
	v_mov_b32_e32 v5, v20
	s_and_b32 s20, s21, exec_lo
.LBB174_327:                            ;   in Loop: Header=BB174_18 Depth=1
	s_or_b32 exec_lo, exec_lo, s6
	s_mov_b32 s18, -1
                                        ; implicit-def: $sgpr25
                                        ; implicit-def: $sgpr76
	s_and_saveexec_b32 s6, s20
	s_xor_b32 s6, exec_lo, s6
	s_cbranch_execz .LBB174_472
; %bb.328:                              ;   in Loop: Header=BB174_18 Depth=1
	v_cmp_eq_u64_e32 vcc_lo, 1, v[4:5]
	s_cmp_eq_u64 s[16:17], 1
                                        ; implicit-def: $sgpr76
                                        ; implicit-def: $sgpr25
	s_cselect_b32 s8, -1, 0
	s_and_b32 s77, s8, vcc_lo
	s_and_saveexec_b32 s78, s77
	s_cbranch_execz .LBB174_362
; %bb.329:                              ;   in Loop: Header=BB174_18 Depth=1
	ds_read_b64 v[6:7], v3 offset:5120
	s_waitcnt lgkmcnt(0)
	s_barrier
	buffer_gl0_inv
	v_readfirstlane_b32 s18, v6
	v_readfirstlane_b32 s19, v7
	s_and_saveexec_b32 s8, s10
; %bb.330:                              ;   in Loop: Header=BB174_18 Depth=1
	ds_write_b16 v26, v3
; %bb.331:                              ;   in Loop: Header=BB174_18 Depth=1
	s_or_b32 exec_lo, exec_lo, s8
	s_lshl_b32 s8, 2, s55
	v_or_b32_e32 v32, s11, v32
	v_and_or_b32 v28, v28, s26, s8
	s_mov_b32 s25, -1
	s_mov_b32 s76, 0
	s_cmp_eq_u64 s[18:19], 0
	s_mov_b32 s22, 0
	s_mov_b32 s23, -1
	s_waitcnt lgkmcnt(0)
	s_barrier
	buffer_gl0_inv
                                        ; implicit-def: $vgpr33
	s_cbranch_scc1 .LBB174_347
; %bb.332:                              ;   in Loop: Header=BB174_18 Depth=1
	s_add_u32 s72, s18, s94
	s_addc_u32 s21, s19, s95
	s_mov_b32 s20, s71
	s_cmp_lg_u64 s[20:21], 0
	s_cbranch_scc0 .LBB174_388
; %bb.333:                              ;   in Loop: Header=BB174_18 Depth=1
	v_cvt_f32_u32_e32 v6, s35
	s_sub_u32 s22, 0, s35
	s_subb_u32 s23, 0, 0
	v_fmac_f32_e64 v6, 0x4f800000, 0
	v_rcp_f32_e32 v6, v6
	v_mul_f32_e32 v6, 0x5f7ffffc, v6
	v_mul_f32_e32 v7, 0x2f800000, v6
	v_trunc_f32_e32 v7, v7
	v_fmac_f32_e32 v6, 0xcf800000, v7
	v_cvt_u32_f32_e32 v7, v7
	v_cvt_u32_f32_e32 v6, v6
	v_readfirstlane_b32 s8, v7
	v_readfirstlane_b32 s20, v6
	s_mul_i32 s28, s22, s8
	s_mul_hi_u32 s79, s22, s20
	s_mul_i32 s70, s23, s20
	s_add_i32 s28, s79, s28
	s_mul_i32 s80, s22, s20
	s_add_i32 s28, s28, s70
	s_mul_hi_u32 s79, s20, s80
	s_mul_i32 s82, s20, s28
	s_mul_hi_u32 s81, s8, s80
	s_mul_i32 s70, s8, s80
	s_mul_hi_u32 s80, s20, s28
	s_add_u32 s79, s79, s82
	s_addc_u32 s80, 0, s80
	s_mul_hi_u32 s83, s8, s28
	s_add_u32 s70, s79, s70
	s_mul_i32 s28, s8, s28
	s_addc_u32 s70, s80, s81
	s_addc_u32 s79, s83, 0
	s_add_u32 s28, s70, s28
	s_addc_u32 s70, 0, s79
	s_add_u32 s20, s20, s28
	s_cselect_b32 s28, -1, 0
	s_mul_hi_u32 s79, s22, s20
	s_cmp_lg_u32 s28, 0
	s_mul_i32 s28, s22, s20
	s_addc_u32 s8, s8, s70
	s_mul_i32 s23, s23, s20
	s_mul_i32 s22, s22, s8
	s_mul_hi_u32 s70, s20, s28
	s_add_i32 s22, s79, s22
	s_mul_hi_u32 s79, s8, s28
	s_add_i32 s22, s22, s23
	s_mul_i32 s23, s8, s28
	s_mul_i32 s81, s20, s22
	s_mul_hi_u32 s80, s20, s22
	s_add_u32 s70, s70, s81
	s_addc_u32 s80, 0, s80
	s_mul_hi_u32 s28, s8, s22
	s_add_u32 s23, s70, s23
	s_mul_i32 s22, s8, s22
	s_addc_u32 s23, s80, s79
	s_addc_u32 s28, s28, 0
	s_add_u32 s22, s23, s22
	s_addc_u32 s23, 0, s28
	s_add_u32 s20, s20, s22
	s_cselect_b32 s22, -1, 0
	s_mul_hi_u32 s28, s72, s20
	s_cmp_lg_u32 s22, 0
	s_mul_hi_u32 s22, s21, s20
	s_addc_u32 s8, s8, s23
	s_mul_i32 s20, s21, s20
	s_mul_i32 s70, s72, s8
	s_mul_hi_u32 s23, s72, s8
	s_add_u32 s28, s28, s70
	s_addc_u32 s23, 0, s23
	s_mul_hi_u32 s79, s21, s8
	s_add_u32 s20, s28, s20
	s_mul_i32 s8, s21, s8
	s_addc_u32 s20, s23, s22
	s_addc_u32 s22, s79, 0
	s_add_u32 s8, s20, s8
	s_addc_u32 s20, 0, s22
	s_mul_hi_u32 s22, s35, s8
	s_mul_i32 s20, s35, s20
	s_mul_i32 s8, s35, s8
	s_add_i32 s22, s22, s20
	s_sub_u32 s8, s72, s8
	s_cselect_b32 s20, -1, 0
	s_cmp_lg_u32 s20, 0
	s_subb_u32 s20, s21, s22
	s_sub_u32 s22, s8, s35
	s_cselect_b32 s23, -1, 0
	s_cmp_lg_u32 s23, 0
	s_subb_u32 s23, s20, 0
	;; [unrolled: 4-line block ×3, first 2 shown]
	s_cmp_ge_u32 s22, s35
	s_cselect_b32 s79, -1, 0
	s_cmp_eq_u32 s23, 0
	s_cselect_b32 s79, s79, -1
	s_cmp_lg_u32 s79, 0
	s_cselect_b32 s23, s70, s23
	s_cselect_b32 s22, s28, s22
	s_cmp_ge_u32 s8, s35
	s_cselect_b32 s28, -1, 0
	s_cmp_eq_u32 s20, 0
	s_cselect_b32 s28, s28, -1
	s_cmp_lg_u32 s28, 0
	s_cselect_b32 s23, s23, s20
	s_cselect_b32 s22, s22, s8
	s_cbranch_execnz .LBB174_335
.LBB174_334:                            ;   in Loop: Header=BB174_18 Depth=1
	v_cvt_f32_u32_e32 v6, s35
	s_sub_i32 s20, 0, s35
	v_rcp_iflag_f32_e32 v6, v6
	v_mul_f32_e32 v6, 0x4f7ffffe, v6
	v_cvt_u32_f32_e32 v6, v6
	v_readfirstlane_b32 s8, v6
	s_mul_i32 s20, s20, s8
	s_mul_hi_u32 s20, s8, s20
	s_add_i32 s8, s8, s20
	s_mul_hi_u32 s8, s72, s8
	s_mul_i32 s8, s8, s35
	s_sub_i32 s8, s72, s8
	s_sub_i32 s20, s8, s35
	s_cmp_ge_u32 s8, s35
	s_cselect_b32 s8, s20, s8
	s_sub_i32 s20, s8, s35
	s_cmp_ge_u32 s8, s35
	s_cselect_b32 s70, s20, s8
	s_mov_b64 s[22:23], s[70:71]
.LBB174_335:                            ;   in Loop: Header=BB174_18 Depth=1
	s_sub_u32 s20, s72, s22
	s_subb_u32 s21, s21, s23
	s_mov_b32 s23, 0
	s_mov_b32 s22, 0
	s_mov_b32 s70, exec_lo
                                        ; implicit-def: $vgpr33
	v_cmpx_gt_u64_e64 s[20:21], v[0:1]
	s_cbranch_execz .LBB174_346
; %bb.336:                              ;   in Loop: Header=BB174_18 Depth=1
	v_mov_b32_e32 v7, v1
	v_mov_b32_e32 v8, v25
	;; [unrolled: 1-line block ×3, first 2 shown]
                                        ; implicit-def: $sgpr72
	s_inst_prefetch 0x1
	s_branch .LBB174_339
	.p2align	6
.LBB174_337:                            ;   in Loop: Header=BB174_339 Depth=2
	s_or_b32 exec_lo, exec_lo, s79
	s_waitcnt lgkmcnt(0)
	s_barrier
	buffer_gl0_inv
	ds_read_b32 v9, v3 offset:3072
	s_mov_b32 s8, -1
	s_waitcnt lgkmcnt(0)
	s_barrier
	buffer_gl0_inv
	v_cmp_ne_u32_sdwa s28, v9, v3 src0_sel:WORD_0 src1_sel:DWORD
	s_and_b32 vcc_lo, exec_lo, s28
	s_mov_b32 s28, -1
	s_cbranch_vccz .LBB174_342
.LBB174_338:                            ;   in Loop: Header=BB174_339 Depth=2
	s_and_b32 s1, exec_lo, s8
	s_or_b32 s22, s1, s22
	s_andn2_b32 s1, s72, exec_lo
	s_and_b32 s7, s28, exec_lo
	s_or_b32 s72, s1, s7
	s_andn2_b32 exec_lo, exec_lo, s22
	s_cbranch_execz .LBB174_345
.LBB174_339:                            ;   Parent Loop BB174_18 Depth=1
                                        ; =>  This Inner Loop Header: Depth=2
	s_mov_b32 s79, exec_lo
	v_cmpx_gt_u64_e64 s[18:19], v[6:7]
	s_cbranch_execz .LBB174_337
; %bb.340:                              ;   in Loop: Header=BB174_339 Depth=2
	ds_read_u16 v9, v8
	s_waitcnt lgkmcnt(0)
	v_add_nc_u32_sdwa v10, sext(v9), v31 dst_sel:DWORD dst_unused:UNUSED_PAD src0_sel:WORD_0 src1_sel:DWORD
	v_and_b32_e32 v10, v10, v32
	v_cmp_eq_u32_e32 vcc_lo, v10, v28
	s_and_b32 exec_lo, exec_lo, vcc_lo
	s_cbranch_execz .LBB174_337
; %bb.341:                              ;   in Loop: Header=BB174_339 Depth=2
	v_perm_b32 v9, v9, 1, 0x5040100
	ds_write_b32 v3, v9 offset:3072
	s_branch .LBB174_337
.LBB174_342:                            ;   in Loop: Header=BB174_339 Depth=2
	v_add_co_u32 v6, vcc_lo, v6, s35
	v_add_co_ci_u32_e64 v7, null, 0, v7, vcc_lo
	v_add_nc_u32_e32 v8, s68, v8
	s_mov_b32 s28, 0
	v_cmp_le_u64_e32 vcc_lo, s[20:21], v[6:7]
	s_orn2_b32 s8, vcc_lo, exec_lo
	s_branch .LBB174_338
.LBB174_343:                            ;   in Loop: Header=BB174_18 Depth=1
                                        ; implicit-def: $sgpr24_sgpr25
	s_branch .LBB174_290
.LBB174_344:                            ;   in Loop: Header=BB174_18 Depth=1
                                        ; implicit-def: $sgpr20_sgpr21
	s_branch .LBB174_305
.LBB174_345:                            ;   in Loop: Header=BB174_18 Depth=1
	s_inst_prefetch 0x2
	s_or_b32 exec_lo, exec_lo, s22
	v_lshrrev_b32_e32 v33, 16, v9
	s_and_b32 s22, s72, exec_lo
.LBB174_346:                            ;   in Loop: Header=BB174_18 Depth=1
	s_or_b32 exec_lo, exec_lo, s70
.LBB174_347:                            ;   in Loop: Header=BB174_18 Depth=1
	s_and_b32 vcc_lo, exec_lo, s23
	s_cbranch_vccz .LBB174_361
; %bb.348:                              ;   in Loop: Header=BB174_18 Depth=1
	s_mov_b32 s72, s71
	s_cmp_lg_u64 s[72:73], 0
	s_cbranch_scc0 .LBB174_389
; %bb.349:                              ;   in Loop: Header=BB174_18 Depth=1
	v_cvt_f32_u32_e32 v6, s35
	s_sub_u32 s19, 0, s35
	s_subb_u32 s20, 0, 0
	v_fmac_f32_e64 v6, 0x4f800000, 0
	v_rcp_f32_e32 v6, v6
	v_mul_f32_e32 v6, 0x5f7ffffc, v6
	v_mul_f32_e32 v7, 0x2f800000, v6
	v_trunc_f32_e32 v7, v7
	v_fmac_f32_e32 v6, 0xcf800000, v7
	v_cvt_u32_f32_e32 v7, v7
	v_cvt_u32_f32_e32 v6, v6
	v_readfirstlane_b32 s8, v7
	v_readfirstlane_b32 s18, v6
	s_mul_i32 s21, s19, s8
	s_mul_hi_u32 s25, s19, s18
	s_mul_i32 s23, s20, s18
	s_add_i32 s21, s25, s21
	s_mul_i32 s28, s19, s18
	s_add_i32 s21, s21, s23
	s_mul_hi_u32 s25, s18, s28
	s_mul_i32 s72, s18, s21
	s_mul_hi_u32 s70, s8, s28
	s_mul_i32 s23, s8, s28
	s_mul_hi_u32 s28, s18, s21
	s_add_u32 s25, s25, s72
	s_addc_u32 s28, 0, s28
	s_mul_hi_u32 s76, s8, s21
	s_add_u32 s23, s25, s23
	s_mul_i32 s21, s8, s21
	s_addc_u32 s23, s28, s70
	s_addc_u32 s25, s76, 0
	s_add_u32 s21, s23, s21
	s_addc_u32 s23, 0, s25
	s_add_u32 s18, s18, s21
	s_cselect_b32 s21, -1, 0
	s_mul_hi_u32 s25, s19, s18
	s_cmp_lg_u32 s21, 0
	s_mul_i32 s21, s19, s18
	s_addc_u32 s8, s8, s23
	s_mul_i32 s20, s20, s18
	s_mul_i32 s19, s19, s8
	s_mul_hi_u32 s23, s18, s21
	s_add_i32 s19, s25, s19
	s_mul_hi_u32 s25, s8, s21
	s_add_i32 s19, s19, s20
	s_mul_i32 s20, s8, s21
	s_mul_i32 s70, s18, s19
	s_mul_hi_u32 s28, s18, s19
	s_add_u32 s23, s23, s70
	s_addc_u32 s28, 0, s28
	s_mul_hi_u32 s21, s8, s19
	s_add_u32 s20, s23, s20
	s_mul_i32 s19, s8, s19
	s_addc_u32 s20, s28, s25
	s_addc_u32 s21, s21, 0
	s_add_u32 s19, s20, s19
	s_addc_u32 s20, 0, s21
	s_add_u32 s18, s18, s19
	s_cselect_b32 s19, -1, 0
	s_mul_hi_u32 s21, s96, s18
	s_cmp_lg_u32 s19, 0
	s_mul_hi_u32 s19, s73, s18
	s_addc_u32 s8, s8, s20
	s_mul_i32 s18, s73, s18
	s_mul_i32 s23, s96, s8
	s_mul_hi_u32 s20, s96, s8
	s_add_u32 s21, s21, s23
	s_addc_u32 s20, 0, s20
	s_mul_hi_u32 s25, s73, s8
	s_add_u32 s18, s21, s18
	s_mul_i32 s8, s73, s8
	s_addc_u32 s18, s20, s19
	s_addc_u32 s19, s25, 0
	s_add_u32 s8, s18, s8
	s_addc_u32 s18, 0, s19
	s_mul_hi_u32 s19, s35, s8
	s_mul_i32 s18, s35, s18
	s_mul_i32 s8, s35, s8
	s_add_i32 s19, s19, s18
	s_sub_u32 s8, s96, s8
	s_cselect_b32 s18, -1, 0
	s_cmp_lg_u32 s18, 0
	s_subb_u32 s18, s73, s19
	s_sub_u32 s19, s8, s35
	s_cselect_b32 s20, -1, 0
	s_cmp_lg_u32 s20, 0
	s_subb_u32 s20, s18, 0
	;; [unrolled: 4-line block ×3, first 2 shown]
	s_cmp_ge_u32 s19, s35
	s_cselect_b32 s25, -1, 0
	s_cmp_eq_u32 s20, 0
	s_cselect_b32 s25, s25, -1
	s_cmp_lg_u32 s25, 0
	s_cselect_b32 s20, s23, s20
	s_cselect_b32 s21, s21, s19
	s_cmp_ge_u32 s8, s35
	s_cselect_b32 s19, -1, 0
	s_cmp_eq_u32 s18, 0
	s_cselect_b32 s19, s19, -1
	s_cmp_lg_u32 s19, 0
	s_cselect_b32 s19, s20, s18
	s_cselect_b32 s18, s21, s8
	s_cbranch_execnz .LBB174_351
.LBB174_350:                            ;   in Loop: Header=BB174_18 Depth=1
	v_cvt_f32_u32_e32 v6, s35
	s_sub_i32 s18, 0, s35
	v_rcp_iflag_f32_e32 v6, v6
	v_mul_f32_e32 v6, 0x4f7ffffe, v6
	v_cvt_u32_f32_e32 v6, v6
	v_readfirstlane_b32 s8, v6
	s_mul_i32 s18, s18, s8
	s_mul_hi_u32 s18, s8, s18
	s_add_i32 s8, s8, s18
	s_mul_hi_u32 s8, s96, s8
	s_mul_i32 s8, s8, s35
	s_sub_i32 s8, s96, s8
	s_sub_i32 s18, s8, s35
	s_cmp_ge_u32 s8, s35
	s_cselect_b32 s8, s18, s8
	s_sub_i32 s18, s8, s35
	s_cmp_ge_u32 s8, s35
	s_cselect_b32 s70, s18, s8
	s_mov_b64 s[18:19], s[70:71]
.LBB174_351:                            ;   in Loop: Header=BB174_18 Depth=1
	s_sub_u32 s18, s96, s18
	s_subb_u32 s19, s73, s19
	s_mov_b32 s20, exec_lo
                                        ; implicit-def: $vgpr33
	v_cmpx_gt_u64_e64 s[18:19], v[0:1]
	s_cbranch_execz .LBB174_360
; %bb.352:                              ;   in Loop: Header=BB174_18 Depth=1
	v_mov_b32_e32 v7, v1
	v_mov_b32_e32 v6, v0
	s_mov_b32 s21, 0
                                        ; implicit-def: $sgpr23
	s_branch .LBB174_355
.LBB174_353:                            ;   in Loop: Header=BB174_355 Depth=2
	s_or_b32 exec_lo, exec_lo, s25
	s_waitcnt lgkmcnt(0)
	s_barrier
	buffer_gl0_inv
	ds_read_b32 v8, v3 offset:3072
	s_mov_b32 s25, -1
	s_waitcnt lgkmcnt(0)
	s_barrier
	buffer_gl0_inv
	v_cmp_eq_u32_sdwa s8, v8, v3 src0_sel:WORD_0 src1_sel:DWORD
	s_and_b32 vcc_lo, exec_lo, s8
	s_mov_b32 s8, -1
	s_cbranch_vccnz .LBB174_358
.LBB174_354:                            ;   in Loop: Header=BB174_355 Depth=2
	s_and_b32 s1, exec_lo, s25
	s_or_b32 s21, s1, s21
	s_andn2_b32 s1, s23, exec_lo
	s_and_b32 s7, s8, exec_lo
	s_or_b32 s23, s1, s7
	s_andn2_b32 exec_lo, exec_lo, s21
	s_cbranch_execz .LBB174_359
.LBB174_355:                            ;   Parent Loop BB174_18 Depth=1
                                        ; =>  This Inner Loop Header: Depth=2
	s_mov_b32 s25, exec_lo
	v_cmpx_gt_u64_e64 s[36:37], v[6:7]
	s_cbranch_execz .LBB174_353
; %bb.356:                              ;   in Loop: Header=BB174_355 Depth=2
	v_mul_lo_u32 v10, v7, s30
	v_mul_lo_u32 v11, v6, s31
	v_mad_u64_u32 v[8:9], null, v6, s30, 0
	v_add3_u32 v9, v9, v11, v10
	v_lshlrev_b64 v[8:9], 1, v[8:9]
	v_add_co_u32 v8, vcc_lo, s29, v8
	v_add_co_ci_u32_e64 v9, null, s33, v9, vcc_lo
	global_load_ushort v8, v[8:9], off
	s_waitcnt vmcnt(0)
	v_add_nc_u32_sdwa v9, sext(v8), v31 dst_sel:DWORD dst_unused:UNUSED_PAD src0_sel:WORD_0 src1_sel:DWORD
	v_and_b32_e32 v9, v9, v32
	v_cmp_eq_u32_e32 vcc_lo, v9, v28
	s_and_b32 exec_lo, exec_lo, vcc_lo
	s_cbranch_execz .LBB174_353
; %bb.357:                              ;   in Loop: Header=BB174_355 Depth=2
	v_perm_b32 v8, v8, 1, 0x5040100
	ds_write_b32 v3, v8 offset:3072
	s_branch .LBB174_353
.LBB174_358:                            ;   in Loop: Header=BB174_355 Depth=2
	v_add_co_u32 v6, vcc_lo, v6, s35
	v_add_co_ci_u32_e64 v7, null, 0, v7, vcc_lo
	s_mov_b32 s8, 0
	v_cmp_le_u64_e32 vcc_lo, s[18:19], v[6:7]
	s_orn2_b32 s25, vcc_lo, exec_lo
	s_branch .LBB174_354
.LBB174_359:                            ;   in Loop: Header=BB174_18 Depth=1
	s_or_b32 exec_lo, exec_lo, s21
	v_lshrrev_b32_e32 v33, 16, v8
	s_andn2_b32 s1, s22, exec_lo
	s_and_b32 s7, s23, exec_lo
	s_or_b32 s22, s1, s7
.LBB174_360:                            ;   in Loop: Header=BB174_18 Depth=1
	s_or_b32 exec_lo, exec_lo, s20
	s_mov_b32 s25, 0
	s_mov_b32 s76, -1
.LBB174_361:                            ;   in Loop: Header=BB174_18 Depth=1
	s_orn2_b32 s18, s22, exec_lo
.LBB174_362:                            ;   in Loop: Header=BB174_18 Depth=1
	s_or_b32 exec_lo, exec_lo, s78
	s_mov_b32 s19, 0
	s_and_saveexec_b32 s22, s18
	s_cbranch_execz .LBB174_471
; %bb.363:                              ;   in Loop: Header=BB174_18 Depth=1
	v_mov_b32_e32 v6, 1
	v_mov_b32_e32 v7, 0
	;; [unrolled: 1-line block ×3, first 2 shown]
	s_xor_b32 s8, s77, -1
	s_and_saveexec_b32 s18, s8
	s_cbranch_execz .LBB174_372
; %bb.364:                              ;   in Loop: Header=BB174_18 Depth=1
	s_mov_b32 s8, exec_lo
	v_cmpx_ge_u64_e64 s[16:17], v[4:5]
	s_xor_b32 s19, exec_lo, s8
	s_cbranch_execz .LBB174_369
; %bb.365:                              ;   in Loop: Header=BB174_18 Depth=1
	ds_read_b64 v[6:7], v3 offset:5120
	s_lshl_b32 s8, 2, s55
	v_or_b32_e32 v32, s11, v32
	v_and_or_b32 v28, v28, s26, s8
	s_waitcnt lgkmcnt(0)
	v_cmp_ne_u64_e32 vcc_lo, 0, v[6:7]
	s_cbranch_vccnz .LBB174_369
; %bb.366:                              ;   in Loop: Header=BB174_18 Depth=1
	s_and_saveexec_b32 s8, s3
; %bb.367:                              ;   in Loop: Header=BB174_18 Depth=1
	v_mov_b32_e32 v6, s16
	v_mov_b32_e32 v7, s17
	ds_write_b64 v3, v[6:7] offset:5128
; %bb.368:                              ;   in Loop: Header=BB174_18 Depth=1
	s_or_b32 exec_lo, exec_lo, s8
	s_waitcnt lgkmcnt(0)
	s_barrier
	buffer_gl0_inv
.LBB174_369:                            ;   in Loop: Header=BB174_18 Depth=1
	s_or_saveexec_b32 s19, s19
	v_mov_b32_e32 v2, 5
	s_mov_b32 s20, 0
	s_xor_b32 exec_lo, exec_lo, s19
; %bb.370:                              ;   in Loop: Header=BB174_18 Depth=1
	v_sub_co_u32 v4, vcc_lo, v4, s16
	v_subrev_co_ci_u32_e64 v5, null, s17, v5, vcc_lo
	v_mov_b32_e32 v2, 0
	s_mov_b32 s20, exec_lo
; %bb.371:                              ;   in Loop: Header=BB174_18 Depth=1
	s_or_b32 exec_lo, exec_lo, s19
	v_mov_b32_e32 v7, v5
	v_mov_b32_e32 v6, v4
	s_and_b32 s19, s20, exec_lo
.LBB174_372:                            ;   in Loop: Header=BB174_18 Depth=1
	s_or_b32 exec_lo, exec_lo, s18
	s_mov_b32 s16, -1
                                        ; implicit-def: $sgpr77
                                        ; implicit-def: $sgpr78
	s_and_saveexec_b32 s23, s19
	s_cbranch_execz .LBB174_470
; %bb.373:                              ;   in Loop: Header=BB174_18 Depth=1
	v_cmp_eq_u64_e32 vcc_lo, 1, v[6:7]
	s_cmp_eq_u64 s[14:15], 1
                                        ; implicit-def: $sgpr78
                                        ; implicit-def: $sgpr77
	s_cselect_b32 s8, -1, 0
	s_and_b32 s79, s8, vcc_lo
	s_and_saveexec_b32 s80, s79
	s_cbranch_execz .LBB174_407
; %bb.374:                              ;   in Loop: Header=BB174_18 Depth=1
	ds_read_b64 v[4:5], v3 offset:5120
	s_waitcnt lgkmcnt(0)
	s_barrier
	buffer_gl0_inv
	v_readfirstlane_b32 s16, v4
	v_readfirstlane_b32 s17, v5
	s_and_saveexec_b32 s8, s10
; %bb.375:                              ;   in Loop: Header=BB174_18 Depth=1
	ds_write_b16 v26, v3
; %bb.376:                              ;   in Loop: Header=BB174_18 Depth=1
	s_or_b32 exec_lo, exec_lo, s8
	s_lshl_b32 s8, 1, s55
	v_or_b32_e32 v32, s11, v32
	v_and_or_b32 v28, v28, s26, s8
	s_mov_b32 s77, -1
	s_mov_b32 s78, 0
	s_cmp_eq_u64 s[16:17], 0
	s_mov_b32 s20, 0
	s_mov_b32 s21, -1
	s_waitcnt lgkmcnt(0)
	s_barrier
	buffer_gl0_inv
                                        ; implicit-def: $vgpr33
	s_cbranch_scc1 .LBB174_392
; %bb.377:                              ;   in Loop: Header=BB174_18 Depth=1
	s_add_u32 s72, s16, s94
	s_addc_u32 s19, s17, s95
	s_mov_b32 s18, s71
	s_cmp_lg_u64 s[18:19], 0
	s_cbranch_scc0 .LBB174_424
; %bb.378:                              ;   in Loop: Header=BB174_18 Depth=1
	v_cvt_f32_u32_e32 v4, s35
	s_sub_u32 s20, 0, s35
	s_subb_u32 s21, 0, 0
	v_fmac_f32_e64 v4, 0x4f800000, 0
	v_rcp_f32_e32 v4, v4
	v_mul_f32_e32 v4, 0x5f7ffffc, v4
	v_mul_f32_e32 v5, 0x2f800000, v4
	v_trunc_f32_e32 v5, v5
	v_fmac_f32_e32 v4, 0xcf800000, v5
	v_cvt_u32_f32_e32 v5, v5
	v_cvt_u32_f32_e32 v4, v4
	v_readfirstlane_b32 s8, v5
	v_readfirstlane_b32 s18, v4
	s_mul_i32 s28, s20, s8
	s_mul_hi_u32 s81, s20, s18
	s_mul_i32 s70, s21, s18
	s_add_i32 s28, s81, s28
	s_mul_i32 s82, s20, s18
	s_add_i32 s28, s28, s70
	s_mul_hi_u32 s81, s18, s82
	s_mul_i32 s84, s18, s28
	s_mul_hi_u32 s83, s8, s82
	s_mul_i32 s70, s8, s82
	s_mul_hi_u32 s82, s18, s28
	s_add_u32 s81, s81, s84
	s_addc_u32 s82, 0, s82
	s_mul_hi_u32 s85, s8, s28
	s_add_u32 s70, s81, s70
	s_mul_i32 s28, s8, s28
	s_addc_u32 s70, s82, s83
	s_addc_u32 s81, s85, 0
	s_add_u32 s28, s70, s28
	s_addc_u32 s70, 0, s81
	s_add_u32 s18, s18, s28
	s_cselect_b32 s28, -1, 0
	s_mul_hi_u32 s81, s20, s18
	s_cmp_lg_u32 s28, 0
	s_mul_i32 s28, s20, s18
	s_addc_u32 s8, s8, s70
	s_mul_i32 s21, s21, s18
	s_mul_i32 s20, s20, s8
	s_mul_hi_u32 s70, s18, s28
	s_add_i32 s20, s81, s20
	s_mul_hi_u32 s81, s8, s28
	s_add_i32 s20, s20, s21
	s_mul_i32 s21, s8, s28
	s_mul_i32 s83, s18, s20
	s_mul_hi_u32 s82, s18, s20
	s_add_u32 s70, s70, s83
	s_addc_u32 s82, 0, s82
	s_mul_hi_u32 s28, s8, s20
	s_add_u32 s21, s70, s21
	s_mul_i32 s20, s8, s20
	s_addc_u32 s21, s82, s81
	s_addc_u32 s28, s28, 0
	s_add_u32 s20, s21, s20
	s_addc_u32 s21, 0, s28
	s_add_u32 s18, s18, s20
	s_cselect_b32 s20, -1, 0
	s_mul_hi_u32 s28, s72, s18
	s_cmp_lg_u32 s20, 0
	s_mul_hi_u32 s20, s19, s18
	s_addc_u32 s8, s8, s21
	s_mul_i32 s18, s19, s18
	s_mul_i32 s70, s72, s8
	s_mul_hi_u32 s21, s72, s8
	s_add_u32 s28, s28, s70
	s_addc_u32 s21, 0, s21
	s_mul_hi_u32 s81, s19, s8
	s_add_u32 s18, s28, s18
	s_mul_i32 s8, s19, s8
	s_addc_u32 s18, s21, s20
	s_addc_u32 s20, s81, 0
	s_add_u32 s8, s18, s8
	s_addc_u32 s18, 0, s20
	s_mul_hi_u32 s20, s35, s8
	s_mul_i32 s18, s35, s18
	s_mul_i32 s8, s35, s8
	s_add_i32 s20, s20, s18
	s_sub_u32 s8, s72, s8
	s_cselect_b32 s18, -1, 0
	s_cmp_lg_u32 s18, 0
	s_subb_u32 s18, s19, s20
	s_sub_u32 s20, s8, s35
	s_cselect_b32 s21, -1, 0
	s_cmp_lg_u32 s21, 0
	s_subb_u32 s21, s18, 0
	;; [unrolled: 4-line block ×3, first 2 shown]
	s_cmp_ge_u32 s20, s35
	s_cselect_b32 s81, -1, 0
	s_cmp_eq_u32 s21, 0
	s_cselect_b32 s81, s81, -1
	s_cmp_lg_u32 s81, 0
	s_cselect_b32 s21, s70, s21
	s_cselect_b32 s20, s28, s20
	s_cmp_ge_u32 s8, s35
	s_cselect_b32 s28, -1, 0
	s_cmp_eq_u32 s18, 0
	s_cselect_b32 s28, s28, -1
	s_cmp_lg_u32 s28, 0
	s_cselect_b32 s21, s21, s18
	s_cselect_b32 s20, s20, s8
	s_cbranch_execnz .LBB174_380
.LBB174_379:                            ;   in Loop: Header=BB174_18 Depth=1
	v_cvt_f32_u32_e32 v4, s35
	s_sub_i32 s18, 0, s35
	v_rcp_iflag_f32_e32 v4, v4
	v_mul_f32_e32 v4, 0x4f7ffffe, v4
	v_cvt_u32_f32_e32 v4, v4
	v_readfirstlane_b32 s8, v4
	s_mul_i32 s18, s18, s8
	s_mul_hi_u32 s18, s8, s18
	s_add_i32 s8, s8, s18
	s_mul_hi_u32 s8, s72, s8
	s_mul_i32 s8, s8, s35
	s_sub_i32 s8, s72, s8
	s_sub_i32 s18, s8, s35
	s_cmp_ge_u32 s8, s35
	s_cselect_b32 s8, s18, s8
	s_sub_i32 s18, s8, s35
	s_cmp_ge_u32 s8, s35
	s_cselect_b32 s70, s18, s8
	s_mov_b64 s[20:21], s[70:71]
.LBB174_380:                            ;   in Loop: Header=BB174_18 Depth=1
	s_sub_u32 s18, s72, s20
	s_subb_u32 s19, s19, s21
	s_mov_b32 s21, 0
	s_mov_b32 s20, 0
	s_mov_b32 s70, exec_lo
                                        ; implicit-def: $vgpr33
	v_cmpx_gt_u64_e64 s[18:19], v[0:1]
	s_cbranch_execz .LBB174_391
; %bb.381:                              ;   in Loop: Header=BB174_18 Depth=1
	v_mov_b32_e32 v5, v1
	v_mov_b32_e32 v8, v25
	v_mov_b32_e32 v4, v0
                                        ; implicit-def: $sgpr72
	s_inst_prefetch 0x1
	s_branch .LBB174_384
	.p2align	6
.LBB174_382:                            ;   in Loop: Header=BB174_384 Depth=2
	s_or_b32 exec_lo, exec_lo, s81
	s_waitcnt lgkmcnt(0)
	s_barrier
	buffer_gl0_inv
	ds_read_b32 v9, v3 offset:3072
	s_mov_b32 s8, -1
	s_waitcnt lgkmcnt(0)
	s_barrier
	buffer_gl0_inv
	v_cmp_ne_u32_sdwa s28, v9, v3 src0_sel:WORD_0 src1_sel:DWORD
	s_and_b32 vcc_lo, exec_lo, s28
	s_mov_b32 s28, -1
	s_cbranch_vccz .LBB174_387
.LBB174_383:                            ;   in Loop: Header=BB174_384 Depth=2
	s_and_b32 s1, exec_lo, s8
	s_or_b32 s20, s1, s20
	s_andn2_b32 s1, s72, exec_lo
	s_and_b32 s7, s28, exec_lo
	s_or_b32 s72, s1, s7
	s_andn2_b32 exec_lo, exec_lo, s20
	s_cbranch_execz .LBB174_390
.LBB174_384:                            ;   Parent Loop BB174_18 Depth=1
                                        ; =>  This Inner Loop Header: Depth=2
	s_mov_b32 s81, exec_lo
	v_cmpx_gt_u64_e64 s[16:17], v[4:5]
	s_cbranch_execz .LBB174_382
; %bb.385:                              ;   in Loop: Header=BB174_384 Depth=2
	ds_read_u16 v9, v8
	s_waitcnt lgkmcnt(0)
	v_add_nc_u32_sdwa v10, sext(v9), v31 dst_sel:DWORD dst_unused:UNUSED_PAD src0_sel:WORD_0 src1_sel:DWORD
	v_and_b32_e32 v10, v10, v32
	v_cmp_eq_u32_e32 vcc_lo, v10, v28
	s_and_b32 exec_lo, exec_lo, vcc_lo
	s_cbranch_execz .LBB174_382
; %bb.386:                              ;   in Loop: Header=BB174_384 Depth=2
	v_perm_b32 v9, v9, 1, 0x5040100
	ds_write_b32 v3, v9 offset:3072
	s_branch .LBB174_382
.LBB174_387:                            ;   in Loop: Header=BB174_384 Depth=2
	v_add_co_u32 v4, vcc_lo, v4, s35
	v_add_co_ci_u32_e64 v5, null, 0, v5, vcc_lo
	v_add_nc_u32_e32 v8, s68, v8
	s_mov_b32 s28, 0
	v_cmp_le_u64_e32 vcc_lo, s[18:19], v[4:5]
	s_orn2_b32 s8, vcc_lo, exec_lo
	s_branch .LBB174_383
.LBB174_388:                            ;   in Loop: Header=BB174_18 Depth=1
                                        ; implicit-def: $sgpr22_sgpr23
	s_branch .LBB174_334
.LBB174_389:                            ;   in Loop: Header=BB174_18 Depth=1
                                        ; implicit-def: $sgpr18_sgpr19
	s_branch .LBB174_350
.LBB174_390:                            ;   in Loop: Header=BB174_18 Depth=1
	s_inst_prefetch 0x2
	s_or_b32 exec_lo, exec_lo, s20
	v_lshrrev_b32_e32 v33, 16, v9
	s_and_b32 s20, s72, exec_lo
.LBB174_391:                            ;   in Loop: Header=BB174_18 Depth=1
	s_or_b32 exec_lo, exec_lo, s70
.LBB174_392:                            ;   in Loop: Header=BB174_18 Depth=1
	s_and_b32 vcc_lo, exec_lo, s21
	s_cbranch_vccz .LBB174_406
; %bb.393:                              ;   in Loop: Header=BB174_18 Depth=1
	s_mov_b32 s72, s71
	s_cmp_lg_u64 s[72:73], 0
	s_cbranch_scc0 .LBB174_425
; %bb.394:                              ;   in Loop: Header=BB174_18 Depth=1
	v_cvt_f32_u32_e32 v4, s35
	s_sub_u32 s17, 0, s35
	s_subb_u32 s18, 0, 0
	v_fmac_f32_e64 v4, 0x4f800000, 0
	v_rcp_f32_e32 v4, v4
	v_mul_f32_e32 v4, 0x5f7ffffc, v4
	v_mul_f32_e32 v5, 0x2f800000, v4
	v_trunc_f32_e32 v5, v5
	v_fmac_f32_e32 v4, 0xcf800000, v5
	v_cvt_u32_f32_e32 v5, v5
	v_cvt_u32_f32_e32 v4, v4
	v_readfirstlane_b32 s8, v5
	v_readfirstlane_b32 s16, v4
	s_mul_i32 s19, s17, s8
	s_mul_hi_u32 s28, s17, s16
	s_mul_i32 s21, s18, s16
	s_add_i32 s19, s28, s19
	s_mul_i32 s70, s17, s16
	s_add_i32 s19, s19, s21
	s_mul_hi_u32 s28, s16, s70
	s_mul_i32 s77, s16, s19
	s_mul_hi_u32 s72, s8, s70
	s_mul_i32 s21, s8, s70
	s_mul_hi_u32 s70, s16, s19
	s_add_u32 s28, s28, s77
	s_addc_u32 s70, 0, s70
	s_mul_hi_u32 s78, s8, s19
	s_add_u32 s21, s28, s21
	s_mul_i32 s19, s8, s19
	s_addc_u32 s21, s70, s72
	s_addc_u32 s28, s78, 0
	s_add_u32 s19, s21, s19
	s_addc_u32 s21, 0, s28
	s_add_u32 s16, s16, s19
	s_cselect_b32 s19, -1, 0
	s_mul_hi_u32 s28, s17, s16
	s_cmp_lg_u32 s19, 0
	s_mul_i32 s19, s17, s16
	s_addc_u32 s8, s8, s21
	s_mul_i32 s18, s18, s16
	s_mul_i32 s17, s17, s8
	s_mul_hi_u32 s21, s16, s19
	s_add_i32 s17, s28, s17
	s_mul_hi_u32 s28, s8, s19
	s_add_i32 s17, s17, s18
	s_mul_i32 s18, s8, s19
	s_mul_i32 s72, s16, s17
	s_mul_hi_u32 s70, s16, s17
	s_add_u32 s21, s21, s72
	s_addc_u32 s70, 0, s70
	s_mul_hi_u32 s19, s8, s17
	s_add_u32 s18, s21, s18
	s_mul_i32 s17, s8, s17
	s_addc_u32 s18, s70, s28
	s_addc_u32 s19, s19, 0
	s_add_u32 s17, s18, s17
	s_addc_u32 s18, 0, s19
	s_add_u32 s16, s16, s17
	s_cselect_b32 s17, -1, 0
	s_mul_hi_u32 s19, s96, s16
	s_cmp_lg_u32 s17, 0
	s_mul_hi_u32 s17, s73, s16
	s_addc_u32 s8, s8, s18
	s_mul_i32 s16, s73, s16
	s_mul_i32 s21, s96, s8
	s_mul_hi_u32 s18, s96, s8
	s_add_u32 s19, s19, s21
	s_addc_u32 s18, 0, s18
	s_mul_hi_u32 s28, s73, s8
	s_add_u32 s16, s19, s16
	s_mul_i32 s8, s73, s8
	s_addc_u32 s16, s18, s17
	s_addc_u32 s17, s28, 0
	s_add_u32 s8, s16, s8
	s_addc_u32 s16, 0, s17
	s_mul_hi_u32 s17, s35, s8
	s_mul_i32 s16, s35, s16
	s_mul_i32 s8, s35, s8
	s_add_i32 s17, s17, s16
	s_sub_u32 s8, s96, s8
	s_cselect_b32 s16, -1, 0
	s_cmp_lg_u32 s16, 0
	s_subb_u32 s16, s73, s17
	s_sub_u32 s17, s8, s35
	s_cselect_b32 s18, -1, 0
	s_cmp_lg_u32 s18, 0
	s_subb_u32 s18, s16, 0
	;; [unrolled: 4-line block ×3, first 2 shown]
	s_cmp_ge_u32 s17, s35
	s_cselect_b32 s28, -1, 0
	s_cmp_eq_u32 s18, 0
	s_cselect_b32 s28, s28, -1
	s_cmp_lg_u32 s28, 0
	s_cselect_b32 s18, s21, s18
	s_cselect_b32 s19, s19, s17
	s_cmp_ge_u32 s8, s35
	s_cselect_b32 s17, -1, 0
	s_cmp_eq_u32 s16, 0
	s_cselect_b32 s17, s17, -1
	s_cmp_lg_u32 s17, 0
	s_cselect_b32 s17, s18, s16
	s_cselect_b32 s16, s19, s8
	s_cbranch_execnz .LBB174_396
.LBB174_395:                            ;   in Loop: Header=BB174_18 Depth=1
	v_cvt_f32_u32_e32 v4, s35
	s_sub_i32 s16, 0, s35
	v_rcp_iflag_f32_e32 v4, v4
	v_mul_f32_e32 v4, 0x4f7ffffe, v4
	v_cvt_u32_f32_e32 v4, v4
	v_readfirstlane_b32 s8, v4
	s_mul_i32 s16, s16, s8
	s_mul_hi_u32 s16, s8, s16
	s_add_i32 s8, s8, s16
	s_mul_hi_u32 s8, s96, s8
	s_mul_i32 s8, s8, s35
	s_sub_i32 s8, s96, s8
	s_sub_i32 s16, s8, s35
	s_cmp_ge_u32 s8, s35
	s_cselect_b32 s8, s16, s8
	s_sub_i32 s16, s8, s35
	s_cmp_ge_u32 s8, s35
	s_cselect_b32 s70, s16, s8
	s_mov_b64 s[16:17], s[70:71]
.LBB174_396:                            ;   in Loop: Header=BB174_18 Depth=1
	s_sub_u32 s16, s96, s16
	s_subb_u32 s17, s73, s17
	s_mov_b32 s18, exec_lo
                                        ; implicit-def: $vgpr33
	v_cmpx_gt_u64_e64 s[16:17], v[0:1]
	s_cbranch_execz .LBB174_405
; %bb.397:                              ;   in Loop: Header=BB174_18 Depth=1
	v_mov_b32_e32 v5, v1
	v_mov_b32_e32 v4, v0
	s_mov_b32 s19, 0
                                        ; implicit-def: $sgpr21
	s_branch .LBB174_400
.LBB174_398:                            ;   in Loop: Header=BB174_400 Depth=2
	s_or_b32 exec_lo, exec_lo, s70
	s_waitcnt lgkmcnt(0)
	s_barrier
	buffer_gl0_inv
	ds_read_b32 v8, v3 offset:3072
	s_mov_b32 s28, -1
	s_waitcnt lgkmcnt(0)
	s_barrier
	buffer_gl0_inv
	v_cmp_eq_u32_sdwa s8, v8, v3 src0_sel:WORD_0 src1_sel:DWORD
	s_and_b32 vcc_lo, exec_lo, s8
	s_mov_b32 s8, -1
	s_cbranch_vccnz .LBB174_403
.LBB174_399:                            ;   in Loop: Header=BB174_400 Depth=2
	s_and_b32 s1, exec_lo, s28
	s_or_b32 s19, s1, s19
	s_andn2_b32 s1, s21, exec_lo
	s_and_b32 s7, s8, exec_lo
	s_or_b32 s21, s1, s7
	s_andn2_b32 exec_lo, exec_lo, s19
	s_cbranch_execz .LBB174_404
.LBB174_400:                            ;   Parent Loop BB174_18 Depth=1
                                        ; =>  This Inner Loop Header: Depth=2
	s_mov_b32 s70, exec_lo
	v_cmpx_gt_u64_e64 s[36:37], v[4:5]
	s_cbranch_execz .LBB174_398
; %bb.401:                              ;   in Loop: Header=BB174_400 Depth=2
	v_mul_lo_u32 v10, v5, s30
	v_mul_lo_u32 v11, v4, s31
	v_mad_u64_u32 v[8:9], null, v4, s30, 0
	v_add3_u32 v9, v9, v11, v10
	v_lshlrev_b64 v[8:9], 1, v[8:9]
	v_add_co_u32 v8, vcc_lo, s29, v8
	v_add_co_ci_u32_e64 v9, null, s33, v9, vcc_lo
	global_load_ushort v8, v[8:9], off
	s_waitcnt vmcnt(0)
	v_add_nc_u32_sdwa v9, sext(v8), v31 dst_sel:DWORD dst_unused:UNUSED_PAD src0_sel:WORD_0 src1_sel:DWORD
	v_and_b32_e32 v9, v9, v32
	v_cmp_eq_u32_e32 vcc_lo, v9, v28
	s_and_b32 exec_lo, exec_lo, vcc_lo
	s_cbranch_execz .LBB174_398
; %bb.402:                              ;   in Loop: Header=BB174_400 Depth=2
	v_perm_b32 v8, v8, 1, 0x5040100
	ds_write_b32 v3, v8 offset:3072
	s_branch .LBB174_398
.LBB174_403:                            ;   in Loop: Header=BB174_400 Depth=2
	v_add_co_u32 v4, vcc_lo, v4, s35
	v_add_co_ci_u32_e64 v5, null, 0, v5, vcc_lo
	s_mov_b32 s8, 0
	v_cmp_le_u64_e32 vcc_lo, s[16:17], v[4:5]
	s_orn2_b32 s28, vcc_lo, exec_lo
	s_branch .LBB174_399
.LBB174_404:                            ;   in Loop: Header=BB174_18 Depth=1
	s_or_b32 exec_lo, exec_lo, s19
	v_lshrrev_b32_e32 v33, 16, v8
	s_andn2_b32 s1, s20, exec_lo
	s_and_b32 s7, s21, exec_lo
	s_or_b32 s20, s1, s7
.LBB174_405:                            ;   in Loop: Header=BB174_18 Depth=1
	s_or_b32 exec_lo, exec_lo, s18
	s_mov_b32 s77, 0
	s_mov_b32 s78, -1
.LBB174_406:                            ;   in Loop: Header=BB174_18 Depth=1
	s_orn2_b32 s16, s20, exec_lo
.LBB174_407:                            ;   in Loop: Header=BB174_18 Depth=1
	s_or_b32 exec_lo, exec_lo, s80
	s_mov_b32 s17, 0
	s_and_saveexec_b32 s20, s16
	s_cbranch_execz .LBB174_469
; %bb.408:                              ;   in Loop: Header=BB174_18 Depth=1
	v_mov_b32_e32 v4, 1
	v_mov_b32_e32 v5, 0
	;; [unrolled: 1-line block ×3, first 2 shown]
	s_xor_b32 s8, s79, -1
	s_and_saveexec_b32 s16, s8
	s_cbranch_execz .LBB174_417
; %bb.409:                              ;   in Loop: Header=BB174_18 Depth=1
	s_mov_b32 s8, exec_lo
	v_cmpx_ge_u64_e64 s[14:15], v[6:7]
	s_xor_b32 s17, exec_lo, s8
	s_cbranch_execz .LBB174_414
; %bb.410:                              ;   in Loop: Header=BB174_18 Depth=1
	ds_read_b64 v[4:5], v3 offset:5120
	s_lshl_b32 s8, 1, s55
	v_or_b32_e32 v32, s11, v32
	v_and_or_b32 v28, v28, s26, s8
	s_waitcnt lgkmcnt(0)
	v_cmp_ne_u64_e32 vcc_lo, 0, v[4:5]
	s_cbranch_vccnz .LBB174_414
; %bb.411:                              ;   in Loop: Header=BB174_18 Depth=1
	s_and_saveexec_b32 s8, s3
; %bb.412:                              ;   in Loop: Header=BB174_18 Depth=1
	v_mov_b32_e32 v4, s14
	v_mov_b32_e32 v5, s15
	ds_write_b64 v3, v[4:5] offset:5128
; %bb.413:                              ;   in Loop: Header=BB174_18 Depth=1
	s_or_b32 exec_lo, exec_lo, s8
	s_waitcnt lgkmcnt(0)
	s_barrier
	buffer_gl0_inv
.LBB174_414:                            ;   in Loop: Header=BB174_18 Depth=1
	s_or_saveexec_b32 s17, s17
	v_mov_b32_e32 v2, 5
	s_mov_b32 s18, 0
	s_xor_b32 exec_lo, exec_lo, s17
; %bb.415:                              ;   in Loop: Header=BB174_18 Depth=1
	v_sub_co_u32 v6, vcc_lo, v6, s14
	v_subrev_co_ci_u32_e64 v7, null, s15, v7, vcc_lo
	v_mov_b32_e32 v2, 0
	s_mov_b32 s18, exec_lo
; %bb.416:                              ;   in Loop: Header=BB174_18 Depth=1
	s_or_b32 exec_lo, exec_lo, s17
	v_mov_b32_e32 v4, v6
	v_mov_b32_e32 v5, v7
	s_and_b32 s17, s18, exec_lo
.LBB174_417:                            ;   in Loop: Header=BB174_18 Depth=1
	s_or_b32 exec_lo, exec_lo, s16
	s_mov_b32 s14, -1
                                        ; implicit-def: $sgpr81
                                        ; implicit-def: $sgpr72
	s_and_saveexec_b32 s21, s17
	s_cbranch_execz .LBB174_468
; %bb.418:                              ;   in Loop: Header=BB174_18 Depth=1
	v_cmp_eq_u64_e32 vcc_lo, 1, v[4:5]
	s_cmp_eq_u64 s[12:13], 1
	s_mov_b32 s15, -1
	s_cselect_b32 s8, -1, 0
                                        ; implicit-def: $sgpr81
                                        ; implicit-def: $sgpr72
	s_and_b32 s79, s8, vcc_lo
	s_and_saveexec_b32 s80, s79
	s_cbranch_execz .LBB174_456
; %bb.419:                              ;   in Loop: Header=BB174_18 Depth=1
	ds_read_b64 v[6:7], v3 offset:5120
	s_waitcnt lgkmcnt(0)
	s_barrier
	buffer_gl0_inv
	v_readfirstlane_b32 s14, v6
	v_readfirstlane_b32 s15, v7
	s_and_saveexec_b32 s8, s10
; %bb.420:                              ;   in Loop: Header=BB174_18 Depth=1
	ds_write_b16 v26, v3
; %bb.421:                              ;   in Loop: Header=BB174_18 Depth=1
	s_or_b32 exec_lo, exec_lo, s8
	v_and_b32_e32 v28, s26, v28
	v_or_b32_e32 v32, s11, v32
	s_mov_b32 s72, -1
	s_mov_b32 s81, 0
	s_cmp_eq_u64 s[14:15], 0
	s_mov_b32 s18, 0
	s_mov_b32 s19, -1
	s_waitcnt lgkmcnt(0)
	s_barrier
	buffer_gl0_inv
                                        ; implicit-def: $vgpr33
	s_cbranch_scc1 .LBB174_439
; %bb.422:                              ;   in Loop: Header=BB174_18 Depth=1
	s_add_u32 s82, s14, s94
	s_addc_u32 s17, s15, s95
	s_mov_b32 s16, s71
	s_cmp_lg_u64 s[16:17], 0
	s_cbranch_scc0 .LBB174_426
; %bb.423:                              ;   in Loop: Header=BB174_18 Depth=1
	v_cvt_f32_u32_e32 v6, s35
	s_sub_u32 s18, 0, s35
	s_subb_u32 s19, 0, 0
	v_fmac_f32_e64 v6, 0x4f800000, 0
	v_rcp_f32_e32 v6, v6
	v_mul_f32_e32 v6, 0x5f7ffffc, v6
	v_mul_f32_e32 v7, 0x2f800000, v6
	v_trunc_f32_e32 v7, v7
	v_fmac_f32_e32 v6, 0xcf800000, v7
	v_cvt_u32_f32_e32 v7, v7
	v_cvt_u32_f32_e32 v6, v6
	v_readfirstlane_b32 s8, v7
	v_readfirstlane_b32 s16, v6
	s_mul_i32 s28, s18, s8
	s_mul_hi_u32 s83, s18, s16
	s_mul_i32 s70, s19, s16
	s_add_i32 s28, s83, s28
	s_mul_i32 s84, s18, s16
	s_add_i32 s28, s28, s70
	s_mul_hi_u32 s83, s16, s84
	s_mul_i32 s86, s16, s28
	s_mul_hi_u32 s85, s8, s84
	s_mul_i32 s70, s8, s84
	s_mul_hi_u32 s84, s16, s28
	s_add_u32 s83, s83, s86
	s_addc_u32 s84, 0, s84
	s_mul_hi_u32 s87, s8, s28
	s_add_u32 s70, s83, s70
	s_mul_i32 s28, s8, s28
	s_addc_u32 s70, s84, s85
	s_addc_u32 s83, s87, 0
	s_add_u32 s28, s70, s28
	s_addc_u32 s70, 0, s83
	s_add_u32 s16, s16, s28
	s_cselect_b32 s28, -1, 0
	s_mul_hi_u32 s83, s18, s16
	s_cmp_lg_u32 s28, 0
	s_mul_i32 s28, s18, s16
	s_addc_u32 s8, s8, s70
	s_mul_i32 s19, s19, s16
	s_mul_i32 s18, s18, s8
	s_mul_hi_u32 s70, s16, s28
	s_add_i32 s18, s83, s18
	s_mul_hi_u32 s83, s8, s28
	s_add_i32 s18, s18, s19
	s_mul_i32 s19, s8, s28
	s_mul_i32 s85, s16, s18
	s_mul_hi_u32 s84, s16, s18
	s_add_u32 s70, s70, s85
	s_addc_u32 s84, 0, s84
	s_mul_hi_u32 s28, s8, s18
	s_add_u32 s19, s70, s19
	s_mul_i32 s18, s8, s18
	s_addc_u32 s19, s84, s83
	s_addc_u32 s28, s28, 0
	s_add_u32 s18, s19, s18
	s_addc_u32 s19, 0, s28
	s_add_u32 s16, s16, s18
	s_cselect_b32 s18, -1, 0
	s_mul_hi_u32 s28, s82, s16
	s_cmp_lg_u32 s18, 0
	s_mul_hi_u32 s18, s17, s16
	s_addc_u32 s8, s8, s19
	s_mul_i32 s16, s17, s16
	s_mul_i32 s70, s82, s8
	s_mul_hi_u32 s19, s82, s8
	s_add_u32 s28, s28, s70
	s_addc_u32 s19, 0, s19
	s_mul_hi_u32 s83, s17, s8
	s_add_u32 s16, s28, s16
	s_mul_i32 s8, s17, s8
	s_addc_u32 s16, s19, s18
	s_addc_u32 s18, s83, 0
	s_add_u32 s8, s16, s8
	s_addc_u32 s16, 0, s18
	s_mul_hi_u32 s18, s35, s8
	s_mul_i32 s16, s35, s16
	s_mul_i32 s8, s35, s8
	s_add_i32 s18, s18, s16
	s_sub_u32 s8, s82, s8
	s_cselect_b32 s16, -1, 0
	s_cmp_lg_u32 s16, 0
	s_subb_u32 s16, s17, s18
	s_sub_u32 s18, s8, s35
	s_cselect_b32 s19, -1, 0
	s_cmp_lg_u32 s19, 0
	s_subb_u32 s19, s16, 0
	;; [unrolled: 4-line block ×3, first 2 shown]
	s_cmp_ge_u32 s18, s35
	s_cselect_b32 s83, -1, 0
	s_cmp_eq_u32 s19, 0
	s_cselect_b32 s83, s83, -1
	s_cmp_lg_u32 s83, 0
	s_cselect_b32 s19, s70, s19
	s_cselect_b32 s18, s28, s18
	s_cmp_ge_u32 s8, s35
	s_cselect_b32 s28, -1, 0
	s_cmp_eq_u32 s16, 0
	s_cselect_b32 s28, s28, -1
	s_cmp_lg_u32 s28, 0
	s_cselect_b32 s19, s19, s16
	s_cselect_b32 s18, s18, s8
	s_mov_b32 s8, 0
	s_branch .LBB174_427
.LBB174_424:                            ;   in Loop: Header=BB174_18 Depth=1
                                        ; implicit-def: $sgpr20_sgpr21
	s_branch .LBB174_379
.LBB174_425:                            ;   in Loop: Header=BB174_18 Depth=1
                                        ; implicit-def: $sgpr16_sgpr17
	s_branch .LBB174_395
.LBB174_426:                            ;   in Loop: Header=BB174_18 Depth=1
	s_mov_b32 s8, -1
                                        ; implicit-def: $sgpr18_sgpr19
.LBB174_427:                            ;   in Loop: Header=BB174_18 Depth=1
	s_andn2_b32 vcc_lo, exec_lo, s8
	s_cbranch_vccnz .LBB174_429
; %bb.428:                              ;   in Loop: Header=BB174_18 Depth=1
	v_cvt_f32_u32_e32 v6, s35
	s_sub_i32 s16, 0, s35
	v_rcp_iflag_f32_e32 v6, v6
	v_mul_f32_e32 v6, 0x4f7ffffe, v6
	v_cvt_u32_f32_e32 v6, v6
	v_readfirstlane_b32 s8, v6
	s_mul_i32 s16, s16, s8
	s_mul_hi_u32 s16, s8, s16
	s_add_i32 s8, s8, s16
	s_mul_hi_u32 s8, s82, s8
	s_mul_i32 s8, s8, s35
	s_sub_i32 s8, s82, s8
	s_sub_i32 s16, s8, s35
	s_cmp_ge_u32 s8, s35
	s_cselect_b32 s8, s16, s8
	s_sub_i32 s16, s8, s35
	s_cmp_ge_u32 s8, s35
	s_cselect_b32 s70, s16, s8
	s_mov_b64 s[18:19], s[70:71]
.LBB174_429:                            ;   in Loop: Header=BB174_18 Depth=1
	s_sub_u32 s16, s82, s18
	s_subb_u32 s17, s17, s19
	s_mov_b32 s19, 0
	s_mov_b32 s18, 0
	s_mov_b32 s70, exec_lo
                                        ; implicit-def: $vgpr33
	v_cmpx_gt_u64_e64 s[16:17], v[0:1]
	s_cbranch_execz .LBB174_438
; %bb.430:                              ;   in Loop: Header=BB174_18 Depth=1
	v_mov_b32_e32 v7, v1
	v_mov_b32_e32 v8, v25
	;; [unrolled: 1-line block ×3, first 2 shown]
                                        ; implicit-def: $sgpr82
	s_inst_prefetch 0x1
	s_branch .LBB174_433
	.p2align	6
.LBB174_431:                            ;   in Loop: Header=BB174_433 Depth=2
	s_or_b32 exec_lo, exec_lo, s83
	s_waitcnt lgkmcnt(0)
	s_barrier
	buffer_gl0_inv
	ds_read_b32 v9, v3 offset:3072
	s_mov_b32 s8, -1
	s_waitcnt lgkmcnt(0)
	s_barrier
	buffer_gl0_inv
	v_cmp_ne_u32_sdwa s28, v9, v3 src0_sel:WORD_0 src1_sel:DWORD
	s_and_b32 vcc_lo, exec_lo, s28
	s_mov_b32 s28, -1
	s_cbranch_vccz .LBB174_436
.LBB174_432:                            ;   in Loop: Header=BB174_433 Depth=2
	s_and_b32 s1, exec_lo, s8
	s_or_b32 s18, s1, s18
	s_andn2_b32 s1, s82, exec_lo
	s_and_b32 s7, s28, exec_lo
	s_or_b32 s82, s1, s7
	s_andn2_b32 exec_lo, exec_lo, s18
	s_cbranch_execz .LBB174_437
.LBB174_433:                            ;   Parent Loop BB174_18 Depth=1
                                        ; =>  This Inner Loop Header: Depth=2
	s_mov_b32 s83, exec_lo
	v_cmpx_gt_u64_e64 s[14:15], v[6:7]
	s_cbranch_execz .LBB174_431
; %bb.434:                              ;   in Loop: Header=BB174_433 Depth=2
	ds_read_u16 v9, v8
	s_waitcnt lgkmcnt(0)
	v_add_nc_u32_sdwa v10, sext(v9), v31 dst_sel:DWORD dst_unused:UNUSED_PAD src0_sel:WORD_0 src1_sel:DWORD
	v_and_b32_e32 v10, v10, v32
	v_cmp_eq_u32_e32 vcc_lo, v10, v28
	s_and_b32 exec_lo, exec_lo, vcc_lo
	s_cbranch_execz .LBB174_431
; %bb.435:                              ;   in Loop: Header=BB174_433 Depth=2
	v_perm_b32 v9, v9, 1, 0x5040100
	ds_write_b32 v3, v9 offset:3072
	s_branch .LBB174_431
.LBB174_436:                            ;   in Loop: Header=BB174_433 Depth=2
	v_add_co_u32 v6, vcc_lo, v6, s35
	v_add_co_ci_u32_e64 v7, null, 0, v7, vcc_lo
	v_add_nc_u32_e32 v8, s68, v8
	s_mov_b32 s28, 0
	v_cmp_le_u64_e32 vcc_lo, s[16:17], v[6:7]
	s_orn2_b32 s8, vcc_lo, exec_lo
	s_branch .LBB174_432
.LBB174_437:                            ;   in Loop: Header=BB174_18 Depth=1
	s_inst_prefetch 0x2
	s_or_b32 exec_lo, exec_lo, s18
	v_lshrrev_b32_e32 v33, 16, v9
	s_and_b32 s18, s82, exec_lo
.LBB174_438:                            ;   in Loop: Header=BB174_18 Depth=1
	s_or_b32 exec_lo, exec_lo, s70
.LBB174_439:                            ;   in Loop: Header=BB174_18 Depth=1
	s_and_b32 vcc_lo, exec_lo, s19
	s_cbranch_vccz .LBB174_455
; %bb.440:                              ;   in Loop: Header=BB174_18 Depth=1
	s_mov_b32 s72, s71
	s_cmp_lg_u64 s[72:73], 0
	s_cbranch_scc0 .LBB174_442
; %bb.441:                              ;   in Loop: Header=BB174_18 Depth=1
	v_cvt_f32_u32_e32 v6, s35
	s_sub_u32 s15, 0, s35
	s_subb_u32 s16, 0, 0
	v_fmac_f32_e64 v6, 0x4f800000, 0
	v_rcp_f32_e32 v6, v6
	v_mul_f32_e32 v6, 0x5f7ffffc, v6
	v_mul_f32_e32 v7, 0x2f800000, v6
	v_trunc_f32_e32 v7, v7
	v_fmac_f32_e32 v6, 0xcf800000, v7
	v_cvt_u32_f32_e32 v7, v7
	v_cvt_u32_f32_e32 v6, v6
	v_readfirstlane_b32 s8, v7
	v_readfirstlane_b32 s14, v6
	s_mul_i32 s17, s15, s8
	s_mul_hi_u32 s28, s15, s14
	s_mul_i32 s19, s16, s14
	s_add_i32 s17, s28, s17
	s_mul_i32 s70, s15, s14
	s_add_i32 s17, s17, s19
	s_mul_hi_u32 s28, s14, s70
	s_mul_i32 s81, s14, s17
	s_mul_hi_u32 s72, s8, s70
	s_mul_i32 s19, s8, s70
	s_mul_hi_u32 s70, s14, s17
	s_add_u32 s28, s28, s81
	s_addc_u32 s70, 0, s70
	s_mul_hi_u32 s82, s8, s17
	s_add_u32 s19, s28, s19
	s_mul_i32 s17, s8, s17
	s_addc_u32 s19, s70, s72
	s_addc_u32 s28, s82, 0
	s_add_u32 s17, s19, s17
	s_addc_u32 s19, 0, s28
	s_add_u32 s14, s14, s17
	s_cselect_b32 s17, -1, 0
	s_mul_hi_u32 s28, s15, s14
	s_cmp_lg_u32 s17, 0
	s_mul_i32 s17, s15, s14
	s_addc_u32 s8, s8, s19
	s_mul_i32 s16, s16, s14
	s_mul_i32 s15, s15, s8
	s_mul_hi_u32 s19, s14, s17
	s_add_i32 s15, s28, s15
	s_mul_hi_u32 s28, s8, s17
	s_add_i32 s15, s15, s16
	s_mul_i32 s16, s8, s17
	s_mul_i32 s72, s14, s15
	s_mul_hi_u32 s70, s14, s15
	s_add_u32 s19, s19, s72
	s_addc_u32 s70, 0, s70
	s_mul_hi_u32 s17, s8, s15
	s_add_u32 s16, s19, s16
	s_mul_i32 s15, s8, s15
	s_addc_u32 s16, s70, s28
	s_addc_u32 s17, s17, 0
	s_add_u32 s15, s16, s15
	s_addc_u32 s16, 0, s17
	s_add_u32 s14, s14, s15
	s_cselect_b32 s15, -1, 0
	s_mul_hi_u32 s17, s96, s14
	s_cmp_lg_u32 s15, 0
	s_mul_hi_u32 s15, s73, s14
	s_addc_u32 s8, s8, s16
	s_mul_i32 s14, s73, s14
	s_mul_i32 s19, s96, s8
	s_mul_hi_u32 s16, s96, s8
	s_add_u32 s17, s17, s19
	s_addc_u32 s16, 0, s16
	s_mul_hi_u32 s28, s73, s8
	s_add_u32 s14, s17, s14
	s_mul_i32 s8, s73, s8
	s_addc_u32 s14, s16, s15
	s_addc_u32 s15, s28, 0
	s_add_u32 s8, s14, s8
	s_addc_u32 s14, 0, s15
	s_mul_hi_u32 s15, s35, s8
	s_mul_i32 s14, s35, s14
	s_mul_i32 s8, s35, s8
	s_add_i32 s15, s15, s14
	s_sub_u32 s8, s96, s8
	s_cselect_b32 s14, -1, 0
	s_cmp_lg_u32 s14, 0
	s_subb_u32 s14, s73, s15
	s_sub_u32 s15, s8, s35
	s_cselect_b32 s16, -1, 0
	s_cmp_lg_u32 s16, 0
	s_subb_u32 s16, s14, 0
	;; [unrolled: 4-line block ×3, first 2 shown]
	s_cmp_ge_u32 s15, s35
	s_cselect_b32 s28, -1, 0
	s_cmp_eq_u32 s16, 0
	s_cselect_b32 s28, s28, -1
	s_cmp_lg_u32 s28, 0
	s_cselect_b32 s16, s19, s16
	s_cselect_b32 s17, s17, s15
	s_cmp_ge_u32 s8, s35
	s_cselect_b32 s15, -1, 0
	s_cmp_eq_u32 s14, 0
	s_cselect_b32 s15, s15, -1
	s_cmp_lg_u32 s15, 0
	s_cselect_b32 s15, s16, s14
	s_cselect_b32 s14, s17, s8
	s_mov_b32 s8, 0
	s_branch .LBB174_443
.LBB174_442:                            ;   in Loop: Header=BB174_18 Depth=1
	s_mov_b32 s8, -1
                                        ; implicit-def: $sgpr14_sgpr15
.LBB174_443:                            ;   in Loop: Header=BB174_18 Depth=1
	s_andn2_b32 vcc_lo, exec_lo, s8
	s_cbranch_vccnz .LBB174_445
; %bb.444:                              ;   in Loop: Header=BB174_18 Depth=1
	v_cvt_f32_u32_e32 v6, s35
	s_sub_i32 s14, 0, s35
	v_rcp_iflag_f32_e32 v6, v6
	v_mul_f32_e32 v6, 0x4f7ffffe, v6
	v_cvt_u32_f32_e32 v6, v6
	v_readfirstlane_b32 s8, v6
	s_mul_i32 s14, s14, s8
	s_mul_hi_u32 s14, s8, s14
	s_add_i32 s8, s8, s14
	s_mul_hi_u32 s8, s96, s8
	s_mul_i32 s8, s8, s35
	s_sub_i32 s8, s96, s8
	s_sub_i32 s14, s8, s35
	s_cmp_ge_u32 s8, s35
	s_cselect_b32 s8, s14, s8
	s_sub_i32 s14, s8, s35
	s_cmp_ge_u32 s8, s35
	s_cselect_b32 s70, s14, s8
	s_mov_b64 s[14:15], s[70:71]
.LBB174_445:                            ;   in Loop: Header=BB174_18 Depth=1
	s_sub_u32 s14, s96, s14
	s_subb_u32 s15, s73, s15
	s_mov_b32 s16, exec_lo
                                        ; implicit-def: $vgpr33
	v_cmpx_gt_u64_e64 s[14:15], v[0:1]
	s_cbranch_execz .LBB174_454
; %bb.446:                              ;   in Loop: Header=BB174_18 Depth=1
	v_mov_b32_e32 v7, v1
	v_mov_b32_e32 v6, v0
	s_mov_b32 s17, 0
                                        ; implicit-def: $sgpr19
	s_branch .LBB174_449
.LBB174_447:                            ;   in Loop: Header=BB174_449 Depth=2
	s_or_b32 exec_lo, exec_lo, s70
	s_waitcnt lgkmcnt(0)
	s_barrier
	buffer_gl0_inv
	ds_read_b32 v8, v3 offset:3072
	s_mov_b32 s28, -1
	s_waitcnt lgkmcnt(0)
	s_barrier
	buffer_gl0_inv
	v_cmp_eq_u32_sdwa s8, v8, v3 src0_sel:WORD_0 src1_sel:DWORD
	s_and_b32 vcc_lo, exec_lo, s8
	s_mov_b32 s8, -1
	s_cbranch_vccnz .LBB174_452
.LBB174_448:                            ;   in Loop: Header=BB174_449 Depth=2
	s_and_b32 s1, exec_lo, s28
	s_or_b32 s17, s1, s17
	s_andn2_b32 s1, s19, exec_lo
	s_and_b32 s7, s8, exec_lo
	s_or_b32 s19, s1, s7
	s_andn2_b32 exec_lo, exec_lo, s17
	s_cbranch_execz .LBB174_453
.LBB174_449:                            ;   Parent Loop BB174_18 Depth=1
                                        ; =>  This Inner Loop Header: Depth=2
	s_mov_b32 s70, exec_lo
	v_cmpx_gt_u64_e64 s[36:37], v[6:7]
	s_cbranch_execz .LBB174_447
; %bb.450:                              ;   in Loop: Header=BB174_449 Depth=2
	v_mul_lo_u32 v10, v7, s30
	v_mul_lo_u32 v11, v6, s31
	v_mad_u64_u32 v[8:9], null, v6, s30, 0
	v_add3_u32 v9, v9, v11, v10
	v_lshlrev_b64 v[8:9], 1, v[8:9]
	v_add_co_u32 v8, vcc_lo, s29, v8
	v_add_co_ci_u32_e64 v9, null, s33, v9, vcc_lo
	global_load_ushort v8, v[8:9], off
	s_waitcnt vmcnt(0)
	v_add_nc_u32_sdwa v9, sext(v8), v31 dst_sel:DWORD dst_unused:UNUSED_PAD src0_sel:WORD_0 src1_sel:DWORD
	v_and_b32_e32 v9, v9, v32
	v_cmp_eq_u32_e32 vcc_lo, v9, v28
	s_and_b32 exec_lo, exec_lo, vcc_lo
	s_cbranch_execz .LBB174_447
; %bb.451:                              ;   in Loop: Header=BB174_449 Depth=2
	v_perm_b32 v8, v8, 1, 0x5040100
	ds_write_b32 v3, v8 offset:3072
	s_branch .LBB174_447
.LBB174_452:                            ;   in Loop: Header=BB174_449 Depth=2
	v_add_co_u32 v6, vcc_lo, v6, s35
	v_add_co_ci_u32_e64 v7, null, 0, v7, vcc_lo
	s_mov_b32 s8, 0
	v_cmp_le_u64_e32 vcc_lo, s[14:15], v[6:7]
	s_orn2_b32 s28, vcc_lo, exec_lo
	s_branch .LBB174_448
.LBB174_453:                            ;   in Loop: Header=BB174_18 Depth=1
	s_or_b32 exec_lo, exec_lo, s17
	v_lshrrev_b32_e32 v33, 16, v8
	s_andn2_b32 s1, s18, exec_lo
	s_and_b32 s7, s19, exec_lo
	s_or_b32 s18, s1, s7
.LBB174_454:                            ;   in Loop: Header=BB174_18 Depth=1
	s_or_b32 exec_lo, exec_lo, s16
	s_mov_b32 s72, 0
	s_mov_b32 s81, -1
.LBB174_455:                            ;   in Loop: Header=BB174_18 Depth=1
	s_orn2_b32 s15, s18, exec_lo
.LBB174_456:                            ;   in Loop: Header=BB174_18 Depth=1
	s_or_b32 exec_lo, exec_lo, s80
	s_mov_b32 s16, 0
	s_and_saveexec_b32 s14, s15
	s_cbranch_execz .LBB174_467
; %bb.457:                              ;   in Loop: Header=BB174_18 Depth=1
	v_mov_b32_e32 v6, 1
	v_mov_b32_e32 v7, 0
	;; [unrolled: 1-line block ×3, first 2 shown]
	s_xor_b32 s8, s79, -1
	s_and_saveexec_b32 s15, s8
	s_cbranch_execz .LBB174_466
; %bb.458:                              ;   in Loop: Header=BB174_18 Depth=1
	s_mov_b32 s8, exec_lo
	v_cmpx_ge_u64_e64 s[12:13], v[4:5]
	s_xor_b32 s16, exec_lo, s8
	s_cbranch_execz .LBB174_463
; %bb.459:                              ;   in Loop: Header=BB174_18 Depth=1
	ds_read_b64 v[6:7], v3 offset:5120
	v_and_b32_e32 v28, s26, v28
	v_or_b32_e32 v32, s11, v32
	s_waitcnt lgkmcnt(0)
	v_cmp_ne_u64_e32 vcc_lo, 0, v[6:7]
	s_cbranch_vccnz .LBB174_463
; %bb.460:                              ;   in Loop: Header=BB174_18 Depth=1
	s_and_saveexec_b32 s8, s3
; %bb.461:                              ;   in Loop: Header=BB174_18 Depth=1
	v_mov_b32_e32 v6, s12
	v_mov_b32_e32 v7, s13
	ds_write_b64 v3, v[6:7] offset:5128
; %bb.462:                              ;   in Loop: Header=BB174_18 Depth=1
	s_or_b32 exec_lo, exec_lo, s8
	s_waitcnt lgkmcnt(0)
	s_barrier
	buffer_gl0_inv
.LBB174_463:                            ;   in Loop: Header=BB174_18 Depth=1
	s_andn2_saveexec_b32 s11, s16
; %bb.464:                              ;   in Loop: Header=BB174_18 Depth=1
	v_sub_co_u32 v4, vcc_lo, v4, s12
	v_subrev_co_ci_u32_e64 v5, null, s13, v5, vcc_lo
; %bb.465:                              ;   in Loop: Header=BB174_18 Depth=1
	s_or_b32 exec_lo, exec_lo, s11
	v_mov_b32_e32 v7, v5
	v_mov_b32_e32 v2, 5
	;; [unrolled: 1-line block ×3, first 2 shown]
.LBB174_466:                            ;   in Loop: Header=BB174_18 Depth=1
	s_or_b32 exec_lo, exec_lo, s15
	v_mov_b32_e32 v4, v6
	v_mov_b32_e32 v5, v7
	s_mov_b32 s16, exec_lo
.LBB174_467:                            ;   in Loop: Header=BB174_18 Depth=1
	s_or_b32 exec_lo, exec_lo, s14
	s_orn2_b32 s14, s16, exec_lo
.LBB174_468:                            ;   in Loop: Header=BB174_18 Depth=1
	s_or_b32 exec_lo, exec_lo, s21
	v_mov_b32_e32 v7, v5
	v_mov_b32_e32 v6, v4
	s_andn2_b32 s8, s78, exec_lo
	s_and_b32 s11, s81, exec_lo
	s_andn2_b32 s12, s77, exec_lo
	s_and_b32 s13, s72, exec_lo
	s_or_b32 s78, s8, s11
	s_or_b32 s77, s12, s13
	s_and_b32 s17, s14, exec_lo
.LBB174_469:                            ;   in Loop: Header=BB174_18 Depth=1
	s_or_b32 exec_lo, exec_lo, s20
	s_orn2_b32 s16, s17, exec_lo
.LBB174_470:                            ;   in Loop: Header=BB174_18 Depth=1
	s_or_b32 exec_lo, exec_lo, s23
	v_mov_b32_e32 v4, v6
	v_mov_b32_e32 v5, v7
	s_andn2_b32 s8, s76, exec_lo
	s_and_b32 s11, s78, exec_lo
	s_andn2_b32 s12, s25, exec_lo
	s_and_b32 s13, s77, exec_lo
	s_or_b32 s76, s8, s11
	s_or_b32 s25, s12, s13
	s_and_b32 s19, s16, exec_lo
.LBB174_471:                            ;   in Loop: Header=BB174_18 Depth=1
	s_or_b32 exec_lo, exec_lo, s22
	s_orn2_b32 s18, s19, exec_lo
.LBB174_472:                            ;   in Loop: Header=BB174_18 Depth=1
	s_or_b32 exec_lo, exec_lo, s6
	s_mov_b32 s6, s51
	s_mov_b32 s11, s50
	s_and_saveexec_b32 s12, s18
; %bb.473:                              ;   in Loop: Header=BB174_18 Depth=1
	v_cmp_ne_u32_e32 vcc_lo, 5, v2
	v_cmp_eq_u32_e64 s6, 5, v2
	s_andn2_b32 s8, s50, exec_lo
	s_andn2_b32 s13, s51, exec_lo
	s_and_b32 s11, vcc_lo, exec_lo
	s_and_b32 s6, s6, exec_lo
	s_or_b32 s11, s8, s11
	s_or_b32 s6, s13, s6
; %bb.474:                              ;   in Loop: Header=BB174_18 Depth=1
	s_or_b32 exec_lo, exec_lo, s12
	s_andn2_b32 s1, s9, exec_lo
	s_and_b32 s7, s76, exec_lo
	s_andn2_b32 s8, s27, exec_lo
	s_and_b32 s12, s25, exec_lo
	s_or_b32 s9, s1, s7
	s_or_b32 s27, s8, s12
	s_andn2_b32 s1, s50, exec_lo
	s_and_b32 s7, s11, exec_lo
	s_andn2_b32 s8, s51, exec_lo
	s_and_b32 s6, s6, exec_lo
	s_or_b32 s50, s1, s7
	s_or_b32 s51, s8, s6
.LBB174_475:                            ;   in Loop: Header=BB174_18 Depth=1
	s_or_b32 exec_lo, exec_lo, s24
	s_mov_b32 s76, 0
	s_mov_b32 s77, 0
	s_and_saveexec_b32 s6, s51
.LBB174_476:                            ;   in Loop: Header=BB174_18 Depth=1
	v_mov_b32_e32 v2, 0
	s_or_b32 s50, s50, exec_lo
.LBB174_477:                            ;   in Loop: Header=BB174_18 Depth=1
	s_or_b32 exec_lo, exec_lo, s6
	s_andn2_b32 s1, s59, exec_lo
	s_and_b32 s6, s9, exec_lo
	s_andn2_b32 s7, s67, exec_lo
	s_and_b32 s8, s27, exec_lo
	v_mov_b32_e32 v20, v5
	v_mov_b32_e32 v19, v4
	s_or_b32 s59, s1, s6
	s_or_b32 s67, s7, s8
	s_andn2_b32 s1, s49, exec_lo
	s_and_b32 s6, s77, exec_lo
	s_andn2_b32 s7, s48, exec_lo
	s_and_b32 s8, s76, exec_lo
	s_mov_b32 s11, -1
	s_andn2_b32 s58, s58, exec_lo
	s_or_b32 s49, s1, s6
	s_or_b32 s48, s7, s8
	s_and_saveexec_b32 s1, s50
	s_xor_b32 s6, exec_lo, s1
	s_cbranch_execz .LBB174_17
; %bb.478:                              ;   in Loop: Header=BB174_18 Depth=1
	s_mov_b32 s9, -1
	s_mov_b32 s8, exec_lo
	v_cmpx_eq_u32_e32 0, v2
	s_cbranch_execz .LBB174_16
; %bb.479:                              ;   in Loop: Header=BB174_18 Depth=1
	s_xor_b32 s65, s65, 1
	s_add_i32 s12, s55, -2
	s_cmp_eq_u32 s55, 0
	s_mov_b32 s55, s12
	s_cselect_b32 s9, -1, 0
	s_xor_b32 s11, exec_lo, -1
	s_orn2_b32 s9, s9, exec_lo
	s_branch .LBB174_16
.LBB174_480:
	s_or_b32 exec_lo, exec_lo, s69
	s_xor_b32 s7, s66, -1
	s_xor_b32 s9, s53, -1
	;; [unrolled: 1-line block ×5, first 2 shown]
	s_mov_b32 s8, 0
	s_and_saveexec_b32 s11, s1
	s_xor_b32 s12, exec_lo, s11
	s_cbranch_execnz .LBB174_485
; %bb.481:
	s_andn2_saveexec_b32 s0, s12
	s_cbranch_execnz .LBB174_504
.LBB174_482:
	s_or_b32 exec_lo, exec_lo, s0
	s_and_saveexec_b32 s0, s8
.LBB174_483:
	; divergent unreachable
.LBB174_484:
	s_endpgm
.LBB174_485:
	s_and_saveexec_b32 s1, s10
	s_xor_b32 s13, exec_lo, s1
	s_cbranch_execz .LBB174_502
; %bb.486:
	s_and_saveexec_b32 s1, s9
	s_xor_b32 s14, exec_lo, s1
	s_cbranch_execz .LBB174_500
; %bb.487:
	;; [unrolled: 4-line block ×3, first 2 shown]
	s_and_saveexec_b32 s1, s6
	s_xor_b32 s6, exec_lo, s1
; %bb.489:
	v_xor_b32_e32 v33, 0xffff8000, v28
; %bb.490:
	s_or_b32 exec_lo, exec_lo, s6
	s_and_saveexec_b32 s6, s3
; %bb.491:
	v_mov_b32_e32 v2, 0
	v_mov_b32_e32 v3, v2
	ds_write_b64 v2, v[2:3] offset:5136
; %bb.492:
	s_or_b32 exec_lo, exec_lo, s6
	v_mov_b32_e32 v14, 0
	s_waitcnt lgkmcnt(0)
	s_barrier
	buffer_gl0_inv
	s_and_saveexec_b32 s3, s2
	s_cbranch_execz .LBB174_494
; %bb.493:
	global_load_ushort v14, v[12:13], off
.LBB174_494:
	s_or_b32 exec_lo, exec_lo, s3
	s_clause 0x2
	s_load_dwordx2 s[26:27], s[4:5], 0x450
	s_load_dwordx4 s[20:23], s[4:5], 0x1d8
	s_load_dwordx4 s[40:43], s[4:5], 0x298
	s_add_u32 s1, s36, 31
	s_addc_u32 s7, s37, 0
	s_and_b32 s6, s1, 0xffffffe0
	s_mul_i32 s1, s62, s47
	s_mul_hi_u32 s3, s62, s46
	s_mul_i32 s8, s62, s46
	s_add_i32 s3, s3, s1
	s_sub_u32 s1, s34, s8
	s_subb_u32 s3, 0, s3
	s_load_dwordx2 s[46:47], s[4:5], 0x2a8
	v_cmp_gt_u64_e32 vcc_lo, s[6:7], v[0:1]
	s_waitcnt lgkmcnt(0)
	s_mul_i32 s8, s1, s27
	s_mul_hi_u32 s9, s1, s26
	s_mul_i32 s3, s3, s26
	s_add_i32 s8, s9, s8
	s_mul_i32 s16, s56, s22
	s_add_i32 s19, s8, s3
	v_readlane_b32 s8, v42, 0
	v_readlane_b32 s9, v42, 1
	s_mov_b32 s24, s8
	s_mul_i32 s3, s8, s21
	s_mul_hi_u32 s8, s8, s20
	s_mul_i32 s9, s24, s20
	s_add_i32 s8, s8, s3
	s_sub_u32 s3, s56, s9
	s_subb_u32 s8, s57, s8
	s_mul_i32 s9, s3, s43
	s_mul_hi_u32 s10, s3, s42
	s_mul_i32 s8, s8, s42
	s_add_i32 s9, s10, s9
	s_mul_i32 s10, s24, s41
	s_mul_hi_u32 s11, s24, s40
	s_add_i32 s9, s9, s8
	s_add_i32 s11, s11, s10
	s_mul_i32 s8, s56, s23
	s_mul_hi_u32 s10, s56, s22
	v_readlane_b32 s20, v42, 2
	s_add_i32 s10, s10, s8
	s_sub_u32 s16, s34, s16
	s_subb_u32 s10, 0, s10
	s_mul_i32 s8, s16, s47
	s_mul_hi_u32 s17, s16, s46
	s_mul_i32 s10, s10, s46
	s_add_i32 s17, s17, s8
	s_mul_i32 s8, s3, s42
	s_add_i32 s17, s17, s10
	s_mul_i32 s3, s20, s45
	s_mul_hi_u32 s10, s20, s44
	s_mul_i32 s18, s20, s44
	s_add_i32 s3, s10, s3
	s_mul_i32 s10, s24, s40
	s_clause 0x1
	s_load_dwordx4 s[40:43], s[4:5], 0x440
	s_load_dwordx2 s[24:25], s[4:5], 0x1c8
	s_sub_u32 s18, s62, s18
	v_readlane_b32 s21, v42, 3
	s_mov_b32 s28, s20
	s_subb_u32 s3, s63, s3
	s_lshl_b64 s[10:11], s[10:11], 1
	s_mul_i32 s16, s16, s46
	s_waitcnt lgkmcnt(0)
	s_mul_i32 s20, s18, s43
	s_mul_hi_u32 s21, s18, s42
	s_mul_i32 s3, s3, s42
	s_add_i32 s20, s21, s20
	s_mul_i32 s22, s28, s40
	s_add_i32 s21, s20, s3
	s_mul_i32 s3, s28, s41
	s_mul_hi_u32 s20, s28, s40
	s_add_i32 s23, s20, s3
	s_add_u32 s3, s24, s10
	s_addc_u32 s10, s25, s11
	s_lshl_b64 s[8:9], s[8:9], 1
	v_readlane_b32 s24, v42, 4
	s_add_u32 s3, s3, s8
	s_addc_u32 s20, s10, s9
	s_clause 0x1
	s_load_dwordx2 s[8:9], s[4:5], 0x368
	s_load_dwordx2 s[10:11], s[4:5], 0x510
	s_lshl_b64 s[16:17], s[16:17], 1
	v_readlane_b32 s25, v42, 5
	s_add_u32 s5, s3, s16
	s_addc_u32 s16, s20, s17
	s_lshl_b64 s[22:23], s[22:23], 3
	s_mul_i32 s20, s18, s42
	s_add_u32 s3, s24, s22
	s_addc_u32 s4, s25, s23
	s_lshl_b64 s[20:21], s[20:21], 3
	s_mul_i32 s18, s1, s26
	s_add_u32 s1, s3, s20
	s_addc_u32 s3, s4, s21
	s_lshl_b64 s[18:19], s[18:19], 3
	s_mov_b32 s21, -1
	s_add_u32 s17, s1, s18
	s_addc_u32 s18, s3, s19
	s_mov_b32 s19, 0
	s_mov_b32 s3, 0
	s_and_saveexec_b32 s20, vcc_lo
	s_cbranch_execnz .LBB174_505
; %bb.495:
	s_or_b32 exec_lo, exec_lo, s20
	s_and_saveexec_b32 s4, s21
	s_cbranch_execnz .LBB174_520
.LBB174_496:
	s_or_b32 exec_lo, exec_lo, s4
	s_and_saveexec_b32 s0, s3
	s_xor_b32 s0, exec_lo, s0
	s_cbranch_execnz .LBB174_543
.LBB174_497:
	s_or_b32 exec_lo, exec_lo, s0
	s_waitcnt lgkmcnt(0)
	s_and_b32 s8, s19, exec_lo
.LBB174_498:
	s_andn2_saveexec_b32 s0, s15
	s_cbranch_execnz .LBB174_545
.LBB174_499:
	s_or_b32 exec_lo, exec_lo, s0
	s_and_b32 s8, s8, exec_lo
.LBB174_500:
	s_andn2_saveexec_b32 s0, s14
	s_cbranch_execnz .LBB174_544
.LBB174_501:
	s_or_b32 exec_lo, exec_lo, s0
	s_and_b32 s8, s8, exec_lo
.LBB174_502:
	s_andn2_saveexec_b32 s0, s13
	s_cbranch_execnz .LBB174_539
.LBB174_503:
	s_or_b32 exec_lo, exec_lo, s0
	s_and_b32 s8, s8, exec_lo
	s_andn2_saveexec_b32 s0, s12
	s_cbranch_execz .LBB174_482
.LBB174_504:
	s_or_b32 s8, s8, exec_lo
	s_trap 2
	s_or_b32 exec_lo, exec_lo, s0
	s_and_saveexec_b32 s0, s8
	s_cbranch_execnz .LBB174_483
	s_branch .LBB174_484
.LBB174_505:
	v_mov_b32_e32 v15, 0x8000
	v_mov_b32_e32 v9, v1
	;; [unrolled: 1-line block ×4, first 2 shown]
	s_mov_b32 s21, 0
	v_add_nc_u32_sdwa v16, sext(v33), v15 dst_sel:DWORD dst_unused:UNUSED_PAD src0_sel:WORD_0 src1_sel:DWORD
                                        ; implicit-def: $sgpr22
                                        ; implicit-def: $vgpr6_vgpr7
	s_branch .LBB174_507
.LBB174_506:                            ;   in Loop: Header=BB174_507 Depth=1
	s_or_b32 exec_lo, exec_lo, s24
	s_xor_b32 s1, s23, -1
	s_and_b32 s3, exec_lo, s4
	v_mov_b32_e32 v9, v5
	v_mov_b32_e32 v14, v17
	s_or_b32 s21, s3, s21
	v_mov_b32_e32 v8, v4
	s_andn2_b32 s3, s22, exec_lo
	s_and_b32 s1, s1, exec_lo
	s_or_b32 s22, s3, s1
	s_andn2_b32 exec_lo, exec_lo, s21
	s_cbranch_execz .LBB174_519
.LBB174_507:                            ; =>This Inner Loop Header: Depth=1
	v_add_co_u32 v4, s3, v8, s35
	v_add_co_ci_u32_e64 v5, null, 0, v9, s3
	v_mov_b32_e32 v17, 0
	s_mov_b32 s4, exec_lo
	v_cmpx_gt_u64_e64 s[36:37], v[4:5]
	s_cbranch_execz .LBB174_509
; %bb.508:                              ;   in Loop: Header=BB174_507 Depth=1
	v_mul_lo_u32 v2, v5, s30
	v_mul_lo_u32 v17, v4, s31
	v_mad_u64_u32 v[10:11], null, v4, s30, 0
	v_add3_u32 v11, v11, v17, v2
	v_lshlrev_b64 v[10:11], 1, v[10:11]
	v_add_co_u32 v10, s3, s29, v10
	v_add_co_ci_u32_e64 v11, null, s33, v11, s3
	global_load_ushort v17, v[10:11], off
.LBB174_509:                            ;   in Loop: Header=BB174_507 Depth=1
	s_or_b32 exec_lo, exec_lo, s4
	s_waitcnt vmcnt(0)
	v_add_nc_u32_sdwa v2, sext(v14), v15 dst_sel:DWORD dst_unused:UNUSED_PAD src0_sel:WORD_0 src1_sel:DWORD
	v_cmp_gt_u32_e64 s3, v2, v16
	v_cndmask_b32_e64 v10, 0, 1, s3
	v_cmp_lt_u32_e64 s3, v2, v16
	v_cndmask_b32_e64 v2, 0, 1, s3
	v_cmp_gt_u64_e64 s3, s[36:37], v[8:9]
	v_cndmask_b32_e64 v2, v2, v10, s60
	v_and_b32_e32 v2, 1, v2
	v_cmp_eq_u32_e64 s4, 1, v2
	s_and_b32 s24, s3, s4
	v_cndmask_b32_e64 v2, 0, 1, s24
	v_cmp_ne_u32_e64 s3, 0, v2
	s_cmp_lg_u32 s3, 0
	s_cselect_b32 s1, -1, 0
	s_and_b32 s1, s0, s1
	s_and_saveexec_b32 s23, s1
	s_cbranch_execz .LBB174_513
; %bb.510:                              ;   in Loop: Header=BB174_507 Depth=1
	s_mov_b32 s27, exec_lo
	s_bcnt1_i32_b32 s25, s3
	v_mbcnt_lo_u32_b32 v10, s27, 0
	s_mov_b32 s26, exec_lo
                                        ; implicit-def: $vgpr6_vgpr7
	v_cmpx_eq_u32_e32 0, v10
	s_cbranch_execz .LBB174_512
; %bb.511:                              ;   in Loop: Header=BB174_507 Depth=1
	s_bcnt1_i32_b32 s1, s27
	s_mul_i32 s1, s25, s1
	v_mov_b32_e32 v2, s1
	s_waitcnt lgkmcnt(0)
	ds_add_rtn_u64 v[6:7], v3, v[2:3] offset:5136
.LBB174_512:                            ;   in Loop: Header=BB174_507 Depth=1
	s_or_b32 exec_lo, exec_lo, s26
	s_waitcnt lgkmcnt(0)
	v_readfirstlane_b32 s27, v7
	v_readfirstlane_b32 s26, v6
	v_mad_u64_u32 v[6:7], null, s25, v10, s[26:27]
.LBB174_513:                            ;   in Loop: Header=BB174_507 Depth=1
	s_or_b32 exec_lo, exec_lo, s23
	s_waitcnt lgkmcnt(0)
	ds_bpermute_b32 v6, v3, v6
	ds_bpermute_b32 v7, v3, v7
	s_mov_b32 s4, -1
	s_mov_b32 s25, -1
	s_and_saveexec_b32 s23, s24
	s_cbranch_execz .LBB174_517
; %bb.514:                              ;   in Loop: Header=BB174_507 Depth=1
	v_and_b32_e32 v2, s3, v23
	s_mov_b32 s24, 0
	s_mov_b32 s25, exec_lo
	v_bcnt_u32_b32 v2, v2, 0
	s_waitcnt lgkmcnt(0)
	v_add_co_u32 v10, s3, v6, v2
	v_add_co_ci_u32_e64 v11, null, 0, v7, s3
	v_cmpx_gt_u64_e64 s[38:39], v[10:11]
; %bb.515:                              ;   in Loop: Header=BB174_507 Depth=1
	v_mul_lo_u32 v2, v11, s8
	v_mul_lo_u32 v20, v10, s9
	v_mad_u64_u32 v[18:19], null, v10, s8, 0
	v_mul_lo_u32 v21, v11, s10
	v_mul_lo_u32 v22, v10, s11
	v_mad_u64_u32 v[10:11], null, v10, s10, 0
	s_mov_b32 s24, exec_lo
	v_add3_u32 v19, v19, v20, v2
	v_add3_u32 v11, v11, v22, v21
	v_lshlrev_b64 v[18:19], 1, v[18:19]
	v_lshlrev_b64 v[10:11], 3, v[10:11]
	v_add_co_u32 v18, s3, s5, v18
	v_add_co_ci_u32_e64 v19, null, s16, v19, s3
	v_add_co_u32 v10, s3, s17, v10
	v_add_co_ci_u32_e64 v11, null, s18, v11, s3
	global_store_short v[18:19], v14, off
	global_store_dwordx2 v[10:11], v[8:9], off
; %bb.516:                              ;   in Loop: Header=BB174_507 Depth=1
	s_or_b32 exec_lo, exec_lo, s25
	s_orn2_b32 s25, s24, exec_lo
.LBB174_517:                            ;   in Loop: Header=BB174_507 Depth=1
	s_or_b32 exec_lo, exec_lo, s23
	s_mov_b32 s23, -1
	s_and_saveexec_b32 s24, s25
	s_cbranch_execz .LBB174_506
; %bb.518:                              ;   in Loop: Header=BB174_507 Depth=1
	v_cmp_le_u64_e64 s3, s[6:7], v[4:5]
	s_xor_b32 s23, exec_lo, -1
	s_orn2_b32 s4, s3, exec_lo
	s_branch .LBB174_506
.LBB174_519:
	s_or_b32 exec_lo, exec_lo, s21
	s_mov_b32 s3, exec_lo
	s_orn2_b32 s21, s22, exec_lo
	s_or_b32 exec_lo, exec_lo, s20
	s_and_saveexec_b32 s4, s21
	s_cbranch_execz .LBB174_496
.LBB174_520:
	v_mov_b32_e32 v2, 0
	s_waitcnt vmcnt(0) lgkmcnt(0)
	s_waitcnt_vscnt null, 0x0
	s_barrier
	buffer_gl0_inv
	s_and_saveexec_b32 s1, s2
	s_cbranch_execz .LBB174_522
; %bb.521:
	global_load_ushort v2, v[12:13], off
.LBB174_522:
	s_or_b32 exec_lo, exec_lo, s1
	s_mov_b32 s1, 0
	s_and_saveexec_b32 s2, vcc_lo
	s_cbranch_execz .LBB174_542
; %bb.523:
	v_mov_b32_e32 v3, 0
	s_mov_b32 s19, 0
                                        ; implicit-def: $sgpr20
                                        ; implicit-def: $vgpr6_vgpr7
	s_branch .LBB174_526
.LBB174_524:                            ;   in Loop: Header=BB174_526 Depth=1
	s_or_b32 exec_lo, exec_lo, s21
	s_orn2_b32 s23, s24, exec_lo
	s_orn2_b32 s22, s22, exec_lo
.LBB174_525:                            ;   in Loop: Header=BB174_526 Depth=1
	s_or_b32 exec_lo, exec_lo, s1
	s_xor_b32 s1, s23, -1
	s_and_b32 s21, exec_lo, s22
	v_mov_b32_e32 v0, v4
	v_mov_b32_e32 v1, v5
	s_or_b32 s19, s21, s19
	v_mov_b32_e32 v2, v10
	s_andn2_b32 s20, s20, exec_lo
	s_and_b32 s1, s1, exec_lo
	s_or_b32 s20, s20, s1
	s_andn2_b32 exec_lo, exec_lo, s19
	s_cbranch_execz .LBB174_540
.LBB174_526:                            ; =>This Inner Loop Header: Depth=1
	v_add_co_u32 v4, vcc_lo, v0, s35
	v_add_co_ci_u32_e64 v5, null, 0, v1, vcc_lo
	v_mov_b32_e32 v10, 0
	s_mov_b32 s1, exec_lo
	v_cmpx_gt_u64_e64 s[36:37], v[4:5]
	s_cbranch_execz .LBB174_528
; %bb.527:                              ;   in Loop: Header=BB174_526 Depth=1
	v_mul_lo_u32 v10, v5, s30
	v_mul_lo_u32 v11, v4, s31
	v_mad_u64_u32 v[8:9], null, v4, s30, 0
	v_add3_u32 v9, v9, v11, v10
	v_lshlrev_b64 v[8:9], 1, v[8:9]
	v_add_co_u32 v8, vcc_lo, s29, v8
	v_add_co_ci_u32_e64 v9, null, s33, v9, vcc_lo
	global_load_ushort v10, v[8:9], off
.LBB174_528:                            ;   in Loop: Header=BB174_526 Depth=1
	s_or_b32 exec_lo, exec_lo, s1
	v_cmp_gt_u64_e32 vcc_lo, s[36:37], v[0:1]
	s_waitcnt vmcnt(0)
	v_cmp_eq_u16_e64 s1, v2, v33
	s_and_b32 s21, vcc_lo, s1
	v_cndmask_b32_e64 v2, 0, 1, s21
	v_cmp_ne_u32_e32 vcc_lo, 0, v2
	s_cmp_lg_u32 vcc_lo, 0
	s_cselect_b32 s1, -1, 0
	s_and_b32 s1, s0, s1
	s_and_saveexec_b32 s22, s1
	s_cbranch_execz .LBB174_532
; %bb.529:                              ;   in Loop: Header=BB174_526 Depth=1
	s_mov_b32 s25, exec_lo
	s_bcnt1_i32_b32 s23, vcc_lo
	v_mbcnt_lo_u32_b32 v8, s25, 0
	s_mov_b32 s24, exec_lo
                                        ; implicit-def: $vgpr6_vgpr7
	v_cmpx_eq_u32_e32 0, v8
; %bb.530:                              ;   in Loop: Header=BB174_526 Depth=1
	s_bcnt1_i32_b32 s1, s25
	s_mul_i32 s1, s23, s1
	v_mov_b32_e32 v2, s1
	ds_add_rtn_u64 v[6:7], v3, v[2:3] offset:5136
; %bb.531:                              ;   in Loop: Header=BB174_526 Depth=1
	s_or_b32 exec_lo, exec_lo, s24
	s_waitcnt lgkmcnt(0)
	v_readfirstlane_b32 s25, v7
	v_readfirstlane_b32 s24, v6
	v_mad_u64_u32 v[6:7], null, s23, v8, s[24:25]
.LBB174_532:                            ;   in Loop: Header=BB174_526 Depth=1
	s_or_b32 exec_lo, exec_lo, s22
	ds_bpermute_b32 v6, v3, v6
	ds_bpermute_b32 v7, v3, v7
	s_cmp_eq_u32 vcc_lo, 0
	s_mov_b32 s22, -1
	s_cselect_b32 s23, -1, 0
	s_waitcnt lgkmcnt(0)
	v_cmp_gt_u64_e64 s1, s[38:39], v[6:7]
	s_or_b32 s24, s23, s1
	s_mov_b32 s23, -1
	s_and_saveexec_b32 s1, s24
	s_cbranch_execz .LBB174_525
; %bb.533:                              ;   in Loop: Header=BB174_526 Depth=1
	v_and_b32_e32 v2, vcc_lo, v23
	v_sub_co_u32 v8, vcc_lo, s38, v6
	v_sub_co_ci_u32_e64 v9, null, s39, v7, vcc_lo
	v_bcnt_u32_b32 v2, v2, 0
	s_mov_b32 s24, -1
	v_bcnt_u32_b32 v2, 0, v2
	v_cmp_gt_u64_e32 vcc_lo, v[8:9], v[2:3]
	s_and_b32 s25, s21, vcc_lo
	s_and_saveexec_b32 s21, s25
	s_cbranch_execz .LBB174_537
; %bb.534:                              ;   in Loop: Header=BB174_526 Depth=1
	v_add_co_u32 v8, vcc_lo, v6, v2
	v_add_co_ci_u32_e64 v9, null, 0, v7, vcc_lo
	s_mov_b32 s23, 0
	s_mov_b32 s24, exec_lo
	v_cmpx_gt_u64_e64 s[38:39], v[8:9]
; %bb.535:                              ;   in Loop: Header=BB174_526 Depth=1
	v_mul_lo_u32 v2, v9, s8
	v_mul_lo_u32 v13, v8, s9
	v_mad_u64_u32 v[11:12], null, v8, s8, 0
	v_mul_lo_u32 v14, v9, s10
	v_mul_lo_u32 v15, v8, s11
	v_mad_u64_u32 v[8:9], null, v8, s10, 0
	s_mov_b32 s23, exec_lo
	v_add3_u32 v12, v12, v13, v2
	v_add3_u32 v9, v9, v15, v14
	v_lshlrev_b64 v[11:12], 1, v[11:12]
	v_lshlrev_b64 v[8:9], 3, v[8:9]
	v_add_co_u32 v11, vcc_lo, s5, v11
	v_add_co_ci_u32_e64 v12, null, s16, v12, vcc_lo
	v_add_co_u32 v8, vcc_lo, s17, v8
	v_add_co_ci_u32_e64 v9, null, s18, v9, vcc_lo
	global_store_short v[11:12], v33, off
	global_store_dwordx2 v[8:9], v[0:1], off
; %bb.536:                              ;   in Loop: Header=BB174_526 Depth=1
	s_or_b32 exec_lo, exec_lo, s24
	s_xor_b32 s24, exec_lo, -1
	s_orn2_b32 s23, s23, exec_lo
.LBB174_537:                            ;   in Loop: Header=BB174_526 Depth=1
	s_or_b32 exec_lo, exec_lo, s21
	s_and_saveexec_b32 s21, s23
	s_cbranch_execz .LBB174_524
; %bb.538:                              ;   in Loop: Header=BB174_526 Depth=1
	v_cmp_le_u64_e32 vcc_lo, s[6:7], v[4:5]
	s_or_b32 s24, s24, exec_lo
	s_orn2_b32 s22, vcc_lo, exec_lo
	s_branch .LBB174_524
.LBB174_539:
	s_or_b32 s8, s8, exec_lo
	s_trap 2
	s_branch .LBB174_503
.LBB174_540:
	s_or_b32 exec_lo, exec_lo, s19
	s_mov_b32 s0, 0
	s_and_saveexec_b32 s1, s20
	s_xor_b32 s1, exec_lo, s1
	s_cbranch_execnz .LBB174_546
.LBB174_541:
	s_or_b32 exec_lo, exec_lo, s1
	s_and_b32 s1, s0, exec_lo
.LBB174_542:
	s_or_b32 exec_lo, exec_lo, s2
	s_and_b32 s19, s1, exec_lo
	s_andn2_b32 s3, s3, exec_lo
	s_or_b32 exec_lo, exec_lo, s4
	s_and_saveexec_b32 s0, s3
	s_xor_b32 s0, exec_lo, s0
	s_cbranch_execz .LBB174_497
.LBB174_543:
	s_or_b32 s19, s19, exec_lo
	s_trap 2
	s_branch .LBB174_497
.LBB174_544:
	s_or_b32 s8, s8, exec_lo
	s_trap 2
	s_branch .LBB174_501
.LBB174_545:
	s_or_b32 s8, s8, exec_lo
	s_trap 2
	s_branch .LBB174_499
.LBB174_546:
	s_mov_b32 s0, exec_lo
	s_trap 2
	s_branch .LBB174_541
	.section	.rodata,"a",@progbits
	.p2align	6, 0x0
	.amdhsa_kernel _ZN2at6native6sbtopk10gatherTopKIsmLi3ELb0EEEvNS_4cuda6detail10TensorInfoIKT_T0_EES8_S8_bS8_S8_NS5_IS6_S8_EES8_NS5_IlS8_EES8_PS6_
		.amdhsa_group_segment_fixed_size 5152
		.amdhsa_private_segment_fixed_size 0
		.amdhsa_kernarg_size 1568
		.amdhsa_user_sgpr_count 6
		.amdhsa_user_sgpr_private_segment_buffer 1
		.amdhsa_user_sgpr_dispatch_ptr 0
		.amdhsa_user_sgpr_queue_ptr 0
		.amdhsa_user_sgpr_kernarg_segment_ptr 1
		.amdhsa_user_sgpr_dispatch_id 0
		.amdhsa_user_sgpr_flat_scratch_init 0
		.amdhsa_user_sgpr_private_segment_size 0
		.amdhsa_wavefront_size32 1
		.amdhsa_uses_dynamic_stack 0
		.amdhsa_system_sgpr_private_segment_wavefront_offset 0
		.amdhsa_system_sgpr_workgroup_id_x 1
		.amdhsa_system_sgpr_workgroup_id_y 1
		.amdhsa_system_sgpr_workgroup_id_z 1
		.amdhsa_system_sgpr_workgroup_info 0
		.amdhsa_system_vgpr_workitem_id 0
		.amdhsa_next_free_vgpr 43
		.amdhsa_next_free_sgpr 105
		.amdhsa_reserve_vcc 1
		.amdhsa_reserve_flat_scratch 0
		.amdhsa_float_round_mode_32 0
		.amdhsa_float_round_mode_16_64 0
		.amdhsa_float_denorm_mode_32 3
		.amdhsa_float_denorm_mode_16_64 3
		.amdhsa_dx10_clamp 1
		.amdhsa_ieee_mode 1
		.amdhsa_fp16_overflow 0
		.amdhsa_workgroup_processor_mode 1
		.amdhsa_memory_ordered 1
		.amdhsa_forward_progress 1
		.amdhsa_shared_vgpr_count 0
		.amdhsa_exception_fp_ieee_invalid_op 0
		.amdhsa_exception_fp_denorm_src 0
		.amdhsa_exception_fp_ieee_div_zero 0
		.amdhsa_exception_fp_ieee_overflow 0
		.amdhsa_exception_fp_ieee_underflow 0
		.amdhsa_exception_fp_ieee_inexact 0
		.amdhsa_exception_int_div_zero 0
	.end_amdhsa_kernel
	.section	.text._ZN2at6native6sbtopk10gatherTopKIsmLi3ELb0EEEvNS_4cuda6detail10TensorInfoIKT_T0_EES8_S8_bS8_S8_NS5_IS6_S8_EES8_NS5_IlS8_EES8_PS6_,"axG",@progbits,_ZN2at6native6sbtopk10gatherTopKIsmLi3ELb0EEEvNS_4cuda6detail10TensorInfoIKT_T0_EES8_S8_bS8_S8_NS5_IS6_S8_EES8_NS5_IlS8_EES8_PS6_,comdat
.Lfunc_end174:
	.size	_ZN2at6native6sbtopk10gatherTopKIsmLi3ELb0EEEvNS_4cuda6detail10TensorInfoIKT_T0_EES8_S8_bS8_S8_NS5_IS6_S8_EES8_NS5_IlS8_EES8_PS6_, .Lfunc_end174-_ZN2at6native6sbtopk10gatherTopKIsmLi3ELb0EEEvNS_4cuda6detail10TensorInfoIKT_T0_EES8_S8_bS8_S8_NS5_IS6_S8_EES8_NS5_IlS8_EES8_PS6_
                                        ; -- End function
	.set _ZN2at6native6sbtopk10gatherTopKIsmLi3ELb0EEEvNS_4cuda6detail10TensorInfoIKT_T0_EES8_S8_bS8_S8_NS5_IS6_S8_EES8_NS5_IlS8_EES8_PS6_.num_vgpr, 43
	.set _ZN2at6native6sbtopk10gatherTopKIsmLi3ELb0EEEvNS_4cuda6detail10TensorInfoIKT_T0_EES8_S8_bS8_S8_NS5_IS6_S8_EES8_NS5_IlS8_EES8_PS6_.num_agpr, 0
	.set _ZN2at6native6sbtopk10gatherTopKIsmLi3ELb0EEEvNS_4cuda6detail10TensorInfoIKT_T0_EES8_S8_bS8_S8_NS5_IS6_S8_EES8_NS5_IlS8_EES8_PS6_.numbered_sgpr, 105
	.set _ZN2at6native6sbtopk10gatherTopKIsmLi3ELb0EEEvNS_4cuda6detail10TensorInfoIKT_T0_EES8_S8_bS8_S8_NS5_IS6_S8_EES8_NS5_IlS8_EES8_PS6_.num_named_barrier, 0
	.set _ZN2at6native6sbtopk10gatherTopKIsmLi3ELb0EEEvNS_4cuda6detail10TensorInfoIKT_T0_EES8_S8_bS8_S8_NS5_IS6_S8_EES8_NS5_IlS8_EES8_PS6_.private_seg_size, 0
	.set _ZN2at6native6sbtopk10gatherTopKIsmLi3ELb0EEEvNS_4cuda6detail10TensorInfoIKT_T0_EES8_S8_bS8_S8_NS5_IS6_S8_EES8_NS5_IlS8_EES8_PS6_.uses_vcc, 1
	.set _ZN2at6native6sbtopk10gatherTopKIsmLi3ELb0EEEvNS_4cuda6detail10TensorInfoIKT_T0_EES8_S8_bS8_S8_NS5_IS6_S8_EES8_NS5_IlS8_EES8_PS6_.uses_flat_scratch, 0
	.set _ZN2at6native6sbtopk10gatherTopKIsmLi3ELb0EEEvNS_4cuda6detail10TensorInfoIKT_T0_EES8_S8_bS8_S8_NS5_IS6_S8_EES8_NS5_IlS8_EES8_PS6_.has_dyn_sized_stack, 0
	.set _ZN2at6native6sbtopk10gatherTopKIsmLi3ELb0EEEvNS_4cuda6detail10TensorInfoIKT_T0_EES8_S8_bS8_S8_NS5_IS6_S8_EES8_NS5_IlS8_EES8_PS6_.has_recursion, 0
	.set _ZN2at6native6sbtopk10gatherTopKIsmLi3ELb0EEEvNS_4cuda6detail10TensorInfoIKT_T0_EES8_S8_bS8_S8_NS5_IS6_S8_EES8_NS5_IlS8_EES8_PS6_.has_indirect_call, 0
	.section	.AMDGPU.csdata,"",@progbits
; Kernel info:
; codeLenInByte = 26420
; TotalNumSgprs: 107
; NumVgprs: 43
; ScratchSize: 0
; MemoryBound: 0
; FloatMode: 240
; IeeeMode: 1
; LDSByteSize: 5152 bytes/workgroup (compile time only)
; SGPRBlocks: 0
; VGPRBlocks: 5
; NumSGPRsForWavesPerEU: 107
; NumVGPRsForWavesPerEU: 43
; Occupancy: 16
; WaveLimiterHint : 1
; COMPUTE_PGM_RSRC2:SCRATCH_EN: 0
; COMPUTE_PGM_RSRC2:USER_SGPR: 6
; COMPUTE_PGM_RSRC2:TRAP_HANDLER: 0
; COMPUTE_PGM_RSRC2:TGID_X_EN: 1
; COMPUTE_PGM_RSRC2:TGID_Y_EN: 1
; COMPUTE_PGM_RSRC2:TGID_Z_EN: 1
; COMPUTE_PGM_RSRC2:TIDIG_COMP_CNT: 0
	.section	.text._ZN2at6native6mbtopk23computeBlockDigitCountsIsmjLin1EEEvNS_4cuda6detail10TensorInfoIKT_T0_EEjPjjS8_iijT1_PSB_Ps,"axG",@progbits,_ZN2at6native6mbtopk23computeBlockDigitCountsIsmjLin1EEEvNS_4cuda6detail10TensorInfoIKT_T0_EEjPjjS8_iijT1_PSB_Ps,comdat
	.protected	_ZN2at6native6mbtopk23computeBlockDigitCountsIsmjLin1EEEvNS_4cuda6detail10TensorInfoIKT_T0_EEjPjjS8_iijT1_PSB_Ps ; -- Begin function _ZN2at6native6mbtopk23computeBlockDigitCountsIsmjLin1EEEvNS_4cuda6detail10TensorInfoIKT_T0_EEjPjjS8_iijT1_PSB_Ps
	.globl	_ZN2at6native6mbtopk23computeBlockDigitCountsIsmjLin1EEEvNS_4cuda6detail10TensorInfoIKT_T0_EEjPjjS8_iijT1_PSB_Ps
	.p2align	8
	.type	_ZN2at6native6mbtopk23computeBlockDigitCountsIsmjLin1EEEvNS_4cuda6detail10TensorInfoIKT_T0_EEjPjjS8_iijT1_PSB_Ps,@function
_ZN2at6native6mbtopk23computeBlockDigitCountsIsmjLin1EEEvNS_4cuda6detail10TensorInfoIKT_T0_EEjPjjS8_iijT1_PSB_Ps: ; @_ZN2at6native6mbtopk23computeBlockDigitCountsIsmjLin1EEEvNS_4cuda6detail10TensorInfoIKT_T0_EEjPjjS8_iijT1_PSB_Ps
; %bb.0:
	s_clause 0x2
	s_load_dwordx4 s[0:3], s[4:5], 0x1c0
	s_load_dword s13, s[4:5], 0x1b0
	s_load_dwordx2 s[10:11], s[4:5], 0x1e0
	s_waitcnt lgkmcnt(0)
	v_cvt_f32_u32_e32 v1, s2
	s_mul_i32 s8, s11, s8
	s_sub_i32 s11, 0, s2
	s_add_i32 s7, s8, s7
	v_rcp_iflag_f32_e32 v1, v1
	s_mul_i32 s24, s7, s10
	s_add_i32 s24, s24, s6
	v_mul_f32_e32 v1, 0x4f7ffffe, v1
	v_cvt_u32_f32_e32 v1, v1
	v_readfirstlane_b32 s9, v1
	s_mul_i32 s11, s11, s9
	s_mul_hi_u32 s7, s9, s11
	s_add_i32 s9, s9, s7
	s_mul_hi_u32 s6, s24, s9
	s_mul_i32 s7, s6, s2
	s_add_i32 s8, s6, 1
	s_sub_i32 s7, s24, s7
	s_sub_i32 s9, s7, s2
	s_cmp_ge_u32 s7, s2
	s_cselect_b32 s6, s8, s6
	s_cselect_b32 s7, s9, s7
	s_add_i32 s8, s6, 1
	s_cmp_ge_u32 s7, s2
	s_cselect_b32 s12, s8, s6
	s_cmp_ge_u32 s12, s13
	s_mov_b32 s13, 0
	s_cbranch_scc1 .LBB175_28
; %bb.1:
	s_clause 0x1
	s_load_dwordx4 s[8:11], s[4:5], 0x1d0
	s_load_dword s14, s[4:5], 0x198
	s_lshl_b64 s[6:7], s[12:13], 2
	s_mov_b64 s[20:21], s[12:13]
	s_waitcnt lgkmcnt(0)
	s_add_u32 s8, s8, s6
	s_addc_u32 s9, s9, s7
	s_cmp_lt_i32 s14, 2
	s_mov_b64 s[6:7], 0
	s_cbranch_scc1 .LBB175_7
; %bb.2:
	s_add_i32 s16, s14, -1
	s_mov_b32 s17, 0
	s_add_i32 s13, s14, 1
	s_lshl_b64 s[6:7], s[16:17], 3
	s_add_u32 s6, s4, s6
	s_addc_u32 s7, s5, s7
	s_add_u32 s18, s6, 8
	s_addc_u32 s19, s7, 0
	s_mov_b64 s[6:7], 0
.LBB175_3:                              ; =>This Inner Loop Header: Depth=1
	s_load_dwordx2 s[22:23], s[18:19], 0x0
	s_waitcnt lgkmcnt(0)
	v_cmp_lt_u64_e64 s14, s[20:21], s[22:23]
	s_and_b32 vcc_lo, exec_lo, s14
	s_mov_b64 s[14:15], 0
	s_cbranch_vccnz .LBB175_5
; %bb.4:                                ;   in Loop: Header=BB175_3 Depth=1
	v_cvt_f32_u32_e32 v1, s22
	s_sub_i32 s15, 0, s22
	v_rcp_iflag_f32_e32 v1, v1
	v_mul_f32_e32 v1, 0x4f7ffffe, v1
	v_cvt_u32_f32_e32 v1, v1
	v_readfirstlane_b32 s14, v1
	s_mul_i32 s15, s15, s14
	s_mul_hi_u32 s15, s14, s15
	s_add_i32 s14, s14, s15
	s_mul_hi_u32 s14, s20, s14
	s_mul_i32 s15, s14, s22
	s_add_i32 s16, s14, 1
	s_sub_i32 s15, s20, s15
	s_sub_i32 s25, s15, s22
	s_cmp_ge_u32 s15, s22
	s_cselect_b32 s14, s16, s14
	s_cselect_b32 s15, s25, s15
	s_add_i32 s16, s14, 1
	s_cmp_ge_u32 s15, s22
	s_cselect_b32 s16, s16, s14
	s_mov_b64 s[14:15], s[16:17]
.LBB175_5:                              ;   in Loop: Header=BB175_3 Depth=1
	s_load_dwordx2 s[26:27], s[18:19], 0xc8
	s_mul_i32 s16, s14, s23
	s_mul_hi_u32 s23, s14, s22
	s_mul_i32 s22, s14, s22
	s_add_i32 s23, s23, s16
	s_sub_u32 s16, s20, s22
	s_subb_u32 s20, s21, s23
	s_waitcnt lgkmcnt(0)
	s_mul_i32 s20, s26, s20
	s_mul_hi_u32 s21, s26, s16
	s_mul_i32 s22, s27, s16
	s_add_i32 s20, s21, s20
	s_mul_i32 s16, s26, s16
	s_add_i32 s20, s20, s22
	s_add_u32 s6, s16, s6
	s_addc_u32 s7, s20, s7
	s_add_i32 s13, s13, -1
	s_add_u32 s18, s18, -8
	s_addc_u32 s19, s19, -1
	s_cmp_gt_u32 s13, 2
	s_cbranch_scc0 .LBB175_8
; %bb.6:                                ;   in Loop: Header=BB175_3 Depth=1
	s_mov_b64 s[20:21], s[14:15]
	s_branch .LBB175_3
.LBB175_7:
	s_mov_b64 s[14:15], s[20:21]
.LBB175_8:
	s_load_dword s13, s[8:9], 0x0
	v_cmp_gt_u32_e32 vcc_lo, 0x100, v0
	v_lshlrev_b32_e32 v1, 2, v0
	s_and_saveexec_b32 s8, vcc_lo
; %bb.9:
	v_mov_b32_e32 v2, 0
	ds_write_b32 v1, v2
; %bb.10:
	s_or_b32 exec_lo, exec_lo, s8
	s_load_dword s15, s[4:5], 0x1a0
	s_mul_i32 s8, s12, s2
	s_waitcnt lgkmcnt(0)
	s_sub_i32 s8, s24, s8
	s_barrier
	s_mul_i32 s9, s1, s8
	s_add_i32 s12, s8, 1
	s_lshl_b32 s16, s9, 8
	buffer_gl0_inv
	s_sub_i32 s9, s15, s16
	s_add_u32 s8, s9, 0xff
	s_addc_u32 s9, 0, 0
	s_lshr_b64 s[8:9], s[8:9], 8
	s_cmp_lt_u32 s12, s2
	s_mov_b32 s12, 0
	s_cselect_b32 s1, s1, s8
	s_cmp_lt_i32 s1, 1
	s_cbranch_scc1 .LBB175_26
; %bb.11:
	s_clause 0x2
	s_load_dwordx2 s[18:19], s[4:5], 0xd0
	s_load_dwordx2 s[8:9], s[4:5], 0x1b8
	;; [unrolled: 1-line block ×3, first 2 shown]
	v_add_nc_u32_e32 v2, s16, v0
	s_waitcnt lgkmcnt(0)
	s_mul_i32 s2, s19, s14
	s_mul_hi_u32 s17, s18, s14
	s_mul_i32 s18, s18, s14
	s_add_i32 s19, s17, s2
	s_lshl_b64 s[18:19], s[18:19], 1
	s_add_u32 s2, s4, s18
	s_addc_u32 s14, s5, s19
	s_lshl_b64 s[4:5], s[6:7], 1
	s_add_u32 s4, s2, s4
	s_addc_u32 s5, s14, s5
	s_and_b32 s2, s0, 0xff
	s_cmp_eq_u32 s1, 1
	s_cbranch_scc1 .LBB175_21
; %bb.12:
	v_mov_b32_e32 v3, 1
	v_mov_b32_e32 v4, v2
	s_and_b32 s6, s1, 0x7ffffffe
	s_mov_b32 s7, 0
	s_branch .LBB175_14
.LBB175_13:                             ;   in Loop: Header=BB175_14 Depth=1
	s_or_b32 exec_lo, exec_lo, s12
	v_add_nc_u32_e32 v4, 0x200, v4
	s_add_i32 s7, s7, 2
	s_cmp_eq_u32 s6, s7
	s_cbranch_scc1 .LBB175_20
.LBB175_14:                             ; =>This Inner Loop Header: Depth=1
	s_mov_b32 s12, exec_lo
	v_cmpx_gt_u32_e64 s15, v4
	s_cbranch_execz .LBB175_17
; %bb.15:                               ;   in Loop: Header=BB175_14 Depth=1
	v_mad_u64_u32 v[5:6], null, s8, v4, 0
	v_mad_u64_u32 v[6:7], null, s9, v4, v[6:7]
	v_lshlrev_b64 v[5:6], 1, v[5:6]
	v_add_co_u32 v5, s0, s4, v5
	v_add_co_ci_u32_e64 v6, null, s5, v6, s0
	global_load_sshort v5, v[5:6], off
	s_waitcnt vmcnt(0)
	v_add_nc_u32_e32 v5, 0x8000, v5
	v_xor_b32_e32 v6, s13, v5
	v_and_b32_e32 v6, s3, v6
	v_cmp_eq_u32_e64 s0, 0, v6
	s_and_b32 exec_lo, exec_lo, s0
; %bb.16:                               ;   in Loop: Header=BB175_14 Depth=1
	v_bfe_u32 v5, v5, s2, 8
	v_lshlrev_b32_e32 v5, 2, v5
	ds_add_u32 v5, v3
.LBB175_17:                             ;   in Loop: Header=BB175_14 Depth=1
	s_or_b32 exec_lo, exec_lo, s12
	v_add_nc_u32_e32 v5, 0x100, v4
	s_mov_b32 s12, exec_lo
	v_cmpx_gt_u32_e64 s15, v5
	s_cbranch_execz .LBB175_13
; %bb.18:                               ;   in Loop: Header=BB175_14 Depth=1
	v_mad_u64_u32 v[6:7], null, s8, v5, 0
	v_mad_u64_u32 v[7:8], null, s9, v5, v[7:8]
	v_lshlrev_b64 v[5:6], 1, v[6:7]
	v_add_co_u32 v5, s0, s4, v5
	v_add_co_ci_u32_e64 v6, null, s5, v6, s0
	global_load_sshort v5, v[5:6], off
	s_waitcnt vmcnt(0)
	v_add_nc_u32_e32 v5, 0x8000, v5
	v_xor_b32_e32 v6, s13, v5
	v_and_b32_e32 v6, s3, v6
	v_cmp_eq_u32_e64 s0, 0, v6
	s_and_b32 exec_lo, exec_lo, s0
	s_cbranch_execz .LBB175_13
; %bb.19:                               ;   in Loop: Header=BB175_14 Depth=1
	v_bfe_u32 v5, v5, s2, 8
	v_lshlrev_b32_e32 v5, 2, v5
	ds_add_u32 v5, v3
	s_branch .LBB175_13
.LBB175_20:
	s_lshl_b32 s12, s6, 8
.LBB175_21:
	s_bitcmp0_b32 s1, 0
	s_cbranch_scc1 .LBB175_26
; %bb.22:
	v_add_nc_u32_e32 v2, s12, v2
	s_mov_b32 s1, exec_lo
	v_cmpx_gt_u32_e64 s15, v2
	s_cbranch_execz .LBB175_25
; %bb.23:
	v_mad_u64_u32 v[3:4], null, s8, v2, 0
	v_mad_u64_u32 v[4:5], null, s9, v2, v[4:5]
	v_lshlrev_b64 v[2:3], 1, v[3:4]
	v_add_co_u32 v2, s0, s4, v2
	v_add_co_ci_u32_e64 v3, null, s5, v3, s0
	global_load_sshort v2, v[2:3], off
	s_waitcnt vmcnt(0)
	v_add_nc_u32_e32 v2, 0x8000, v2
	v_xor_b32_e32 v3, s13, v2
	v_and_b32_e32 v3, s3, v3
	v_cmp_eq_u32_e64 s0, 0, v3
	s_and_b32 exec_lo, exec_lo, s0
	s_cbranch_execz .LBB175_25
; %bb.24:
	v_bfe_u32 v2, v2, s2, 8
	v_mov_b32_e32 v3, 1
	v_lshlrev_b32_e32 v2, 2, v2
	ds_add_u32 v2, v3
.LBB175_25:
	s_or_b32 exec_lo, exec_lo, s1
.LBB175_26:
	s_waitcnt lgkmcnt(0)
	s_barrier
	buffer_gl0_inv
	s_and_saveexec_b32 s0, vcc_lo
	s_cbranch_execz .LBB175_28
; %bb.27:
	ds_read_b32 v2, v1
	v_lshl_or_b32 v0, s24, 8, v0
	v_mov_b32_e32 v1, 0
	v_lshlrev_b64 v[0:1], 1, v[0:1]
	v_add_co_u32 v0, vcc_lo, s10, v0
	v_add_co_ci_u32_e64 v1, null, s11, v1, vcc_lo
	s_waitcnt lgkmcnt(0)
	global_store_short v[0:1], v2, off
.LBB175_28:
	s_endpgm
	.section	.rodata,"a",@progbits
	.p2align	6, 0x0
	.amdhsa_kernel _ZN2at6native6mbtopk23computeBlockDigitCountsIsmjLin1EEEvNS_4cuda6detail10TensorInfoIKT_T0_EEjPjjS8_iijT1_PSB_Ps
		.amdhsa_group_segment_fixed_size 1024
		.amdhsa_private_segment_fixed_size 0
		.amdhsa_kernarg_size 736
		.amdhsa_user_sgpr_count 6
		.amdhsa_user_sgpr_private_segment_buffer 1
		.amdhsa_user_sgpr_dispatch_ptr 0
		.amdhsa_user_sgpr_queue_ptr 0
		.amdhsa_user_sgpr_kernarg_segment_ptr 1
		.amdhsa_user_sgpr_dispatch_id 0
		.amdhsa_user_sgpr_flat_scratch_init 0
		.amdhsa_user_sgpr_private_segment_size 0
		.amdhsa_wavefront_size32 1
		.amdhsa_uses_dynamic_stack 0
		.amdhsa_system_sgpr_private_segment_wavefront_offset 0
		.amdhsa_system_sgpr_workgroup_id_x 1
		.amdhsa_system_sgpr_workgroup_id_y 1
		.amdhsa_system_sgpr_workgroup_id_z 1
		.amdhsa_system_sgpr_workgroup_info 0
		.amdhsa_system_vgpr_workitem_id 0
		.amdhsa_next_free_vgpr 9
		.amdhsa_next_free_sgpr 28
		.amdhsa_reserve_vcc 1
		.amdhsa_reserve_flat_scratch 0
		.amdhsa_float_round_mode_32 0
		.amdhsa_float_round_mode_16_64 0
		.amdhsa_float_denorm_mode_32 3
		.amdhsa_float_denorm_mode_16_64 3
		.amdhsa_dx10_clamp 1
		.amdhsa_ieee_mode 1
		.amdhsa_fp16_overflow 0
		.amdhsa_workgroup_processor_mode 1
		.amdhsa_memory_ordered 1
		.amdhsa_forward_progress 1
		.amdhsa_shared_vgpr_count 0
		.amdhsa_exception_fp_ieee_invalid_op 0
		.amdhsa_exception_fp_denorm_src 0
		.amdhsa_exception_fp_ieee_div_zero 0
		.amdhsa_exception_fp_ieee_overflow 0
		.amdhsa_exception_fp_ieee_underflow 0
		.amdhsa_exception_fp_ieee_inexact 0
		.amdhsa_exception_int_div_zero 0
	.end_amdhsa_kernel
	.section	.text._ZN2at6native6mbtopk23computeBlockDigitCountsIsmjLin1EEEvNS_4cuda6detail10TensorInfoIKT_T0_EEjPjjS8_iijT1_PSB_Ps,"axG",@progbits,_ZN2at6native6mbtopk23computeBlockDigitCountsIsmjLin1EEEvNS_4cuda6detail10TensorInfoIKT_T0_EEjPjjS8_iijT1_PSB_Ps,comdat
.Lfunc_end175:
	.size	_ZN2at6native6mbtopk23computeBlockDigitCountsIsmjLin1EEEvNS_4cuda6detail10TensorInfoIKT_T0_EEjPjjS8_iijT1_PSB_Ps, .Lfunc_end175-_ZN2at6native6mbtopk23computeBlockDigitCountsIsmjLin1EEEvNS_4cuda6detail10TensorInfoIKT_T0_EEjPjjS8_iijT1_PSB_Ps
                                        ; -- End function
	.set _ZN2at6native6mbtopk23computeBlockDigitCountsIsmjLin1EEEvNS_4cuda6detail10TensorInfoIKT_T0_EEjPjjS8_iijT1_PSB_Ps.num_vgpr, 9
	.set _ZN2at6native6mbtopk23computeBlockDigitCountsIsmjLin1EEEvNS_4cuda6detail10TensorInfoIKT_T0_EEjPjjS8_iijT1_PSB_Ps.num_agpr, 0
	.set _ZN2at6native6mbtopk23computeBlockDigitCountsIsmjLin1EEEvNS_4cuda6detail10TensorInfoIKT_T0_EEjPjjS8_iijT1_PSB_Ps.numbered_sgpr, 28
	.set _ZN2at6native6mbtopk23computeBlockDigitCountsIsmjLin1EEEvNS_4cuda6detail10TensorInfoIKT_T0_EEjPjjS8_iijT1_PSB_Ps.num_named_barrier, 0
	.set _ZN2at6native6mbtopk23computeBlockDigitCountsIsmjLin1EEEvNS_4cuda6detail10TensorInfoIKT_T0_EEjPjjS8_iijT1_PSB_Ps.private_seg_size, 0
	.set _ZN2at6native6mbtopk23computeBlockDigitCountsIsmjLin1EEEvNS_4cuda6detail10TensorInfoIKT_T0_EEjPjjS8_iijT1_PSB_Ps.uses_vcc, 1
	.set _ZN2at6native6mbtopk23computeBlockDigitCountsIsmjLin1EEEvNS_4cuda6detail10TensorInfoIKT_T0_EEjPjjS8_iijT1_PSB_Ps.uses_flat_scratch, 0
	.set _ZN2at6native6mbtopk23computeBlockDigitCountsIsmjLin1EEEvNS_4cuda6detail10TensorInfoIKT_T0_EEjPjjS8_iijT1_PSB_Ps.has_dyn_sized_stack, 0
	.set _ZN2at6native6mbtopk23computeBlockDigitCountsIsmjLin1EEEvNS_4cuda6detail10TensorInfoIKT_T0_EEjPjjS8_iijT1_PSB_Ps.has_recursion, 0
	.set _ZN2at6native6mbtopk23computeBlockDigitCountsIsmjLin1EEEvNS_4cuda6detail10TensorInfoIKT_T0_EEjPjjS8_iijT1_PSB_Ps.has_indirect_call, 0
	.section	.AMDGPU.csdata,"",@progbits
; Kernel info:
; codeLenInByte = 1196
; TotalNumSgprs: 30
; NumVgprs: 9
; ScratchSize: 0
; MemoryBound: 0
; FloatMode: 240
; IeeeMode: 1
; LDSByteSize: 1024 bytes/workgroup (compile time only)
; SGPRBlocks: 0
; VGPRBlocks: 1
; NumSGPRsForWavesPerEU: 30
; NumVGPRsForWavesPerEU: 9
; Occupancy: 16
; WaveLimiterHint : 0
; COMPUTE_PGM_RSRC2:SCRATCH_EN: 0
; COMPUTE_PGM_RSRC2:USER_SGPR: 6
; COMPUTE_PGM_RSRC2:TRAP_HANDLER: 0
; COMPUTE_PGM_RSRC2:TGID_X_EN: 1
; COMPUTE_PGM_RSRC2:TGID_Y_EN: 1
; COMPUTE_PGM_RSRC2:TGID_Z_EN: 1
; COMPUTE_PGM_RSRC2:TIDIG_COMP_CNT: 0
	.section	.text._ZN2at6native6mbtopk10gatherTopKIsmLin1EEEvNS_4cuda6detail10TensorInfoIKT_T0_EES8_S8_bjS8_NS5_IS6_S8_EES8_NS5_IlS8_EES8_jjPS6_PjSD_j,"axG",@progbits,_ZN2at6native6mbtopk10gatherTopKIsmLin1EEEvNS_4cuda6detail10TensorInfoIKT_T0_EES8_S8_bjS8_NS5_IS6_S8_EES8_NS5_IlS8_EES8_jjPS6_PjSD_j,comdat
	.protected	_ZN2at6native6mbtopk10gatherTopKIsmLin1EEEvNS_4cuda6detail10TensorInfoIKT_T0_EES8_S8_bjS8_NS5_IS6_S8_EES8_NS5_IlS8_EES8_jjPS6_PjSD_j ; -- Begin function _ZN2at6native6mbtopk10gatherTopKIsmLin1EEEvNS_4cuda6detail10TensorInfoIKT_T0_EES8_S8_bjS8_NS5_IS6_S8_EES8_NS5_IlS8_EES8_jjPS6_PjSD_j
	.globl	_ZN2at6native6mbtopk10gatherTopKIsmLin1EEEvNS_4cuda6detail10TensorInfoIKT_T0_EES8_S8_bjS8_NS5_IS6_S8_EES8_NS5_IlS8_EES8_jjPS6_PjSD_j
	.p2align	8
	.type	_ZN2at6native6mbtopk10gatherTopKIsmLin1EEEvNS_4cuda6detail10TensorInfoIKT_T0_EES8_S8_bjS8_NS5_IS6_S8_EES8_NS5_IlS8_EES8_jjPS6_PjSD_j,@function
_ZN2at6native6mbtopk10gatherTopKIsmLin1EEEvNS_4cuda6detail10TensorInfoIKT_T0_EES8_S8_bjS8_NS5_IS6_S8_EES8_NS5_IlS8_EES8_jjPS6_PjSD_j: ; @_ZN2at6native6mbtopk10gatherTopKIsmLin1EEEvNS_4cuda6detail10TensorInfoIKT_T0_EES8_S8_bjS8_NS5_IS6_S8_EES8_NS5_IlS8_EES8_jjPS6_PjSD_j
; %bb.0:
	s_clause 0x1
	s_load_dwordx2 s[0:1], s[4:5], 0x538
	s_load_dword s2, s[4:5], 0x530
	s_waitcnt lgkmcnt(0)
	s_mul_i32 s1, s1, s8
	s_add_i32 s1, s1, s7
	s_mul_i32 s0, s1, s0
	s_add_i32 s0, s0, s6
	s_cmp_ge_u32 s0, s2
	s_cbranch_scc1 .LBB176_61
; %bb.1:
	s_clause 0x1
	s_load_dwordx2 s[6:7], s[4:5], 0x510
	s_load_dwordx4 s[8:11], s[4:5], 0x1a0
	s_mov_b32 s13, 0
	s_waitcnt lgkmcnt(0)
	v_cvt_f32_u32_e32 v1, s7
	s_sub_i32 s2, 0, s7
	s_lshl_b32 s33, s6, 8
	v_rcp_iflag_f32_e32 v1, v1
	v_mul_f32_e32 v1, 0x4f7ffffe, v1
	v_cvt_u32_f32_e32 v1, v1
	v_readfirstlane_b32 s1, v1
	s_mul_i32 s2, s2, s1
	s_mul_hi_u32 s2, s1, s2
	s_add_i32 s1, s1, s2
	s_mul_hi_u32 s1, s0, s1
	s_mul_i32 s2, s1, s7
	s_add_i32 s3, s1, 1
	s_sub_i32 s2, s0, s2
	s_sub_i32 s12, s2, s7
	s_cmp_ge_u32 s2, s7
	s_cselect_b32 s1, s3, s1
	s_cselect_b32 s2, s12, s2
	s_add_i32 s3, s1, 1
	s_cmp_ge_u32 s2, s7
	s_cselect_b32 s12, s3, s1
	s_mul_i32 s18, s12, s7
	s_sub_i32 s50, s0, s18
	s_add_i32 s0, s50, 1
	s_cmp_lt_u32 s0, s7
	s_cbranch_scc1 .LBB176_3
; %bb.2:
	s_mul_i32 s0, s50, s33
	s_sub_u32 s0, s8, s0
	s_subb_u32 s1, s9, 0
	s_add_u32 s0, s0, 0xff
	s_addc_u32 s1, s1, 0
	s_ashr_i32 s2, s1, 31
	s_lshr_b32 s2, s2, 24
	s_add_u32 s0, s0, s2
	s_addc_u32 s1, s1, 0
	s_lshr_b64 s[0:1], s[0:1], 8
	s_mov_b32 s6, s0
.LBB176_3:
	s_load_dword s2, s[4:5], 0x198
	s_mov_b64 s[16:17], 0
	s_mov_b64 s[20:21], s[12:13]
	s_waitcnt lgkmcnt(0)
	s_cmp_lt_i32 s2, 2
	s_cbranch_scc1 .LBB176_9
; %bb.4:
	s_add_i32 s0, s2, -1
	s_mov_b32 s1, 0
	s_add_i32 s19, s2, 1
	s_lshl_b64 s[14:15], s[0:1], 3
	s_add_u32 s0, s4, s14
	s_addc_u32 s3, s5, s15
	s_add_u32 s2, s0, 8
	s_addc_u32 s3, s3, 0
	s_mov_b64 s[14:15], s[12:13]
.LBB176_5:                              ; =>This Inner Loop Header: Depth=1
	s_load_dwordx2 s[22:23], s[2:3], 0x0
	s_mov_b64 s[20:21], 0
	s_waitcnt lgkmcnt(0)
	v_cmp_lt_u64_e64 s0, s[14:15], s[22:23]
	s_and_b32 vcc_lo, exec_lo, s0
	s_cbranch_vccnz .LBB176_7
; %bb.6:                                ;   in Loop: Header=BB176_5 Depth=1
	v_cvt_f32_u32_e32 v1, s22
	s_sub_i32 s20, 0, s22
	v_rcp_iflag_f32_e32 v1, v1
	v_mul_f32_e32 v1, 0x4f7ffffe, v1
	v_cvt_u32_f32_e32 v1, v1
	v_readfirstlane_b32 s0, v1
	s_mul_i32 s20, s20, s0
	s_mul_hi_u32 s20, s0, s20
	s_add_i32 s0, s0, s20
	s_mul_hi_u32 s0, s14, s0
	s_mul_i32 s20, s0, s22
	s_add_i32 s21, s0, 1
	s_sub_i32 s20, s14, s20
	s_sub_i32 s24, s20, s22
	s_cmp_ge_u32 s20, s22
	s_cselect_b32 s0, s21, s0
	s_cselect_b32 s20, s24, s20
	s_add_i32 s21, s0, 1
	s_cmp_ge_u32 s20, s22
	s_cselect_b32 s0, s21, s0
	s_mov_b64 s[20:21], s[0:1]
.LBB176_7:                              ;   in Loop: Header=BB176_5 Depth=1
	s_load_dwordx2 s[24:25], s[2:3], 0xc8
	s_mul_i32 s0, s20, s23
	s_mul_hi_u32 s23, s20, s22
	s_mul_i32 s22, s20, s22
	s_add_i32 s23, s23, s0
	s_sub_u32 s0, s14, s22
	s_subb_u32 s14, s15, s23
	s_waitcnt lgkmcnt(0)
	s_mul_i32 s14, s24, s14
	s_mul_hi_u32 s15, s24, s0
	s_mul_i32 s22, s25, s0
	s_add_i32 s14, s15, s14
	s_mul_i32 s0, s24, s0
	s_add_i32 s14, s14, s22
	s_add_u32 s16, s0, s16
	s_addc_u32 s17, s14, s17
	s_add_i32 s19, s19, -1
	s_add_u32 s2, s2, -8
	s_addc_u32 s3, s3, -1
	s_cmp_gt_u32 s19, 2
	s_cbranch_scc0 .LBB176_9
; %bb.8:                                ;   in Loop: Header=BB176_5 Depth=1
	s_mov_b64 s[14:15], s[20:21]
	s_branch .LBB176_5
.LBB176_9:
	s_clause 0x1
	s_load_dword s14, s[4:5], 0x358
	s_load_dwordx2 s[24:25], s[4:5], 0xd0
	s_add_u32 s0, s4, 0x1c0
	s_addc_u32 s1, s5, 0
	s_mov_b64 s[22:23], 0
	s_mov_b64 s[26:27], s[12:13]
	s_waitcnt lgkmcnt(0)
	s_cmp_lt_i32 s14, 2
	s_cbranch_scc1 .LBB176_15
; %bb.10:
	s_add_i32 s2, s14, -1
	s_mov_b32 s3, 0
	s_add_i32 s19, s14, 1
	s_lshl_b64 s[22:23], s[2:3], 3
	s_mov_b64 s[28:29], s[12:13]
	s_add_u32 s2, s0, s22
	s_addc_u32 s15, s1, s23
	s_add_u32 s14, s2, 8
	s_addc_u32 s15, s15, 0
	s_mov_b64 s[22:23], 0
.LBB176_11:                             ; =>This Inner Loop Header: Depth=1
	s_load_dwordx2 s[30:31], s[14:15], 0x0
	s_mov_b64 s[26:27], 0
	s_waitcnt lgkmcnt(0)
	v_cmp_lt_u64_e64 s2, s[28:29], s[30:31]
	s_and_b32 vcc_lo, exec_lo, s2
	s_cbranch_vccnz .LBB176_13
; %bb.12:                               ;   in Loop: Header=BB176_11 Depth=1
	v_cvt_f32_u32_e32 v1, s30
	s_sub_i32 s21, 0, s30
	v_rcp_iflag_f32_e32 v1, v1
	v_mul_f32_e32 v1, 0x4f7ffffe, v1
	v_cvt_u32_f32_e32 v1, v1
	v_readfirstlane_b32 s2, v1
	s_mul_i32 s21, s21, s2
	s_mul_hi_u32 s21, s2, s21
	s_add_i32 s2, s2, s21
	s_mul_hi_u32 s2, s28, s2
	s_mul_i32 s21, s2, s30
	s_add_i32 s26, s2, 1
	s_sub_i32 s21, s28, s21
	s_sub_i32 s27, s21, s30
	s_cmp_ge_u32 s21, s30
	s_cselect_b32 s2, s26, s2
	s_cselect_b32 s21, s27, s21
	s_add_i32 s26, s2, 1
	s_cmp_ge_u32 s21, s30
	s_cselect_b32 s2, s26, s2
	s_mov_b64 s[26:27], s[2:3]
.LBB176_13:                             ;   in Loop: Header=BB176_11 Depth=1
	s_load_dwordx2 s[34:35], s[14:15], 0xc8
	s_mul_i32 s2, s26, s31
	s_mul_hi_u32 s21, s26, s30
	s_mul_i32 s30, s26, s30
	s_add_i32 s21, s21, s2
	s_sub_u32 s2, s28, s30
	s_subb_u32 s21, s29, s21
	s_waitcnt lgkmcnt(0)
	s_mul_i32 s21, s34, s21
	s_mul_hi_u32 s28, s34, s2
	s_mul_i32 s29, s35, s2
	s_add_i32 s21, s28, s21
	s_mul_i32 s2, s34, s2
	s_add_i32 s21, s21, s29
	s_add_u32 s22, s2, s22
	s_addc_u32 s23, s21, s23
	s_add_i32 s19, s19, -1
	s_add_u32 s14, s14, -8
	s_addc_u32 s15, s15, -1
	s_cmp_gt_u32 s19, 2
	s_cbranch_scc0 .LBB176_15
; %bb.14:                               ;   in Loop: Header=BB176_11 Depth=1
	s_mov_b64 s[28:29], s[26:27]
	s_branch .LBB176_11
.LBB176_15:
	s_clause 0x1
	s_load_dword s2, s[4:5], 0x500
	s_load_dwordx2 s[30:31], s[0:1], 0xd0
	s_add_u32 s3, s4, 0x368
	s_addc_u32 s14, s5, 0
	s_mov_b64 s[28:29], 0
	s_waitcnt lgkmcnt(0)
	s_cmp_lt_i32 s2, 2
	s_cbranch_scc1 .LBB176_21
; %bb.16:
	s_add_i32 s0, s2, -1
	s_mov_b32 s1, 0
	s_add_i32 s19, s2, 1
	s_lshl_b64 s[28:29], s[0:1], 3
	s_add_u32 s0, s3, s28
	s_addc_u32 s3, s14, s29
	s_add_u32 s2, s0, 8
	s_addc_u32 s3, s3, 0
	s_mov_b64 s[28:29], 0
	s_mov_b64 s[14:15], s[12:13]
.LBB176_17:                             ; =>This Inner Loop Header: Depth=1
	s_load_dwordx2 s[36:37], s[2:3], 0x0
	s_mov_b64 s[34:35], 0
	s_waitcnt lgkmcnt(0)
	v_cmp_lt_u64_e64 s0, s[14:15], s[36:37]
	s_and_b32 vcc_lo, exec_lo, s0
	s_cbranch_vccnz .LBB176_19
; %bb.18:                               ;   in Loop: Header=BB176_17 Depth=1
	v_cvt_f32_u32_e32 v1, s36
	s_sub_i32 s21, 0, s36
	v_rcp_iflag_f32_e32 v1, v1
	v_mul_f32_e32 v1, 0x4f7ffffe, v1
	v_cvt_u32_f32_e32 v1, v1
	v_readfirstlane_b32 s0, v1
	s_mul_i32 s21, s21, s0
	s_mul_hi_u32 s21, s0, s21
	s_add_i32 s0, s0, s21
	s_mul_hi_u32 s0, s14, s0
	s_mul_i32 s21, s0, s36
	s_add_i32 s27, s0, 1
	s_sub_i32 s21, s14, s21
	s_sub_i32 s34, s21, s36
	s_cmp_ge_u32 s21, s36
	s_cselect_b32 s0, s27, s0
	s_cselect_b32 s21, s34, s21
	s_add_i32 s27, s0, 1
	s_cmp_ge_u32 s21, s36
	s_cselect_b32 s0, s27, s0
	s_mov_b64 s[34:35], s[0:1]
.LBB176_19:                             ;   in Loop: Header=BB176_17 Depth=1
	s_load_dwordx2 s[38:39], s[2:3], 0xc8
	s_mul_i32 s0, s34, s37
	s_mul_hi_u32 s21, s34, s36
	s_mul_i32 s27, s34, s36
	s_add_i32 s21, s21, s0
	s_sub_u32 s0, s14, s27
	s_subb_u32 s14, s15, s21
	s_waitcnt lgkmcnt(0)
	s_mul_i32 s14, s38, s14
	s_mul_hi_u32 s15, s38, s0
	s_mul_i32 s21, s39, s0
	s_add_i32 s14, s15, s14
	s_mul_i32 s0, s38, s0
	s_add_i32 s14, s14, s21
	s_add_u32 s28, s0, s28
	s_addc_u32 s29, s14, s29
	s_add_i32 s19, s19, -1
	s_add_u32 s2, s2, -8
	s_addc_u32 s3, s3, -1
	s_cmp_gt_u32 s19, 2
	s_cbranch_scc0 .LBB176_22
; %bb.20:                               ;   in Loop: Header=BB176_17 Depth=1
	s_mov_b64 s[14:15], s[34:35]
	s_branch .LBB176_17
.LBB176_21:
	s_mov_b64 s[34:35], s[12:13]
.LBB176_22:
	s_load_dwordx4 s[0:3], s[4:5], 0x518
	s_lshl_b64 s[12:13], s[12:13], 1
	v_mov_b32_e32 v1, 0
	s_mov_b32 s19, 0
	s_waitcnt lgkmcnt(0)
	s_add_u32 s0, s0, s12
	s_addc_u32 s1, s1, s13
	global_load_ushort v8, v1, s[0:1]
	s_clause 0x3
	s_load_dwordx2 s[38:39], s[4:5], 0x438
	s_load_dwordx2 s[42:43], s[4:5], 0x0
	s_load_dwordx2 s[40:41], s[4:5], 0x1c0
	s_load_dwordx2 s[36:37], s[4:5], 0x368
	v_cmp_ne_u32_e64 s0, 0, v0
	v_cmp_eq_u32_e64 s1, 0, v0
	s_and_saveexec_b32 s21, s1
	s_cbranch_execz .LBB176_38
; %bb.23:
	s_load_dwordx2 s[44:45], s[4:5], 0x528
	s_lshl_b64 s[46:47], s[18:19], 2
	s_mov_b32 s18, 0
	s_add_u32 s12, s2, s46
	s_addc_u32 s13, s3, s47
	s_mov_b32 s27, 0
	s_waitcnt lgkmcnt(0)
	s_add_u32 s14, s44, s46
	s_addc_u32 s15, s45, s47
	s_cmp_lt_u32 s7, 4
	s_cbranch_scc1 .LBB176_35
; %bb.24:
	s_mov_b32 s35, 0
.LBB176_25:                             ; =>This Inner Loop Header: Depth=1
	s_add_u32 s12, s2, s46
	s_addc_u32 s13, s3, s47
	s_add_u32 s48, s44, s46
	s_load_dwordx4 s[12:15], s[12:13], 0x0
	s_addc_u32 s49, s45, s47
	s_cmp_ge_u32 s35, s50
	s_cbranch_scc0 .LBB176_32
; %bb.26:                               ;   in Loop: Header=BB176_25 Depth=1
	s_add_i32 s51, s35, 1
	s_cmp_ge_u32 s51, s50
	s_cbranch_scc0 .LBB176_33
.LBB176_27:                             ;   in Loop: Header=BB176_25 Depth=1
	s_add_i32 s51, s51, 1
	s_cmp_ge_u32 s51, s50
	s_cbranch_scc0 .LBB176_34
.LBB176_28:                             ;   in Loop: Header=BB176_25 Depth=1
	s_add_i32 s51, s51, 1
	s_cmp_ge_u32 s51, s50
	s_cbranch_scc1 .LBB176_30
.LBB176_29:                             ;   in Loop: Header=BB176_25 Depth=1
	s_load_dword s48, s[48:49], 0xc
	s_waitcnt lgkmcnt(0)
	s_add_i32 s19, s19, s15
	s_add_i32 s18, s48, s18
.LBB176_30:                             ;   in Loop: Header=BB176_25 Depth=1
	s_waitcnt lgkmcnt(0)
	s_add_i32 s12, s12, s27
	s_add_i32 s12, s12, s13
	;; [unrolled: 1-line block ×4, first 2 shown]
	s_add_u32 s2, s2, 16
	s_addc_u32 s3, s3, 0
	s_add_u32 s44, s44, 16
	s_addc_u32 s45, s45, 0
	s_add_i32 s49, s51, 4
	s_add_u32 s14, s44, s46
	s_addc_u32 s15, s45, s47
	s_add_u32 s12, s2, s46
	s_addc_u32 s13, s3, s47
	s_add_i32 s48, s51, 1
	s_cmp_ge_u32 s49, s7
	s_cbranch_scc1 .LBB176_36
; %bb.31:                               ;   in Loop: Header=BB176_25 Depth=1
	s_mov_b32 s35, s48
	s_branch .LBB176_25
.LBB176_32:                             ;   in Loop: Header=BB176_25 Depth=1
	s_load_dword s51, s[48:49], 0x0
	s_waitcnt lgkmcnt(0)
	s_add_i32 s19, s12, s19
	s_add_i32 s18, s51, s18
	;; [unrolled: 1-line block ×3, first 2 shown]
	s_cmp_ge_u32 s51, s50
	s_cbranch_scc1 .LBB176_27
.LBB176_33:                             ;   in Loop: Header=BB176_25 Depth=1
	s_load_dword s52, s[48:49], 0x4
	s_waitcnt lgkmcnt(0)
	s_add_i32 s19, s19, s13
	s_add_i32 s18, s52, s18
	;; [unrolled: 1-line block ×3, first 2 shown]
	s_cmp_ge_u32 s51, s50
	s_cbranch_scc1 .LBB176_28
.LBB176_34:                             ;   in Loop: Header=BB176_25 Depth=1
	s_load_dword s52, s[48:49], 0x8
	s_waitcnt lgkmcnt(0)
	s_add_i32 s19, s19, s14
	s_add_i32 s18, s52, s18
	;; [unrolled: 1-line block ×3, first 2 shown]
	s_cmp_ge_u32 s51, s50
	s_cbranch_scc0 .LBB176_29
	s_branch .LBB176_30
.LBB176_35:
	s_mov_b32 s2, 0
	s_cmp_ge_u32 s2, s7
	s_cbranch_scc0 .LBB176_59
	s_branch .LBB176_37
.LBB176_36:
	s_add_i32 s2, s35, 4
	s_cmp_ge_u32 s2, s7
	s_cbranch_scc0 .LBB176_59
.LBB176_37:
	v_mov_b32_e32 v1, s18
	v_mov_b32_e32 v2, s27
	;; [unrolled: 1-line block ×4, first 2 shown]
	ds_write_b96 v4, v[1:3] offset:1056
.LBB176_38:
	s_or_b32 exec_lo, exec_lo, s21
	s_cmp_eq_u32 s6, 0
	s_waitcnt vmcnt(0) lgkmcnt(0)
	s_barrier
	buffer_gl0_inv
	s_cbranch_scc1 .LBB176_61
; %bb.39:
	s_mul_i32 s7, s25, s20
	s_mul_hi_u32 s12, s24, s20
	v_mov_b32_e32 v5, 0
	s_mul_i32 s2, s31, s26
	s_mul_hi_u32 s3, s30, s26
	s_add_i32 s13, s12, s7
	s_mul_i32 s12, s24, s20
	s_add_i32 s3, s3, s2
	s_mul_i32 s2, s39, s34
	s_mul_hi_u32 s7, s38, s34
	s_lshl_b64 s[12:13], s[12:13], 1
	s_add_i32 s15, s7, s2
	ds_read_b96 v[1:3], v5 offset:1056
	s_add_u32 s7, s42, s12
	s_addc_u32 s14, s43, s13
	s_lshl_b64 s[12:13], s[16:17], 1
	s_mul_i32 s2, s30, s26
	s_add_u32 s7, s7, s12
	s_addc_u32 s16, s14, s13
	s_lshl_b64 s[2:3], s[2:3], 1
	s_mul_i32 s14, s38, s34
	s_add_u32 s12, s40, s2
	s_addc_u32 s13, s41, s3
	s_lshl_b64 s[2:3], s[22:23], 1
	v_add_nc_u32_e32 v13, -1, v0
	s_add_u32 s17, s12, s2
	s_addc_u32 s18, s13, s3
	s_lshl_b64 s[2:3], s[14:15], 3
	v_lshrrev_b32_e32 v4, 3, v0
	s_add_u32 s12, s36, s2
	s_addc_u32 s13, s37, s3
	s_lshl_b64 s[2:3], s[28:29], 3
	v_lshrrev_b32_e32 v6, 3, v13
	s_add_u32 s19, s12, s2
	s_addc_u32 s20, s13, s3
	s_clause 0x3
	s_load_dword s3, s[4:5], 0x1b0
	s_load_dwordx2 s[12:13], s[4:5], 0x1b8
	s_load_dwordx2 s[14:15], s[4:5], 0x360
	;; [unrolled: 1-line block ×3, first 2 shown]
	s_waitcnt lgkmcnt(0)
	v_add_nc_u32_e32 v1, v1, v2
	v_and_b32_e32 v15, 0x1ffffffc, v6
	v_mov_b32_e32 v9, 0x8000
	v_and_b32_e32 v2, 28, v4
	v_and_b32_e32 v4, 0xfc, v0
	v_mad_u64_u32 v[6:7], null, s50, s33, v[0:1]
	v_lshlrev_b32_e32 v14, 5, v0
	v_mbcnt_lo_u32_b32 v11, -1, 0
	v_add_nc_u32_sdwa v10, sext(v8), v9 dst_sel:DWORD dst_unused:UNUSED_PAD src0_sel:WORD_0 src1_sel:DWORD
	v_lshl_add_u32 v12, v0, 2, v2
	v_cmp_gt_u32_e64 s2, 32, v0
	v_lshl_add_u32 v0, v13, 2, v15
	v_add_nc_u32_e32 v13, v4, v14
	v_and_b32_e32 v14, 15, v11
	v_bfe_i32 v15, v11, 4, 1
	v_add_nc_u32_e32 v16, -1, v11
	v_mov_b32_e32 v4, v6
	s_bitcmp1_b32 s3, 0
                                        ; implicit-def: $vgpr17
	s_cselect_b32 s3, -1, 0
	s_branch .LBB176_42
.LBB176_40:                             ;   in Loop: Header=BB176_42 Depth=1
	s_or_b32 exec_lo, exec_lo, s21
	v_add_nc_u32_e32 v1, v2, v1
.LBB176_41:                             ;   in Loop: Header=BB176_42 Depth=1
	v_add_nc_u32_e32 v3, v18, v3
	v_add_nc_u32_e32 v4, 0x100, v4
	s_add_i32 s6, s6, -1
	s_cmp_lg_u32 s6, 0
	s_cbranch_scc0 .LBB176_61
.LBB176_42:                             ; =>This Inner Loop Header: Depth=1
	v_mov_b32_e32 v2, v5
	v_mov_b32_e32 v6, v5
	s_mov_b32 s21, exec_lo
	v_cmpx_gt_u64_e64 s[8:9], v[4:5]
	s_cbranch_execz .LBB176_44
; %bb.43:                               ;   in Loop: Header=BB176_42 Depth=1
	v_mad_u64_u32 v[6:7], null, s12, v4, 0
	v_mov_b32_e32 v2, v7
	v_mad_u64_u32 v[17:18], null, s13, v4, v[2:3]
	v_mov_b32_e32 v7, v17
	v_lshlrev_b64 v[6:7], 1, v[6:7]
	v_add_co_u32 v6, vcc_lo, s7, v6
	v_add_co_ci_u32_e64 v7, null, s16, v7, vcc_lo
	global_load_ushort v17, v[6:7], off
	s_waitcnt vmcnt(0)
	v_add_nc_u32_sdwa v2, sext(v17), v9 dst_sel:DWORD dst_unused:UNUSED_PAD src0_sel:WORD_0 src1_sel:DWORD
	v_cmp_gt_u32_e32 vcc_lo, v2, v10
	v_cndmask_b32_e64 v6, 0, 1, vcc_lo
	v_cmp_lt_u32_e32 vcc_lo, v2, v10
	v_cndmask_b32_e64 v2, 0, 1, vcc_lo
	v_cmp_eq_u16_e32 vcc_lo, v17, v8
	v_cndmask_b32_e64 v2, v2, v6, s3
	v_cndmask_b32_e64 v6, 0, 1, vcc_lo
	v_and_b32_e32 v2, 1, v2
.LBB176_44:                             ;   in Loop: Header=BB176_42 Depth=1
	s_or_b32 exec_lo, exec_lo, s21
	ds_write_b32 v12, v2
	s_waitcnt lgkmcnt(0)
	s_barrier
	buffer_gl0_inv
	s_and_saveexec_b32 s21, s2
	s_cbranch_execz .LBB176_46
; %bb.45:                               ;   in Loop: Header=BB176_42 Depth=1
	ds_read2_b32 v[18:19], v13 offset1:1
	ds_read2_b32 v[20:21], v13 offset0:2 offset1:3
	ds_read2_b32 v[22:23], v13 offset0:4 offset1:5
	;; [unrolled: 1-line block ×3, first 2 shown]
	v_cmp_ne_u32_e32 vcc_lo, 0, v14
	; wave barrier
	s_waitcnt lgkmcnt(3)
	v_add_nc_u32_e32 v7, v19, v18
	s_waitcnt lgkmcnt(2)
	v_add3_u32 v7, v7, v20, v21
	s_waitcnt lgkmcnt(1)
	v_add3_u32 v7, v7, v22, v23
	s_waitcnt lgkmcnt(0)
	v_add3_u32 v7, v7, v24, v25
	v_mov_b32_dpp v19, v7 row_shr:1 row_mask:0xf bank_mask:0xf
	v_cndmask_b32_e32 v19, 0, v19, vcc_lo
	v_cmp_lt_u32_e32 vcc_lo, 1, v14
	v_add_nc_u32_e32 v7, v19, v7
	v_mov_b32_dpp v19, v7 row_shr:2 row_mask:0xf bank_mask:0xf
	v_cndmask_b32_e32 v19, 0, v19, vcc_lo
	v_cmp_lt_u32_e32 vcc_lo, 3, v14
	v_add_nc_u32_e32 v7, v7, v19
	;; [unrolled: 4-line block ×3, first 2 shown]
	v_mov_b32_dpp v19, v7 row_shr:8 row_mask:0xf bank_mask:0xf
	v_cndmask_b32_e32 v19, 0, v19, vcc_lo
	v_cmp_gt_i32_e32 vcc_lo, 0, v16
	v_add_nc_u32_e32 v7, v7, v19
	v_cndmask_b32_e32 v20, v16, v11, vcc_lo
	ds_swizzle_b32 v19, v7 offset:swizzle(BROADCAST,32,15)
	v_lshlrev_b32_e32 v20, 2, v20
	s_waitcnt lgkmcnt(0)
	v_and_b32_e32 v19, v15, v19
	v_add_nc_u32_e32 v7, v7, v19
	ds_bpermute_b32 v7, v20, v7
	s_waitcnt lgkmcnt(0)
	v_add_nc_u32_e32 v7, v7, v18
	v_cndmask_b32_e64 v7, v7, v2, s1
	ds_write_b32 v13, v7
	; wave barrier
	ds_read2_b32 v[18:19], v13 offset0:1 offset1:2
	ds_read2_b32 v[20:21], v13 offset0:3 offset1:4
	;; [unrolled: 1-line block ×3, first 2 shown]
	ds_read_b32 v24, v13 offset:28
	s_waitcnt lgkmcnt(3)
	v_add_nc_u32_e32 v7, v18, v7
	v_add_nc_u32_e32 v18, v19, v7
	s_waitcnt lgkmcnt(2)
	v_add_nc_u32_e32 v19, v20, v18
	v_add_nc_u32_e32 v20, v21, v19
	;; [unrolled: 3-line block ×3, first 2 shown]
	s_waitcnt lgkmcnt(0)
	v_add_nc_u32_e32 v23, v24, v22
	ds_write2_b32 v13, v7, v18 offset0:1 offset1:2
	ds_write2_b32 v13, v19, v20 offset0:3 offset1:4
	;; [unrolled: 1-line block ×3, first 2 shown]
	ds_write_b32 v13, v23 offset:28
.LBB176_46:                             ;   in Loop: Header=BB176_42 Depth=1
	s_or_b32 exec_lo, exec_lo, s21
	v_mov_b32_e32 v7, 0
	s_waitcnt lgkmcnt(0)
	s_barrier
	buffer_gl0_inv
	s_and_saveexec_b32 s21, s0
; %bb.47:                               ;   in Loop: Header=BB176_42 Depth=1
	ds_read_b32 v7, v0
; %bb.48:                               ;   in Loop: Header=BB176_42 Depth=1
	s_or_b32 exec_lo, exec_lo, s21
	ds_read_b32 v18, v5 offset:1048
	s_mov_b32 s21, exec_lo
	s_waitcnt lgkmcnt(0)
	s_barrier
	buffer_gl0_inv
	v_cmpx_ne_u32_e32 0, v2
	s_cbranch_execz .LBB176_50
; %bb.49:                               ;   in Loop: Header=BB176_42 Depth=1
	v_add_nc_u32_e32 v24, v7, v3
	v_mad_u64_u32 v[19:20], null, s14, v24, 0
	v_mad_u64_u32 v[21:22], null, s4, v24, 0
	v_mov_b32_e32 v2, v20
	v_mov_b32_e32 v7, v22
	v_mad_u64_u32 v[22:23], null, s15, v24, v[2:3]
	v_mad_u64_u32 v[23:24], null, s5, v24, v[7:8]
	v_mov_b32_e32 v20, v22
	v_mov_b32_e32 v22, v23
	v_lshlrev_b64 v[19:20], 1, v[19:20]
	v_lshlrev_b64 v[21:22], 3, v[21:22]
	v_add_co_u32 v19, vcc_lo, s17, v19
	v_add_co_ci_u32_e64 v20, null, s18, v20, vcc_lo
	v_add_co_u32 v21, vcc_lo, s19, v21
	v_add_co_ci_u32_e64 v22, null, s20, v22, vcc_lo
	global_store_short v[19:20], v17, off
	global_store_dwordx2 v[21:22], v[4:5], off
.LBB176_50:                             ;   in Loop: Header=BB176_42 Depth=1
	s_or_b32 exec_lo, exec_lo, s21
	v_mov_b32_e32 v2, v5
	v_cmp_le_u64_e32 vcc_lo, s[10:11], v[1:2]
	s_cbranch_vccnz .LBB176_41
; %bb.51:                               ;   in Loop: Header=BB176_42 Depth=1
	ds_write_b32 v12, v6
	s_waitcnt lgkmcnt(0)
	s_waitcnt_vscnt null, 0x0
	s_barrier
	buffer_gl0_inv
	s_and_saveexec_b32 s21, s2
	s_cbranch_execz .LBB176_53
; %bb.52:                               ;   in Loop: Header=BB176_42 Depth=1
	ds_read2_b32 v[19:20], v13 offset1:1
	ds_read2_b32 v[21:22], v13 offset0:2 offset1:3
	ds_read2_b32 v[23:24], v13 offset0:4 offset1:5
	;; [unrolled: 1-line block ×3, first 2 shown]
	v_cmp_ne_u32_e32 vcc_lo, 0, v14
	; wave barrier
	s_waitcnt lgkmcnt(3)
	v_add_nc_u32_e32 v2, v20, v19
	s_waitcnt lgkmcnt(2)
	v_add3_u32 v2, v2, v21, v22
	s_waitcnt lgkmcnt(1)
	v_add3_u32 v2, v2, v23, v24
	;; [unrolled: 2-line block ×3, first 2 shown]
	v_mov_b32_dpp v7, v2 row_shr:1 row_mask:0xf bank_mask:0xf
	v_cndmask_b32_e32 v7, 0, v7, vcc_lo
	v_cmp_lt_u32_e32 vcc_lo, 1, v14
	v_add_nc_u32_e32 v2, v7, v2
	v_mov_b32_dpp v7, v2 row_shr:2 row_mask:0xf bank_mask:0xf
	v_cndmask_b32_e32 v7, 0, v7, vcc_lo
	v_cmp_lt_u32_e32 vcc_lo, 3, v14
	v_add_nc_u32_e32 v2, v2, v7
	v_mov_b32_dpp v7, v2 row_shr:4 row_mask:0xf bank_mask:0xf
	v_cndmask_b32_e32 v7, 0, v7, vcc_lo
	v_cmp_lt_u32_e32 vcc_lo, 7, v14
	v_add_nc_u32_e32 v2, v2, v7
	v_mov_b32_dpp v7, v2 row_shr:8 row_mask:0xf bank_mask:0xf
	v_cndmask_b32_e32 v7, 0, v7, vcc_lo
	v_cmp_gt_i32_e32 vcc_lo, 0, v16
	v_add_nc_u32_e32 v2, v2, v7
	v_cndmask_b32_e32 v20, v16, v11, vcc_lo
	ds_swizzle_b32 v7, v2 offset:swizzle(BROADCAST,32,15)
	v_lshlrev_b32_e32 v20, 2, v20
	s_waitcnt lgkmcnt(0)
	v_and_b32_e32 v7, v15, v7
	v_add_nc_u32_e32 v2, v2, v7
	ds_bpermute_b32 v2, v20, v2
	s_waitcnt lgkmcnt(0)
	v_add_nc_u32_e32 v2, v2, v19
	v_cndmask_b32_e64 v2, v2, v6, s1
	ds_write_b32 v13, v2
	; wave barrier
	ds_read2_b32 v[19:20], v13 offset0:1 offset1:2
	ds_read2_b32 v[21:22], v13 offset0:3 offset1:4
	;; [unrolled: 1-line block ×3, first 2 shown]
	ds_read_b32 v7, v13 offset:28
	s_waitcnt lgkmcnt(3)
	v_add_nc_u32_e32 v2, v19, v2
	v_add_nc_u32_e32 v19, v20, v2
	s_waitcnt lgkmcnt(2)
	v_add_nc_u32_e32 v20, v21, v19
	v_add_nc_u32_e32 v21, v22, v20
	;; [unrolled: 3-line block ×3, first 2 shown]
	s_waitcnt lgkmcnt(0)
	v_add_nc_u32_e32 v7, v7, v23
	ds_write2_b32 v13, v2, v19 offset0:1 offset1:2
	ds_write2_b32 v13, v20, v21 offset0:3 offset1:4
	;; [unrolled: 1-line block ×3, first 2 shown]
	ds_write_b32 v13, v7 offset:28
.LBB176_53:                             ;   in Loop: Header=BB176_42 Depth=1
	s_or_b32 exec_lo, exec_lo, s21
	v_mov_b32_e32 v7, 0
	s_waitcnt lgkmcnt(0)
	s_barrier
	buffer_gl0_inv
	s_and_saveexec_b32 s21, s0
; %bb.54:                               ;   in Loop: Header=BB176_42 Depth=1
	ds_read_b32 v7, v0
; %bb.55:                               ;   in Loop: Header=BB176_42 Depth=1
	s_or_b32 exec_lo, exec_lo, s21
	ds_read_b32 v2, v5 offset:1048
	s_mov_b32 s21, exec_lo
	s_waitcnt lgkmcnt(0)
	s_barrier
	buffer_gl0_inv
	v_cmpx_ne_u32_e32 0, v6
	s_cbranch_execz .LBB176_40
; %bb.56:                               ;   in Loop: Header=BB176_42 Depth=1
	v_add_nc_u32_e32 v6, v7, v1
	v_mov_b32_e32 v7, v5
	v_cmp_gt_u64_e32 vcc_lo, s[10:11], v[6:7]
	s_and_b32 exec_lo, exec_lo, vcc_lo
	s_cbranch_execz .LBB176_40
; %bb.57:                               ;   in Loop: Header=BB176_42 Depth=1
	v_mad_u64_u32 v[19:20], null, s14, v6, 0
	v_mad_u64_u32 v[21:22], null, s4, v6, 0
	v_mov_b32_e32 v7, v20
	v_mov_b32_e32 v20, v22
	v_mad_u64_u32 v[22:23], null, s15, v6, v[7:8]
	v_mad_u64_u32 v[6:7], null, s5, v6, v[20:21]
	v_mov_b32_e32 v20, v22
	v_mov_b32_e32 v22, v6
	v_lshlrev_b64 v[6:7], 1, v[19:20]
	v_lshlrev_b64 v[19:20], 3, v[21:22]
	v_add_co_u32 v6, vcc_lo, s17, v6
	v_add_co_ci_u32_e64 v7, null, s18, v7, vcc_lo
	v_add_co_u32 v19, vcc_lo, s19, v19
	v_add_co_ci_u32_e64 v20, null, s20, v20, vcc_lo
	global_store_short v[6:7], v17, off
	global_store_dwordx2 v[19:20], v[4:5], off
	s_branch .LBB176_40
	.p2align	6
.LBB176_58:                             ;   in Loop: Header=BB176_59 Depth=1
	s_add_u32 s12, s12, 4
	s_addc_u32 s13, s13, 0
	s_waitcnt lgkmcnt(0)
	s_add_i32 s27, s3, s27
	s_add_u32 s14, s14, 4
	s_addc_u32 s15, s15, 0
	s_add_i32 s2, s2, 1
	s_cmp_lt_u32 s2, s7
	s_cbranch_scc0 .LBB176_37
.LBB176_59:                             ; =>This Inner Loop Header: Depth=1
	s_load_dword s3, s[12:13], 0x0
	s_cmp_ge_u32 s2, s50
	s_cbranch_scc1 .LBB176_58
; %bb.60:                               ;   in Loop: Header=BB176_59 Depth=1
	s_load_dword s35, s[14:15], 0x0
	s_waitcnt lgkmcnt(0)
	s_add_i32 s19, s3, s19
	s_add_i32 s18, s35, s18
	s_branch .LBB176_58
.LBB176_61:
	s_endpgm
	.section	.rodata,"a",@progbits
	.p2align	6, 0x0
	.amdhsa_kernel _ZN2at6native6mbtopk10gatherTopKIsmLin1EEEvNS_4cuda6detail10TensorInfoIKT_T0_EES8_S8_bjS8_NS5_IS6_S8_EES8_NS5_IlS8_EES8_jjPS6_PjSD_j
		.amdhsa_group_segment_fixed_size 1068
		.amdhsa_private_segment_fixed_size 0
		.amdhsa_kernarg_size 1592
		.amdhsa_user_sgpr_count 6
		.amdhsa_user_sgpr_private_segment_buffer 1
		.amdhsa_user_sgpr_dispatch_ptr 0
		.amdhsa_user_sgpr_queue_ptr 0
		.amdhsa_user_sgpr_kernarg_segment_ptr 1
		.amdhsa_user_sgpr_dispatch_id 0
		.amdhsa_user_sgpr_flat_scratch_init 0
		.amdhsa_user_sgpr_private_segment_size 0
		.amdhsa_wavefront_size32 1
		.amdhsa_uses_dynamic_stack 0
		.amdhsa_system_sgpr_private_segment_wavefront_offset 0
		.amdhsa_system_sgpr_workgroup_id_x 1
		.amdhsa_system_sgpr_workgroup_id_y 1
		.amdhsa_system_sgpr_workgroup_id_z 1
		.amdhsa_system_sgpr_workgroup_info 0
		.amdhsa_system_vgpr_workitem_id 0
		.amdhsa_next_free_vgpr 27
		.amdhsa_next_free_sgpr 53
		.amdhsa_reserve_vcc 1
		.amdhsa_reserve_flat_scratch 0
		.amdhsa_float_round_mode_32 0
		.amdhsa_float_round_mode_16_64 0
		.amdhsa_float_denorm_mode_32 3
		.amdhsa_float_denorm_mode_16_64 3
		.amdhsa_dx10_clamp 1
		.amdhsa_ieee_mode 1
		.amdhsa_fp16_overflow 0
		.amdhsa_workgroup_processor_mode 1
		.amdhsa_memory_ordered 1
		.amdhsa_forward_progress 1
		.amdhsa_shared_vgpr_count 0
		.amdhsa_exception_fp_ieee_invalid_op 0
		.amdhsa_exception_fp_denorm_src 0
		.amdhsa_exception_fp_ieee_div_zero 0
		.amdhsa_exception_fp_ieee_overflow 0
		.amdhsa_exception_fp_ieee_underflow 0
		.amdhsa_exception_fp_ieee_inexact 0
		.amdhsa_exception_int_div_zero 0
	.end_amdhsa_kernel
	.section	.text._ZN2at6native6mbtopk10gatherTopKIsmLin1EEEvNS_4cuda6detail10TensorInfoIKT_T0_EES8_S8_bjS8_NS5_IS6_S8_EES8_NS5_IlS8_EES8_jjPS6_PjSD_j,"axG",@progbits,_ZN2at6native6mbtopk10gatherTopKIsmLin1EEEvNS_4cuda6detail10TensorInfoIKT_T0_EES8_S8_bjS8_NS5_IS6_S8_EES8_NS5_IlS8_EES8_jjPS6_PjSD_j,comdat
.Lfunc_end176:
	.size	_ZN2at6native6mbtopk10gatherTopKIsmLin1EEEvNS_4cuda6detail10TensorInfoIKT_T0_EES8_S8_bjS8_NS5_IS6_S8_EES8_NS5_IlS8_EES8_jjPS6_PjSD_j, .Lfunc_end176-_ZN2at6native6mbtopk10gatherTopKIsmLin1EEEvNS_4cuda6detail10TensorInfoIKT_T0_EES8_S8_bjS8_NS5_IS6_S8_EES8_NS5_IlS8_EES8_jjPS6_PjSD_j
                                        ; -- End function
	.set _ZN2at6native6mbtopk10gatherTopKIsmLin1EEEvNS_4cuda6detail10TensorInfoIKT_T0_EES8_S8_bjS8_NS5_IS6_S8_EES8_NS5_IlS8_EES8_jjPS6_PjSD_j.num_vgpr, 27
	.set _ZN2at6native6mbtopk10gatherTopKIsmLin1EEEvNS_4cuda6detail10TensorInfoIKT_T0_EES8_S8_bjS8_NS5_IS6_S8_EES8_NS5_IlS8_EES8_jjPS6_PjSD_j.num_agpr, 0
	.set _ZN2at6native6mbtopk10gatherTopKIsmLin1EEEvNS_4cuda6detail10TensorInfoIKT_T0_EES8_S8_bjS8_NS5_IS6_S8_EES8_NS5_IlS8_EES8_jjPS6_PjSD_j.numbered_sgpr, 53
	.set _ZN2at6native6mbtopk10gatherTopKIsmLin1EEEvNS_4cuda6detail10TensorInfoIKT_T0_EES8_S8_bjS8_NS5_IS6_S8_EES8_NS5_IlS8_EES8_jjPS6_PjSD_j.num_named_barrier, 0
	.set _ZN2at6native6mbtopk10gatherTopKIsmLin1EEEvNS_4cuda6detail10TensorInfoIKT_T0_EES8_S8_bjS8_NS5_IS6_S8_EES8_NS5_IlS8_EES8_jjPS6_PjSD_j.private_seg_size, 0
	.set _ZN2at6native6mbtopk10gatherTopKIsmLin1EEEvNS_4cuda6detail10TensorInfoIKT_T0_EES8_S8_bjS8_NS5_IS6_S8_EES8_NS5_IlS8_EES8_jjPS6_PjSD_j.uses_vcc, 1
	.set _ZN2at6native6mbtopk10gatherTopKIsmLin1EEEvNS_4cuda6detail10TensorInfoIKT_T0_EES8_S8_bjS8_NS5_IS6_S8_EES8_NS5_IlS8_EES8_jjPS6_PjSD_j.uses_flat_scratch, 0
	.set _ZN2at6native6mbtopk10gatherTopKIsmLin1EEEvNS_4cuda6detail10TensorInfoIKT_T0_EES8_S8_bjS8_NS5_IS6_S8_EES8_NS5_IlS8_EES8_jjPS6_PjSD_j.has_dyn_sized_stack, 0
	.set _ZN2at6native6mbtopk10gatherTopKIsmLin1EEEvNS_4cuda6detail10TensorInfoIKT_T0_EES8_S8_bjS8_NS5_IS6_S8_EES8_NS5_IlS8_EES8_jjPS6_PjSD_j.has_recursion, 0
	.set _ZN2at6native6mbtopk10gatherTopKIsmLin1EEEvNS_4cuda6detail10TensorInfoIKT_T0_EES8_S8_bjS8_NS5_IS6_S8_EES8_NS5_IlS8_EES8_jjPS6_PjSD_j.has_indirect_call, 0
	.section	.AMDGPU.csdata,"",@progbits
; Kernel info:
; codeLenInByte = 3344
; TotalNumSgprs: 55
; NumVgprs: 27
; ScratchSize: 0
; MemoryBound: 0
; FloatMode: 240
; IeeeMode: 1
; LDSByteSize: 1068 bytes/workgroup (compile time only)
; SGPRBlocks: 0
; VGPRBlocks: 3
; NumSGPRsForWavesPerEU: 55
; NumVGPRsForWavesPerEU: 27
; Occupancy: 16
; WaveLimiterHint : 1
; COMPUTE_PGM_RSRC2:SCRATCH_EN: 0
; COMPUTE_PGM_RSRC2:USER_SGPR: 6
; COMPUTE_PGM_RSRC2:TRAP_HANDLER: 0
; COMPUTE_PGM_RSRC2:TGID_X_EN: 1
; COMPUTE_PGM_RSRC2:TGID_Y_EN: 1
; COMPUTE_PGM_RSRC2:TGID_Z_EN: 1
; COMPUTE_PGM_RSRC2:TIDIG_COMP_CNT: 0
	.section	.text._ZN2at6native6sbtopk10gatherTopKIsmLin1ELb0EEEvNS_4cuda6detail10TensorInfoIKT_T0_EES8_S8_bS8_S8_NS5_IS6_S8_EES8_NS5_IlS8_EES8_PS6_,"axG",@progbits,_ZN2at6native6sbtopk10gatherTopKIsmLin1ELb0EEEvNS_4cuda6detail10TensorInfoIKT_T0_EES8_S8_bS8_S8_NS5_IS6_S8_EES8_NS5_IlS8_EES8_PS6_,comdat
	.protected	_ZN2at6native6sbtopk10gatherTopKIsmLin1ELb0EEEvNS_4cuda6detail10TensorInfoIKT_T0_EES8_S8_bS8_S8_NS5_IS6_S8_EES8_NS5_IlS8_EES8_PS6_ ; -- Begin function _ZN2at6native6sbtopk10gatherTopKIsmLin1ELb0EEEvNS_4cuda6detail10TensorInfoIKT_T0_EES8_S8_bS8_S8_NS5_IS6_S8_EES8_NS5_IlS8_EES8_PS6_
	.globl	_ZN2at6native6sbtopk10gatherTopKIsmLin1ELb0EEEvNS_4cuda6detail10TensorInfoIKT_T0_EES8_S8_bS8_S8_NS5_IS6_S8_EES8_NS5_IlS8_EES8_PS6_
	.p2align	8
	.type	_ZN2at6native6sbtopk10gatherTopKIsmLin1ELb0EEEvNS_4cuda6detail10TensorInfoIKT_T0_EES8_S8_bS8_S8_NS5_IS6_S8_EES8_NS5_IlS8_EES8_PS6_,@function
_ZN2at6native6sbtopk10gatherTopKIsmLin1ELb0EEEvNS_4cuda6detail10TensorInfoIKT_T0_EES8_S8_bS8_S8_NS5_IS6_S8_EES8_NS5_IlS8_EES8_PS6_: ; @_ZN2at6native6sbtopk10gatherTopKIsmLin1ELb0EEEvNS_4cuda6detail10TensorInfoIKT_T0_EES8_S8_bS8_S8_NS5_IS6_S8_EES8_NS5_IlS8_EES8_PS6_
; %bb.0:
	s_clause 0x1
	s_load_dwordx2 s[14:15], s[4:5], 0x520
	s_load_dwordx4 s[28:31], s[4:5], 0x1b8
	s_add_u32 s12, s4, 0x520
	s_addc_u32 s13, s5, 0
	s_mov_b32 s3, 0
	s_waitcnt lgkmcnt(0)
	s_mul_i32 s0, s15, s8
	s_add_i32 s0, s0, s7
	s_mul_i32 s0, s0, s14
	s_add_i32 s2, s0, s6
	v_cmp_le_u64_e64 s0, s[28:29], s[2:3]
	s_and_b32 vcc_lo, exec_lo, s0
	s_cbranch_vccnz .LBB177_497
; %bb.1:
	s_load_dword s7, s[4:5], 0x198
	s_mov_b64 s[0:1], 0
	s_mov_b64 s[8:9], s[2:3]
	s_waitcnt lgkmcnt(0)
	s_cmp_lt_i32 s7, 2
	s_cbranch_scc1 .LBB177_9
; %bb.2:
	s_mov_b32 s10, 0
	s_add_i32 s0, s7, -1
	s_mov_b32 s1, s10
	s_add_i32 s7, s7, 1
	s_lshl_b64 s[8:9], s[0:1], 3
	s_mov_b64 s[0:1], 0
	s_add_u32 s8, s4, s8
	s_addc_u32 s9, s5, s9
	s_add_u32 s16, s8, 8
	s_addc_u32 s17, s9, 0
	s_mov_b64 s[18:19], s[2:3]
.LBB177_3:                              ; =>This Inner Loop Header: Depth=1
	s_load_dwordx2 s[20:21], s[16:17], 0x0
	s_waitcnt lgkmcnt(0)
	s_or_b64 s[8:9], s[18:19], s[20:21]
	s_mov_b32 s11, s9
                                        ; implicit-def: $sgpr8_sgpr9
	s_cmp_lg_u64 s[10:11], 0
	s_mov_b32 s11, -1
	s_cbranch_scc0 .LBB177_5
; %bb.4:                                ;   in Loop: Header=BB177_3 Depth=1
	v_cvt_f32_u32_e32 v1, s20
	v_cvt_f32_u32_e32 v2, s21
	s_sub_u32 s11, 0, s20
	s_subb_u32 s15, 0, s21
	v_fmac_f32_e32 v1, 0x4f800000, v2
	v_rcp_f32_e32 v1, v1
	v_mul_f32_e32 v1, 0x5f7ffffc, v1
	v_mul_f32_e32 v2, 0x2f800000, v1
	v_trunc_f32_e32 v2, v2
	v_fmac_f32_e32 v1, 0xcf800000, v2
	v_cvt_u32_f32_e32 v2, v2
	v_cvt_u32_f32_e32 v1, v1
	v_readfirstlane_b32 s8, v2
	v_readfirstlane_b32 s9, v1
	s_mul_i32 s22, s11, s8
	s_mul_hi_u32 s24, s11, s9
	s_mul_i32 s23, s15, s9
	s_add_i32 s22, s24, s22
	s_mul_i32 s25, s11, s9
	s_add_i32 s22, s22, s23
	s_mul_hi_u32 s24, s9, s25
	s_mul_i32 s27, s9, s22
	s_mul_hi_u32 s26, s8, s25
	s_mul_i32 s23, s8, s25
	s_mul_hi_u32 s25, s9, s22
	s_add_u32 s24, s24, s27
	s_addc_u32 s25, 0, s25
	s_mul_hi_u32 s28, s8, s22
	s_add_u32 s23, s24, s23
	s_mul_i32 s22, s8, s22
	s_addc_u32 s23, s25, s26
	s_addc_u32 s24, s28, 0
	s_add_u32 s22, s23, s22
	s_addc_u32 s23, 0, s24
	s_add_u32 s9, s9, s22
	s_cselect_b32 s22, -1, 0
	s_mul_hi_u32 s24, s11, s9
	s_cmp_lg_u32 s22, 0
	s_mul_i32 s22, s11, s9
	s_addc_u32 s8, s8, s23
	s_mul_i32 s15, s15, s9
	s_mul_i32 s11, s11, s8
	s_mul_hi_u32 s23, s9, s22
	s_add_i32 s11, s24, s11
	s_mul_hi_u32 s24, s8, s22
	s_add_i32 s11, s11, s15
	s_mul_i32 s15, s8, s22
	s_mul_i32 s26, s9, s11
	s_mul_hi_u32 s25, s9, s11
	s_add_u32 s23, s23, s26
	s_addc_u32 s25, 0, s25
	s_mul_hi_u32 s22, s8, s11
	s_add_u32 s15, s23, s15
	s_mul_i32 s11, s8, s11
	s_addc_u32 s15, s25, s24
	s_addc_u32 s22, s22, 0
	s_add_u32 s11, s15, s11
	s_addc_u32 s15, 0, s22
	s_add_u32 s9, s9, s11
	s_cselect_b32 s11, -1, 0
	s_mul_hi_u32 s22, s18, s9
	s_cmp_lg_u32 s11, 0
	s_mul_hi_u32 s11, s19, s9
	s_addc_u32 s8, s8, s15
	s_mul_i32 s9, s19, s9
	s_mul_i32 s23, s18, s8
	s_mul_hi_u32 s15, s18, s8
	s_add_u32 s22, s22, s23
	s_addc_u32 s15, 0, s15
	s_mul_hi_u32 s24, s19, s8
	s_add_u32 s9, s22, s9
	s_mul_i32 s8, s19, s8
	s_addc_u32 s9, s15, s11
	s_addc_u32 s11, s24, 0
	s_add_u32 s8, s9, s8
	s_addc_u32 s9, 0, s11
	s_mul_hi_u32 s11, s20, s8
	s_mul_i32 s15, s20, s9
	s_mul_i32 s22, s21, s8
	s_add_i32 s11, s11, s15
	s_mul_i32 s15, s20, s8
	s_add_i32 s11, s11, s22
	s_sub_i32 s22, s19, s11
	s_sub_u32 s15, s18, s15
	s_cselect_b32 s23, -1, 0
	s_cmp_lg_u32 s23, 0
	s_subb_u32 s22, s22, s21
	s_sub_u32 s24, s15, s20
	s_cselect_b32 s25, -1, 0
	s_cmp_lg_u32 s25, 0
	s_subb_u32 s22, s22, 0
	s_cmp_ge_u32 s22, s21
	s_cselect_b32 s25, -1, 0
	s_cmp_ge_u32 s24, s20
	s_cselect_b32 s24, -1, 0
	s_cmp_eq_u32 s22, s21
	s_cselect_b32 s22, s24, s25
	s_add_u32 s24, s8, 1
	s_addc_u32 s25, s9, 0
	s_add_u32 s26, s8, 2
	s_addc_u32 s27, s9, 0
	s_cmp_lg_u32 s22, 0
	s_cselect_b32 s22, s26, s24
	s_cselect_b32 s24, s27, s25
	s_cmp_lg_u32 s23, 0
	s_subb_u32 s11, s19, s11
	s_cmp_ge_u32 s11, s21
	s_cselect_b32 s23, -1, 0
	s_cmp_ge_u32 s15, s20
	s_cselect_b32 s15, -1, 0
	s_cmp_eq_u32 s11, s21
	s_cselect_b32 s11, s15, s23
	s_cmp_lg_u32 s11, 0
	s_mov_b32 s11, 0
	s_cselect_b32 s9, s24, s9
	s_cselect_b32 s8, s22, s8
.LBB177_5:                              ;   in Loop: Header=BB177_3 Depth=1
	s_andn2_b32 vcc_lo, exec_lo, s11
	s_cbranch_vccnz .LBB177_7
; %bb.6:                                ;   in Loop: Header=BB177_3 Depth=1
	v_cvt_f32_u32_e32 v1, s20
	s_sub_i32 s9, 0, s20
	v_rcp_iflag_f32_e32 v1, v1
	v_mul_f32_e32 v1, 0x4f7ffffe, v1
	v_cvt_u32_f32_e32 v1, v1
	v_readfirstlane_b32 s8, v1
	s_mul_i32 s9, s9, s8
	s_mul_hi_u32 s9, s8, s9
	s_add_i32 s8, s8, s9
	s_mul_hi_u32 s8, s18, s8
	s_mul_i32 s9, s8, s20
	s_add_i32 s11, s8, 1
	s_sub_i32 s9, s18, s9
	s_sub_i32 s15, s9, s20
	s_cmp_ge_u32 s9, s20
	s_cselect_b32 s8, s11, s8
	s_cselect_b32 s9, s15, s9
	s_add_i32 s11, s8, 1
	s_cmp_ge_u32 s9, s20
	s_mov_b32 s9, s10
	s_cselect_b32 s8, s11, s8
.LBB177_7:                              ;   in Loop: Header=BB177_3 Depth=1
	s_load_dwordx2 s[22:23], s[16:17], 0xc8
	s_mul_i32 s11, s8, s21
	s_mul_hi_u32 s15, s8, s20
	s_mul_i32 s21, s9, s20
	s_add_i32 s11, s15, s11
	s_mul_i32 s15, s8, s20
	s_add_i32 s11, s11, s21
	s_sub_u32 s15, s18, s15
	s_subb_u32 s11, s19, s11
	s_waitcnt lgkmcnt(0)
	s_mul_i32 s11, s22, s11
	s_mul_hi_u32 s18, s22, s15
	s_mul_i32 s19, s23, s15
	s_add_i32 s11, s18, s11
	s_mul_i32 s15, s22, s15
	s_add_i32 s11, s11, s19
	s_add_u32 s0, s15, s0
	s_addc_u32 s1, s11, s1
	s_add_i32 s7, s7, -1
	s_add_u32 s16, s16, -8
	s_addc_u32 s17, s17, -1
	s_cmp_gt_u32 s7, 2
	s_cbranch_scc0 .LBB177_9
; %bb.8:                                ;   in Loop: Header=BB177_3 Depth=1
	s_mov_b64 s[18:19], s[8:9]
	s_branch .LBB177_3
.LBB177_9:
	s_clause 0x1
	s_load_dword s7, s[4:5], 0x360
	s_load_dwordx2 s[10:11], s[4:5], 0xd0
	s_add_u32 s16, s4, 0x1c8
	s_addc_u32 s17, s5, 0
	s_mov_b64 s[28:29], 0
	s_mov_b64 s[34:35], s[2:3]
	s_waitcnt lgkmcnt(0)
	s_cmp_lt_i32 s7, 2
	s_cbranch_scc1 .LBB177_17
; %bb.10:
	s_mov_b32 s18, 0
	s_add_i32 s20, s7, -1
	s_mov_b32 s21, s18
	s_add_i32 s7, s7, 1
	s_lshl_b64 s[20:21], s[20:21], 3
	s_mov_b64 s[22:23], s[2:3]
	s_add_u32 s15, s16, s20
	s_addc_u32 s19, s17, s21
	s_add_u32 s20, s15, 8
	s_addc_u32 s21, s19, 0
.LBB177_11:                             ; =>This Inner Loop Header: Depth=1
	s_load_dwordx2 s[24:25], s[20:21], 0x0
	s_mov_b32 s15, -1
                                        ; implicit-def: $sgpr34_sgpr35
	s_waitcnt lgkmcnt(0)
	s_or_b64 s[26:27], s[22:23], s[24:25]
	s_mov_b32 s19, s27
	s_cmp_lg_u64 s[18:19], 0
	s_cbranch_scc0 .LBB177_13
; %bb.12:                               ;   in Loop: Header=BB177_11 Depth=1
	v_cvt_f32_u32_e32 v1, s24
	v_cvt_f32_u32_e32 v2, s25
	s_sub_u32 s26, 0, s24
	s_subb_u32 s27, 0, s25
	v_fmac_f32_e32 v1, 0x4f800000, v2
	v_rcp_f32_e32 v1, v1
	v_mul_f32_e32 v1, 0x5f7ffffc, v1
	v_mul_f32_e32 v2, 0x2f800000, v1
	v_trunc_f32_e32 v2, v2
	v_fmac_f32_e32 v1, 0xcf800000, v2
	v_cvt_u32_f32_e32 v2, v2
	v_cvt_u32_f32_e32 v1, v1
	v_readfirstlane_b32 s15, v2
	v_readfirstlane_b32 s19, v1
	s_mul_i32 s33, s26, s15
	s_mul_hi_u32 s35, s26, s19
	s_mul_i32 s34, s27, s19
	s_add_i32 s33, s35, s33
	s_mul_i32 s36, s26, s19
	s_add_i32 s33, s33, s34
	s_mul_hi_u32 s35, s19, s36
	s_mul_i32 s38, s19, s33
	s_mul_hi_u32 s37, s15, s36
	s_mul_i32 s34, s15, s36
	s_mul_hi_u32 s36, s19, s33
	s_add_u32 s35, s35, s38
	s_addc_u32 s36, 0, s36
	s_mul_hi_u32 s39, s15, s33
	s_add_u32 s34, s35, s34
	s_mul_i32 s33, s15, s33
	s_addc_u32 s34, s36, s37
	s_addc_u32 s35, s39, 0
	s_add_u32 s33, s34, s33
	s_addc_u32 s34, 0, s35
	s_add_u32 s19, s19, s33
	s_cselect_b32 s33, -1, 0
	s_mul_hi_u32 s35, s26, s19
	s_cmp_lg_u32 s33, 0
	s_mul_i32 s33, s26, s19
	s_addc_u32 s15, s15, s34
	s_mul_i32 s27, s27, s19
	s_mul_i32 s26, s26, s15
	s_mul_hi_u32 s34, s19, s33
	s_add_i32 s26, s35, s26
	s_mul_hi_u32 s35, s15, s33
	s_add_i32 s26, s26, s27
	s_mul_i32 s27, s15, s33
	s_mul_i32 s37, s19, s26
	s_mul_hi_u32 s36, s19, s26
	s_add_u32 s34, s34, s37
	s_addc_u32 s36, 0, s36
	s_mul_hi_u32 s33, s15, s26
	s_add_u32 s27, s34, s27
	s_mul_i32 s26, s15, s26
	s_addc_u32 s27, s36, s35
	s_addc_u32 s33, s33, 0
	s_add_u32 s26, s27, s26
	s_addc_u32 s27, 0, s33
	s_add_u32 s19, s19, s26
	s_cselect_b32 s26, -1, 0
	s_mul_hi_u32 s33, s22, s19
	s_cmp_lg_u32 s26, 0
	s_mul_hi_u32 s26, s23, s19
	s_addc_u32 s15, s15, s27
	s_mul_i32 s19, s23, s19
	s_mul_i32 s34, s22, s15
	s_mul_hi_u32 s27, s22, s15
	s_add_u32 s33, s33, s34
	s_addc_u32 s27, 0, s27
	s_mul_hi_u32 s35, s23, s15
	s_add_u32 s19, s33, s19
	s_mul_i32 s15, s23, s15
	s_addc_u32 s19, s27, s26
	s_addc_u32 s26, s35, 0
	s_add_u32 s15, s19, s15
	s_addc_u32 s19, 0, s26
	s_mul_hi_u32 s26, s24, s15
	s_mul_i32 s27, s24, s19
	s_mul_i32 s33, s25, s15
	s_add_i32 s26, s26, s27
	s_mul_i32 s27, s24, s15
	s_add_i32 s26, s26, s33
	s_sub_i32 s33, s23, s26
	s_sub_u32 s27, s22, s27
	s_cselect_b32 s34, -1, 0
	s_cmp_lg_u32 s34, 0
	s_subb_u32 s33, s33, s25
	s_sub_u32 s35, s27, s24
	s_cselect_b32 s36, -1, 0
	s_cmp_lg_u32 s36, 0
	s_subb_u32 s33, s33, 0
	s_cmp_ge_u32 s33, s25
	s_cselect_b32 s36, -1, 0
	s_cmp_ge_u32 s35, s24
	s_cselect_b32 s35, -1, 0
	s_cmp_eq_u32 s33, s25
	s_cselect_b32 s33, s35, s36
	s_add_u32 s35, s15, 1
	s_addc_u32 s36, s19, 0
	s_add_u32 s37, s15, 2
	s_addc_u32 s38, s19, 0
	s_cmp_lg_u32 s33, 0
	s_cselect_b32 s33, s37, s35
	s_cselect_b32 s35, s38, s36
	s_cmp_lg_u32 s34, 0
	s_subb_u32 s26, s23, s26
	s_cmp_ge_u32 s26, s25
	s_cselect_b32 s34, -1, 0
	s_cmp_ge_u32 s27, s24
	s_cselect_b32 s27, -1, 0
	s_cmp_eq_u32 s26, s25
	s_cselect_b32 s26, s27, s34
	s_cmp_lg_u32 s26, 0
	s_cselect_b32 s35, s35, s19
	s_cselect_b32 s34, s33, s15
	s_mov_b32 s15, 0
.LBB177_13:                             ;   in Loop: Header=BB177_11 Depth=1
	s_andn2_b32 vcc_lo, exec_lo, s15
	s_cbranch_vccnz .LBB177_15
; %bb.14:                               ;   in Loop: Header=BB177_11 Depth=1
	v_cvt_f32_u32_e32 v1, s24
	s_sub_i32 s19, 0, s24
	s_mov_b32 s35, s18
	v_rcp_iflag_f32_e32 v1, v1
	v_mul_f32_e32 v1, 0x4f7ffffe, v1
	v_cvt_u32_f32_e32 v1, v1
	v_readfirstlane_b32 s15, v1
	s_mul_i32 s19, s19, s15
	s_mul_hi_u32 s19, s15, s19
	s_add_i32 s15, s15, s19
	s_mul_hi_u32 s15, s22, s15
	s_mul_i32 s19, s15, s24
	s_add_i32 s26, s15, 1
	s_sub_i32 s19, s22, s19
	s_sub_i32 s27, s19, s24
	s_cmp_ge_u32 s19, s24
	s_cselect_b32 s15, s26, s15
	s_cselect_b32 s19, s27, s19
	s_add_i32 s26, s15, 1
	s_cmp_ge_u32 s19, s24
	s_cselect_b32 s34, s26, s15
.LBB177_15:                             ;   in Loop: Header=BB177_11 Depth=1
	s_load_dwordx2 s[26:27], s[20:21], 0xc8
	s_mul_i32 s15, s34, s25
	s_mul_hi_u32 s19, s34, s24
	s_mul_i32 s25, s35, s24
	s_add_i32 s15, s19, s15
	s_mul_i32 s19, s34, s24
	s_add_i32 s15, s15, s25
	s_sub_u32 s19, s22, s19
	s_subb_u32 s15, s23, s15
	s_waitcnt lgkmcnt(0)
	s_mul_i32 s15, s26, s15
	s_mul_hi_u32 s22, s26, s19
	s_mul_i32 s23, s27, s19
	s_add_i32 s15, s22, s15
	s_mul_i32 s19, s26, s19
	s_add_i32 s15, s15, s23
	s_add_u32 s28, s19, s28
	s_addc_u32 s29, s15, s29
	s_add_i32 s7, s7, -1
	s_add_u32 s20, s20, -8
	s_addc_u32 s21, s21, -1
	s_cmp_gt_u32 s7, 2
	s_cbranch_scc0 .LBB177_17
; %bb.16:                               ;   in Loop: Header=BB177_11 Depth=1
	s_mov_b64 s[22:23], s[34:35]
	s_branch .LBB177_11
.LBB177_17:
	s_clause 0x1
	s_load_dword s7, s[4:5], 0x508
	s_load_dwordx2 s[16:17], s[16:17], 0xd0
                                        ; implicit-def: $vgpr52 : SGPR spill to VGPR lane
	s_add_u32 s15, s4, 0x370
	s_mov_b64 s[42:43], 0
	s_waitcnt lgkmcnt(0)
	v_writelane_b32 v52, s16, 0
	v_writelane_b32 v52, s17, 1
	s_addc_u32 s17, s5, 0
	s_cmp_lt_i32 s7, 2
	s_cbranch_scc1 .LBB177_25
; %bb.18:
	s_mov_b32 s16, 0
	s_add_i32 s18, s7, -1
	s_mov_b32 s19, s16
	s_add_i32 s7, s7, 1
	s_lshl_b64 s[18:19], s[18:19], 3
	s_add_u32 s15, s15, s18
	s_addc_u32 s17, s17, s19
	s_add_u32 s18, s15, 8
	s_addc_u32 s19, s17, 0
.LBB177_19:                             ; =>This Inner Loop Header: Depth=1
	s_load_dwordx2 s[20:21], s[18:19], 0x0
	s_mov_b32 s15, -1
                                        ; implicit-def: $sgpr52_sgpr53
	s_waitcnt lgkmcnt(0)
	s_or_b64 s[22:23], s[2:3], s[20:21]
	s_mov_b32 s17, s23
	s_cmp_lg_u64 s[16:17], 0
	s_cbranch_scc0 .LBB177_21
; %bb.20:                               ;   in Loop: Header=BB177_19 Depth=1
	v_cvt_f32_u32_e32 v1, s20
	v_cvt_f32_u32_e32 v2, s21
	s_sub_u32 s22, 0, s20
	s_subb_u32 s23, 0, s21
	v_fmac_f32_e32 v1, 0x4f800000, v2
	v_rcp_f32_e32 v1, v1
	v_mul_f32_e32 v1, 0x5f7ffffc, v1
	v_mul_f32_e32 v2, 0x2f800000, v1
	v_trunc_f32_e32 v2, v2
	v_fmac_f32_e32 v1, 0xcf800000, v2
	v_cvt_u32_f32_e32 v2, v2
	v_cvt_u32_f32_e32 v1, v1
	v_readfirstlane_b32 s15, v2
	v_readfirstlane_b32 s17, v1
	s_mul_i32 s24, s22, s15
	s_mul_hi_u32 s26, s22, s17
	s_mul_i32 s25, s23, s17
	s_add_i32 s24, s26, s24
	s_mul_i32 s27, s22, s17
	s_add_i32 s24, s24, s25
	s_mul_hi_u32 s26, s17, s27
	s_mul_i32 s36, s17, s24
	s_mul_hi_u32 s33, s15, s27
	s_mul_i32 s25, s15, s27
	s_mul_hi_u32 s27, s17, s24
	s_add_u32 s26, s26, s36
	s_addc_u32 s27, 0, s27
	s_mul_hi_u32 s37, s15, s24
	s_add_u32 s25, s26, s25
	s_mul_i32 s24, s15, s24
	s_addc_u32 s25, s27, s33
	s_addc_u32 s26, s37, 0
	s_add_u32 s24, s25, s24
	s_addc_u32 s25, 0, s26
	s_add_u32 s17, s17, s24
	s_cselect_b32 s24, -1, 0
	s_mul_hi_u32 s26, s22, s17
	s_cmp_lg_u32 s24, 0
	s_mul_i32 s24, s22, s17
	s_addc_u32 s15, s15, s25
	s_mul_i32 s23, s23, s17
	s_mul_i32 s22, s22, s15
	s_mul_hi_u32 s25, s17, s24
	s_add_i32 s22, s26, s22
	s_mul_hi_u32 s26, s15, s24
	s_add_i32 s22, s22, s23
	s_mul_i32 s23, s15, s24
	s_mul_i32 s33, s17, s22
	s_mul_hi_u32 s27, s17, s22
	s_add_u32 s25, s25, s33
	s_addc_u32 s27, 0, s27
	s_mul_hi_u32 s24, s15, s22
	s_add_u32 s23, s25, s23
	s_mul_i32 s22, s15, s22
	s_addc_u32 s23, s27, s26
	s_addc_u32 s24, s24, 0
	s_add_u32 s22, s23, s22
	s_addc_u32 s23, 0, s24
	s_add_u32 s17, s17, s22
	s_cselect_b32 s22, -1, 0
	s_mul_hi_u32 s24, s2, s17
	s_cmp_lg_u32 s22, 0
	s_mul_hi_u32 s22, s3, s17
	s_addc_u32 s15, s15, s23
	s_mul_i32 s17, s3, s17
	s_mul_i32 s25, s2, s15
	s_mul_hi_u32 s23, s2, s15
	s_add_u32 s24, s24, s25
	s_addc_u32 s23, 0, s23
	s_mul_hi_u32 s26, s3, s15
	s_add_u32 s17, s24, s17
	s_mul_i32 s15, s3, s15
	s_addc_u32 s17, s23, s22
	s_addc_u32 s22, s26, 0
	s_add_u32 s15, s17, s15
	s_addc_u32 s17, 0, s22
	s_mul_hi_u32 s22, s20, s15
	s_mul_i32 s23, s20, s17
	s_mul_i32 s24, s21, s15
	s_add_i32 s22, s22, s23
	s_mul_i32 s23, s20, s15
	s_add_i32 s22, s22, s24
	s_sub_i32 s24, s3, s22
	s_sub_u32 s23, s2, s23
	s_cselect_b32 s25, -1, 0
	s_cmp_lg_u32 s25, 0
	s_subb_u32 s24, s24, s21
	s_sub_u32 s26, s23, s20
	s_cselect_b32 s27, -1, 0
	s_cmp_lg_u32 s27, 0
	s_subb_u32 s24, s24, 0
	s_cmp_ge_u32 s24, s21
	s_cselect_b32 s27, -1, 0
	s_cmp_ge_u32 s26, s20
	s_cselect_b32 s26, -1, 0
	s_cmp_eq_u32 s24, s21
	s_cselect_b32 s24, s26, s27
	s_add_u32 s26, s15, 1
	s_addc_u32 s27, s17, 0
	s_add_u32 s33, s15, 2
	s_addc_u32 s36, s17, 0
	s_cmp_lg_u32 s24, 0
	s_cselect_b32 s24, s33, s26
	s_cselect_b32 s26, s36, s27
	s_cmp_lg_u32 s25, 0
	s_subb_u32 s22, s3, s22
	s_cmp_ge_u32 s22, s21
	s_cselect_b32 s25, -1, 0
	s_cmp_ge_u32 s23, s20
	s_cselect_b32 s23, -1, 0
	s_cmp_eq_u32 s22, s21
	s_cselect_b32 s22, s23, s25
	s_cmp_lg_u32 s22, 0
	s_cselect_b32 s53, s26, s17
	s_cselect_b32 s52, s24, s15
	s_mov_b32 s15, 0
.LBB177_21:                             ;   in Loop: Header=BB177_19 Depth=1
	s_andn2_b32 vcc_lo, exec_lo, s15
	s_cbranch_vccnz .LBB177_23
; %bb.22:                               ;   in Loop: Header=BB177_19 Depth=1
	v_cvt_f32_u32_e32 v1, s20
	s_sub_i32 s17, 0, s20
	s_mov_b32 s53, s16
	v_rcp_iflag_f32_e32 v1, v1
	v_mul_f32_e32 v1, 0x4f7ffffe, v1
	v_cvt_u32_f32_e32 v1, v1
	v_readfirstlane_b32 s15, v1
	s_mul_i32 s17, s17, s15
	s_mul_hi_u32 s17, s15, s17
	s_add_i32 s15, s15, s17
	s_mul_hi_u32 s15, s2, s15
	s_mul_i32 s17, s15, s20
	s_add_i32 s22, s15, 1
	s_sub_i32 s17, s2, s17
	s_sub_i32 s23, s17, s20
	s_cmp_ge_u32 s17, s20
	s_cselect_b32 s15, s22, s15
	s_cselect_b32 s17, s23, s17
	s_add_i32 s22, s15, 1
	s_cmp_ge_u32 s17, s20
	s_cselect_b32 s52, s22, s15
.LBB177_23:                             ;   in Loop: Header=BB177_19 Depth=1
	s_load_dwordx2 s[22:23], s[18:19], 0xc8
	s_mul_i32 s15, s52, s21
	s_mul_hi_u32 s17, s52, s20
	s_mul_i32 s21, s53, s20
	s_add_i32 s15, s17, s15
	s_mul_i32 s17, s52, s20
	s_add_i32 s15, s15, s21
	s_sub_u32 s2, s2, s17
	s_subb_u32 s3, s3, s15
	s_waitcnt lgkmcnt(0)
	s_mul_i32 s3, s22, s3
	s_mul_hi_u32 s15, s22, s2
	s_mul_i32 s17, s23, s2
	s_add_i32 s3, s15, s3
	s_mul_i32 s2, s22, s2
	s_add_i32 s3, s3, s17
	s_add_u32 s42, s2, s42
	s_addc_u32 s43, s3, s43
	s_add_i32 s7, s7, -1
	s_add_u32 s18, s18, -8
	s_addc_u32 s19, s19, -1
	s_cmp_gt_u32 s7, 2
	s_cbranch_scc0 .LBB177_26
; %bb.24:                               ;   in Loop: Header=BB177_19 Depth=1
	s_mov_b64 s[2:3], s[52:53]
	s_branch .LBB177_19
.LBB177_25:
	s_mov_b64 s[52:53], s[2:3]
.LBB177_26:
	s_clause 0x2
	s_load_dwordx4 s[36:39], s[4:5], 0x1a0
	s_load_dwordx2 s[98:99], s[4:5], 0x0
	s_load_dwordx2 s[2:3], s[4:5], 0x1c8
	s_mov_b32 s61, 0
	s_waitcnt lgkmcnt(0)
	v_writelane_b32 v52, s2, 2
	v_writelane_b32 v52, s3, 3
	s_load_dwordx2 s[2:3], s[4:5], 0x370
	s_waitcnt lgkmcnt(0)
	v_writelane_b32 v52, s2, 4
	v_writelane_b32 v52, s3, 5
	v_cmp_eq_u32_e64 s3, 0, v0
	s_and_saveexec_b32 s2, s3
	s_cbranch_execz .LBB177_28
; %bb.27:
	v_mov_b32_e32 v1, 0
	v_mov_b32_e32 v3, s36
	;; [unrolled: 1-line block ×4, first 2 shown]
	ds_write_b32 v1, v1 offset:5144
	ds_write_b128 v1, v[1:4] offset:5120
.LBB177_28:
	s_or_b32 exec_lo, exec_lo, s2
	v_mad_u64_u32 v[4:5], null, s30, v0, 0
	s_load_dword s2, s[4:5], 0x1b0
	s_mul_i32 s7, s10, s9
	s_mul_hi_u32 s9, s10, s8
	s_mul_i32 s11, s11, s8
	s_add_i32 s7, s9, s7
	s_mul_i32 s8, s10, s8
	v_mov_b32_e32 v1, v5
	s_add_i32 s9, s7, s11
	s_waitcnt lgkmcnt(0)
	s_lshl_b64 s[8:9], s[8:9], 1
	s_barrier
	v_mad_u64_u32 v[1:2], null, s31, v0, v[1:2]
	s_add_u32 s16, s98, s8
	s_addc_u32 s17, s99, s9
	s_lshl_b64 s[50:51], s[0:1], 1
	buffer_gl0_inv
	s_load_dword s1, s[12:13], 0xc
	v_mbcnt_lo_u32_b32 v42, -1, 0
	v_mov_b32_e32 v5, v1
	s_add_u32 s86, s16, s50
	v_mov_b32_e32 v3, 0
	s_addc_u32 s87, s17, s51
	s_bitcmp1_b32 s2, 0
	v_lshlrev_b64 v[6:7], 1, v[4:5]
	v_cmp_gt_u32_e32 vcc_lo, 32, v0
	v_cmp_gt_i32_e64 s2, 4, v42
	v_add_nc_u32_e32 v2, 2, v0
	v_mov_b32_e32 v1, v3
	s_cselect_b32 s0, -1, 0
	v_lshlrev_b64 v[8:9], v42, -1
	s_and_b32 s89, vcc_lo, s2
	v_add_co_u32 v12, vcc_lo, s86, v6
	v_add_co_ci_u32_e64 v13, null, s87, v7, vcc_lo
	v_cmp_gt_u64_e32 vcc_lo, s[36:37], v[2:3]
	v_cmp_gt_u64_e64 s2, s[36:37], v[0:1]
	v_writelane_b32 v52, s0, 6
	s_waitcnt lgkmcnt(0)
	s_and_b32 s33, s1, 0xffff
	v_not_b32_e32 v41, v8
	v_not_b32_e32 v8, v0
	v_cndmask_b32_e64 v2, v2, s36, vcc_lo
	v_writelane_b32 v52, s2, 7
	s_bfe_u32 s2, s33, 0x80008
	v_cndmask_b32_e64 v9, 0, s37, vcc_lo
	s_xor_b32 s88, s0, -1
	s_lshl_b32 s91, s2, 3
	s_bfe_u32 s1, s1, 0xb0005
	s_cmp_gt_u32 s33, 31
	v_add_co_u32 v8, vcc_lo, v2, v8
	s_cselect_b32 s92, -1, 0
	s_add_u32 s93, s33, -1
	s_addc_u32 s94, 0, -1
	v_add_co_ci_u32_e64 v9, null, -1, v9, vcc_lo
	s_add_u32 s95, s93, s36
	s_addc_u32 s63, s94, s37
	s_cmp_lt_u32 s6, s14
	s_movk_i32 s2, 0x3e0
	v_lshlrev_b32_e32 v46, 3, v0
	s_cselect_b32 s6, 12, 18
	v_and_or_b32 v45, v0, s2, 0xc00
	v_cmp_lt_u64_e64 s2, 1, v[8:9]
	s_add_u32 s64, s12, s6
	s_addc_u32 s65, s13, 0
	s_add_i32 s1, s1, -1
	v_or_b32_e32 v10, 6, v46
	s_and_b32 s1, s1, 0xffff
	v_writelane_b32 v52, s2, 8
	s_bfe_u32 s2, s33, 0x30005
	s_cmp_gt_u32 s1, 6
	v_and_b32_e32 v16, -2, v8
	s_cselect_b32 s1, -1, 0
	v_mad_u64_u32 v[19:20], null, s30, v10, s[16:17]
	v_mov_b32_e32 v17, v9
	v_writelane_b32 v52, s1, 9
	v_or_b32_e32 v25, 4, v46
	v_or_b32_e32 v26, 2, v46
	v_add_co_u32 v18, vcc_lo, v16, v0
	v_cmp_ne_u64_e64 s1, v[8:9], v[16:17]
	v_add_co_ci_u32_e64 v2, null, 0, v9, vcc_lo
	v_writelane_b32 v52, s2, 10
	v_mad_u64_u32 v[21:22], null, s30, v25, s[16:17]
	v_mad_u64_u32 v[23:24], null, s30, v26, s[16:17]
	v_mov_b32_e32 v2, v20
	s_cmp_lg_u32 s2, 0
	v_writelane_b32 v52, s1, 11
	s_cselect_b32 s104, -1, 0
	s_add_u32 s1, s8, s50
	v_mad_u64_u32 v[10:11], null, s31, v10, v[2:3]
	s_addc_u32 s2, s9, s51
	s_add_u32 s6, s98, s1
	v_mov_b32_e32 v8, v22
	v_mov_b32_e32 v9, v24
	s_addc_u32 s7, s99, s2
	v_writelane_b32 v52, s6, 12
	v_lshlrev_b64 v[4:5], 3, v[4:5]
	s_lshl_b64 s[68:69], s[30:31], 1
	v_mad_u64_u32 v[24:25], null, s31, v25, v[8:9]
	v_mad_u64_u32 v[8:9], null, s31, v26, v[9:10]
	v_writelane_b32 v52, s7, 13
	s_lshl_b64 s[70:71], s[30:31], 3
	s_lshl_b32 vcc_hi, s33, 1
	s_add_u32 s1, s98, s50
	v_lshlrev_b32_e32 v43, 1, v0
	s_addc_u32 s2, s99, s51
	v_add_co_u32 v25, vcc_lo, s16, v4
	s_add_u32 s1, s1, s8
	v_add_co_ci_u32_e64 v26, null, s17, v5, vcc_lo
	v_writelane_b32 v52, s8, 14
	s_addc_u32 s2, s2, s9
	v_add_co_u32 v27, vcc_lo, s1, v6
	v_cmp_lt_u64_e64 s90, 0x600, s[36:37]
	s_mul_i32 s6, s31, s33
	s_mul_hi_u32 s7, s30, s33
	v_mov_b32_e32 v29, s38
	v_cmp_eq_u32_e64 s0, 0, v42
	v_lshlrev_b32_e32 v14, 2, v0
	v_mov_b32_e32 v15, v3
	v_cmp_gt_u32_e64 s10, 2, v0
	v_add_nc_u32_e32 v44, 0xc00, v43
	v_mov_b32_e32 v20, v10
	v_mov_b32_e32 v22, v24
	;; [unrolled: 1-line block ×3, first 2 shown]
	v_lshl_or_b32 v48, v42, 3, 0xc00
	v_add_co_ci_u32_e64 v28, null, s2, v7, vcc_lo
	v_mov_b32_e32 v30, s39
	v_mov_b32_e32 v49, 0x8000
	;; [unrolled: 1-line block ×5, first 2 shown]
	s_add_i32 s7, s7, s6
	s_mul_i32 s6, s30, s33
	s_mov_b32 s96, s30
	s_mov_b32 s97, s31
	s_lshl_b64 s[44:45], s[6:7], 1
	s_mov_b32 s56, 14
	s_mov_b32 s54, 0
	;; [unrolled: 1-line block ×3, first 2 shown]
	v_writelane_b32 v52, s9, 15
                                        ; implicit-def: $sgpr55
                                        ; implicit-def: $sgpr47
                                        ; implicit-def: $sgpr46
                                        ; implicit-def: $sgpr57
                                        ; implicit-def: $sgpr59
                                        ; implicit-def: $sgpr40
                                        ; implicit-def: $sgpr41
                                        ; implicit-def: $sgpr8
                                        ; implicit-def: $sgpr1
                                        ; implicit-def: $sgpr7
	s_branch .LBB177_31
.LBB177_29:                             ;   in Loop: Header=BB177_31 Depth=1
	s_or_b32 exec_lo, exec_lo, s2
	v_mov_b32_e32 v30, v5
	v_mov_b32_e32 v29, v4
	s_andn2_b32 s2, s7, exec_lo
	s_and_b32 s7, s11, exec_lo
	s_andn2_b32 s1, s1, exec_lo
	s_or_b32 s7, s2, s7
	s_andn2_b32 s8, s8, exec_lo
	s_andn2_b32 s41, s41, exec_lo
	;; [unrolled: 1-line block ×3, first 2 shown]
	s_orn2_b32 s11, s9, exec_lo
.LBB177_30:                             ;   in Loop: Header=BB177_31 Depth=1
	s_or_b32 exec_lo, exec_lo, s6
	s_and_b32 s2, exec_lo, s11
	s_or_b32 s54, s2, s54
	s_andn2_b32 s2, s59, exec_lo
	s_and_b32 s6, s7, exec_lo
	s_andn2_b32 s9, s57, exec_lo
	s_or_b32 s59, s2, s6
	s_and_b32 s2, s1, exec_lo
	s_andn2_b32 s6, s46, exec_lo
	s_and_b32 s11, s8, exec_lo
	s_or_b32 s57, s9, s2
	s_or_b32 s46, s6, s11
	s_andn2_b32 s2, s47, exec_lo
	s_and_b32 s6, s41, exec_lo
	s_andn2_b32 s9, s55, exec_lo
	s_and_b32 s11, s40, exec_lo
	s_or_b32 s47, s2, s6
	s_or_b32 s55, s9, s11
	s_andn2_b32 exec_lo, exec_lo, s54
	s_cbranch_execz .LBB177_493
.LBB177_31:                             ; =>This Loop Header: Depth=1
                                        ;     Child Loop BB177_36 Depth 2
                                        ;     Child Loop BB177_50 Depth 2
	;; [unrolled: 1-line block ×25, first 2 shown]
	ds_read_b128 v[4:7], v3 offset:5120
	s_waitcnt lgkmcnt(0)
	v_readfirstlane_b32 s73, v5
	v_readfirstlane_b32 s72, v4
	s_cmp_lg_u64 s[72:73], 0
	s_cbranch_scc1 .LBB177_63
; %bb.32:                               ;   in Loop: Header=BB177_31 Depth=1
	s_and_b32 vcc_lo, exec_lo, s90
	s_cbranch_vccz .LBB177_44
; %bb.33:                               ;   in Loop: Header=BB177_31 Depth=1
	v_cmp_gt_u64_e32 vcc_lo, 0x601, v[6:7]
	s_mov_b32 s11, 0
	s_mov_b32 s6, 0
	s_cbranch_vccz .LBB177_45
; %bb.34:                               ;   in Loop: Header=BB177_31 Depth=1
	global_load_ushort v4, v3, s[64:65]
	global_load_ushort v8, v[12:13], off
	v_readlane_b32 s12, v52, 12
	v_readlane_b32 s13, v52, 13
	s_waitcnt vmcnt(1)
	v_and_b32_e32 v2, 0xffff, v4
	v_add_co_u32 v5, s2, v0, v2
	v_add_co_ci_u32_e64 v6, null, 0, 0, s2
	v_readfirstlane_b32 s2, v4
	v_mul_lo_u32 v7, s69, v5
	v_mad_u64_u32 v[4:5], null, s68, v5, s[12:13]
	v_mul_lo_u32 v6, s68, v6
	s_and_b32 s2, 0xffff, s2
	s_mov_b32 s13, 0
	s_mul_i32 s6, s69, s2
	s_mul_hi_u32 s9, s68, s2
	s_mul_i32 s14, s68, s2
	s_add_i32 s12, s9, s6
	v_add3_u32 v5, v7, v5, v6
	v_mov_b32_e32 v7, v1
	v_mov_b32_e32 v6, v0
	s_branch .LBB177_36
.LBB177_35:                             ;   in Loop: Header=BB177_36 Depth=2
	s_or_b32 exec_lo, exec_lo, s2
	v_add_co_u32 v4, vcc_lo, v4, s14
	v_add_co_ci_u32_e64 v5, null, s12, v5, vcc_lo
	v_mov_b32_e32 v8, v9
	s_andn2_b32 exec_lo, exec_lo, s13
	s_cbranch_execz .LBB177_117
.LBB177_36:                             ;   Parent Loop BB177_31 Depth=1
                                        ; =>  This Inner Loop Header: Depth=2
	v_add_co_u32 v6, vcc_lo, v6, v2
	v_add_co_ci_u32_e64 v7, null, 0, v7, vcc_lo
	s_waitcnt lgkmcnt(0)
	v_mov_b32_e32 v10, 0
	v_mov_b32_e32 v9, 0
	s_mov_b32 s2, exec_lo
	v_cmp_le_u64_e32 vcc_lo, s[36:37], v[6:7]
	v_cmpx_gt_u64_e64 s[36:37], v[6:7]
	s_cbranch_execz .LBB177_38
; %bb.37:                               ;   in Loop: Header=BB177_36 Depth=2
	global_load_ushort v9, v[4:5], off
.LBB177_38:                             ;   in Loop: Header=BB177_36 Depth=2
	s_or_b32 exec_lo, exec_lo, s2
	s_waitcnt vmcnt(0)
	v_add_nc_u32_sdwa v11, sext(v8), v49 dst_sel:DWORD dst_unused:UNUSED_PAD src0_sel:WORD_0 src1_sel:DWORD
	v_and_b32_e32 v11, v11, v50
	v_cmp_eq_u32_e64 s6, v11, v47
	s_cmp_lg_u32 s6, 0
	s_cselect_b32 s2, -1, 0
	s_and_b32 s2, s0, s2
	s_and_saveexec_b32 s15, s2
	s_cbranch_execz .LBB177_42
; %bb.39:                               ;   in Loop: Header=BB177_36 Depth=2
	s_mov_b32 s17, exec_lo
	s_bcnt1_i32_b32 s2, s6
	v_mbcnt_lo_u32_b32 v10, s17, 0
	s_mov_b32 s16, exec_lo
                                        ; implicit-def: $vgpr11
	v_cmpx_eq_u32_e32 0, v10
; %bb.40:                               ;   in Loop: Header=BB177_36 Depth=2
	s_bcnt1_i32_b32 s9, s17
	s_mul_i32 s9, s2, s9
	v_mov_b32_e32 v11, s9
	ds_add_rtn_u32 v11, v3, v11 offset:5144
; %bb.41:                               ;   in Loop: Header=BB177_36 Depth=2
	s_or_b32 exec_lo, exec_lo, s16
	s_waitcnt lgkmcnt(0)
	v_readfirstlane_b32 s9, v11
	v_mad_u32_u24 v10, s2, v10, s9
.LBB177_42:                             ;   in Loop: Header=BB177_36 Depth=2
	s_or_b32 exec_lo, exec_lo, s15
	ds_bpermute_b32 v10, v3, v10
	s_and_b32 s2, exec_lo, vcc_lo
	s_or_b32 s13, s2, s13
	s_and_saveexec_b32 s2, s6
	s_cbranch_execz .LBB177_35
; %bb.43:                               ;   in Loop: Header=BB177_36 Depth=2
	v_and_b32_e32 v11, s6, v41
	v_bcnt_u32_b32 v11, v11, 0
	v_lshlrev_b32_e32 v11, 1, v11
	s_waitcnt lgkmcnt(0)
	v_lshl_add_u32 v10, v10, 1, v11
	ds_write_b16 v10, v8
	s_branch .LBB177_35
.LBB177_44:                             ;   in Loop: Header=BB177_31 Depth=1
	s_mov_b32 s11, -1
	s_mov_b32 s6, 0
.LBB177_45:                             ;   in Loop: Header=BB177_31 Depth=1
	s_and_b32 vcc_lo, exec_lo, s11
	s_cbranch_vccz .LBB177_61
.LBB177_46:                             ;   in Loop: Header=BB177_31 Depth=1
	s_mov_b32 s9, exec_lo
	v_readlane_b32 s2, v52, 7
	s_and_b32 s2, s9, s2
	s_mov_b32 exec_lo, s2
	s_cbranch_execz .LBB177_58
; %bb.47:                               ;   in Loop: Header=BB177_31 Depth=1
	global_load_ushort v4, v3, s[64:65]
	global_load_ushort v11, v[12:13], off
	v_mov_b32_e32 v8, v0
	s_mov_b32 s11, exec_lo
	s_waitcnt vmcnt(1)
	v_add_nc_u32_sdwa v2, v4, v0 dst_sel:DWORD dst_unused:UNUSED_PAD src0_sel:WORD_0 src1_sel:DWORD
	v_readfirstlane_b32 s2, v4
	v_cmpx_gt_u64_e64 s[36:37], v[2:3]
	s_cbranch_execz .LBB177_57
; %bb.48:                               ;   in Loop: Header=BB177_31 Depth=1
	s_and_b32 s12, s2, 0xffff
	v_readlane_b32 s6, v52, 8
	v_mov_b32_e32 v7, v1
	s_cmp_eq_u32 s12, 1
	v_mov_b32_e32 v5, v3
	v_mov_b32_e32 v6, v0
	;; [unrolled: 1-line block ×3, first 2 shown]
	s_cselect_b32 s2, -1, 0
                                        ; implicit-def: $vgpr8_vgpr9
	s_and_b32 s2, s6, s2
	s_mov_b32 s6, -1
	s_and_saveexec_b32 s13, s2
	s_cbranch_execz .LBB177_52
; %bb.49:                               ;   in Loop: Header=BB177_31 Depth=1
	v_add_co_u32 v4, s2, v2, 1
	v_add_co_ci_u32_e64 v5, null, 0, 0, s2
	v_mov_b32_e32 v8, v16
	s_waitcnt vmcnt(0)
	v_lshlrev_b32_e32 v31, 16, v11
	v_mov_b32_e32 v9, v17
	v_mov_b32_e32 v7, v5
	;; [unrolled: 1-line block ×6, first 2 shown]
	s_mov_b32 s14, 0
.LBB177_50:                             ;   Parent Loop BB177_31 Depth=1
                                        ; =>  This Inner Loop Header: Depth=2
	v_mul_lo_u32 v11, v5, s96
	v_mul_lo_u32 v36, v4, s97
	v_mad_u64_u32 v[32:33], null, v4, s96, 0
	v_mul_lo_u32 v37, v7, s30
	v_mul_lo_u32 v38, v6, s31
	v_mad_u64_u32 v[34:35], null, v6, s30, 0
	v_add3_u32 v33, v33, v36, v11
	v_add3_u32 v35, v35, v38, v37
	v_lshlrev_b64 v[32:33], 1, v[32:33]
	v_lshlrev_b64 v[34:35], 1, v[34:35]
	v_add_co_u32 v32, vcc_lo, s86, v32
	v_add_co_ci_u32_e64 v33, null, s87, v33, vcc_lo
	v_add_co_u32 v34, vcc_lo, s86, v34
	v_add_co_ci_u32_e64 v35, null, s87, v35, vcc_lo
	s_clause 0x1
	global_load_ushort v32, v[32:33], off
	global_load_ushort v11, v[34:35], off
	v_add_co_u32 v8, vcc_lo, v8, -2
	v_add_co_ci_u32_e64 v9, null, -1, v9, vcc_lo
	v_add_co_u32 v6, vcc_lo, v6, 2
	v_add_co_ci_u32_e64 v7, null, 0, v7, vcc_lo
	v_cmp_eq_u64_e64 s6, 0, v[8:9]
	v_add_co_u32 v4, vcc_lo, v4, 2
	v_add_co_ci_u32_e64 v5, null, 0, v5, vcc_lo
	s_or_b32 s14, s6, s14
	s_waitcnt vmcnt(1)
	v_alignbit_b32 v31, v32, v31, 16
	s_waitcnt vmcnt(0)
	v_perm_b32 v32, v11, v32, 0x5040100
	ds_write_b32 v10, v31
	v_add_nc_u32_e32 v10, 4, v10
	v_mov_b32_e32 v31, v32
	s_andn2_b32 exec_lo, exec_lo, s14
	s_cbranch_execnz .LBB177_50
; %bb.51:                               ;   in Loop: Header=BB177_31 Depth=1
	s_or_b32 exec_lo, exec_lo, s14
	v_add_co_u32 v4, vcc_lo, v2, v16
	v_readlane_b32 s2, v52, 11
	v_add_co_ci_u32_e64 v5, null, 0, v17, vcc_lo
	v_add_co_u32 v8, vcc_lo, v4, -1
	v_mov_b32_e32 v6, v18
	s_orn2_b32 s6, s2, exec_lo
	v_add_co_ci_u32_e64 v2, null, -1, v5, vcc_lo
	v_mov_b32_e32 v7, v19
.LBB177_52:                             ;   in Loop: Header=BB177_31 Depth=1
	s_or_b32 exec_lo, exec_lo, s13
	s_and_saveexec_b32 s13, s6
	s_cbranch_execz .LBB177_56
; %bb.53:                               ;   in Loop: Header=BB177_31 Depth=1
	v_readlane_b32 s14, v52, 12
	v_readlane_b32 s15, v52, 13
	v_mul_lo_u32 v2, s68, v5
	v_mul_lo_u32 v7, s69, v4
	s_mul_i32 s2, s69, s12
	s_mul_hi_u32 s6, s68, s12
	v_mad_u64_u32 v[9:10], null, s68, v4, s[14:15]
	s_sub_u32 s14, 0, s12
	s_subb_u32 s15, 0, 0
	s_add_i32 s16, s6, s2
	s_mul_i32 s17, s68, s12
	s_mov_b32 s18, 0
	v_add3_u32 v10, v7, v10, v2
	.p2align	6
.LBB177_54:                             ;   Parent Loop BB177_31 Depth=1
                                        ; =>  This Inner Loop Header: Depth=2
	global_load_ushort v2, v[9:10], off
	v_mov_b32_e32 v8, v5
	v_mov_b32_e32 v7, v4
	v_lshlrev_b32_e32 v6, 1, v6
	v_add_co_u32 v9, vcc_lo, v9, s17
	v_add_co_ci_u32_e64 v10, null, s16, v10, vcc_lo
	v_add_co_u32 v4, s6, v7, s12
	v_add_co_ci_u32_e64 v5, null, 0, v8, s6
	s_waitcnt vmcnt(1)
	ds_write_b16 v6, v11
	v_mov_b32_e32 v6, v7
	v_mov_b32_e32 v7, v8
	v_cmp_le_u64_e32 vcc_lo, s[36:37], v[4:5]
	v_add_co_u32 v8, s6, s14, v4
	v_add_co_ci_u32_e64 v7, null, s15, v5, s6
	s_or_b32 s18, vcc_lo, s18
	s_waitcnt vmcnt(0)
	v_mov_b32_e32 v11, v2
	s_andn2_b32 exec_lo, exec_lo, s18
	s_cbranch_execnz .LBB177_54
; %bb.55:                               ;   in Loop: Header=BB177_31 Depth=1
	s_or_b32 exec_lo, exec_lo, s18
	v_mov_b32_e32 v11, v2
.LBB177_56:                             ;   in Loop: Header=BB177_31 Depth=1
	s_or_b32 exec_lo, exec_lo, s13
.LBB177_57:                             ;   in Loop: Header=BB177_31 Depth=1
	s_or_b32 exec_lo, exec_lo, s11
	v_lshlrev_b32_e32 v2, 1, v8
	s_waitcnt vmcnt(0)
	ds_write_b16 v2, v11
.LBB177_58:                             ;   in Loop: Header=BB177_31 Depth=1
	s_or_b32 exec_lo, exec_lo, s9
	s_waitcnt lgkmcnt(0)
	s_barrier
	buffer_gl0_inv
	s_and_saveexec_b32 s2, s3
; %bb.59:                               ;   in Loop: Header=BB177_31 Depth=1
	v_mov_b32_e32 v4, s36
	v_mov_b32_e32 v5, s37
	ds_write_b64 v3, v[4:5] offset:5120
; %bb.60:                               ;   in Loop: Header=BB177_31 Depth=1
	s_or_b32 exec_lo, exec_lo, s2
	s_waitcnt lgkmcnt(0)
	s_mov_b32 s6, -1
	s_barrier
.LBB177_61:                             ;   in Loop: Header=BB177_31 Depth=1
	s_and_b32 vcc_lo, exec_lo, s6
	s_mov_b64 s[72:73], 0
	s_cbranch_vccz .LBB177_63
; %bb.62:                               ;   in Loop: Header=BB177_31 Depth=1
	buffer_gl0_inv
	ds_read_b64 v[4:5], v3 offset:5120
	s_waitcnt lgkmcnt(0)
	v_readfirstlane_b32 s72, v4
.LBB177_63:                             ;   in Loop: Header=BB177_31 Depth=1
	s_cmp_lt_i32 s72, 1
	s_mov_b32 s6, -1
                                        ; implicit-def: $vgpr4_vgpr5
                                        ; implicit-def: $vgpr8_vgpr9
	s_cbranch_scc1 .LBB177_73
; %bb.64:                               ;   in Loop: Header=BB177_31 Depth=1
	s_and_b32 vcc_lo, exec_lo, s6
	s_cbranch_vccnz .LBB177_87
.LBB177_65:                             ;   in Loop: Header=BB177_31 Depth=1
	s_lshl_b32 s6, s58, 7
	s_and_saveexec_b32 s2, s0
	s_cbranch_execz .LBB177_67
.LBB177_66:                             ;   in Loop: Header=BB177_31 Depth=1
	v_lshl_add_u32 v2, s6, 3, v45
	ds_write_b128 v2, v[4:7]
	ds_write_b128 v2, v[8:11] offset:16
.LBB177_67:                             ;   in Loop: Header=BB177_31 Depth=1
	s_or_b32 exec_lo, exec_lo, s2
	s_waitcnt lgkmcnt(0)
	s_barrier
	buffer_gl0_inv
	s_and_saveexec_b32 s9, s89
	s_cbranch_execz .LBB177_101
; %bb.68:                               ;   in Loop: Header=BB177_31 Depth=1
	v_mov_b32_e32 v4, 0
	v_mov_b32_e32 v5, 0
	s_andn2_b32 vcc_lo, exec_lo, s92
	s_cbranch_vccnz .LBB177_100
; %bb.69:                               ;   in Loop: Header=BB177_31 Depth=1
	v_readlane_b32 s2, v52, 9
	v_mov_b32_e32 v4, 0
	v_mov_b32_e32 v5, 0
	s_andn2_b32 vcc_lo, exec_lo, s2
	s_cbranch_vccnz .LBB177_97
; %bb.70:                               ;   in Loop: Header=BB177_31 Depth=1
	v_lshl_add_u32 v2, s58, 10, v48
	s_mov_b32 s11, 0
	s_inst_prefetch 0x1
	.p2align	6
.LBB177_71:                             ;   Parent Loop BB177_31 Depth=1
                                        ; =>  This Inner Loop Header: Depth=2
	ds_read2_b64 v[6:9], v2 offset1:4
	ds_read2_b64 v[31:34], v2 offset0:8 offset1:12
	ds_read2_b64 v[35:38], v2 offset0:16 offset1:20
	s_add_i32 s11, s11, 8
	s_cmp_eq_u32 s91, s11
	s_waitcnt lgkmcnt(2)
	v_add_co_u32 v4, vcc_lo, v6, v4
	v_add_co_ci_u32_e64 v5, null, v7, v5, vcc_lo
	v_add_co_u32 v8, vcc_lo, v8, v4
	v_add_co_ci_u32_e64 v9, null, v9, v5, vcc_lo
	ds_read2_b64 v[4:7], v2 offset0:24 offset1:28
	s_waitcnt lgkmcnt(2)
	v_add_co_u32 v8, vcc_lo, v31, v8
	v_add_co_ci_u32_e64 v9, null, v32, v9, vcc_lo
	v_add_nc_u32_e32 v2, 0x100, v2
	v_add_co_u32 v8, vcc_lo, v33, v8
	v_add_co_ci_u32_e64 v9, null, v34, v9, vcc_lo
	s_waitcnt lgkmcnt(1)
	v_add_co_u32 v8, vcc_lo, v35, v8
	v_add_co_ci_u32_e64 v9, null, v36, v9, vcc_lo
	v_add_co_u32 v8, vcc_lo, v37, v8
	v_add_co_ci_u32_e64 v9, null, v38, v9, vcc_lo
	s_waitcnt lgkmcnt(0)
	v_add_co_u32 v4, vcc_lo, v4, v8
	v_add_co_ci_u32_e64 v5, null, v5, v9, vcc_lo
	v_add_co_u32 v4, vcc_lo, v6, v4
	v_add_co_ci_u32_e64 v5, null, v7, v5, vcc_lo
	s_cbranch_scc0 .LBB177_71
; %bb.72:                               ;   in Loop: Header=BB177_31 Depth=1
	s_inst_prefetch 0x2
	s_mov_b32 s11, s91
	s_andn2_b32 vcc_lo, exec_lo, s104
	s_cbranch_vccz .LBB177_98
	s_branch .LBB177_100
.LBB177_73:                             ;   in Loop: Header=BB177_31 Depth=1
	global_load_ushort v2, v3, s[64:65]
	s_mov_b32 s12, s61
	s_mov_b32 s13, s37
	s_waitcnt vmcnt(0)
	v_readfirstlane_b32 s2, v2
	s_and_b32 s62, s2, 0xffff
	s_lshl_b32 s48, s62, 2
	s_cmp_lg_u64 s[12:13], 0
	s_cbranch_scc0 .LBB177_96
; %bb.74:                               ;   in Loop: Header=BB177_31 Depth=1
	v_cvt_f32_u32_e32 v2, s48
	s_sub_u32 s9, 0, s48
	s_subb_u32 s11, 0, 0
	v_fmac_f32_e64 v2, 0x4f800000, 0
	v_rcp_f32_e32 v2, v2
	v_mul_f32_e32 v2, 0x5f7ffffc, v2
	v_mul_f32_e32 v4, 0x2f800000, v2
	v_trunc_f32_e32 v4, v4
	v_fmac_f32_e32 v2, 0xcf800000, v4
	v_cvt_u32_f32_e32 v4, v4
	v_cvt_u32_f32_e32 v2, v2
	v_readfirstlane_b32 s2, v4
	v_readfirstlane_b32 s6, v2
	s_mul_i32 s12, s9, s2
	s_mul_hi_u32 s14, s9, s6
	s_mul_i32 s13, s11, s6
	s_add_i32 s12, s14, s12
	s_mul_i32 s15, s9, s6
	s_add_i32 s12, s12, s13
	s_mul_hi_u32 s14, s6, s15
	s_mul_i32 s17, s6, s12
	s_mul_hi_u32 s16, s2, s15
	s_mul_i32 s13, s2, s15
	s_mul_hi_u32 s15, s6, s12
	s_add_u32 s14, s14, s17
	s_addc_u32 s15, 0, s15
	s_mul_hi_u32 s18, s2, s12
	s_add_u32 s13, s14, s13
	s_mul_i32 s12, s2, s12
	s_addc_u32 s13, s15, s16
	s_addc_u32 s14, s18, 0
	s_add_u32 s12, s13, s12
	s_addc_u32 s13, 0, s14
	s_add_u32 s6, s6, s12
	s_cselect_b32 s12, -1, 0
	s_mul_hi_u32 s14, s9, s6
	s_cmp_lg_u32 s12, 0
	s_mul_i32 s12, s9, s6
	s_addc_u32 s2, s2, s13
	s_mul_i32 s11, s11, s6
	s_mul_i32 s9, s9, s2
	s_mul_hi_u32 s13, s6, s12
	s_add_i32 s9, s14, s9
	s_mul_hi_u32 s14, s2, s12
	s_add_i32 s9, s9, s11
	s_mul_i32 s11, s2, s12
	s_mul_i32 s16, s6, s9
	s_mul_hi_u32 s15, s6, s9
	s_add_u32 s13, s13, s16
	s_addc_u32 s15, 0, s15
	s_mul_hi_u32 s12, s2, s9
	s_add_u32 s11, s13, s11
	s_mul_i32 s9, s2, s9
	s_addc_u32 s11, s15, s14
	s_addc_u32 s12, s12, 0
	s_add_u32 s9, s11, s9
	s_addc_u32 s11, 0, s12
	s_add_u32 s6, s6, s9
	s_cselect_b32 s9, -1, 0
	s_mul_hi_u32 s12, s36, s6
	s_cmp_lg_u32 s9, 0
	s_mul_hi_u32 s9, s37, s6
	s_addc_u32 s2, s2, s11
	s_mul_i32 s6, s37, s6
	s_mul_i32 s13, s36, s2
	s_mul_hi_u32 s11, s36, s2
	s_add_u32 s12, s12, s13
	s_addc_u32 s11, 0, s11
	s_mul_hi_u32 s14, s37, s2
	s_add_u32 s6, s12, s6
	s_mul_i32 s2, s37, s2
	s_addc_u32 s6, s11, s9
	s_addc_u32 s9, s14, 0
	s_add_u32 s2, s6, s2
	s_addc_u32 s6, 0, s9
	s_mul_hi_u32 s9, s48, s2
	s_mul_i32 s6, s48, s6
	s_mul_i32 s2, s48, s2
	s_add_i32 s9, s9, s6
	s_sub_u32 s2, s36, s2
	s_cselect_b32 s6, -1, 0
	s_cmp_lg_u32 s6, 0
	s_subb_u32 s6, s37, s9
	s_sub_u32 s9, s2, s48
	s_cselect_b32 s11, -1, 0
	s_cmp_lg_u32 s11, 0
	s_subb_u32 s11, s6, 0
	;; [unrolled: 4-line block ×3, first 2 shown]
	s_cmp_ge_u32 s9, s48
	s_cselect_b32 s14, -1, 0
	s_cmp_eq_u32 s11, 0
	s_cselect_b32 s14, s14, -1
	s_cmp_lg_u32 s14, 0
	s_cselect_b32 s11, s13, s11
	s_cselect_b32 s9, s12, s9
	s_cmp_ge_u32 s2, s48
	s_cselect_b32 s12, -1, 0
	s_cmp_eq_u32 s6, 0
	s_cselect_b32 s12, s12, -1
	s_cmp_lg_u32 s12, 0
	s_cselect_b32 s13, s11, s6
	s_cselect_b32 s12, s9, s2
	s_cbranch_execnz .LBB177_76
.LBB177_75:                             ;   in Loop: Header=BB177_31 Depth=1
	v_cvt_f32_u32_e32 v2, s48
	s_sub_i32 s6, 0, s48
	v_rcp_iflag_f32_e32 v2, v2
	v_mul_f32_e32 v2, 0x4f7ffffe, v2
	v_cvt_u32_f32_e32 v2, v2
	v_readfirstlane_b32 s2, v2
	s_mul_i32 s6, s6, s2
	s_mul_hi_u32 s6, s2, s6
	s_add_i32 s2, s2, s6
	s_mul_hi_u32 s2, s36, s2
	s_mul_i32 s2, s2, s48
	s_sub_i32 s2, s36, s2
	s_sub_i32 s6, s2, s48
	s_cmp_ge_u32 s2, s48
	s_cselect_b32 s2, s6, s2
	s_sub_i32 s6, s2, s48
	s_cmp_ge_u32 s2, s48
	s_cselect_b32 s60, s6, s2
	s_mov_b64 s[12:13], s[60:61]
.LBB177_76:                             ;   in Loop: Header=BB177_31 Depth=1
	v_mov_b32_e32 v4, 0
	v_mov_b32_e32 v6, 0
	;; [unrolled: 1-line block ×8, first 2 shown]
	s_sub_u32 s74, s36, s12
	s_subb_u32 s75, s37, s13
	s_mov_b32 s49, exec_lo
	v_cmpx_gt_u64_e64 s[74:75], v[14:15]
	s_cbranch_execz .LBB177_80
; %bb.77:                               ;   in Loop: Header=BB177_31 Depth=1
	v_mov_b32_e32 v32, v26
	v_mov_b32_e32 v34, v24
	;; [unrolled: 1-line block ×10, first 2 shown]
	s_mul_i32 s2, s71, s62
	s_mul_hi_u32 s6, s70, s62
	s_mul_i32 s73, s70, s62
	s_add_i32 s60, s6, s2
	s_mov_b64 s[76:77], 0
	s_mov_b32 s84, 0
	s_mov_b64 s[78:79], 0
	s_mov_b64 s[80:81], 0
	;; [unrolled: 1-line block ×3, first 2 shown]
.LBB177_78:                             ;   Parent Loop BB177_31 Depth=1
                                        ; =>  This Inner Loop Header: Depth=2
	v_add_co_u32 v4, vcc_lo, v31, s50
	v_add_co_ci_u32_e64 v5, null, s51, v32, vcc_lo
	global_load_sshort v2, v[4:5], off
	v_add_co_u32 v4, vcc_lo, v33, s50
	v_add_co_ci_u32_e64 v5, null, s51, v34, vcc_lo
	global_load_sshort v6, v[4:5], off
	;; [unrolled: 3-line block ×4, first 2 shown]
	s_waitcnt vmcnt(3)
	v_add_nc_u32_e32 v2, 0x8000, v2
	v_and_b32_e32 v5, v2, v50
	v_bfe_u32 v2, v2, s56, 2
	v_cmp_eq_u32_e32 vcc_lo, v5, v47
	s_waitcnt vmcnt(2)
	v_add_nc_u32_e32 v5, 0x8000, v6
	v_cmp_eq_u32_e64 s12, 0, v2
	v_cmp_eq_u32_e64 s13, 1, v2
	;; [unrolled: 1-line block ×4, first 2 shown]
	v_and_b32_e32 v6, v5, v50
	v_bfe_u32 v2, v5, s56, 2
	s_and_b32 s2, vcc_lo, s12
	v_cmp_eq_u32_e64 s6, v6, v47
	s_waitcnt vmcnt(1)
	v_add_nc_u32_e32 v6, 0x8000, v7
	v_cmp_eq_u32_e64 s16, 0, v2
	s_waitcnt vmcnt(0)
	v_add_nc_u32_e32 v4, 0x8000, v4
	v_cmp_eq_u32_e64 s17, 1, v2
	v_cmp_eq_u32_e64 s18, 2, v2
	;; [unrolled: 1-line block ×3, first 2 shown]
	v_bfe_u32 v2, v6, s56, 2
	v_and_b32_e32 v7, v6, v50
	v_cmp_eq_u32_e64 s20, 0, v2
	v_cmp_eq_u32_e64 s21, 1, v2
	;; [unrolled: 1-line block ×4, first 2 shown]
	v_bfe_u32 v2, v4, s56, 2
	v_cmp_eq_u32_e64 s9, v7, v47
	v_and_b32_e32 v7, v4, v50
	v_cmp_eq_u32_e64 s24, 0, v2
	v_cmp_eq_u32_e64 s25, 1, v2
	;; [unrolled: 1-line block ×4, first 2 shown]
	v_cndmask_b32_e64 v2, 0, 1, s2
	s_and_b32 s2, s6, s16
	v_cmp_eq_u32_e64 s11, v7, v47
	v_cmp_ne_u32_e64 s12, 0, v2
	v_cndmask_b32_e64 v2, 0, 1, s2
	s_and_b32 s2, s9, s20
	v_cmp_ne_u32_e64 s16, 0, v2
	v_cndmask_b32_e64 v2, 0, 1, s2
	s_and_b32 s2, s11, s24
	v_cmp_ne_u32_e64 s20, 0, v2
	v_cndmask_b32_e64 v2, 0, 1, s2
	s_bcnt1_i32_b32 s2, s12
	s_bcnt1_i32_b32 s12, s16
	;; [unrolled: 1-line block ×3, first 2 shown]
	v_cmp_ne_u32_e64 s24, 0, v2
	s_add_i32 s2, s12, s2
	s_add_i32 s2, s2, s16
	s_bcnt1_i32_b32 s20, s24
	s_add_i32 s2, s2, s20
	s_add_u32 s82, s82, s2
	s_addc_u32 s83, s83, 0
	s_and_b32 s2, vcc_lo, s13
	v_mov_b32_e32 v4, s82
	v_cndmask_b32_e64 v2, 0, 1, s2
	s_and_b32 s2, s6, s17
	v_mov_b32_e32 v5, s83
	v_cmp_ne_u32_e64 s12, 0, v2
	v_cndmask_b32_e64 v2, 0, 1, s2
	s_and_b32 s2, s9, s21
	v_cmp_ne_u32_e64 s13, 0, v2
	v_cndmask_b32_e64 v2, 0, 1, s2
	s_and_b32 s2, s11, s25
	v_cmp_ne_u32_e64 s16, 0, v2
	v_cndmask_b32_e64 v2, 0, 1, s2
	s_bcnt1_i32_b32 s2, s12
	s_bcnt1_i32_b32 s12, s13
	;; [unrolled: 1-line block ×3, first 2 shown]
	v_cmp_ne_u32_e64 s17, 0, v2
	s_add_i32 s2, s12, s2
	s_add_i32 s2, s2, s13
	s_bcnt1_i32_b32 s16, s17
	s_add_i32 s2, s2, s16
	s_add_u32 s80, s80, s2
	s_addc_u32 s81, s81, 0
	s_and_b32 s2, vcc_lo, s14
	v_mov_b32_e32 v6, s80
	v_cndmask_b32_e64 v2, 0, 1, s2
	s_and_b32 s2, s6, s18
	v_mov_b32_e32 v7, s81
	v_cmp_ne_u32_e64 s12, 0, v2
	v_cndmask_b32_e64 v2, 0, 1, s2
	s_and_b32 s2, s9, s22
	v_cmp_ne_u32_e64 s13, 0, v2
	v_cndmask_b32_e64 v2, 0, 1, s2
	s_and_b32 s2, s11, s26
	v_cmp_ne_u32_e64 s14, 0, v2
	v_cndmask_b32_e64 v2, 0, 1, s2
	s_bcnt1_i32_b32 s2, s12
	s_bcnt1_i32_b32 s12, s13
	;; [unrolled: 1-line block ×3, first 2 shown]
	v_cmp_ne_u32_e64 s16, 0, v2
	s_add_i32 s2, s12, s2
	v_add_co_u32 v39, s12, v39, s48
	s_add_i32 s2, s2, s13
	s_bcnt1_i32_b32 s14, s16
	v_add_co_ci_u32_e64 v40, null, 0, v40, s12
	s_add_i32 s2, s2, s14
	v_add_co_u32 v37, s13, v37, s73
	s_add_u32 s78, s78, s2
	s_addc_u32 s79, s79, 0
	s_and_b32 s2, vcc_lo, s15
	v_cmp_le_u64_e64 s12, s[74:75], v[39:40]
	v_cndmask_b32_e64 v2, 0, 1, s2
	s_and_b32 s2, s6, s19
	v_add_co_u32 v35, s14, v35, s73
	v_add_co_u32 v33, s15, v33, s73
	v_cmp_ne_u32_e32 vcc_lo, 0, v2
	v_cndmask_b32_e64 v2, 0, 1, s2
	s_and_b32 s2, s9, s23
	v_add_co_u32 v31, s16, v31, s73
	v_mov_b32_e32 v8, s78
	v_cmp_ne_u32_e64 s6, 0, v2
	v_cndmask_b32_e64 v2, 0, 1, s2
	s_and_b32 s2, s11, s27
	v_add_co_ci_u32_e64 v38, null, s60, v38, s13
	s_bcnt1_i32_b32 s6, s6
	v_cmp_ne_u32_e64 s9, 0, v2
	v_cndmask_b32_e64 v2, 0, 1, s2
	s_bcnt1_i32_b32 s2, vcc_lo
	v_add_co_ci_u32_e64 v36, null, s60, v36, s14
	s_bcnt1_i32_b32 s9, s9
	v_cmp_ne_u32_e64 s11, 0, v2
	s_add_i32 s2, s6, s2
	v_add_co_ci_u32_e64 v34, null, s60, v34, s15
	s_add_i32 s2, s2, s9
	s_bcnt1_i32_b32 s11, s11
	v_add_co_ci_u32_e64 v32, null, s60, v32, s16
	s_add_i32 s2, s2, s11
	v_mov_b32_e32 v9, s79
	s_add_u32 s76, s76, s2
	s_addc_u32 s77, s77, 0
	v_mov_b32_e32 v10, s76
	v_mov_b32_e32 v11, s77
	s_or_b32 s84, s12, s84
	s_andn2_b32 exec_lo, exec_lo, s84
	s_cbranch_execnz .LBB177_78
; %bb.79:                               ;   in Loop: Header=BB177_31 Depth=1
	s_or_b32 exec_lo, exec_lo, s84
.LBB177_80:                             ;   in Loop: Header=BB177_31 Depth=1
	s_or_b32 exec_lo, exec_lo, s49
	v_add_co_u32 v31, s2, s74, v0
	v_add_co_ci_u32_e64 v32, null, s75, 0, s2
	s_mov_b32 s12, exec_lo
	v_cmpx_gt_u64_e64 s[36:37], v[31:32]
	s_cbranch_execz .LBB177_86
; %bb.81:                               ;   in Loop: Header=BB177_31 Depth=1
	v_mul_lo_u32 v2, v32, s30
	v_mul_lo_u32 v35, v31, s31
	v_mad_u64_u32 v[33:34], null, v31, s30, 0
	s_mov_b32 s13, 0
	v_add3_u32 v34, v34, v35, v2
	v_lshlrev_b64 v[33:34], 1, v[33:34]
	v_add_co_u32 v33, vcc_lo, s86, v33
	v_add_co_ci_u32_e64 v34, null, s87, v34, vcc_lo
	global_load_ushort v33, v[33:34], off
	s_branch .LBB177_83
.LBB177_82:                             ;   in Loop: Header=BB177_83 Depth=2
	s_or_b32 exec_lo, exec_lo, s9
	s_waitcnt vmcnt(0)
	v_add_nc_u32_sdwa v33, sext(v33), v49 dst_sel:DWORD dst_unused:UNUSED_PAD src0_sel:WORD_0 src1_sel:DWORD
	s_and_b32 s2, exec_lo, vcc_lo
	s_or_b32 s13, s2, s13
	v_and_b32_e32 v34, v33, v50
	v_bfe_u32 v33, v33, s56, 2
	v_cmp_eq_u32_e64 s6, v34, v47
	v_cmp_eq_u32_e64 s9, 0, v33
	v_cmp_eq_u32_e32 vcc_lo, 1, v33
	v_cmp_eq_u32_e64 s11, 2, v33
	s_and_b32 s2, s6, s9
	v_cndmask_b32_e64 v34, 0, 1, s2
	s_and_b32 s2, s6, vcc_lo
	v_cmp_eq_u32_e32 vcc_lo, 3, v33
	v_cndmask_b32_e64 v35, 0, 1, s2
	s_and_b32 s2, s6, s11
	v_cmp_ne_u32_e64 s9, 0, v34
	v_cndmask_b32_e64 v33, 0, 1, s2
	s_and_b32 s2, s6, vcc_lo
	v_cmp_ne_u32_e64 s11, 0, v35
	v_cndmask_b32_e64 v34, 0, 1, s2
	s_bcnt1_i32_b32 s2, s9
	v_cmp_ne_u32_e32 vcc_lo, 0, v33
	v_add_co_u32 v4, s6, v4, s2
	s_bcnt1_i32_b32 s9, s11
	v_add_co_ci_u32_e64 v5, null, 0, v5, s6
	s_bcnt1_i32_b32 s2, vcc_lo
	v_cmp_ne_u32_e32 vcc_lo, 0, v34
	v_add_co_u32 v6, s6, v6, s9
	v_add_co_ci_u32_e64 v7, null, 0, v7, s6
	v_add_co_u32 v8, s6, v8, s2
	s_bcnt1_i32_b32 s2, vcc_lo
	v_add_co_ci_u32_e64 v9, null, 0, v9, s6
	v_add_co_u32 v10, vcc_lo, v10, s2
	v_add_co_ci_u32_e64 v11, null, 0, v11, vcc_lo
	v_mov_b32_e32 v33, v2
	s_andn2_b32 exec_lo, exec_lo, s13
	s_cbranch_execz .LBB177_85
.LBB177_83:                             ;   Parent Loop BB177_31 Depth=1
                                        ; =>  This Inner Loop Header: Depth=2
	v_add_co_u32 v31, vcc_lo, v31, s62
	v_add_co_ci_u32_e64 v32, null, 0, v32, vcc_lo
	v_mov_b32_e32 v2, 0
	s_mov_b32 s9, exec_lo
	v_cmp_le_u64_e32 vcc_lo, s[36:37], v[31:32]
	v_cmpx_gt_u64_e64 s[36:37], v[31:32]
	s_cbranch_execz .LBB177_82
; %bb.84:                               ;   in Loop: Header=BB177_83 Depth=2
	v_mul_lo_u32 v2, v32, s30
	v_mul_lo_u32 v36, v31, s31
	v_mad_u64_u32 v[34:35], null, v31, s30, 0
	v_add3_u32 v35, v35, v36, v2
	v_lshlrev_b64 v[34:35], 1, v[34:35]
	v_add_co_u32 v34, s6, s86, v34
	v_add_co_ci_u32_e64 v35, null, s87, v35, s6
	global_load_ushort v2, v[34:35], off
	s_branch .LBB177_82
.LBB177_85:                             ;   in Loop: Header=BB177_31 Depth=1
	s_or_b32 exec_lo, exec_lo, s13
.LBB177_86:                             ;   in Loop: Header=BB177_31 Depth=1
	s_or_b32 exec_lo, exec_lo, s12
	s_branch .LBB177_65
.LBB177_87:                             ;   in Loop: Header=BB177_31 Depth=1
	global_load_ushort v2, v3, s[64:65]
	v_mov_b32_e32 v6, 0
	v_mov_b32_e32 v8, 0
	;; [unrolled: 1-line block ×6, first 2 shown]
	s_mov_b32 s60, exec_lo
	s_waitcnt vmcnt(0)
	v_readfirstlane_b32 s2, v2
	s_and_b32 s48, 0xffff, s2
	s_lshl_b32 s49, s48, 2
	v_cvt_f32_u32_e32 v4, s49
	s_sub_i32 s6, 0, s49
	v_rcp_iflag_f32_e32 v4, v4
	v_mul_f32_e32 v4, 0x4f7ffffe, v4
	v_cvt_u32_f32_e32 v4, v4
	v_readfirstlane_b32 s2, v4
	v_mov_b32_e32 v4, 0
	v_mov_b32_e32 v5, 0
	s_mul_i32 s6, s6, s2
	s_mul_hi_u32 s6, s2, s6
	s_add_i32 s2, s2, s6
	s_mul_hi_u32 s2, s72, s2
	s_mul_i32 s6, s2, s49
	s_add_i32 s9, s2, 1
	s_sub_i32 s6, s72, s6
	s_sub_i32 s11, s6, s49
	s_cmp_ge_u32 s6, s49
	s_cselect_b32 s2, s9, s2
	s_cselect_b32 s6, s11, s6
	s_add_i32 s9, s2, 1
	s_cmp_ge_u32 s6, s49
	s_cselect_b32 s2, s9, s2
	s_mul_hi_u32 s75, s48, s2
	s_mul_i32 s74, s48, s2
	s_lshl_b64 s[76:77], s[74:75], 2
	v_cmpx_gt_u64_e64 s[76:77], v[14:15]
	s_cbranch_execz .LBB177_91
; %bb.88:                               ;   in Loop: Header=BB177_31 Depth=1
	v_mov_b32_e32 v32, v15
	v_mov_b32_e32 v33, v46
	;; [unrolled: 1-line block ×3, first 2 shown]
	s_lshl_b32 s62, s48, 3
	s_mov_b64 s[78:79], 0
	s_mov_b32 s73, 0
	s_mov_b64 s[80:81], 0
	s_mov_b64 s[82:83], 0
	;; [unrolled: 1-line block ×3, first 2 shown]
.LBB177_89:                             ;   Parent Loop BB177_31 Depth=1
                                        ; =>  This Inner Loop Header: Depth=2
	ds_read_b64 v[4:5], v33
	v_add_nc_u32_e32 v33, s62, v33
	s_waitcnt lgkmcnt(0)
	v_add_nc_u32_sdwa v6, sext(v4), v49 dst_sel:DWORD dst_unused:UNUSED_PAD src0_sel:WORD_0 src1_sel:DWORD
	v_add_nc_u32_sdwa v4, sext(v4), v49 dst_sel:DWORD dst_unused:UNUSED_PAD src0_sel:WORD_1 src1_sel:DWORD
	v_add_nc_u32_sdwa v7, sext(v5), v49 dst_sel:DWORD dst_unused:UNUSED_PAD src0_sel:WORD_0 src1_sel:DWORD
	v_add_nc_u32_sdwa v5, sext(v5), v49 dst_sel:DWORD dst_unused:UNUSED_PAD src0_sel:WORD_1 src1_sel:DWORD
	v_and_b32_e32 v8, v6, v50
	v_bfe_u32 v6, v6, s56, 2
	v_cmp_eq_u32_e32 vcc_lo, v8, v47
	v_and_b32_e32 v8, v4, v50
	v_bfe_u32 v4, v4, s56, 2
	v_cmp_eq_u32_e64 s12, 0, v6
	v_cmp_eq_u32_e64 s13, 1, v6
	v_cmp_eq_u32_e64 s14, 2, v6
	v_cmp_eq_u32_e64 s6, v8, v47
	v_cmp_eq_u32_e64 s16, 0, v4
	v_cmp_eq_u32_e64 s17, 1, v4
	v_cmp_eq_u32_e64 s18, 2, v4
	v_cmp_eq_u32_e64 s19, 3, v4
	v_bfe_u32 v4, v7, s56, 2
	v_and_b32_e32 v8, v7, v50
	s_and_b32 s2, vcc_lo, s12
	v_cmp_eq_u32_e64 s15, 3, v6
	v_cmp_eq_u32_e64 s20, 0, v4
	;; [unrolled: 1-line block ×5, first 2 shown]
	v_bfe_u32 v4, v5, s56, 2
	v_cmp_eq_u32_e64 s9, v8, v47
	v_and_b32_e32 v8, v5, v50
	v_cmp_eq_u32_e64 s24, 0, v4
	v_cmp_eq_u32_e64 s25, 1, v4
	v_cmp_eq_u32_e64 s26, 2, v4
	v_cmp_eq_u32_e64 s27, 3, v4
	v_cndmask_b32_e64 v4, 0, 1, s2
	s_and_b32 s2, s6, s16
	v_cmp_eq_u32_e64 s11, v8, v47
	v_cmp_ne_u32_e64 s12, 0, v4
	v_cndmask_b32_e64 v4, 0, 1, s2
	s_and_b32 s2, s9, s20
	v_cmp_ne_u32_e64 s16, 0, v4
	v_cndmask_b32_e64 v4, 0, 1, s2
	s_and_b32 s2, s11, s24
	v_cmp_ne_u32_e64 s20, 0, v4
	v_cndmask_b32_e64 v4, 0, 1, s2
	s_bcnt1_i32_b32 s2, s12
	s_bcnt1_i32_b32 s12, s16
	;; [unrolled: 1-line block ×3, first 2 shown]
	v_cmp_ne_u32_e64 s24, 0, v4
	s_add_i32 s2, s12, s2
	s_add_i32 s2, s2, s16
	s_bcnt1_i32_b32 s20, s24
	s_add_i32 s2, s2, s20
	s_add_u32 s84, s84, s2
	s_addc_u32 s85, s85, 0
	s_and_b32 s2, vcc_lo, s13
	v_cndmask_b32_e64 v4, 0, 1, s2
	s_and_b32 s2, s6, s17
	v_cmp_ne_u32_e64 s12, 0, v4
	v_cndmask_b32_e64 v4, 0, 1, s2
	s_and_b32 s2, s9, s21
	v_cmp_ne_u32_e64 s13, 0, v4
	;; [unrolled: 3-line block ×3, first 2 shown]
	v_cndmask_b32_e64 v4, 0, 1, s2
	s_bcnt1_i32_b32 s2, s12
	s_bcnt1_i32_b32 s12, s13
	;; [unrolled: 1-line block ×3, first 2 shown]
	v_cmp_ne_u32_e64 s17, 0, v4
	s_add_i32 s2, s12, s2
	s_add_i32 s2, s2, s13
	s_bcnt1_i32_b32 s16, s17
	s_add_i32 s2, s2, s16
	s_add_u32 s82, s82, s2
	s_addc_u32 s83, s83, 0
	s_and_b32 s2, vcc_lo, s14
	v_mov_b32_e32 v6, s82
	v_cndmask_b32_e64 v4, 0, 1, s2
	s_and_b32 s2, s6, s18
	v_mov_b32_e32 v7, s83
	v_cmp_ne_u32_e64 s12, 0, v4
	v_cndmask_b32_e64 v4, 0, 1, s2
	s_and_b32 s2, s9, s22
	v_cmp_ne_u32_e64 s13, 0, v4
	v_cndmask_b32_e64 v4, 0, 1, s2
	s_and_b32 s2, s11, s26
	v_cmp_ne_u32_e64 s14, 0, v4
	v_cndmask_b32_e64 v4, 0, 1, s2
	s_bcnt1_i32_b32 s2, s12
	s_bcnt1_i32_b32 s12, s13
	;; [unrolled: 1-line block ×3, first 2 shown]
	v_cmp_ne_u32_e64 s16, 0, v4
	s_add_i32 s2, s12, s2
	v_add_co_u32 v31, s12, v31, s49
	s_add_i32 s2, s2, s13
	s_bcnt1_i32_b32 s14, s16
	v_add_co_ci_u32_e64 v32, null, 0, v32, s12
	s_add_i32 s2, s2, s14
	s_add_u32 s80, s80, s2
	s_addc_u32 s81, s81, 0
	s_and_b32 s2, vcc_lo, s15
	v_cmp_le_u64_e64 s12, s[76:77], v[31:32]
	v_cndmask_b32_e64 v4, 0, 1, s2
	s_and_b32 s2, s6, s19
	v_mov_b32_e32 v8, s80
	v_mov_b32_e32 v9, s81
	v_cmp_ne_u32_e32 vcc_lo, 0, v4
	v_cndmask_b32_e64 v4, 0, 1, s2
	s_and_b32 s2, s9, s23
	v_cmp_ne_u32_e64 s6, 0, v4
	v_cndmask_b32_e64 v4, 0, 1, s2
	s_and_b32 s2, s11, s27
	s_bcnt1_i32_b32 s6, s6
	v_cmp_ne_u32_e64 s9, 0, v4
	v_cndmask_b32_e64 v4, 0, 1, s2
	s_bcnt1_i32_b32 s2, vcc_lo
	s_add_i32 s2, s6, s2
	s_bcnt1_i32_b32 s9, s9
	v_cmp_ne_u32_e64 s11, 0, v4
	s_add_i32 s2, s2, s9
	v_mov_b32_e32 v4, s84
	v_mov_b32_e32 v5, s85
	s_bcnt1_i32_b32 s11, s11
	s_add_i32 s2, s2, s11
	s_add_u32 s78, s78, s2
	s_addc_u32 s79, s79, 0
	v_mov_b32_e32 v10, s78
	v_mov_b32_e32 v11, s79
	s_or_b32 s73, s12, s73
	s_andn2_b32 exec_lo, exec_lo, s73
	s_cbranch_execnz .LBB177_89
; %bb.90:                               ;   in Loop: Header=BB177_31 Depth=1
	s_or_b32 exec_lo, exec_lo, s73
.LBB177_91:                             ;   in Loop: Header=BB177_31 Depth=1
	s_or_b32 exec_lo, exec_lo, s60
	v_add_co_u32 v31, s2, s76, v0
	v_and_b32_e32 v2, 0xffff, v2
	v_add_co_ci_u32_e64 v32, null, s77, 0, s2
	s_and_b32 s60, s72, 0x7fffffff
	s_mov_b32 s14, exec_lo
	v_cmpx_gt_u64_e64 s[60:61], v[31:32]
	s_cbranch_execz .LBB177_95
; %bb.92:                               ;   in Loop: Header=BB177_31 Depth=1
	v_lshl_add_u32 v33, s74, 3, v43
	s_lshl_b32 s16, s48, 1
	s_mov_b32 s15, 0
.LBB177_93:                             ;   Parent Loop BB177_31 Depth=1
                                        ; =>  This Inner Loop Header: Depth=2
	ds_read_i16 v34, v33
	v_add_co_u32 v31, vcc_lo, v31, v2
	v_add_co_ci_u32_e64 v32, null, 0, v32, vcc_lo
	v_add_nc_u32_e32 v33, s16, v33
	v_cmp_le_u64_e32 vcc_lo, s[60:61], v[31:32]
	s_waitcnt lgkmcnt(0)
	v_add_nc_u32_e32 v34, 0x8000, v34
	v_and_b32_e32 v35, v34, v50
	v_bfe_u32 v34, v34, s56, 2
	v_cmp_eq_u32_e64 s6, v35, v47
	v_cmp_eq_u32_e64 s9, 0, v34
	;; [unrolled: 1-line block ×5, first 2 shown]
	s_and_b32 s2, s6, s9
	v_cndmask_b32_e64 v34, 0, 1, s2
	s_and_b32 s2, s6, s11
	v_cndmask_b32_e64 v35, 0, 1, s2
	s_and_b32 s2, s6, s12
	v_cndmask_b32_e64 v36, 0, 1, s2
	s_and_b32 s2, s6, s13
	v_cmp_ne_u32_e64 s6, 0, v34
	v_cndmask_b32_e64 v37, 0, 1, s2
	v_cmp_ne_u32_e64 s9, 0, v35
	v_cmp_ne_u32_e64 s11, 0, v36
	s_bcnt1_i32_b32 s2, s6
	v_cmp_ne_u32_e64 s12, 0, v37
	s_bcnt1_i32_b32 s9, s9
	v_add_co_u32 v4, s6, v4, s2
	s_bcnt1_i32_b32 s11, s11
	v_add_co_ci_u32_e64 v5, null, 0, v5, s6
	v_add_co_u32 v6, s6, v6, s9
	s_bcnt1_i32_b32 s12, s12
	v_add_co_ci_u32_e64 v7, null, 0, v7, s6
	v_add_co_u32 v8, s6, v8, s11
	v_add_co_ci_u32_e64 v9, null, 0, v9, s6
	v_add_co_u32 v10, s6, v10, s12
	v_add_co_ci_u32_e64 v11, null, 0, v11, s6
	s_or_b32 s15, vcc_lo, s15
	s_andn2_b32 exec_lo, exec_lo, s15
	s_cbranch_execnz .LBB177_93
; %bb.94:                               ;   in Loop: Header=BB177_31 Depth=1
	s_or_b32 exec_lo, exec_lo, s15
.LBB177_95:                             ;   in Loop: Header=BB177_31 Depth=1
	s_or_b32 exec_lo, exec_lo, s14
	s_lshl_b32 s6, s58, 7
	s_and_saveexec_b32 s2, s0
	s_cbranch_execnz .LBB177_66
	s_branch .LBB177_67
.LBB177_96:                             ;   in Loop: Header=BB177_31 Depth=1
                                        ; implicit-def: $sgpr12_sgpr13
	s_branch .LBB177_75
.LBB177_97:                             ;   in Loop: Header=BB177_31 Depth=1
	s_mov_b32 s11, 0
	s_andn2_b32 vcc_lo, exec_lo, s104
	s_cbranch_vccnz .LBB177_100
.LBB177_98:                             ;   in Loop: Header=BB177_31 Depth=1
	s_lshl_b32 s2, s58, 10
	s_lshl_b32 s11, s11, 5
	v_add3_u32 v2, s2, s11, v48
	v_readlane_b32 s11, v52, 10
.LBB177_99:                             ;   Parent Loop BB177_31 Depth=1
                                        ; =>  This Inner Loop Header: Depth=2
	ds_read_b64 v[6:7], v2
	v_add_nc_u32_e32 v2, 32, v2
	s_add_i32 s11, s11, -1
	s_cmp_lg_u32 s11, 0
	s_waitcnt lgkmcnt(0)
	v_add_co_u32 v4, vcc_lo, v6, v4
	v_add_co_ci_u32_e64 v5, null, v7, v5, vcc_lo
	s_cbranch_scc1 .LBB177_99
.LBB177_100:                            ;   in Loop: Header=BB177_31 Depth=1
	v_add_lshl_u32 v2, s6, v42, 3
	ds_write_b64 v2, v[4:5] offset:3072
.LBB177_101:                            ;   in Loop: Header=BB177_31 Depth=1
	s_or_b32 exec_lo, exec_lo, s9
	s_lshl_b32 s2, s6, 3
	s_waitcnt lgkmcnt(0)
	v_mov_b32_e32 v2, s2
	s_barrier
	buffer_gl0_inv
	v_cmp_eq_u64_e64 s9, 1, v[29:30]
	s_lshl_b32 s11, 3, s56
	ds_read_b128 v[4:7], v2 offset:3072
	ds_read_b128 v[8:11], v2 offset:3088
	s_mov_b32 s76, -1
	s_not_b32 s26, s11
	s_mov_b32 s27, 0
	s_andn2_b32 vcc_lo, exec_lo, s88
	s_mov_b32 s73, 0
	s_mov_b32 s72, 0
                                        ; implicit-def: $sgpr74
                                        ; implicit-def: $sgpr75
                                        ; implicit-def: $vgpr2
	s_waitcnt lgkmcnt(1)
	v_readfirstlane_b32 s13, v5
	v_readfirstlane_b32 s12, v4
	;; [unrolled: 1-line block ×4, first 2 shown]
	s_waitcnt lgkmcnt(0)
	v_readfirstlane_b32 s17, v9
	v_readfirstlane_b32 s16, v8
	;; [unrolled: 1-line block ×4, first 2 shown]
                                        ; implicit-def: $vgpr4_vgpr5
                                        ; implicit-def: $vgpr10
                                        ; implicit-def: $vgpr11
                                        ; implicit-def: $vgpr8
	s_cbranch_vccnz .LBB177_296
; %bb.102:                              ;   in Loop: Header=BB177_31 Depth=1
	s_cmp_eq_u64 s[12:13], 1
	v_mov_b32_e32 v10, v47
	v_mov_b32_e32 v11, v50
	;; [unrolled: 1-line block ×3, first 2 shown]
	s_cselect_b32 s2, -1, 0
	s_mov_b32 s6, -1
	s_and_b32 s78, s2, s9
                                        ; implicit-def: $sgpr75
                                        ; implicit-def: $sgpr74
	s_and_saveexec_b32 s48, s78
	s_cbranch_execz .LBB177_137
; %bb.103:                              ;   in Loop: Header=BB177_31 Depth=1
	ds_read_b64 v[4:5], v3 offset:5120
	s_waitcnt lgkmcnt(0)
	s_barrier
	buffer_gl0_inv
	v_readfirstlane_b32 s20, v4
	v_readfirstlane_b32 s21, v5
	s_and_saveexec_b32 s2, s10
; %bb.104:                              ;   in Loop: Header=BB177_31 Depth=1
	ds_write_b16 v44, v3
; %bb.105:                              ;   in Loop: Header=BB177_31 Depth=1
	s_or_b32 exec_lo, exec_lo, s2
	v_and_b32_e32 v10, s26, v47
	v_or_b32_e32 v11, s11, v50
	s_mov_b32 s74, -1
	s_mov_b32 s75, 0
	s_cmp_eq_u64 s[20:21], 0
	s_mov_b32 s24, 0
	s_waitcnt lgkmcnt(0)
	s_barrier
	buffer_gl0_inv
                                        ; implicit-def: $vgpr8
	s_cbranch_scc1 .LBB177_122
; %bb.106:                              ;   in Loop: Header=BB177_31 Depth=1
	s_add_u32 s6, s20, s93
	s_addc_u32 s23, s21, s94
	s_mov_b32 s22, s61
	s_cmp_lg_u64 s[22:23], 0
	s_cbranch_scc0 .LBB177_163
; %bb.107:                              ;   in Loop: Header=BB177_31 Depth=1
	v_cvt_f32_u32_e32 v2, s33
	s_sub_u32 s24, 0, s33
	s_subb_u32 s25, 0, 0
	v_fmac_f32_e64 v2, 0x4f800000, 0
	v_rcp_f32_e32 v2, v2
	v_mul_f32_e32 v2, 0x5f7ffffc, v2
	v_mul_f32_e32 v4, 0x2f800000, v2
	v_trunc_f32_e32 v4, v4
	v_fmac_f32_e32 v2, 0xcf800000, v4
	v_cvt_u32_f32_e32 v4, v4
	v_cvt_u32_f32_e32 v2, v2
	v_readfirstlane_b32 s2, v4
	v_readfirstlane_b32 s22, v2
	s_mul_i32 s49, s24, s2
	s_mul_hi_u32 s62, s24, s22
	s_mul_i32 s60, s25, s22
	s_add_i32 s49, s62, s49
	s_mul_i32 s66, s24, s22
	s_add_i32 s49, s49, s60
	s_mul_hi_u32 s62, s22, s66
	s_mul_i32 s72, s22, s49
	s_mul_hi_u32 s67, s2, s66
	s_mul_i32 s60, s2, s66
	s_mul_hi_u32 s66, s22, s49
	s_add_u32 s62, s62, s72
	s_addc_u32 s66, 0, s66
	s_mul_hi_u32 s73, s2, s49
	s_add_u32 s60, s62, s60
	s_mul_i32 s49, s2, s49
	s_addc_u32 s60, s66, s67
	s_addc_u32 s62, s73, 0
	s_add_u32 s49, s60, s49
	s_addc_u32 s60, 0, s62
	s_add_u32 s22, s22, s49
	s_cselect_b32 s49, -1, 0
	s_mul_hi_u32 s62, s24, s22
	s_cmp_lg_u32 s49, 0
	s_mul_i32 s49, s24, s22
	s_addc_u32 s2, s2, s60
	s_mul_i32 s25, s25, s22
	s_mul_i32 s24, s24, s2
	s_mul_hi_u32 s60, s22, s49
	s_add_i32 s24, s62, s24
	s_mul_hi_u32 s62, s2, s49
	s_add_i32 s24, s24, s25
	s_mul_i32 s25, s2, s49
	s_mul_i32 s67, s22, s24
	s_mul_hi_u32 s66, s22, s24
	s_add_u32 s60, s60, s67
	s_addc_u32 s66, 0, s66
	s_mul_hi_u32 s49, s2, s24
	s_add_u32 s25, s60, s25
	s_mul_i32 s24, s2, s24
	s_addc_u32 s25, s66, s62
	s_addc_u32 s49, s49, 0
	s_add_u32 s24, s25, s24
	s_addc_u32 s25, 0, s49
	s_add_u32 s22, s22, s24
	s_cselect_b32 s24, -1, 0
	s_mul_hi_u32 s49, s6, s22
	s_cmp_lg_u32 s24, 0
	s_mul_hi_u32 s24, s23, s22
	s_addc_u32 s2, s2, s25
	s_mul_i32 s22, s23, s22
	s_mul_i32 s60, s6, s2
	s_mul_hi_u32 s25, s6, s2
	s_add_u32 s49, s49, s60
	s_addc_u32 s25, 0, s25
	s_mul_hi_u32 s62, s23, s2
	s_add_u32 s22, s49, s22
	s_mul_i32 s2, s23, s2
	s_addc_u32 s22, s25, s24
	s_addc_u32 s24, s62, 0
	s_add_u32 s2, s22, s2
	s_addc_u32 s22, 0, s24
	s_mul_hi_u32 s24, s33, s2
	s_mul_i32 s22, s33, s22
	s_mul_i32 s2, s33, s2
	s_add_i32 s24, s24, s22
	s_sub_u32 s2, s6, s2
	s_cselect_b32 s22, -1, 0
	s_cmp_lg_u32 s22, 0
	s_subb_u32 s22, s23, s24
	s_sub_u32 s24, s2, s33
	s_cselect_b32 s25, -1, 0
	s_cmp_lg_u32 s25, 0
	s_subb_u32 s25, s22, 0
	;; [unrolled: 4-line block ×3, first 2 shown]
	s_cmp_ge_u32 s24, s33
	s_cselect_b32 s62, -1, 0
	s_cmp_eq_u32 s25, 0
	s_cselect_b32 s62, s62, -1
	s_cmp_lg_u32 s62, 0
	s_cselect_b32 s25, s60, s25
	s_cselect_b32 s24, s49, s24
	s_cmp_ge_u32 s2, s33
	s_cselect_b32 s49, -1, 0
	s_cmp_eq_u32 s22, 0
	s_cselect_b32 s49, s49, -1
	s_cmp_lg_u32 s49, 0
	s_cselect_b32 s25, s25, s22
	s_cselect_b32 s24, s24, s2
	s_cbranch_execnz .LBB177_109
.LBB177_108:                            ;   in Loop: Header=BB177_31 Depth=1
	v_cvt_f32_u32_e32 v2, s33
	s_sub_i32 s22, 0, s33
	v_rcp_iflag_f32_e32 v2, v2
	v_mul_f32_e32 v2, 0x4f7ffffe, v2
	v_cvt_u32_f32_e32 v2, v2
	v_readfirstlane_b32 s2, v2
	s_mul_i32 s22, s22, s2
	s_mul_hi_u32 s22, s2, s22
	s_add_i32 s2, s2, s22
	s_mul_hi_u32 s2, s6, s2
	s_mul_i32 s2, s2, s33
	s_sub_i32 s2, s6, s2
	s_sub_i32 s22, s2, s33
	s_cmp_ge_u32 s2, s33
	s_cselect_b32 s2, s22, s2
	s_sub_i32 s22, s2, s33
	s_cmp_ge_u32 s2, s33
	s_cselect_b32 s60, s22, s2
	s_mov_b64 s[24:25], s[60:61]
.LBB177_109:                            ;   in Loop: Header=BB177_31 Depth=1
	s_sub_u32 s22, s6, s24
	s_subb_u32 s23, s23, s25
	s_mov_b32 s6, 0
	s_mov_b32 s24, 0
	s_mov_b32 s25, exec_lo
                                        ; implicit-def: $vgpr8
	v_cmpx_gt_u64_e64 s[22:23], v[0:1]
	s_cbranch_execz .LBB177_121
; %bb.110:                              ;   in Loop: Header=BB177_31 Depth=1
	v_mov_b32_e32 v5, v1
	v_mov_b32_e32 v2, v43
	;; [unrolled: 1-line block ×3, first 2 shown]
                                        ; implicit-def: $sgpr49
	s_inst_prefetch 0x1
	s_branch .LBB177_113
	.p2align	6
.LBB177_111:                            ;   in Loop: Header=BB177_113 Depth=2
	s_or_b32 exec_lo, exec_lo, s2
	s_waitcnt lgkmcnt(0)
	s_barrier
	buffer_gl0_inv
	ds_read_b32 v6, v3 offset:3072
	s_mov_b32 s2, -1
	s_waitcnt lgkmcnt(0)
	s_barrier
	buffer_gl0_inv
	v_cmp_ne_u32_sdwa s60, v6, v3 src0_sel:WORD_0 src1_sel:DWORD
	s_and_b32 vcc_lo, exec_lo, s60
	s_mov_b32 s60, -1
	s_cbranch_vccz .LBB177_116
.LBB177_112:                            ;   in Loop: Header=BB177_113 Depth=2
	s_and_b32 s2, exec_lo, s2
	s_or_b32 s24, s2, s24
	s_andn2_b32 s2, s49, exec_lo
	s_and_b32 s49, s60, exec_lo
	s_or_b32 s49, s2, s49
	s_andn2_b32 exec_lo, exec_lo, s24
	s_cbranch_execz .LBB177_120
.LBB177_113:                            ;   Parent Loop BB177_31 Depth=1
                                        ; =>  This Inner Loop Header: Depth=2
	s_mov_b32 s2, exec_lo
	v_cmpx_gt_u64_e64 s[20:21], v[4:5]
	s_cbranch_execz .LBB177_111
; %bb.114:                              ;   in Loop: Header=BB177_113 Depth=2
	ds_read_u16 v6, v2
	s_waitcnt lgkmcnt(0)
	v_add_nc_u32_sdwa v7, sext(v6), v49 dst_sel:DWORD dst_unused:UNUSED_PAD src0_sel:WORD_0 src1_sel:DWORD
	v_and_b32_e32 v7, v7, v11
	v_cmp_eq_u32_e32 vcc_lo, v7, v10
	s_and_b32 exec_lo, exec_lo, vcc_lo
	s_cbranch_execz .LBB177_111
; %bb.115:                              ;   in Loop: Header=BB177_113 Depth=2
	v_perm_b32 v6, v6, 1, 0x5040100
	ds_write_b32 v3, v6 offset:3072
	s_branch .LBB177_111
.LBB177_116:                            ;   in Loop: Header=BB177_113 Depth=2
	v_add_co_u32 v4, vcc_lo, v4, s33
	v_add_co_ci_u32_e64 v5, null, 0, v5, vcc_lo
	v_add_nc_u32_e32 v2, vcc_hi, v2
	s_mov_b32 s60, 0
	v_cmp_le_u64_e32 vcc_lo, s[22:23], v[4:5]
	s_orn2_b32 s2, vcc_lo, exec_lo
	s_branch .LBB177_112
.LBB177_117:                            ;   in Loop: Header=BB177_31 Depth=1
	s_or_b32 exec_lo, exec_lo, s13
	s_waitcnt lgkmcnt(0)
	s_barrier
	buffer_gl0_inv
	s_and_saveexec_b32 s2, s3
	s_cbranch_execz .LBB177_119
; %bb.118:                              ;   in Loop: Header=BB177_31 Depth=1
	ds_read_b32 v4, v3 offset:5144
	s_waitcnt lgkmcnt(0)
	v_ashrrev_i32_e32 v5, 31, v4
	ds_write_b64 v3, v[4:5] offset:5120
.LBB177_119:                            ;   in Loop: Header=BB177_31 Depth=1
	s_or_b32 exec_lo, exec_lo, s2
	s_waitcnt lgkmcnt(0)
	s_mov_b32 s6, -1
	s_barrier
	s_and_b32 vcc_lo, exec_lo, s11
	s_cbranch_vccnz .LBB177_46
	s_branch .LBB177_61
.LBB177_120:                            ;   in Loop: Header=BB177_31 Depth=1
	s_inst_prefetch 0x2
	s_or_b32 exec_lo, exec_lo, s24
	v_lshrrev_b32_e32 v8, 16, v6
	s_and_b32 s24, s49, exec_lo
.LBB177_121:                            ;   in Loop: Header=BB177_31 Depth=1
	s_or_b32 exec_lo, exec_lo, s25
.LBB177_122:                            ;   in Loop: Header=BB177_31 Depth=1
	s_and_b32 vcc_lo, exec_lo, s6
	s_cbranch_vccz .LBB177_136
; %bb.123:                              ;   in Loop: Header=BB177_31 Depth=1
	s_mov_b32 s62, s61
	s_cmp_lg_u64 s[62:63], 0
	s_cbranch_scc0 .LBB177_164
; %bb.124:                              ;   in Loop: Header=BB177_31 Depth=1
	v_cvt_f32_u32_e32 v2, s33
	s_sub_u32 s20, 0, s33
	s_subb_u32 s21, 0, 0
	v_fmac_f32_e64 v2, 0x4f800000, 0
	v_rcp_f32_e32 v2, v2
	v_mul_f32_e32 v2, 0x5f7ffffc, v2
	v_mul_f32_e32 v4, 0x2f800000, v2
	v_trunc_f32_e32 v4, v4
	v_fmac_f32_e32 v2, 0xcf800000, v4
	v_cvt_u32_f32_e32 v4, v4
	v_cvt_u32_f32_e32 v2, v2
	v_readfirstlane_b32 s2, v4
	v_readfirstlane_b32 s6, v2
	s_mul_i32 s22, s20, s2
	s_mul_hi_u32 s25, s20, s6
	s_mul_i32 s23, s21, s6
	s_add_i32 s22, s25, s22
	s_mul_i32 s49, s20, s6
	s_add_i32 s22, s22, s23
	s_mul_hi_u32 s25, s6, s49
	s_mul_i32 s62, s6, s22
	s_mul_hi_u32 s60, s2, s49
	s_mul_i32 s23, s2, s49
	s_mul_hi_u32 s49, s6, s22
	s_add_u32 s25, s25, s62
	s_addc_u32 s49, 0, s49
	s_mul_hi_u32 s66, s2, s22
	s_add_u32 s23, s25, s23
	s_mul_i32 s22, s2, s22
	s_addc_u32 s23, s49, s60
	s_addc_u32 s25, s66, 0
	s_add_u32 s22, s23, s22
	s_addc_u32 s23, 0, s25
	s_add_u32 s6, s6, s22
	s_cselect_b32 s22, -1, 0
	s_mul_hi_u32 s25, s20, s6
	s_cmp_lg_u32 s22, 0
	s_mul_i32 s22, s20, s6
	s_addc_u32 s2, s2, s23
	s_mul_i32 s21, s21, s6
	s_mul_i32 s20, s20, s2
	s_mul_hi_u32 s23, s6, s22
	s_add_i32 s20, s25, s20
	s_mul_hi_u32 s25, s2, s22
	s_add_i32 s20, s20, s21
	s_mul_i32 s21, s2, s22
	s_mul_i32 s60, s6, s20
	s_mul_hi_u32 s49, s6, s20
	s_add_u32 s23, s23, s60
	s_addc_u32 s49, 0, s49
	s_mul_hi_u32 s22, s2, s20
	s_add_u32 s21, s23, s21
	s_mul_i32 s20, s2, s20
	s_addc_u32 s21, s49, s25
	s_addc_u32 s22, s22, 0
	s_add_u32 s20, s21, s20
	s_addc_u32 s21, 0, s22
	s_add_u32 s6, s6, s20
	s_cselect_b32 s20, -1, 0
	s_mul_hi_u32 s22, s95, s6
	s_cmp_lg_u32 s20, 0
	s_mul_hi_u32 s20, s63, s6
	s_addc_u32 s2, s2, s21
	s_mul_i32 s6, s63, s6
	s_mul_i32 s23, s95, s2
	s_mul_hi_u32 s21, s95, s2
	s_add_u32 s22, s22, s23
	s_addc_u32 s21, 0, s21
	s_mul_hi_u32 s25, s63, s2
	s_add_u32 s6, s22, s6
	s_mul_i32 s2, s63, s2
	s_addc_u32 s6, s21, s20
	s_addc_u32 s20, s25, 0
	s_add_u32 s2, s6, s2
	s_addc_u32 s6, 0, s20
	s_mul_hi_u32 s20, s33, s2
	s_mul_i32 s6, s33, s6
	s_mul_i32 s2, s33, s2
	s_add_i32 s20, s20, s6
	s_sub_u32 s2, s95, s2
	s_cselect_b32 s6, -1, 0
	s_cmp_lg_u32 s6, 0
	s_subb_u32 s6, s63, s20
	s_sub_u32 s20, s2, s33
	s_cselect_b32 s21, -1, 0
	s_cmp_lg_u32 s21, 0
	s_subb_u32 s21, s6, 0
	s_sub_u32 s22, s20, s33
	s_cselect_b32 s23, -1, 0
	s_cmp_lg_u32 s23, 0
	s_subb_u32 s23, s21, 0
	s_cmp_ge_u32 s20, s33
	s_cselect_b32 s25, -1, 0
	s_cmp_eq_u32 s21, 0
	s_cselect_b32 s25, s25, -1
	s_cmp_lg_u32 s25, 0
	s_cselect_b32 s21, s23, s21
	s_cselect_b32 s20, s22, s20
	s_cmp_ge_u32 s2, s33
	s_cselect_b32 s22, -1, 0
	s_cmp_eq_u32 s6, 0
	s_cselect_b32 s22, s22, -1
	s_cmp_lg_u32 s22, 0
	s_cselect_b32 s21, s21, s6
	s_cselect_b32 s20, s20, s2
	s_cbranch_execnz .LBB177_126
.LBB177_125:                            ;   in Loop: Header=BB177_31 Depth=1
	v_cvt_f32_u32_e32 v2, s33
	s_sub_i32 s6, 0, s33
	v_rcp_iflag_f32_e32 v2, v2
	v_mul_f32_e32 v2, 0x4f7ffffe, v2
	v_cvt_u32_f32_e32 v2, v2
	v_readfirstlane_b32 s2, v2
	s_mul_i32 s6, s6, s2
	s_mul_hi_u32 s6, s2, s6
	s_add_i32 s2, s2, s6
	s_mul_hi_u32 s2, s95, s2
	s_mul_i32 s2, s2, s33
	s_sub_i32 s2, s95, s2
	s_sub_i32 s6, s2, s33
	s_cmp_ge_u32 s2, s33
	s_cselect_b32 s2, s6, s2
	s_sub_i32 s6, s2, s33
	s_cmp_ge_u32 s2, s33
	s_cselect_b32 s60, s6, s2
	s_mov_b64 s[20:21], s[60:61]
.LBB177_126:                            ;   in Loop: Header=BB177_31 Depth=1
	s_sub_u32 s20, s95, s20
	s_subb_u32 s21, s63, s21
	s_mov_b32 s22, exec_lo
                                        ; implicit-def: $vgpr8
	v_cmpx_gt_u64_e64 s[20:21], v[0:1]
	s_cbranch_execz .LBB177_135
; %bb.127:                              ;   in Loop: Header=BB177_31 Depth=1
	v_mov_b32_e32 v4, v27
	v_mov_b32_e32 v7, v1
	;; [unrolled: 1-line block ×4, first 2 shown]
	s_mov_b32 s23, 0
                                        ; implicit-def: $sgpr25
	s_inst_prefetch 0x1
	s_branch .LBB177_130
	.p2align	6
.LBB177_128:                            ;   in Loop: Header=BB177_130 Depth=2
	s_or_b32 exec_lo, exec_lo, s2
	s_waitcnt lgkmcnt(0)
	s_barrier
	buffer_gl0_inv
	ds_read_b32 v2, v3 offset:3072
	s_mov_b32 s2, -1
	s_waitcnt lgkmcnt(0)
	s_barrier
	buffer_gl0_inv
	v_cmp_ne_u32_sdwa s6, v2, v3 src0_sel:WORD_0 src1_sel:DWORD
	s_and_b32 vcc_lo, exec_lo, s6
	s_mov_b32 s6, -1
	s_cbranch_vccz .LBB177_133
.LBB177_129:                            ;   in Loop: Header=BB177_130 Depth=2
	s_and_b32 s2, exec_lo, s2
	s_or_b32 s23, s2, s23
	s_andn2_b32 s2, s25, exec_lo
	s_and_b32 s6, s6, exec_lo
	s_or_b32 s25, s2, s6
	s_andn2_b32 exec_lo, exec_lo, s23
	s_cbranch_execz .LBB177_134
.LBB177_130:                            ;   Parent Loop BB177_31 Depth=1
                                        ; =>  This Inner Loop Header: Depth=2
	s_mov_b32 s2, exec_lo
	v_cmpx_gt_u64_e64 s[36:37], v[6:7]
	s_cbranch_execz .LBB177_128
; %bb.131:                              ;   in Loop: Header=BB177_130 Depth=2
	global_load_ushort v2, v[4:5], off
	s_waitcnt vmcnt(0)
	v_add_nc_u32_sdwa v8, sext(v2), v49 dst_sel:DWORD dst_unused:UNUSED_PAD src0_sel:WORD_0 src1_sel:DWORD
	v_and_b32_e32 v8, v8, v11
	v_cmp_eq_u32_e32 vcc_lo, v8, v10
	s_and_b32 exec_lo, exec_lo, vcc_lo
	s_cbranch_execz .LBB177_128
; %bb.132:                              ;   in Loop: Header=BB177_130 Depth=2
	v_perm_b32 v2, v2, 1, 0x5040100
	ds_write_b32 v3, v2 offset:3072
	s_branch .LBB177_128
.LBB177_133:                            ;   in Loop: Header=BB177_130 Depth=2
	v_add_co_u32 v6, vcc_lo, v6, s33
	v_add_co_ci_u32_e64 v7, null, 0, v7, vcc_lo
	v_add_co_u32 v4, s6, v4, s44
	v_add_co_ci_u32_e64 v5, null, s45, v5, s6
	v_cmp_le_u64_e32 vcc_lo, s[20:21], v[6:7]
	s_mov_b32 s6, 0
	s_orn2_b32 s2, vcc_lo, exec_lo
	s_branch .LBB177_129
.LBB177_134:                            ;   in Loop: Header=BB177_31 Depth=1
	s_inst_prefetch 0x2
	s_or_b32 exec_lo, exec_lo, s23
	v_lshrrev_b32_e32 v8, 16, v2
	s_andn2_b32 s2, s24, exec_lo
	s_and_b32 s6, s25, exec_lo
	s_or_b32 s24, s2, s6
.LBB177_135:                            ;   in Loop: Header=BB177_31 Depth=1
	s_or_b32 exec_lo, exec_lo, s22
	s_mov_b32 s74, 0
	s_mov_b32 s75, -1
.LBB177_136:                            ;   in Loop: Header=BB177_31 Depth=1
	s_orn2_b32 s6, s24, exec_lo
.LBB177_137:                            ;   in Loop: Header=BB177_31 Depth=1
	s_or_b32 exec_lo, exec_lo, s48
	s_mov_b32 s76, 0
	s_mov_b32 s73, 0
	;; [unrolled: 1-line block ×3, first 2 shown]
                                        ; implicit-def: $vgpr4_vgpr5
                                        ; implicit-def: $vgpr2
	s_and_saveexec_b32 s77, s6
	s_cbranch_execz .LBB177_295
; %bb.138:                              ;   in Loop: Header=BB177_31 Depth=1
	v_mov_b32_e32 v4, 1
	v_mov_b32_e32 v5, 0
	v_mov_b32_e32 v2, 1
	s_xor_b32 s2, s78, -1
	s_mov_b32 s20, 0
	s_and_saveexec_b32 s6, s2
	s_cbranch_execz .LBB177_147
; %bb.139:                              ;   in Loop: Header=BB177_31 Depth=1
	s_mov_b32 s2, exec_lo
	v_cmpx_ge_u64_e64 s[12:13], v[29:30]
	s_xor_b32 s20, exec_lo, s2
	s_cbranch_execz .LBB177_144
; %bb.140:                              ;   in Loop: Header=BB177_31 Depth=1
	ds_read_b64 v[4:5], v3 offset:5120
	v_and_b32_e32 v10, s26, v10
	v_or_b32_e32 v11, s11, v11
	s_waitcnt lgkmcnt(0)
	v_cmp_ne_u64_e32 vcc_lo, 0, v[4:5]
	s_cbranch_vccnz .LBB177_144
; %bb.141:                              ;   in Loop: Header=BB177_31 Depth=1
	s_and_saveexec_b32 s2, s3
; %bb.142:                              ;   in Loop: Header=BB177_31 Depth=1
	v_mov_b32_e32 v4, s12
	v_mov_b32_e32 v5, s13
	ds_write_b64 v3, v[4:5] offset:5128
; %bb.143:                              ;   in Loop: Header=BB177_31 Depth=1
	s_or_b32 exec_lo, exec_lo, s2
	s_waitcnt lgkmcnt(0)
	s_barrier
	buffer_gl0_inv
.LBB177_144:                            ;   in Loop: Header=BB177_31 Depth=1
	s_or_saveexec_b32 s20, s20
	v_mov_b32_e32 v4, v29
	v_mov_b32_e32 v2, 8
	;; [unrolled: 1-line block ×3, first 2 shown]
	s_mov_b32 s21, 0
	s_xor_b32 exec_lo, exec_lo, s20
; %bb.145:                              ;   in Loop: Header=BB177_31 Depth=1
	v_sub_co_u32 v4, vcc_lo, v29, s12
	v_subrev_co_ci_u32_e64 v5, null, s13, v30, vcc_lo
	v_mov_b32_e32 v2, 0
	s_mov_b32 s21, exec_lo
; %bb.146:                              ;   in Loop: Header=BB177_31 Depth=1
	s_or_b32 exec_lo, exec_lo, s20
	s_and_b32 s20, s21, exec_lo
.LBB177_147:                            ;   in Loop: Header=BB177_31 Depth=1
	s_or_b32 exec_lo, exec_lo, s6
	s_mov_b32 s6, -1
                                        ; implicit-def: $sgpr73
                                        ; implicit-def: $sgpr78
	s_and_saveexec_b32 s2, s20
	s_xor_b32 s72, exec_lo, s2
	s_cbranch_execz .LBB177_292
; %bb.148:                              ;   in Loop: Header=BB177_31 Depth=1
	v_cmp_eq_u64_e32 vcc_lo, 1, v[4:5]
	s_cmp_eq_u64 s[14:15], 1
                                        ; implicit-def: $sgpr78
                                        ; implicit-def: $sgpr73
	s_cselect_b32 s2, -1, 0
	s_and_b32 s80, s2, vcc_lo
	s_and_saveexec_b32 s79, s80
	s_cbranch_execz .LBB177_182
; %bb.149:                              ;   in Loop: Header=BB177_31 Depth=1
	ds_read_b64 v[6:7], v3 offset:5120
	s_waitcnt lgkmcnt(0)
	s_barrier
	buffer_gl0_inv
	v_readfirstlane_b32 s20, v6
	v_readfirstlane_b32 s21, v7
	s_and_saveexec_b32 s2, s10
; %bb.150:                              ;   in Loop: Header=BB177_31 Depth=1
	ds_write_b16 v44, v3
; %bb.151:                              ;   in Loop: Header=BB177_31 Depth=1
	s_or_b32 exec_lo, exec_lo, s2
	s_lshl_b32 s2, 1, s56
	v_or_b32_e32 v11, s11, v11
	v_and_or_b32 v10, v10, s26, s2
	s_mov_b32 s73, -1
	s_mov_b32 s78, 0
	s_cmp_eq_u64 s[20:21], 0
	s_mov_b32 s24, 0
	s_waitcnt lgkmcnt(0)
	s_barrier
	buffer_gl0_inv
                                        ; implicit-def: $vgpr8
	s_cbranch_scc1 .LBB177_167
; %bb.152:                              ;   in Loop: Header=BB177_31 Depth=1
	s_add_u32 s6, s20, s93
	s_addc_u32 s23, s21, s94
	s_mov_b32 s22, s61
	s_cmp_lg_u64 s[22:23], 0
	s_cbranch_scc0 .LBB177_208
; %bb.153:                              ;   in Loop: Header=BB177_31 Depth=1
	v_cvt_f32_u32_e32 v6, s33
	s_sub_u32 s24, 0, s33
	s_subb_u32 s25, 0, 0
	v_fmac_f32_e64 v6, 0x4f800000, 0
	v_rcp_f32_e32 v6, v6
	v_mul_f32_e32 v6, 0x5f7ffffc, v6
	v_mul_f32_e32 v7, 0x2f800000, v6
	v_trunc_f32_e32 v7, v7
	v_fmac_f32_e32 v6, 0xcf800000, v7
	v_cvt_u32_f32_e32 v7, v7
	v_cvt_u32_f32_e32 v6, v6
	v_readfirstlane_b32 s2, v7
	v_readfirstlane_b32 s22, v6
	s_mul_i32 s48, s24, s2
	s_mul_hi_u32 s60, s24, s22
	s_mul_i32 s49, s25, s22
	s_add_i32 s48, s60, s48
	s_mul_i32 s62, s24, s22
	s_add_i32 s48, s48, s49
	s_mul_hi_u32 s60, s22, s62
	s_mul_i32 s67, s22, s48
	s_mul_hi_u32 s66, s2, s62
	s_mul_i32 s49, s2, s62
	s_mul_hi_u32 s62, s22, s48
	s_add_u32 s60, s60, s67
	s_addc_u32 s62, 0, s62
	s_mul_hi_u32 s81, s2, s48
	s_add_u32 s49, s60, s49
	s_mul_i32 s48, s2, s48
	s_addc_u32 s49, s62, s66
	s_addc_u32 s60, s81, 0
	s_add_u32 s48, s49, s48
	s_addc_u32 s49, 0, s60
	s_add_u32 s22, s22, s48
	s_cselect_b32 s48, -1, 0
	s_mul_hi_u32 s60, s24, s22
	s_cmp_lg_u32 s48, 0
	s_mul_i32 s48, s24, s22
	s_addc_u32 s2, s2, s49
	s_mul_i32 s25, s25, s22
	s_mul_i32 s24, s24, s2
	s_mul_hi_u32 s49, s22, s48
	s_add_i32 s24, s60, s24
	s_mul_hi_u32 s60, s2, s48
	s_add_i32 s24, s24, s25
	s_mul_i32 s25, s2, s48
	s_mul_i32 s66, s22, s24
	s_mul_hi_u32 s62, s22, s24
	s_add_u32 s49, s49, s66
	s_addc_u32 s62, 0, s62
	s_mul_hi_u32 s48, s2, s24
	s_add_u32 s25, s49, s25
	s_mul_i32 s24, s2, s24
	s_addc_u32 s25, s62, s60
	s_addc_u32 s48, s48, 0
	s_add_u32 s24, s25, s24
	s_addc_u32 s25, 0, s48
	s_add_u32 s22, s22, s24
	s_cselect_b32 s24, -1, 0
	s_mul_hi_u32 s48, s6, s22
	s_cmp_lg_u32 s24, 0
	s_mul_hi_u32 s24, s23, s22
	s_addc_u32 s2, s2, s25
	s_mul_i32 s22, s23, s22
	s_mul_i32 s49, s6, s2
	s_mul_hi_u32 s25, s6, s2
	s_add_u32 s48, s48, s49
	s_addc_u32 s25, 0, s25
	s_mul_hi_u32 s60, s23, s2
	s_add_u32 s22, s48, s22
	s_mul_i32 s2, s23, s2
	s_addc_u32 s22, s25, s24
	s_addc_u32 s24, s60, 0
	s_add_u32 s2, s22, s2
	s_addc_u32 s22, 0, s24
	s_mul_hi_u32 s24, s33, s2
	s_mul_i32 s22, s33, s22
	s_mul_i32 s2, s33, s2
	s_add_i32 s24, s24, s22
	s_sub_u32 s2, s6, s2
	s_cselect_b32 s22, -1, 0
	s_cmp_lg_u32 s22, 0
	s_subb_u32 s22, s23, s24
	s_sub_u32 s24, s2, s33
	s_cselect_b32 s25, -1, 0
	s_cmp_lg_u32 s25, 0
	s_subb_u32 s25, s22, 0
	;; [unrolled: 4-line block ×3, first 2 shown]
	s_cmp_ge_u32 s24, s33
	s_cselect_b32 s60, -1, 0
	s_cmp_eq_u32 s25, 0
	s_cselect_b32 s60, s60, -1
	s_cmp_lg_u32 s60, 0
	s_cselect_b32 s25, s49, s25
	s_cselect_b32 s24, s48, s24
	s_cmp_ge_u32 s2, s33
	s_cselect_b32 s48, -1, 0
	s_cmp_eq_u32 s22, 0
	s_cselect_b32 s48, s48, -1
	s_cmp_lg_u32 s48, 0
	s_cselect_b32 s25, s25, s22
	s_cselect_b32 s24, s24, s2
	s_cbranch_execnz .LBB177_155
.LBB177_154:                            ;   in Loop: Header=BB177_31 Depth=1
	v_cvt_f32_u32_e32 v6, s33
	s_sub_i32 s22, 0, s33
	v_rcp_iflag_f32_e32 v6, v6
	v_mul_f32_e32 v6, 0x4f7ffffe, v6
	v_cvt_u32_f32_e32 v6, v6
	v_readfirstlane_b32 s2, v6
	s_mul_i32 s22, s22, s2
	s_mul_hi_u32 s22, s2, s22
	s_add_i32 s2, s2, s22
	s_mul_hi_u32 s2, s6, s2
	s_mul_i32 s2, s2, s33
	s_sub_i32 s2, s6, s2
	s_sub_i32 s22, s2, s33
	s_cmp_ge_u32 s2, s33
	s_cselect_b32 s2, s22, s2
	s_sub_i32 s22, s2, s33
	s_cmp_ge_u32 s2, s33
	s_cselect_b32 s60, s22, s2
	s_mov_b64 s[24:25], s[60:61]
.LBB177_155:                            ;   in Loop: Header=BB177_31 Depth=1
	s_sub_u32 s22, s6, s24
	s_subb_u32 s23, s23, s25
	s_mov_b32 s6, 0
	s_mov_b32 s24, 0
	s_mov_b32 s25, exec_lo
                                        ; implicit-def: $vgpr8
	v_cmpx_gt_u64_e64 s[22:23], v[0:1]
	s_cbranch_execz .LBB177_166
; %bb.156:                              ;   in Loop: Header=BB177_31 Depth=1
	v_mov_b32_e32 v7, v1
	v_mov_b32_e32 v8, v43
	;; [unrolled: 1-line block ×3, first 2 shown]
                                        ; implicit-def: $sgpr48
	s_inst_prefetch 0x1
	s_branch .LBB177_159
	.p2align	6
.LBB177_157:                            ;   in Loop: Header=BB177_159 Depth=2
	s_or_b32 exec_lo, exec_lo, s49
	s_waitcnt lgkmcnt(0)
	s_barrier
	buffer_gl0_inv
	ds_read_b32 v9, v3 offset:3072
	s_mov_b32 s2, -1
	s_waitcnt lgkmcnt(0)
	s_barrier
	buffer_gl0_inv
	v_cmp_ne_u32_sdwa s49, v9, v3 src0_sel:WORD_0 src1_sel:DWORD
	s_and_b32 vcc_lo, exec_lo, s49
	s_mov_b32 s49, -1
	s_cbranch_vccz .LBB177_162
.LBB177_158:                            ;   in Loop: Header=BB177_159 Depth=2
	s_and_b32 s2, exec_lo, s2
	s_or_b32 s24, s2, s24
	s_andn2_b32 s2, s48, exec_lo
	s_and_b32 s48, s49, exec_lo
	s_or_b32 s48, s2, s48
	s_andn2_b32 exec_lo, exec_lo, s24
	s_cbranch_execz .LBB177_165
.LBB177_159:                            ;   Parent Loop BB177_31 Depth=1
                                        ; =>  This Inner Loop Header: Depth=2
	s_mov_b32 s49, exec_lo
	v_cmpx_gt_u64_e64 s[20:21], v[6:7]
	s_cbranch_execz .LBB177_157
; %bb.160:                              ;   in Loop: Header=BB177_159 Depth=2
	ds_read_u16 v9, v8
	s_waitcnt lgkmcnt(0)
	v_add_nc_u32_sdwa v31, sext(v9), v49 dst_sel:DWORD dst_unused:UNUSED_PAD src0_sel:WORD_0 src1_sel:DWORD
	v_and_b32_e32 v31, v31, v11
	v_cmp_eq_u32_e32 vcc_lo, v31, v10
	s_and_b32 exec_lo, exec_lo, vcc_lo
	s_cbranch_execz .LBB177_157
; %bb.161:                              ;   in Loop: Header=BB177_159 Depth=2
	v_perm_b32 v9, v9, 1, 0x5040100
	ds_write_b32 v3, v9 offset:3072
	s_branch .LBB177_157
.LBB177_162:                            ;   in Loop: Header=BB177_159 Depth=2
	v_add_co_u32 v6, vcc_lo, v6, s33
	v_add_co_ci_u32_e64 v7, null, 0, v7, vcc_lo
	v_add_nc_u32_e32 v8, vcc_hi, v8
	s_mov_b32 s49, 0
	v_cmp_le_u64_e32 vcc_lo, s[22:23], v[6:7]
	s_orn2_b32 s2, vcc_lo, exec_lo
	s_branch .LBB177_158
.LBB177_163:                            ;   in Loop: Header=BB177_31 Depth=1
                                        ; implicit-def: $sgpr24_sgpr25
	s_branch .LBB177_108
.LBB177_164:                            ;   in Loop: Header=BB177_31 Depth=1
                                        ; implicit-def: $sgpr20_sgpr21
	s_branch .LBB177_125
.LBB177_165:                            ;   in Loop: Header=BB177_31 Depth=1
	s_inst_prefetch 0x2
	s_or_b32 exec_lo, exec_lo, s24
	v_lshrrev_b32_e32 v8, 16, v9
	s_and_b32 s24, s48, exec_lo
.LBB177_166:                            ;   in Loop: Header=BB177_31 Depth=1
	s_or_b32 exec_lo, exec_lo, s25
.LBB177_167:                            ;   in Loop: Header=BB177_31 Depth=1
	s_and_b32 vcc_lo, exec_lo, s6
	s_cbranch_vccz .LBB177_181
; %bb.168:                              ;   in Loop: Header=BB177_31 Depth=1
	s_mov_b32 s62, s61
	s_cmp_lg_u64 s[62:63], 0
	s_cbranch_scc0 .LBB177_209
; %bb.169:                              ;   in Loop: Header=BB177_31 Depth=1
	v_cvt_f32_u32_e32 v6, s33
	s_sub_u32 s20, 0, s33
	s_subb_u32 s21, 0, 0
	v_fmac_f32_e64 v6, 0x4f800000, 0
	v_rcp_f32_e32 v6, v6
	v_mul_f32_e32 v6, 0x5f7ffffc, v6
	v_mul_f32_e32 v7, 0x2f800000, v6
	v_trunc_f32_e32 v7, v7
	v_fmac_f32_e32 v6, 0xcf800000, v7
	v_cvt_u32_f32_e32 v7, v7
	v_cvt_u32_f32_e32 v6, v6
	v_readfirstlane_b32 s2, v7
	v_readfirstlane_b32 s6, v6
	s_mul_i32 s22, s20, s2
	s_mul_hi_u32 s25, s20, s6
	s_mul_i32 s23, s21, s6
	s_add_i32 s22, s25, s22
	s_mul_i32 s48, s20, s6
	s_add_i32 s22, s22, s23
	s_mul_hi_u32 s25, s6, s48
	s_mul_i32 s60, s6, s22
	s_mul_hi_u32 s49, s2, s48
	s_mul_i32 s23, s2, s48
	s_mul_hi_u32 s48, s6, s22
	s_add_u32 s25, s25, s60
	s_addc_u32 s48, 0, s48
	s_mul_hi_u32 s62, s2, s22
	s_add_u32 s23, s25, s23
	s_mul_i32 s22, s2, s22
	s_addc_u32 s23, s48, s49
	s_addc_u32 s25, s62, 0
	s_add_u32 s22, s23, s22
	s_addc_u32 s23, 0, s25
	s_add_u32 s6, s6, s22
	s_cselect_b32 s22, -1, 0
	s_mul_hi_u32 s25, s20, s6
	s_cmp_lg_u32 s22, 0
	s_mul_i32 s22, s20, s6
	s_addc_u32 s2, s2, s23
	s_mul_i32 s21, s21, s6
	s_mul_i32 s20, s20, s2
	s_mul_hi_u32 s23, s6, s22
	s_add_i32 s20, s25, s20
	s_mul_hi_u32 s25, s2, s22
	s_add_i32 s20, s20, s21
	s_mul_i32 s21, s2, s22
	s_mul_i32 s49, s6, s20
	s_mul_hi_u32 s48, s6, s20
	s_add_u32 s23, s23, s49
	s_addc_u32 s48, 0, s48
	s_mul_hi_u32 s22, s2, s20
	s_add_u32 s21, s23, s21
	s_mul_i32 s20, s2, s20
	s_addc_u32 s21, s48, s25
	s_addc_u32 s22, s22, 0
	s_add_u32 s20, s21, s20
	s_addc_u32 s21, 0, s22
	s_add_u32 s6, s6, s20
	s_cselect_b32 s20, -1, 0
	s_mul_hi_u32 s22, s95, s6
	s_cmp_lg_u32 s20, 0
	s_mul_hi_u32 s20, s63, s6
	s_addc_u32 s2, s2, s21
	s_mul_i32 s6, s63, s6
	s_mul_i32 s23, s95, s2
	s_mul_hi_u32 s21, s95, s2
	s_add_u32 s22, s22, s23
	s_addc_u32 s21, 0, s21
	s_mul_hi_u32 s25, s63, s2
	s_add_u32 s6, s22, s6
	s_mul_i32 s2, s63, s2
	s_addc_u32 s6, s21, s20
	s_addc_u32 s20, s25, 0
	s_add_u32 s2, s6, s2
	s_addc_u32 s6, 0, s20
	s_mul_hi_u32 s20, s33, s2
	s_mul_i32 s6, s33, s6
	s_mul_i32 s2, s33, s2
	s_add_i32 s20, s20, s6
	s_sub_u32 s2, s95, s2
	s_cselect_b32 s6, -1, 0
	s_cmp_lg_u32 s6, 0
	s_subb_u32 s6, s63, s20
	s_sub_u32 s20, s2, s33
	s_cselect_b32 s21, -1, 0
	s_cmp_lg_u32 s21, 0
	s_subb_u32 s21, s6, 0
	;; [unrolled: 4-line block ×3, first 2 shown]
	s_cmp_ge_u32 s20, s33
	s_cselect_b32 s25, -1, 0
	s_cmp_eq_u32 s21, 0
	s_cselect_b32 s25, s25, -1
	s_cmp_lg_u32 s25, 0
	s_cselect_b32 s21, s23, s21
	s_cselect_b32 s20, s22, s20
	s_cmp_ge_u32 s2, s33
	s_cselect_b32 s22, -1, 0
	s_cmp_eq_u32 s6, 0
	s_cselect_b32 s22, s22, -1
	s_cmp_lg_u32 s22, 0
	s_cselect_b32 s21, s21, s6
	s_cselect_b32 s20, s20, s2
	s_cbranch_execnz .LBB177_171
.LBB177_170:                            ;   in Loop: Header=BB177_31 Depth=1
	v_cvt_f32_u32_e32 v6, s33
	s_sub_i32 s6, 0, s33
	v_rcp_iflag_f32_e32 v6, v6
	v_mul_f32_e32 v6, 0x4f7ffffe, v6
	v_cvt_u32_f32_e32 v6, v6
	v_readfirstlane_b32 s2, v6
	s_mul_i32 s6, s6, s2
	s_mul_hi_u32 s6, s2, s6
	s_add_i32 s2, s2, s6
	s_mul_hi_u32 s2, s95, s2
	s_mul_i32 s2, s2, s33
	s_sub_i32 s2, s95, s2
	s_sub_i32 s6, s2, s33
	s_cmp_ge_u32 s2, s33
	s_cselect_b32 s2, s6, s2
	s_sub_i32 s6, s2, s33
	s_cmp_ge_u32 s2, s33
	s_cselect_b32 s60, s6, s2
	s_mov_b64 s[20:21], s[60:61]
.LBB177_171:                            ;   in Loop: Header=BB177_31 Depth=1
	s_sub_u32 s20, s95, s20
	s_subb_u32 s21, s63, s21
	s_mov_b32 s22, exec_lo
                                        ; implicit-def: $vgpr8
	v_cmpx_gt_u64_e64 s[20:21], v[0:1]
	s_cbranch_execz .LBB177_180
; %bb.172:                              ;   in Loop: Header=BB177_31 Depth=1
	v_mov_b32_e32 v6, v27
	v_mov_b32_e32 v9, v1
	;; [unrolled: 1-line block ×4, first 2 shown]
	s_mov_b32 s23, 0
                                        ; implicit-def: $sgpr25
	s_inst_prefetch 0x1
	s_branch .LBB177_175
	.p2align	6
.LBB177_173:                            ;   in Loop: Header=BB177_175 Depth=2
	s_or_b32 exec_lo, exec_lo, s6
	s_waitcnt lgkmcnt(0)
	s_barrier
	buffer_gl0_inv
	ds_read_b32 v31, v3 offset:3072
	s_mov_b32 s2, -1
	s_waitcnt lgkmcnt(0)
	s_barrier
	buffer_gl0_inv
	v_cmp_eq_u32_sdwa s6, v31, v3 src0_sel:WORD_0 src1_sel:DWORD
	s_and_b32 vcc_lo, exec_lo, s6
	s_mov_b32 s6, -1
	s_cbranch_vccnz .LBB177_178
.LBB177_174:                            ;   in Loop: Header=BB177_175 Depth=2
	s_and_b32 s2, exec_lo, s2
	s_or_b32 s23, s2, s23
	s_andn2_b32 s2, s25, exec_lo
	s_and_b32 s6, s6, exec_lo
	s_or_b32 s25, s2, s6
	s_andn2_b32 exec_lo, exec_lo, s23
	s_cbranch_execz .LBB177_179
.LBB177_175:                            ;   Parent Loop BB177_31 Depth=1
                                        ; =>  This Inner Loop Header: Depth=2
	s_mov_b32 s6, exec_lo
	v_cmpx_gt_u64_e64 s[36:37], v[8:9]
	s_cbranch_execz .LBB177_173
; %bb.176:                              ;   in Loop: Header=BB177_175 Depth=2
	global_load_ushort v31, v[6:7], off
	s_waitcnt vmcnt(0)
	v_add_nc_u32_sdwa v32, sext(v31), v49 dst_sel:DWORD dst_unused:UNUSED_PAD src0_sel:WORD_0 src1_sel:DWORD
	v_and_b32_e32 v32, v32, v11
	v_cmp_eq_u32_e32 vcc_lo, v32, v10
	s_and_b32 exec_lo, exec_lo, vcc_lo
	s_cbranch_execz .LBB177_173
; %bb.177:                              ;   in Loop: Header=BB177_175 Depth=2
	v_perm_b32 v31, v31, 1, 0x5040100
	ds_write_b32 v3, v31 offset:3072
	s_branch .LBB177_173
.LBB177_178:                            ;   in Loop: Header=BB177_175 Depth=2
	v_add_co_u32 v8, vcc_lo, v8, s33
	v_add_co_ci_u32_e64 v9, null, 0, v9, vcc_lo
	v_add_co_u32 v6, s6, v6, s44
	v_add_co_ci_u32_e64 v7, null, s45, v7, s6
	v_cmp_le_u64_e32 vcc_lo, s[20:21], v[8:9]
	s_mov_b32 s6, 0
	s_orn2_b32 s2, vcc_lo, exec_lo
	s_branch .LBB177_174
.LBB177_179:                            ;   in Loop: Header=BB177_31 Depth=1
	s_inst_prefetch 0x2
	s_or_b32 exec_lo, exec_lo, s23
	v_lshrrev_b32_e32 v8, 16, v31
	s_andn2_b32 s2, s24, exec_lo
	s_and_b32 s6, s25, exec_lo
	s_or_b32 s24, s2, s6
.LBB177_180:                            ;   in Loop: Header=BB177_31 Depth=1
	s_or_b32 exec_lo, exec_lo, s22
	s_mov_b32 s73, 0
	s_mov_b32 s78, -1
.LBB177_181:                            ;   in Loop: Header=BB177_31 Depth=1
	s_orn2_b32 s6, s24, exec_lo
.LBB177_182:                            ;   in Loop: Header=BB177_31 Depth=1
	s_or_b32 exec_lo, exec_lo, s79
	s_mov_b32 s20, 0
	s_and_saveexec_b32 s79, s6
	s_cbranch_execz .LBB177_291
; %bb.183:                              ;   in Loop: Header=BB177_31 Depth=1
	v_mov_b32_e32 v6, 1
	v_mov_b32_e32 v7, 0
	v_mov_b32_e32 v2, 1
	s_xor_b32 s2, s80, -1
	s_and_saveexec_b32 s6, s2
	s_cbranch_execz .LBB177_192
; %bb.184:                              ;   in Loop: Header=BB177_31 Depth=1
	s_mov_b32 s2, exec_lo
	v_cmpx_ge_u64_e64 s[14:15], v[4:5]
	s_xor_b32 s20, exec_lo, s2
	s_cbranch_execz .LBB177_189
; %bb.185:                              ;   in Loop: Header=BB177_31 Depth=1
	ds_read_b64 v[6:7], v3 offset:5120
	s_lshl_b32 s2, 1, s56
	v_or_b32_e32 v11, s11, v11
	v_and_or_b32 v10, v10, s26, s2
	s_waitcnt lgkmcnt(0)
	v_cmp_ne_u64_e32 vcc_lo, 0, v[6:7]
	s_cbranch_vccnz .LBB177_189
; %bb.186:                              ;   in Loop: Header=BB177_31 Depth=1
	s_and_saveexec_b32 s2, s3
; %bb.187:                              ;   in Loop: Header=BB177_31 Depth=1
	v_mov_b32_e32 v6, s14
	v_mov_b32_e32 v7, s15
	ds_write_b64 v3, v[6:7] offset:5128
; %bb.188:                              ;   in Loop: Header=BB177_31 Depth=1
	s_or_b32 exec_lo, exec_lo, s2
	s_waitcnt lgkmcnt(0)
	s_barrier
	buffer_gl0_inv
.LBB177_189:                            ;   in Loop: Header=BB177_31 Depth=1
	s_or_saveexec_b32 s20, s20
	v_mov_b32_e32 v2, 8
	s_mov_b32 s21, 0
	s_xor_b32 exec_lo, exec_lo, s20
; %bb.190:                              ;   in Loop: Header=BB177_31 Depth=1
	v_sub_co_u32 v4, vcc_lo, v4, s14
	v_subrev_co_ci_u32_e64 v5, null, s15, v5, vcc_lo
	v_mov_b32_e32 v2, 0
	s_mov_b32 s21, exec_lo
; %bb.191:                              ;   in Loop: Header=BB177_31 Depth=1
	s_or_b32 exec_lo, exec_lo, s20
	v_mov_b32_e32 v7, v5
	v_mov_b32_e32 v6, v4
	s_and_b32 s20, s21, exec_lo
.LBB177_192:                            ;   in Loop: Header=BB177_31 Depth=1
	s_or_b32 exec_lo, exec_lo, s6
	s_mov_b32 s6, -1
                                        ; implicit-def: $sgpr81
                                        ; implicit-def: $sgpr82
	s_and_saveexec_b32 s80, s20
	s_cbranch_execz .LBB177_290
; %bb.193:                              ;   in Loop: Header=BB177_31 Depth=1
	v_cmp_eq_u64_e32 vcc_lo, 1, v[6:7]
	s_cmp_eq_u64 s[16:17], 1
                                        ; implicit-def: $sgpr82
                                        ; implicit-def: $sgpr81
	s_cselect_b32 s2, -1, 0
	s_and_b32 s84, s2, vcc_lo
	s_and_saveexec_b32 s83, s84
	s_cbranch_execz .LBB177_227
; %bb.194:                              ;   in Loop: Header=BB177_31 Depth=1
	ds_read_b64 v[4:5], v3 offset:5120
	s_waitcnt lgkmcnt(0)
	s_barrier
	buffer_gl0_inv
	v_readfirstlane_b32 s20, v4
	v_readfirstlane_b32 s21, v5
	s_and_saveexec_b32 s2, s10
; %bb.195:                              ;   in Loop: Header=BB177_31 Depth=1
	ds_write_b16 v44, v3
; %bb.196:                              ;   in Loop: Header=BB177_31 Depth=1
	s_or_b32 exec_lo, exec_lo, s2
	s_lshl_b32 s2, 2, s56
	v_or_b32_e32 v11, s11, v11
	v_and_or_b32 v10, v10, s26, s2
	s_mov_b32 s81, -1
	s_mov_b32 s82, 0
	s_cmp_eq_u64 s[20:21], 0
	s_mov_b32 s24, 0
	s_waitcnt lgkmcnt(0)
	s_barrier
	buffer_gl0_inv
                                        ; implicit-def: $vgpr8
	s_cbranch_scc1 .LBB177_212
; %bb.197:                              ;   in Loop: Header=BB177_31 Depth=1
	s_add_u32 s6, s20, s93
	s_addc_u32 s23, s21, s94
	s_mov_b32 s22, s61
	s_cmp_lg_u64 s[22:23], 0
	s_cbranch_scc0 .LBB177_244
; %bb.198:                              ;   in Loop: Header=BB177_31 Depth=1
	v_cvt_f32_u32_e32 v4, s33
	s_sub_u32 s24, 0, s33
	s_subb_u32 s25, 0, 0
	v_fmac_f32_e64 v4, 0x4f800000, 0
	v_rcp_f32_e32 v4, v4
	v_mul_f32_e32 v4, 0x5f7ffffc, v4
	v_mul_f32_e32 v5, 0x2f800000, v4
	v_trunc_f32_e32 v5, v5
	v_fmac_f32_e32 v4, 0xcf800000, v5
	v_cvt_u32_f32_e32 v5, v5
	v_cvt_u32_f32_e32 v4, v4
	v_readfirstlane_b32 s2, v5
	v_readfirstlane_b32 s22, v4
	s_mul_i32 s48, s24, s2
	s_mul_hi_u32 s60, s24, s22
	s_mul_i32 s49, s25, s22
	s_add_i32 s48, s60, s48
	s_mul_i32 s62, s24, s22
	s_add_i32 s48, s48, s49
	s_mul_hi_u32 s60, s22, s62
	s_mul_i32 s67, s22, s48
	s_mul_hi_u32 s66, s2, s62
	s_mul_i32 s49, s2, s62
	s_mul_hi_u32 s62, s22, s48
	s_add_u32 s60, s60, s67
	s_addc_u32 s62, 0, s62
	s_mul_hi_u32 s85, s2, s48
	s_add_u32 s49, s60, s49
	s_mul_i32 s48, s2, s48
	s_addc_u32 s49, s62, s66
	s_addc_u32 s60, s85, 0
	s_add_u32 s48, s49, s48
	s_addc_u32 s49, 0, s60
	s_add_u32 s22, s22, s48
	s_cselect_b32 s48, -1, 0
	s_mul_hi_u32 s60, s24, s22
	s_cmp_lg_u32 s48, 0
	s_mul_i32 s48, s24, s22
	s_addc_u32 s2, s2, s49
	s_mul_i32 s25, s25, s22
	s_mul_i32 s24, s24, s2
	s_mul_hi_u32 s49, s22, s48
	s_add_i32 s24, s60, s24
	s_mul_hi_u32 s60, s2, s48
	s_add_i32 s24, s24, s25
	s_mul_i32 s25, s2, s48
	s_mul_i32 s66, s22, s24
	s_mul_hi_u32 s62, s22, s24
	s_add_u32 s49, s49, s66
	s_addc_u32 s62, 0, s62
	s_mul_hi_u32 s48, s2, s24
	s_add_u32 s25, s49, s25
	s_mul_i32 s24, s2, s24
	s_addc_u32 s25, s62, s60
	s_addc_u32 s48, s48, 0
	s_add_u32 s24, s25, s24
	s_addc_u32 s25, 0, s48
	s_add_u32 s22, s22, s24
	s_cselect_b32 s24, -1, 0
	s_mul_hi_u32 s48, s6, s22
	s_cmp_lg_u32 s24, 0
	s_mul_hi_u32 s24, s23, s22
	s_addc_u32 s2, s2, s25
	s_mul_i32 s22, s23, s22
	s_mul_i32 s49, s6, s2
	s_mul_hi_u32 s25, s6, s2
	s_add_u32 s48, s48, s49
	s_addc_u32 s25, 0, s25
	s_mul_hi_u32 s60, s23, s2
	s_add_u32 s22, s48, s22
	s_mul_i32 s2, s23, s2
	s_addc_u32 s22, s25, s24
	s_addc_u32 s24, s60, 0
	s_add_u32 s2, s22, s2
	s_addc_u32 s22, 0, s24
	s_mul_hi_u32 s24, s33, s2
	s_mul_i32 s22, s33, s22
	s_mul_i32 s2, s33, s2
	s_add_i32 s24, s24, s22
	s_sub_u32 s2, s6, s2
	s_cselect_b32 s22, -1, 0
	s_cmp_lg_u32 s22, 0
	s_subb_u32 s22, s23, s24
	s_sub_u32 s24, s2, s33
	s_cselect_b32 s25, -1, 0
	s_cmp_lg_u32 s25, 0
	s_subb_u32 s25, s22, 0
	;; [unrolled: 4-line block ×3, first 2 shown]
	s_cmp_ge_u32 s24, s33
	s_cselect_b32 s60, -1, 0
	s_cmp_eq_u32 s25, 0
	s_cselect_b32 s60, s60, -1
	s_cmp_lg_u32 s60, 0
	s_cselect_b32 s25, s49, s25
	s_cselect_b32 s24, s48, s24
	s_cmp_ge_u32 s2, s33
	s_cselect_b32 s48, -1, 0
	s_cmp_eq_u32 s22, 0
	s_cselect_b32 s48, s48, -1
	s_cmp_lg_u32 s48, 0
	s_cselect_b32 s25, s25, s22
	s_cselect_b32 s24, s24, s2
	s_cbranch_execnz .LBB177_200
.LBB177_199:                            ;   in Loop: Header=BB177_31 Depth=1
	v_cvt_f32_u32_e32 v4, s33
	s_sub_i32 s22, 0, s33
	v_rcp_iflag_f32_e32 v4, v4
	v_mul_f32_e32 v4, 0x4f7ffffe, v4
	v_cvt_u32_f32_e32 v4, v4
	v_readfirstlane_b32 s2, v4
	s_mul_i32 s22, s22, s2
	s_mul_hi_u32 s22, s2, s22
	s_add_i32 s2, s2, s22
	s_mul_hi_u32 s2, s6, s2
	s_mul_i32 s2, s2, s33
	s_sub_i32 s2, s6, s2
	s_sub_i32 s22, s2, s33
	s_cmp_ge_u32 s2, s33
	s_cselect_b32 s2, s22, s2
	s_sub_i32 s22, s2, s33
	s_cmp_ge_u32 s2, s33
	s_cselect_b32 s60, s22, s2
	s_mov_b64 s[24:25], s[60:61]
.LBB177_200:                            ;   in Loop: Header=BB177_31 Depth=1
	s_sub_u32 s22, s6, s24
	s_subb_u32 s23, s23, s25
	s_mov_b32 s6, 0
	s_mov_b32 s24, 0
	s_mov_b32 s25, exec_lo
                                        ; implicit-def: $vgpr8
	v_cmpx_gt_u64_e64 s[22:23], v[0:1]
	s_cbranch_execz .LBB177_211
; %bb.201:                              ;   in Loop: Header=BB177_31 Depth=1
	v_mov_b32_e32 v5, v1
	v_mov_b32_e32 v8, v43
	v_mov_b32_e32 v4, v0
                                        ; implicit-def: $sgpr48
	s_inst_prefetch 0x1
	s_branch .LBB177_204
	.p2align	6
.LBB177_202:                            ;   in Loop: Header=BB177_204 Depth=2
	s_or_b32 exec_lo, exec_lo, s49
	s_waitcnt lgkmcnt(0)
	s_barrier
	buffer_gl0_inv
	ds_read_b32 v9, v3 offset:3072
	s_mov_b32 s2, -1
	s_waitcnt lgkmcnt(0)
	s_barrier
	buffer_gl0_inv
	v_cmp_ne_u32_sdwa s49, v9, v3 src0_sel:WORD_0 src1_sel:DWORD
	s_and_b32 vcc_lo, exec_lo, s49
	s_mov_b32 s49, -1
	s_cbranch_vccz .LBB177_207
.LBB177_203:                            ;   in Loop: Header=BB177_204 Depth=2
	s_and_b32 s2, exec_lo, s2
	s_or_b32 s24, s2, s24
	s_andn2_b32 s2, s48, exec_lo
	s_and_b32 s48, s49, exec_lo
	s_or_b32 s48, s2, s48
	s_andn2_b32 exec_lo, exec_lo, s24
	s_cbranch_execz .LBB177_210
.LBB177_204:                            ;   Parent Loop BB177_31 Depth=1
                                        ; =>  This Inner Loop Header: Depth=2
	s_mov_b32 s49, exec_lo
	v_cmpx_gt_u64_e64 s[20:21], v[4:5]
	s_cbranch_execz .LBB177_202
; %bb.205:                              ;   in Loop: Header=BB177_204 Depth=2
	ds_read_u16 v9, v8
	s_waitcnt lgkmcnt(0)
	v_add_nc_u32_sdwa v31, sext(v9), v49 dst_sel:DWORD dst_unused:UNUSED_PAD src0_sel:WORD_0 src1_sel:DWORD
	v_and_b32_e32 v31, v31, v11
	v_cmp_eq_u32_e32 vcc_lo, v31, v10
	s_and_b32 exec_lo, exec_lo, vcc_lo
	s_cbranch_execz .LBB177_202
; %bb.206:                              ;   in Loop: Header=BB177_204 Depth=2
	v_perm_b32 v9, v9, 1, 0x5040100
	ds_write_b32 v3, v9 offset:3072
	s_branch .LBB177_202
.LBB177_207:                            ;   in Loop: Header=BB177_204 Depth=2
	v_add_co_u32 v4, vcc_lo, v4, s33
	v_add_co_ci_u32_e64 v5, null, 0, v5, vcc_lo
	v_add_nc_u32_e32 v8, vcc_hi, v8
	s_mov_b32 s49, 0
	v_cmp_le_u64_e32 vcc_lo, s[22:23], v[4:5]
	s_orn2_b32 s2, vcc_lo, exec_lo
	s_branch .LBB177_203
.LBB177_208:                            ;   in Loop: Header=BB177_31 Depth=1
                                        ; implicit-def: $sgpr24_sgpr25
	s_branch .LBB177_154
.LBB177_209:                            ;   in Loop: Header=BB177_31 Depth=1
                                        ; implicit-def: $sgpr20_sgpr21
	s_branch .LBB177_170
.LBB177_210:                            ;   in Loop: Header=BB177_31 Depth=1
	s_inst_prefetch 0x2
	s_or_b32 exec_lo, exec_lo, s24
	v_lshrrev_b32_e32 v8, 16, v9
	s_and_b32 s24, s48, exec_lo
.LBB177_211:                            ;   in Loop: Header=BB177_31 Depth=1
	s_or_b32 exec_lo, exec_lo, s25
.LBB177_212:                            ;   in Loop: Header=BB177_31 Depth=1
	s_and_b32 vcc_lo, exec_lo, s6
	s_cbranch_vccz .LBB177_226
; %bb.213:                              ;   in Loop: Header=BB177_31 Depth=1
	s_mov_b32 s62, s61
	s_cmp_lg_u64 s[62:63], 0
	s_cbranch_scc0 .LBB177_245
; %bb.214:                              ;   in Loop: Header=BB177_31 Depth=1
	v_cvt_f32_u32_e32 v4, s33
	s_sub_u32 s20, 0, s33
	s_subb_u32 s21, 0, 0
	v_fmac_f32_e64 v4, 0x4f800000, 0
	v_rcp_f32_e32 v4, v4
	v_mul_f32_e32 v4, 0x5f7ffffc, v4
	v_mul_f32_e32 v5, 0x2f800000, v4
	v_trunc_f32_e32 v5, v5
	v_fmac_f32_e32 v4, 0xcf800000, v5
	v_cvt_u32_f32_e32 v5, v5
	v_cvt_u32_f32_e32 v4, v4
	v_readfirstlane_b32 s2, v5
	v_readfirstlane_b32 s6, v4
	s_mul_i32 s22, s20, s2
	s_mul_hi_u32 s25, s20, s6
	s_mul_i32 s23, s21, s6
	s_add_i32 s22, s25, s22
	s_mul_i32 s48, s20, s6
	s_add_i32 s22, s22, s23
	s_mul_hi_u32 s25, s6, s48
	s_mul_i32 s60, s6, s22
	s_mul_hi_u32 s49, s2, s48
	s_mul_i32 s23, s2, s48
	s_mul_hi_u32 s48, s6, s22
	s_add_u32 s25, s25, s60
	s_addc_u32 s48, 0, s48
	s_mul_hi_u32 s62, s2, s22
	s_add_u32 s23, s25, s23
	s_mul_i32 s22, s2, s22
	s_addc_u32 s23, s48, s49
	s_addc_u32 s25, s62, 0
	s_add_u32 s22, s23, s22
	s_addc_u32 s23, 0, s25
	s_add_u32 s6, s6, s22
	s_cselect_b32 s22, -1, 0
	s_mul_hi_u32 s25, s20, s6
	s_cmp_lg_u32 s22, 0
	s_mul_i32 s22, s20, s6
	s_addc_u32 s2, s2, s23
	s_mul_i32 s21, s21, s6
	s_mul_i32 s20, s20, s2
	s_mul_hi_u32 s23, s6, s22
	s_add_i32 s20, s25, s20
	s_mul_hi_u32 s25, s2, s22
	s_add_i32 s20, s20, s21
	s_mul_i32 s21, s2, s22
	s_mul_i32 s49, s6, s20
	s_mul_hi_u32 s48, s6, s20
	s_add_u32 s23, s23, s49
	s_addc_u32 s48, 0, s48
	s_mul_hi_u32 s22, s2, s20
	s_add_u32 s21, s23, s21
	s_mul_i32 s20, s2, s20
	s_addc_u32 s21, s48, s25
	s_addc_u32 s22, s22, 0
	s_add_u32 s20, s21, s20
	s_addc_u32 s21, 0, s22
	s_add_u32 s6, s6, s20
	s_cselect_b32 s20, -1, 0
	s_mul_hi_u32 s22, s95, s6
	s_cmp_lg_u32 s20, 0
	s_mul_hi_u32 s20, s63, s6
	s_addc_u32 s2, s2, s21
	s_mul_i32 s6, s63, s6
	s_mul_i32 s23, s95, s2
	s_mul_hi_u32 s21, s95, s2
	s_add_u32 s22, s22, s23
	s_addc_u32 s21, 0, s21
	s_mul_hi_u32 s25, s63, s2
	s_add_u32 s6, s22, s6
	s_mul_i32 s2, s63, s2
	s_addc_u32 s6, s21, s20
	s_addc_u32 s20, s25, 0
	s_add_u32 s2, s6, s2
	s_addc_u32 s6, 0, s20
	s_mul_hi_u32 s20, s33, s2
	s_mul_i32 s6, s33, s6
	s_mul_i32 s2, s33, s2
	s_add_i32 s20, s20, s6
	s_sub_u32 s2, s95, s2
	s_cselect_b32 s6, -1, 0
	s_cmp_lg_u32 s6, 0
	s_subb_u32 s6, s63, s20
	s_sub_u32 s20, s2, s33
	s_cselect_b32 s21, -1, 0
	s_cmp_lg_u32 s21, 0
	s_subb_u32 s21, s6, 0
	;; [unrolled: 4-line block ×3, first 2 shown]
	s_cmp_ge_u32 s20, s33
	s_cselect_b32 s25, -1, 0
	s_cmp_eq_u32 s21, 0
	s_cselect_b32 s25, s25, -1
	s_cmp_lg_u32 s25, 0
	s_cselect_b32 s21, s23, s21
	s_cselect_b32 s20, s22, s20
	s_cmp_ge_u32 s2, s33
	s_cselect_b32 s22, -1, 0
	s_cmp_eq_u32 s6, 0
	s_cselect_b32 s22, s22, -1
	s_cmp_lg_u32 s22, 0
	s_cselect_b32 s21, s21, s6
	s_cselect_b32 s20, s20, s2
	s_cbranch_execnz .LBB177_216
.LBB177_215:                            ;   in Loop: Header=BB177_31 Depth=1
	v_cvt_f32_u32_e32 v4, s33
	s_sub_i32 s6, 0, s33
	v_rcp_iflag_f32_e32 v4, v4
	v_mul_f32_e32 v4, 0x4f7ffffe, v4
	v_cvt_u32_f32_e32 v4, v4
	v_readfirstlane_b32 s2, v4
	s_mul_i32 s6, s6, s2
	s_mul_hi_u32 s6, s2, s6
	s_add_i32 s2, s2, s6
	s_mul_hi_u32 s2, s95, s2
	s_mul_i32 s2, s2, s33
	s_sub_i32 s2, s95, s2
	s_sub_i32 s6, s2, s33
	s_cmp_ge_u32 s2, s33
	s_cselect_b32 s2, s6, s2
	s_sub_i32 s6, s2, s33
	s_cmp_ge_u32 s2, s33
	s_cselect_b32 s60, s6, s2
	s_mov_b64 s[20:21], s[60:61]
.LBB177_216:                            ;   in Loop: Header=BB177_31 Depth=1
	s_sub_u32 s20, s95, s20
	s_subb_u32 s21, s63, s21
	s_mov_b32 s22, exec_lo
                                        ; implicit-def: $vgpr8
	v_cmpx_gt_u64_e64 s[20:21], v[0:1]
	s_cbranch_execz .LBB177_225
; %bb.217:                              ;   in Loop: Header=BB177_31 Depth=1
	v_mov_b32_e32 v4, v27
	v_mov_b32_e32 v9, v1
	;; [unrolled: 1-line block ×4, first 2 shown]
	s_mov_b32 s23, 0
                                        ; implicit-def: $sgpr25
	s_inst_prefetch 0x1
	s_branch .LBB177_220
	.p2align	6
.LBB177_218:                            ;   in Loop: Header=BB177_220 Depth=2
	s_or_b32 exec_lo, exec_lo, s6
	s_waitcnt lgkmcnt(0)
	s_barrier
	buffer_gl0_inv
	ds_read_b32 v31, v3 offset:3072
	s_mov_b32 s2, -1
	s_waitcnt lgkmcnt(0)
	s_barrier
	buffer_gl0_inv
	v_cmp_eq_u32_sdwa s6, v31, v3 src0_sel:WORD_0 src1_sel:DWORD
	s_and_b32 vcc_lo, exec_lo, s6
	s_mov_b32 s6, -1
	s_cbranch_vccnz .LBB177_223
.LBB177_219:                            ;   in Loop: Header=BB177_220 Depth=2
	s_and_b32 s2, exec_lo, s2
	s_or_b32 s23, s2, s23
	s_andn2_b32 s2, s25, exec_lo
	s_and_b32 s6, s6, exec_lo
	s_or_b32 s25, s2, s6
	s_andn2_b32 exec_lo, exec_lo, s23
	s_cbranch_execz .LBB177_224
.LBB177_220:                            ;   Parent Loop BB177_31 Depth=1
                                        ; =>  This Inner Loop Header: Depth=2
	s_mov_b32 s6, exec_lo
	v_cmpx_gt_u64_e64 s[36:37], v[8:9]
	s_cbranch_execz .LBB177_218
; %bb.221:                              ;   in Loop: Header=BB177_220 Depth=2
	global_load_ushort v31, v[4:5], off
	s_waitcnt vmcnt(0)
	v_add_nc_u32_sdwa v32, sext(v31), v49 dst_sel:DWORD dst_unused:UNUSED_PAD src0_sel:WORD_0 src1_sel:DWORD
	v_and_b32_e32 v32, v32, v11
	v_cmp_eq_u32_e32 vcc_lo, v32, v10
	s_and_b32 exec_lo, exec_lo, vcc_lo
	s_cbranch_execz .LBB177_218
; %bb.222:                              ;   in Loop: Header=BB177_220 Depth=2
	v_perm_b32 v31, v31, 1, 0x5040100
	ds_write_b32 v3, v31 offset:3072
	s_branch .LBB177_218
.LBB177_223:                            ;   in Loop: Header=BB177_220 Depth=2
	v_add_co_u32 v8, vcc_lo, v8, s33
	v_add_co_ci_u32_e64 v9, null, 0, v9, vcc_lo
	v_add_co_u32 v4, s6, v4, s44
	v_add_co_ci_u32_e64 v5, null, s45, v5, s6
	v_cmp_le_u64_e32 vcc_lo, s[20:21], v[8:9]
	s_mov_b32 s6, 0
	s_orn2_b32 s2, vcc_lo, exec_lo
	s_branch .LBB177_219
.LBB177_224:                            ;   in Loop: Header=BB177_31 Depth=1
	s_inst_prefetch 0x2
	s_or_b32 exec_lo, exec_lo, s23
	v_lshrrev_b32_e32 v8, 16, v31
	s_andn2_b32 s2, s24, exec_lo
	s_and_b32 s6, s25, exec_lo
	s_or_b32 s24, s2, s6
.LBB177_225:                            ;   in Loop: Header=BB177_31 Depth=1
	s_or_b32 exec_lo, exec_lo, s22
	s_mov_b32 s81, 0
	s_mov_b32 s82, -1
.LBB177_226:                            ;   in Loop: Header=BB177_31 Depth=1
	s_orn2_b32 s6, s24, exec_lo
.LBB177_227:                            ;   in Loop: Header=BB177_31 Depth=1
	s_or_b32 exec_lo, exec_lo, s83
	s_mov_b32 s20, 0
	s_and_saveexec_b32 s83, s6
	s_cbranch_execz .LBB177_289
; %bb.228:                              ;   in Loop: Header=BB177_31 Depth=1
	v_mov_b32_e32 v4, 1
	v_mov_b32_e32 v5, 0
	;; [unrolled: 1-line block ×3, first 2 shown]
	s_xor_b32 s2, s84, -1
	s_mov_b32 s21, 0
	s_and_saveexec_b32 s6, s2
	s_cbranch_execz .LBB177_237
; %bb.229:                              ;   in Loop: Header=BB177_31 Depth=1
	s_mov_b32 s2, exec_lo
	v_cmpx_ge_u64_e64 s[16:17], v[6:7]
	s_xor_b32 s20, exec_lo, s2
	s_cbranch_execz .LBB177_234
; %bb.230:                              ;   in Loop: Header=BB177_31 Depth=1
	ds_read_b64 v[4:5], v3 offset:5120
	s_lshl_b32 s2, 2, s56
	v_or_b32_e32 v11, s11, v11
	v_and_or_b32 v10, v10, s26, s2
	s_waitcnt lgkmcnt(0)
	v_cmp_ne_u64_e32 vcc_lo, 0, v[4:5]
	s_cbranch_vccnz .LBB177_234
; %bb.231:                              ;   in Loop: Header=BB177_31 Depth=1
	s_and_saveexec_b32 s2, s3
; %bb.232:                              ;   in Loop: Header=BB177_31 Depth=1
	v_mov_b32_e32 v4, s16
	v_mov_b32_e32 v5, s17
	ds_write_b64 v3, v[4:5] offset:5128
; %bb.233:                              ;   in Loop: Header=BB177_31 Depth=1
	s_or_b32 exec_lo, exec_lo, s2
	s_waitcnt lgkmcnt(0)
	s_barrier
	buffer_gl0_inv
.LBB177_234:                            ;   in Loop: Header=BB177_31 Depth=1
	s_or_saveexec_b32 s20, s20
	v_mov_b32_e32 v2, 8
	s_xor_b32 exec_lo, exec_lo, s20
; %bb.235:                              ;   in Loop: Header=BB177_31 Depth=1
	v_sub_co_u32 v6, vcc_lo, v6, s16
	v_subrev_co_ci_u32_e64 v7, null, s17, v7, vcc_lo
	v_mov_b32_e32 v2, 0
	s_mov_b32 s21, exec_lo
; %bb.236:                              ;   in Loop: Header=BB177_31 Depth=1
	s_or_b32 exec_lo, exec_lo, s20
	v_mov_b32_e32 v4, v6
	v_mov_b32_e32 v5, v7
	s_and_b32 s21, s21, exec_lo
.LBB177_237:                            ;   in Loop: Header=BB177_31 Depth=1
	s_or_b32 exec_lo, exec_lo, s6
	s_mov_b32 s20, -1
                                        ; implicit-def: $sgpr49
                                        ; implicit-def: $sgpr6
	s_and_saveexec_b32 s84, s21
	s_cbranch_execz .LBB177_288
; %bb.238:                              ;   in Loop: Header=BB177_31 Depth=1
	v_cmp_eq_u64_e32 vcc_lo, 1, v[4:5]
	s_cmp_eq_u64 s[18:19], 1
	s_mov_b32 s21, -1
	s_cselect_b32 s2, -1, 0
                                        ; implicit-def: $sgpr49
                                        ; implicit-def: $sgpr6
	s_and_b32 s67, s2, vcc_lo
	s_and_saveexec_b32 s48, s67
	s_cbranch_execz .LBB177_276
; %bb.239:                              ;   in Loop: Header=BB177_31 Depth=1
	ds_read_b64 v[6:7], v3 offset:5120
	s_waitcnt lgkmcnt(0)
	s_barrier
	buffer_gl0_inv
	v_readfirstlane_b32 s20, v6
	v_readfirstlane_b32 s21, v7
	s_and_saveexec_b32 s2, s10
; %bb.240:                              ;   in Loop: Header=BB177_31 Depth=1
	ds_write_b16 v44, v3
; %bb.241:                              ;   in Loop: Header=BB177_31 Depth=1
	s_or_b32 exec_lo, exec_lo, s2
	v_or_b32_e32 v10, s11, v10
	v_or_b32_e32 v11, s11, v11
	s_mov_b32 s6, -1
	s_mov_b32 s49, 0
	s_cmp_eq_u64 s[20:21], 0
	s_mov_b32 s24, 0
	s_mov_b32 s25, -1
	s_waitcnt lgkmcnt(0)
	s_barrier
	buffer_gl0_inv
                                        ; implicit-def: $vgpr8
	s_cbranch_scc1 .LBB177_259
; %bb.242:                              ;   in Loop: Header=BB177_31 Depth=1
	s_add_u32 s62, s20, s93
	s_addc_u32 s23, s21, s94
	s_mov_b32 s22, s61
	v_writelane_b32 v52, s67, 16
	s_cmp_lg_u64 s[22:23], 0
	s_cbranch_scc0 .LBB177_246
; %bb.243:                              ;   in Loop: Header=BB177_31 Depth=1
	v_cvt_f32_u32_e32 v6, s33
	s_sub_u32 s24, 0, s33
	s_subb_u32 s25, 0, 0
	v_fmac_f32_e64 v6, 0x4f800000, 0
	v_rcp_f32_e32 v6, v6
	v_mul_f32_e32 v6, 0x5f7ffffc, v6
	v_mul_f32_e32 v7, 0x2f800000, v6
	v_trunc_f32_e32 v7, v7
	v_fmac_f32_e32 v6, 0xcf800000, v7
	v_cvt_u32_f32_e32 v7, v7
	v_cvt_u32_f32_e32 v6, v6
	v_readfirstlane_b32 s2, v7
	v_readfirstlane_b32 s22, v6
	s_mul_i32 s60, s24, s2
	s_mul_hi_u32 s67, s24, s22
	s_mul_i32 s66, s25, s22
	s_add_i32 s60, s67, s60
	s_mul_i32 vcc_lo, s24, s22
	s_add_i32 s60, s60, s66
	s_mul_hi_u32 s67, s22, vcc_lo
	s_mul_i32 s85, s22, s60
	s_mul_hi_u32 s98, s2, vcc_lo
	s_mul_i32 s66, s2, vcc_lo
	s_mul_hi_u32 vcc_lo, s22, s60
	s_add_u32 s67, s67, s85
	s_addc_u32 s85, 0, vcc_lo
	s_mul_hi_u32 s99, s2, s60
	s_add_u32 s66, s67, s66
	s_mul_i32 s60, s2, s60
	s_addc_u32 s66, s85, s98
	s_addc_u32 s67, s99, 0
	s_add_u32 s60, s66, s60
	s_addc_u32 s66, 0, s67
	s_add_u32 s22, s22, s60
	s_cselect_b32 s60, -1, 0
	s_mul_hi_u32 s67, s24, s22
	s_cmp_lg_u32 s60, 0
	s_mul_i32 s60, s24, s22
	s_addc_u32 s2, s2, s66
	s_mul_i32 s25, s25, s22
	s_mul_i32 s24, s24, s2
	s_mul_hi_u32 s66, s22, s60
	s_add_i32 s24, s67, s24
	s_mul_hi_u32 s67, s2, s60
	s_add_i32 s24, s24, s25
	s_mul_i32 s25, s2, s60
	s_mul_i32 s98, s22, s24
	s_mul_hi_u32 s85, s22, s24
	s_add_u32 s66, s66, s98
	s_addc_u32 s85, 0, s85
	s_mul_hi_u32 s60, s2, s24
	s_add_u32 s25, s66, s25
	s_mul_i32 s24, s2, s24
	s_addc_u32 s25, s85, s67
	s_addc_u32 s60, s60, 0
	s_add_u32 s24, s25, s24
	s_addc_u32 s25, 0, s60
	s_add_u32 s22, s22, s24
	s_cselect_b32 s24, -1, 0
	s_mul_hi_u32 s60, s62, s22
	s_cmp_lg_u32 s24, 0
	s_mul_hi_u32 s24, s23, s22
	s_addc_u32 s2, s2, s25
	s_mul_i32 s22, s23, s22
	s_mul_i32 s66, s62, s2
	s_mul_hi_u32 s25, s62, s2
	s_add_u32 s60, s60, s66
	s_addc_u32 s25, 0, s25
	s_mul_hi_u32 s67, s23, s2
	s_add_u32 s22, s60, s22
	s_mul_i32 s2, s23, s2
	s_addc_u32 s22, s25, s24
	s_addc_u32 s24, s67, 0
	s_add_u32 s2, s22, s2
	s_addc_u32 s22, 0, s24
	s_mul_hi_u32 s24, s33, s2
	s_mul_i32 s22, s33, s22
	s_mul_i32 s2, s33, s2
	s_add_i32 s24, s24, s22
	s_sub_u32 s2, s62, s2
	s_cselect_b32 s22, -1, 0
	s_cmp_lg_u32 s22, 0
	s_subb_u32 s22, s23, s24
	s_sub_u32 s24, s2, s33
	s_cselect_b32 s25, -1, 0
	s_cmp_lg_u32 s25, 0
	s_subb_u32 s25, s22, 0
	;; [unrolled: 4-line block ×3, first 2 shown]
	s_cmp_ge_u32 s24, s33
	s_cselect_b32 s67, -1, 0
	s_cmp_eq_u32 s25, 0
	s_cselect_b32 s67, s67, -1
	s_cmp_lg_u32 s67, 0
	s_cselect_b32 s25, s66, s25
	s_cselect_b32 s24, s60, s24
	s_cmp_ge_u32 s2, s33
	s_cselect_b32 s60, -1, 0
	s_cmp_eq_u32 s22, 0
	s_cselect_b32 s60, s60, -1
	s_cmp_lg_u32 s60, 0
	s_cselect_b32 s25, s25, s22
	s_cselect_b32 s24, s24, s2
	s_mov_b32 s2, 0
	s_branch .LBB177_247
.LBB177_244:                            ;   in Loop: Header=BB177_31 Depth=1
                                        ; implicit-def: $sgpr24_sgpr25
	s_branch .LBB177_199
.LBB177_245:                            ;   in Loop: Header=BB177_31 Depth=1
                                        ; implicit-def: $sgpr20_sgpr21
	s_branch .LBB177_215
.LBB177_246:                            ;   in Loop: Header=BB177_31 Depth=1
	s_mov_b32 s2, -1
                                        ; implicit-def: $sgpr24_sgpr25
.LBB177_247:                            ;   in Loop: Header=BB177_31 Depth=1
	s_andn2_b32 vcc_lo, exec_lo, s2
	s_cbranch_vccnz .LBB177_249
; %bb.248:                              ;   in Loop: Header=BB177_31 Depth=1
	v_cvt_f32_u32_e32 v6, s33
	s_sub_i32 s22, 0, s33
	v_rcp_iflag_f32_e32 v6, v6
	v_mul_f32_e32 v6, 0x4f7ffffe, v6
	v_cvt_u32_f32_e32 v6, v6
	v_readfirstlane_b32 s2, v6
	s_mul_i32 s22, s22, s2
	s_mul_hi_u32 s22, s2, s22
	s_add_i32 s2, s2, s22
	s_mul_hi_u32 s2, s62, s2
	s_mul_i32 s2, s2, s33
	s_sub_i32 s2, s62, s2
	s_sub_i32 s22, s2, s33
	s_cmp_ge_u32 s2, s33
	s_cselect_b32 s2, s22, s2
	s_sub_i32 s22, s2, s33
	s_cmp_ge_u32 s2, s33
	s_cselect_b32 s60, s22, s2
	s_mov_b64 s[24:25], s[60:61]
.LBB177_249:                            ;   in Loop: Header=BB177_31 Depth=1
	s_sub_u32 s22, s62, s24
	s_subb_u32 s23, s23, s25
	s_mov_b32 s25, 0
	s_mov_b32 s24, 0
	s_mov_b32 s60, exec_lo
                                        ; implicit-def: $vgpr8
	v_cmpx_gt_u64_e64 s[22:23], v[0:1]
	s_load_dwordx2 s[98:99], s[4:5], 0x0
	v_readlane_b32 s67, v52, 16
	s_cbranch_execz .LBB177_258
; %bb.250:                              ;   in Loop: Header=BB177_31 Depth=1
	v_mov_b32_e32 v7, v1
	v_mov_b32_e32 v8, v43
	;; [unrolled: 1-line block ×3, first 2 shown]
                                        ; implicit-def: $sgpr62
	s_inst_prefetch 0x1
	s_branch .LBB177_253
	.p2align	6
.LBB177_251:                            ;   in Loop: Header=BB177_253 Depth=2
	s_or_b32 exec_lo, exec_lo, s2
	s_waitcnt lgkmcnt(0)
	s_barrier
	buffer_gl0_inv
	ds_read_b32 v9, v3 offset:3072
	s_mov_b32 s2, -1
	s_waitcnt lgkmcnt(0)
	s_barrier
	buffer_gl0_inv
	v_cmp_ne_u32_sdwa s66, v9, v3 src0_sel:WORD_0 src1_sel:DWORD
	s_and_b32 vcc_lo, exec_lo, s66
	s_mov_b32 s66, -1
	s_cbranch_vccz .LBB177_256
.LBB177_252:                            ;   in Loop: Header=BB177_253 Depth=2
	s_and_b32 s2, exec_lo, s2
	s_or_b32 s24, s2, s24
	s_andn2_b32 s2, s62, exec_lo
	s_and_b32 s62, s66, exec_lo
	s_or_b32 s62, s2, s62
	s_andn2_b32 exec_lo, exec_lo, s24
	s_cbranch_execz .LBB177_257
.LBB177_253:                            ;   Parent Loop BB177_31 Depth=1
                                        ; =>  This Inner Loop Header: Depth=2
	s_mov_b32 s2, exec_lo
	v_cmpx_gt_u64_e64 s[20:21], v[6:7]
	s_cbranch_execz .LBB177_251
; %bb.254:                              ;   in Loop: Header=BB177_253 Depth=2
	ds_read_u16 v9, v8
	s_waitcnt lgkmcnt(0)
	v_add_nc_u32_sdwa v31, sext(v9), v49 dst_sel:DWORD dst_unused:UNUSED_PAD src0_sel:WORD_0 src1_sel:DWORD
	v_and_b32_e32 v31, v31, v11
	v_cmp_eq_u32_e32 vcc_lo, v31, v10
	s_and_b32 exec_lo, exec_lo, vcc_lo
	s_cbranch_execz .LBB177_251
; %bb.255:                              ;   in Loop: Header=BB177_253 Depth=2
	v_perm_b32 v9, v9, 1, 0x5040100
	ds_write_b32 v3, v9 offset:3072
	s_branch .LBB177_251
.LBB177_256:                            ;   in Loop: Header=BB177_253 Depth=2
	v_add_co_u32 v6, vcc_lo, v6, s33
	v_add_co_ci_u32_e64 v7, null, 0, v7, vcc_lo
	v_add_nc_u32_e32 v8, vcc_hi, v8
	s_mov_b32 s66, 0
	v_cmp_le_u64_e32 vcc_lo, s[22:23], v[6:7]
	s_orn2_b32 s2, vcc_lo, exec_lo
	s_branch .LBB177_252
.LBB177_257:                            ;   in Loop: Header=BB177_31 Depth=1
	s_inst_prefetch 0x2
	s_or_b32 exec_lo, exec_lo, s24
	v_lshrrev_b32_e32 v8, 16, v9
	s_and_b32 s24, s62, exec_lo
.LBB177_258:                            ;   in Loop: Header=BB177_31 Depth=1
	s_or_b32 exec_lo, exec_lo, s60
.LBB177_259:                            ;   in Loop: Header=BB177_31 Depth=1
	s_and_b32 vcc_lo, exec_lo, s25
	s_cbranch_vccz .LBB177_275
; %bb.260:                              ;   in Loop: Header=BB177_31 Depth=1
	s_mov_b32 s62, s61
	s_cmp_lg_u64 s[62:63], 0
	s_cbranch_scc0 .LBB177_262
; %bb.261:                              ;   in Loop: Header=BB177_31 Depth=1
	v_cvt_f32_u32_e32 v6, s33
	s_sub_u32 s20, 0, s33
	s_subb_u32 s21, 0, 0
	v_fmac_f32_e64 v6, 0x4f800000, 0
	v_rcp_f32_e32 v6, v6
	v_mul_f32_e32 v6, 0x5f7ffffc, v6
	v_mul_f32_e32 v7, 0x2f800000, v6
	v_trunc_f32_e32 v7, v7
	v_fmac_f32_e32 v6, 0xcf800000, v7
	v_cvt_u32_f32_e32 v7, v7
	v_cvt_u32_f32_e32 v6, v6
	v_readfirstlane_b32 s2, v7
	v_readfirstlane_b32 s6, v6
	s_mul_i32 s22, s20, s2
	s_mul_hi_u32 s25, s20, s6
	s_mul_i32 s23, s21, s6
	s_add_i32 s22, s25, s22
	s_mul_i32 s49, s20, s6
	s_add_i32 s22, s22, s23
	s_mul_hi_u32 s25, s6, s49
	s_mul_i32 s62, s6, s22
	s_mul_hi_u32 s60, s2, s49
	s_mul_i32 s23, s2, s49
	s_mul_hi_u32 s49, s6, s22
	s_add_u32 s25, s25, s62
	s_addc_u32 s49, 0, s49
	s_mul_hi_u32 s66, s2, s22
	s_add_u32 s23, s25, s23
	s_mul_i32 s22, s2, s22
	s_addc_u32 s23, s49, s60
	s_addc_u32 s25, s66, 0
	s_add_u32 s22, s23, s22
	s_addc_u32 s23, 0, s25
	s_add_u32 s6, s6, s22
	s_cselect_b32 s22, -1, 0
	s_mul_hi_u32 s25, s20, s6
	s_cmp_lg_u32 s22, 0
	s_mul_i32 s22, s20, s6
	s_addc_u32 s2, s2, s23
	s_mul_i32 s21, s21, s6
	s_mul_i32 s20, s20, s2
	s_mul_hi_u32 s23, s6, s22
	s_add_i32 s20, s25, s20
	s_mul_hi_u32 s25, s2, s22
	s_add_i32 s20, s20, s21
	s_mul_i32 s21, s2, s22
	s_mul_i32 s60, s6, s20
	s_mul_hi_u32 s49, s6, s20
	s_add_u32 s23, s23, s60
	s_addc_u32 s49, 0, s49
	s_mul_hi_u32 s22, s2, s20
	s_add_u32 s21, s23, s21
	s_mul_i32 s20, s2, s20
	s_addc_u32 s21, s49, s25
	s_addc_u32 s22, s22, 0
	s_add_u32 s20, s21, s20
	s_addc_u32 s21, 0, s22
	s_add_u32 s6, s6, s20
	s_cselect_b32 s20, -1, 0
	s_mul_hi_u32 s22, s95, s6
	s_cmp_lg_u32 s20, 0
	s_mul_hi_u32 s20, s63, s6
	s_addc_u32 s2, s2, s21
	s_mul_i32 s6, s63, s6
	s_mul_i32 s23, s95, s2
	s_mul_hi_u32 s21, s95, s2
	s_add_u32 s22, s22, s23
	s_addc_u32 s21, 0, s21
	s_mul_hi_u32 s25, s63, s2
	s_add_u32 s6, s22, s6
	s_mul_i32 s2, s63, s2
	s_addc_u32 s6, s21, s20
	s_addc_u32 s20, s25, 0
	s_add_u32 s2, s6, s2
	s_addc_u32 s6, 0, s20
	s_mul_hi_u32 s20, s33, s2
	s_mul_i32 s6, s33, s6
	s_mul_i32 s2, s33, s2
	s_add_i32 s20, s20, s6
	s_sub_u32 s2, s95, s2
	s_cselect_b32 s6, -1, 0
	s_cmp_lg_u32 s6, 0
	s_subb_u32 s6, s63, s20
	s_sub_u32 s20, s2, s33
	s_cselect_b32 s21, -1, 0
	s_cmp_lg_u32 s21, 0
	s_subb_u32 s21, s6, 0
	;; [unrolled: 4-line block ×3, first 2 shown]
	s_cmp_ge_u32 s20, s33
	s_cselect_b32 s25, -1, 0
	s_cmp_eq_u32 s21, 0
	s_cselect_b32 s25, s25, -1
	s_cmp_lg_u32 s25, 0
	s_cselect_b32 s21, s23, s21
	s_cselect_b32 s20, s22, s20
	s_cmp_ge_u32 s2, s33
	s_cselect_b32 s22, -1, 0
	s_cmp_eq_u32 s6, 0
	s_cselect_b32 s22, s22, -1
	s_cmp_lg_u32 s22, 0
	s_cselect_b32 s21, s21, s6
	s_cselect_b32 s20, s20, s2
	s_mov_b32 s2, 0
	s_branch .LBB177_263
.LBB177_262:                            ;   in Loop: Header=BB177_31 Depth=1
	s_mov_b32 s2, -1
                                        ; implicit-def: $sgpr20_sgpr21
.LBB177_263:                            ;   in Loop: Header=BB177_31 Depth=1
	s_andn2_b32 vcc_lo, exec_lo, s2
	s_cbranch_vccnz .LBB177_265
; %bb.264:                              ;   in Loop: Header=BB177_31 Depth=1
	v_cvt_f32_u32_e32 v6, s33
	s_sub_i32 s6, 0, s33
	v_rcp_iflag_f32_e32 v6, v6
	v_mul_f32_e32 v6, 0x4f7ffffe, v6
	v_cvt_u32_f32_e32 v6, v6
	v_readfirstlane_b32 s2, v6
	s_mul_i32 s6, s6, s2
	s_mul_hi_u32 s6, s2, s6
	s_add_i32 s2, s2, s6
	s_mul_hi_u32 s2, s95, s2
	s_mul_i32 s2, s2, s33
	s_sub_i32 s2, s95, s2
	s_sub_i32 s6, s2, s33
	s_cmp_ge_u32 s2, s33
	s_cselect_b32 s2, s6, s2
	s_sub_i32 s6, s2, s33
	s_cmp_ge_u32 s2, s33
	s_cselect_b32 s60, s6, s2
	s_mov_b64 s[20:21], s[60:61]
.LBB177_265:                            ;   in Loop: Header=BB177_31 Depth=1
	s_sub_u32 s20, s95, s20
	s_subb_u32 s21, s63, s21
	s_mov_b32 s22, exec_lo
                                        ; implicit-def: $vgpr8
	v_cmpx_gt_u64_e64 s[20:21], v[0:1]
	s_cbranch_execz .LBB177_274
; %bb.266:                              ;   in Loop: Header=BB177_31 Depth=1
	v_mov_b32_e32 v6, v27
	v_mov_b32_e32 v9, v1
	v_mov_b32_e32 v7, v28
	v_mov_b32_e32 v8, v0
	s_mov_b32 s23, 0
                                        ; implicit-def: $sgpr25
	s_inst_prefetch 0x1
	s_branch .LBB177_269
	.p2align	6
.LBB177_267:                            ;   in Loop: Header=BB177_269 Depth=2
	s_or_b32 exec_lo, exec_lo, s2
	s_waitcnt lgkmcnt(0)
	s_barrier
	buffer_gl0_inv
	ds_read_b32 v31, v3 offset:3072
	s_mov_b32 s2, -1
	s_waitcnt lgkmcnt(0)
	s_barrier
	buffer_gl0_inv
	v_cmp_eq_u32_sdwa s6, v31, v3 src0_sel:WORD_0 src1_sel:DWORD
	s_and_b32 vcc_lo, exec_lo, s6
	s_mov_b32 s6, -1
	s_cbranch_vccnz .LBB177_272
.LBB177_268:                            ;   in Loop: Header=BB177_269 Depth=2
	s_and_b32 s2, exec_lo, s2
	s_or_b32 s23, s2, s23
	s_andn2_b32 s2, s25, exec_lo
	s_and_b32 s6, s6, exec_lo
	s_or_b32 s25, s2, s6
	s_andn2_b32 exec_lo, exec_lo, s23
	s_cbranch_execz .LBB177_273
.LBB177_269:                            ;   Parent Loop BB177_31 Depth=1
                                        ; =>  This Inner Loop Header: Depth=2
	s_mov_b32 s2, exec_lo
	v_cmpx_gt_u64_e64 s[36:37], v[8:9]
	s_cbranch_execz .LBB177_267
; %bb.270:                              ;   in Loop: Header=BB177_269 Depth=2
	global_load_ushort v31, v[6:7], off
	s_waitcnt vmcnt(0)
	v_add_nc_u32_sdwa v32, sext(v31), v49 dst_sel:DWORD dst_unused:UNUSED_PAD src0_sel:WORD_0 src1_sel:DWORD
	v_and_b32_e32 v32, v32, v11
	v_cmp_eq_u32_e32 vcc_lo, v32, v10
	s_and_b32 exec_lo, exec_lo, vcc_lo
	s_cbranch_execz .LBB177_267
; %bb.271:                              ;   in Loop: Header=BB177_269 Depth=2
	v_perm_b32 v31, v31, 1, 0x5040100
	ds_write_b32 v3, v31 offset:3072
	s_branch .LBB177_267
.LBB177_272:                            ;   in Loop: Header=BB177_269 Depth=2
	v_add_co_u32 v8, vcc_lo, v8, s33
	v_add_co_ci_u32_e64 v9, null, 0, v9, vcc_lo
	v_add_co_u32 v6, s6, v6, s44
	v_add_co_ci_u32_e64 v7, null, s45, v7, s6
	v_cmp_le_u64_e32 vcc_lo, s[20:21], v[8:9]
	s_mov_b32 s6, 0
	s_orn2_b32 s2, vcc_lo, exec_lo
	s_branch .LBB177_268
.LBB177_273:                            ;   in Loop: Header=BB177_31 Depth=1
	s_inst_prefetch 0x2
	s_or_b32 exec_lo, exec_lo, s23
	v_lshrrev_b32_e32 v8, 16, v31
	s_andn2_b32 s2, s24, exec_lo
	s_and_b32 s6, s25, exec_lo
	s_or_b32 s24, s2, s6
.LBB177_274:                            ;   in Loop: Header=BB177_31 Depth=1
	s_or_b32 exec_lo, exec_lo, s22
	s_mov_b32 s6, 0
	s_mov_b32 s49, -1
.LBB177_275:                            ;   in Loop: Header=BB177_31 Depth=1
	s_orn2_b32 s21, s24, exec_lo
.LBB177_276:                            ;   in Loop: Header=BB177_31 Depth=1
	s_or_b32 exec_lo, exec_lo, s48
	s_mov_b32 s22, 0
	s_and_saveexec_b32 s20, s21
	s_cbranch_execz .LBB177_287
; %bb.277:                              ;   in Loop: Header=BB177_31 Depth=1
	v_mov_b32_e32 v6, 1
	v_mov_b32_e32 v7, 0
	;; [unrolled: 1-line block ×3, first 2 shown]
	s_xor_b32 s2, s67, -1
	s_and_saveexec_b32 s21, s2
	s_cbranch_execz .LBB177_286
; %bb.278:                              ;   in Loop: Header=BB177_31 Depth=1
	s_mov_b32 s2, exec_lo
	v_cmpx_ge_u64_e64 s[18:19], v[4:5]
	s_xor_b32 s22, exec_lo, s2
	s_cbranch_execz .LBB177_283
; %bb.279:                              ;   in Loop: Header=BB177_31 Depth=1
	ds_read_b64 v[6:7], v3 offset:5120
	v_or_b32_e32 v10, s11, v10
	v_or_b32_e32 v11, s11, v11
	s_waitcnt lgkmcnt(0)
	v_cmp_ne_u64_e32 vcc_lo, 0, v[6:7]
	s_cbranch_vccnz .LBB177_283
; %bb.280:                              ;   in Loop: Header=BB177_31 Depth=1
	s_and_saveexec_b32 s2, s3
; %bb.281:                              ;   in Loop: Header=BB177_31 Depth=1
	v_mov_b32_e32 v6, s18
	v_mov_b32_e32 v7, s19
	ds_write_b64 v3, v[6:7] offset:5128
; %bb.282:                              ;   in Loop: Header=BB177_31 Depth=1
	s_or_b32 exec_lo, exec_lo, s2
	s_waitcnt lgkmcnt(0)
	s_barrier
	buffer_gl0_inv
.LBB177_283:                            ;   in Loop: Header=BB177_31 Depth=1
	s_andn2_saveexec_b32 s22, s22
; %bb.284:                              ;   in Loop: Header=BB177_31 Depth=1
	v_sub_co_u32 v4, vcc_lo, v4, s18
	v_subrev_co_ci_u32_e64 v5, null, s19, v5, vcc_lo
; %bb.285:                              ;   in Loop: Header=BB177_31 Depth=1
	s_or_b32 exec_lo, exec_lo, s22
	v_mov_b32_e32 v7, v5
	v_mov_b32_e32 v2, 8
	;; [unrolled: 1-line block ×3, first 2 shown]
.LBB177_286:                            ;   in Loop: Header=BB177_31 Depth=1
	s_or_b32 exec_lo, exec_lo, s21
	v_mov_b32_e32 v4, v6
	v_mov_b32_e32 v5, v7
	s_mov_b32 s22, exec_lo
.LBB177_287:                            ;   in Loop: Header=BB177_31 Depth=1
	s_or_b32 exec_lo, exec_lo, s20
	s_orn2_b32 s20, s22, exec_lo
.LBB177_288:                            ;   in Loop: Header=BB177_31 Depth=1
	s_or_b32 exec_lo, exec_lo, s84
	v_mov_b32_e32 v7, v5
	v_mov_b32_e32 v6, v4
	s_andn2_b32 s2, s82, exec_lo
	s_and_b32 s21, s49, exec_lo
	s_andn2_b32 s22, s81, exec_lo
	s_and_b32 s6, s6, exec_lo
	s_or_b32 s82, s2, s21
	s_or_b32 s81, s22, s6
	s_and_b32 s20, s20, exec_lo
.LBB177_289:                            ;   in Loop: Header=BB177_31 Depth=1
	s_or_b32 exec_lo, exec_lo, s83
	s_orn2_b32 s6, s20, exec_lo
.LBB177_290:                            ;   in Loop: Header=BB177_31 Depth=1
	s_or_b32 exec_lo, exec_lo, s80
	v_mov_b32_e32 v4, v6
	v_mov_b32_e32 v5, v7
	s_andn2_b32 s2, s78, exec_lo
	s_and_b32 s20, s82, exec_lo
	s_andn2_b32 s21, s73, exec_lo
	s_and_b32 s22, s81, exec_lo
	s_or_b32 s78, s2, s20
	s_or_b32 s73, s21, s22
	s_and_b32 s20, s6, exec_lo
.LBB177_291:                            ;   in Loop: Header=BB177_31 Depth=1
	s_or_b32 exec_lo, exec_lo, s79
	s_orn2_b32 s6, s20, exec_lo
.LBB177_292:                            ;   in Loop: Header=BB177_31 Depth=1
	s_or_b32 exec_lo, exec_lo, s72
	s_mov_b32 s20, 0
	s_mov_b32 s21, 0
	s_and_saveexec_b32 s2, s6
	s_xor_b32 s2, exec_lo, s2
; %bb.293:                              ;   in Loop: Header=BB177_31 Depth=1
	v_cmp_ne_u32_e32 vcc_lo, 8, v2
	v_cmp_eq_u32_e64 s6, 8, v2
	s_and_b32 s21, vcc_lo, exec_lo
	s_and_b32 s20, s6, exec_lo
; %bb.294:                              ;   in Loop: Header=BB177_31 Depth=1
	s_or_b32 exec_lo, exec_lo, s2
	s_andn2_b32 s2, s75, exec_lo
	s_and_b32 s6, s78, exec_lo
	s_andn2_b32 s22, s74, exec_lo
	s_and_b32 s23, s73, exec_lo
	s_or_b32 s75, s2, s6
	s_or_b32 s74, s22, s23
	s_and_b32 s72, s21, exec_lo
	s_and_b32 s73, s20, exec_lo
.LBB177_295:                            ;   in Loop: Header=BB177_31 Depth=1
	s_or_b32 exec_lo, exec_lo, s77
.LBB177_296:                            ;   in Loop: Header=BB177_31 Depth=1
	s_and_b32 vcc_lo, exec_lo, s76
	s_cbranch_vccz .LBB177_312
; %bb.297:                              ;   in Loop: Header=BB177_31 Depth=1
	s_cmp_eq_u64 s[18:19], 1
	s_mov_b32 s6, -1
	s_cselect_b32 s2, -1, 0
                                        ; implicit-def: $sgpr27
	s_and_b32 s74, s2, s9
                                        ; implicit-def: $sgpr9
	s_and_saveexec_b32 s48, s74
	s_cbranch_execz .LBB177_330
; %bb.298:                              ;   in Loop: Header=BB177_31 Depth=1
	ds_read_b64 v[4:5], v3 offset:5120
	s_waitcnt lgkmcnt(0)
	s_barrier
	buffer_gl0_inv
	v_readfirstlane_b32 s20, v4
	v_readfirstlane_b32 s21, v5
	s_and_saveexec_b32 s2, s10
; %bb.299:                              ;   in Loop: Header=BB177_31 Depth=1
	ds_write_b16 v44, v3
; %bb.300:                              ;   in Loop: Header=BB177_31 Depth=1
	s_or_b32 exec_lo, exec_lo, s2
	v_or_b32_e32 v47, s11, v47
	v_or_b32_e32 v50, s11, v50
	s_mov_b32 s27, -1
	s_mov_b32 s9, 0
	s_cmp_eq_u64 s[20:21], 0
	s_mov_b32 s24, 0
	s_waitcnt lgkmcnt(0)
	s_barrier
	buffer_gl0_inv
                                        ; implicit-def: $vgpr51
	s_cbranch_scc1 .LBB177_315
; %bb.301:                              ;   in Loop: Header=BB177_31 Depth=1
	s_add_u32 s6, s20, s93
	s_addc_u32 s23, s21, s94
	s_mov_b32 s22, s61
	s_cmp_lg_u64 s[22:23], 0
	s_cbranch_scc0 .LBB177_356
; %bb.302:                              ;   in Loop: Header=BB177_31 Depth=1
	v_cvt_f32_u32_e32 v2, s33
	s_sub_u32 s24, 0, s33
	s_subb_u32 s25, 0, 0
	v_fmac_f32_e64 v2, 0x4f800000, 0
	v_rcp_f32_e32 v2, v2
	v_mul_f32_e32 v2, 0x5f7ffffc, v2
	v_mul_f32_e32 v4, 0x2f800000, v2
	v_trunc_f32_e32 v4, v4
	v_fmac_f32_e32 v2, 0xcf800000, v4
	v_cvt_u32_f32_e32 v4, v4
	v_cvt_u32_f32_e32 v2, v2
	v_readfirstlane_b32 s2, v4
	v_readfirstlane_b32 s22, v2
	s_mul_i32 s49, s24, s2
	s_mul_hi_u32 s62, s24, s22
	s_mul_i32 s60, s25, s22
	s_add_i32 s49, s62, s49
	s_mul_i32 s66, s24, s22
	s_add_i32 s49, s49, s60
	s_mul_hi_u32 s62, s22, s66
	s_mul_i32 s75, s22, s49
	s_mul_hi_u32 s67, s2, s66
	s_mul_i32 s60, s2, s66
	s_mul_hi_u32 s66, s22, s49
	s_add_u32 s62, s62, s75
	s_addc_u32 s66, 0, s66
	s_mul_hi_u32 s76, s2, s49
	s_add_u32 s60, s62, s60
	s_mul_i32 s49, s2, s49
	s_addc_u32 s60, s66, s67
	s_addc_u32 s62, s76, 0
	s_add_u32 s49, s60, s49
	s_addc_u32 s60, 0, s62
	s_add_u32 s22, s22, s49
	s_cselect_b32 s49, -1, 0
	s_mul_hi_u32 s62, s24, s22
	s_cmp_lg_u32 s49, 0
	s_mul_i32 s49, s24, s22
	s_addc_u32 s2, s2, s60
	s_mul_i32 s25, s25, s22
	s_mul_i32 s24, s24, s2
	s_mul_hi_u32 s60, s22, s49
	s_add_i32 s24, s62, s24
	s_mul_hi_u32 s62, s2, s49
	s_add_i32 s24, s24, s25
	s_mul_i32 s25, s2, s49
	s_mul_i32 s67, s22, s24
	s_mul_hi_u32 s66, s22, s24
	s_add_u32 s60, s60, s67
	s_addc_u32 s66, 0, s66
	s_mul_hi_u32 s49, s2, s24
	s_add_u32 s25, s60, s25
	s_mul_i32 s24, s2, s24
	s_addc_u32 s25, s66, s62
	s_addc_u32 s49, s49, 0
	s_add_u32 s24, s25, s24
	s_addc_u32 s25, 0, s49
	s_add_u32 s22, s22, s24
	s_cselect_b32 s24, -1, 0
	s_mul_hi_u32 s49, s6, s22
	s_cmp_lg_u32 s24, 0
	s_mul_hi_u32 s24, s23, s22
	s_addc_u32 s2, s2, s25
	s_mul_i32 s22, s23, s22
	s_mul_i32 s60, s6, s2
	s_mul_hi_u32 s25, s6, s2
	s_add_u32 s49, s49, s60
	s_addc_u32 s25, 0, s25
	s_mul_hi_u32 s62, s23, s2
	s_add_u32 s22, s49, s22
	s_mul_i32 s2, s23, s2
	s_addc_u32 s22, s25, s24
	s_addc_u32 s24, s62, 0
	s_add_u32 s2, s22, s2
	s_addc_u32 s22, 0, s24
	s_mul_hi_u32 s24, s33, s2
	s_mul_i32 s22, s33, s22
	s_mul_i32 s2, s33, s2
	s_add_i32 s24, s24, s22
	s_sub_u32 s2, s6, s2
	s_cselect_b32 s22, -1, 0
	s_cmp_lg_u32 s22, 0
	s_subb_u32 s22, s23, s24
	s_sub_u32 s24, s2, s33
	s_cselect_b32 s25, -1, 0
	s_cmp_lg_u32 s25, 0
	s_subb_u32 s25, s22, 0
	;; [unrolled: 4-line block ×3, first 2 shown]
	s_cmp_ge_u32 s24, s33
	s_cselect_b32 s62, -1, 0
	s_cmp_eq_u32 s25, 0
	s_cselect_b32 s62, s62, -1
	s_cmp_lg_u32 s62, 0
	s_cselect_b32 s25, s60, s25
	s_cselect_b32 s24, s49, s24
	s_cmp_ge_u32 s2, s33
	s_cselect_b32 s49, -1, 0
	s_cmp_eq_u32 s22, 0
	s_cselect_b32 s49, s49, -1
	s_cmp_lg_u32 s49, 0
	s_cselect_b32 s25, s25, s22
	s_cselect_b32 s24, s24, s2
	s_cbranch_execnz .LBB177_304
.LBB177_303:                            ;   in Loop: Header=BB177_31 Depth=1
	v_cvt_f32_u32_e32 v2, s33
	s_sub_i32 s22, 0, s33
	v_rcp_iflag_f32_e32 v2, v2
	v_mul_f32_e32 v2, 0x4f7ffffe, v2
	v_cvt_u32_f32_e32 v2, v2
	v_readfirstlane_b32 s2, v2
	s_mul_i32 s22, s22, s2
	s_mul_hi_u32 s22, s2, s22
	s_add_i32 s2, s2, s22
	s_mul_hi_u32 s2, s6, s2
	s_mul_i32 s2, s2, s33
	s_sub_i32 s2, s6, s2
	s_sub_i32 s22, s2, s33
	s_cmp_ge_u32 s2, s33
	s_cselect_b32 s2, s22, s2
	s_sub_i32 s22, s2, s33
	s_cmp_ge_u32 s2, s33
	s_cselect_b32 s60, s22, s2
	s_mov_b64 s[24:25], s[60:61]
.LBB177_304:                            ;   in Loop: Header=BB177_31 Depth=1
	s_sub_u32 s22, s6, s24
	s_subb_u32 s23, s23, s25
	s_mov_b32 s6, 0
	s_mov_b32 s24, 0
	s_mov_b32 s25, exec_lo
                                        ; implicit-def: $vgpr51
	v_cmpx_gt_u64_e64 s[22:23], v[0:1]
	s_cbranch_execz .LBB177_314
; %bb.305:                              ;   in Loop: Header=BB177_31 Depth=1
	v_mov_b32_e32 v5, v1
	v_mov_b32_e32 v2, v43
	;; [unrolled: 1-line block ×3, first 2 shown]
                                        ; implicit-def: $sgpr49
	s_inst_prefetch 0x1
	s_branch .LBB177_308
	.p2align	6
.LBB177_306:                            ;   in Loop: Header=BB177_308 Depth=2
	s_or_b32 exec_lo, exec_lo, s60
	s_waitcnt lgkmcnt(0)
	s_barrier
	buffer_gl0_inv
	ds_read_b32 v6, v3 offset:3072
	s_mov_b32 s2, -1
	s_waitcnt lgkmcnt(0)
	s_barrier
	buffer_gl0_inv
	v_cmp_ne_u32_sdwa s60, v6, v3 src0_sel:WORD_0 src1_sel:DWORD
	s_and_b32 vcc_lo, exec_lo, s60
	s_mov_b32 s60, -1
	s_cbranch_vccz .LBB177_311
.LBB177_307:                            ;   in Loop: Header=BB177_308 Depth=2
	s_and_b32 s2, exec_lo, s2
	s_or_b32 s24, s2, s24
	s_andn2_b32 s2, s49, exec_lo
	s_and_b32 s49, s60, exec_lo
	s_or_b32 s49, s2, s49
	s_andn2_b32 exec_lo, exec_lo, s24
	s_cbranch_execz .LBB177_313
.LBB177_308:                            ;   Parent Loop BB177_31 Depth=1
                                        ; =>  This Inner Loop Header: Depth=2
	s_mov_b32 s60, exec_lo
	v_cmpx_gt_u64_e64 s[20:21], v[4:5]
	s_cbranch_execz .LBB177_306
; %bb.309:                              ;   in Loop: Header=BB177_308 Depth=2
	ds_read_u16 v6, v2
	s_waitcnt lgkmcnt(0)
	v_add_nc_u32_sdwa v7, sext(v6), v49 dst_sel:DWORD dst_unused:UNUSED_PAD src0_sel:WORD_0 src1_sel:DWORD
	v_and_b32_e32 v7, v7, v50
	v_cmp_eq_u32_e32 vcc_lo, v7, v47
	s_and_b32 exec_lo, exec_lo, vcc_lo
	s_cbranch_execz .LBB177_306
; %bb.310:                              ;   in Loop: Header=BB177_308 Depth=2
	v_perm_b32 v6, v6, 1, 0x5040100
	ds_write_b32 v3, v6 offset:3072
	s_branch .LBB177_306
.LBB177_311:                            ;   in Loop: Header=BB177_308 Depth=2
	v_add_co_u32 v4, vcc_lo, v4, s33
	v_add_co_ci_u32_e64 v5, null, 0, v5, vcc_lo
	v_add_nc_u32_e32 v2, vcc_hi, v2
	s_mov_b32 s60, 0
	v_cmp_le_u64_e32 vcc_lo, s[22:23], v[4:5]
	s_orn2_b32 s2, vcc_lo, exec_lo
	s_branch .LBB177_307
.LBB177_312:                            ;   in Loop: Header=BB177_31 Depth=1
	v_mov_b32_e32 v47, v10
	v_mov_b32_e32 v50, v11
	;; [unrolled: 1-line block ×3, first 2 shown]
	s_mov_b32 s9, 0
	s_and_saveexec_b32 s2, s73
	s_cbranch_execnz .LBB177_489
	s_branch .LBB177_490
.LBB177_313:                            ;   in Loop: Header=BB177_31 Depth=1
	s_inst_prefetch 0x2
	s_or_b32 exec_lo, exec_lo, s24
	v_lshrrev_b32_e32 v51, 16, v6
	s_and_b32 s24, s49, exec_lo
.LBB177_314:                            ;   in Loop: Header=BB177_31 Depth=1
	s_or_b32 exec_lo, exec_lo, s25
.LBB177_315:                            ;   in Loop: Header=BB177_31 Depth=1
	s_and_b32 vcc_lo, exec_lo, s6
	s_cbranch_vccz .LBB177_329
; %bb.316:                              ;   in Loop: Header=BB177_31 Depth=1
	s_mov_b32 s62, s61
	s_cmp_lg_u64 s[62:63], 0
	s_cbranch_scc0 .LBB177_357
; %bb.317:                              ;   in Loop: Header=BB177_31 Depth=1
	v_cvt_f32_u32_e32 v2, s33
	s_sub_u32 s9, 0, s33
	s_subb_u32 s20, 0, 0
	v_fmac_f32_e64 v2, 0x4f800000, 0
	v_rcp_f32_e32 v2, v2
	v_mul_f32_e32 v2, 0x5f7ffffc, v2
	v_mul_f32_e32 v4, 0x2f800000, v2
	v_trunc_f32_e32 v4, v4
	v_fmac_f32_e32 v2, 0xcf800000, v4
	v_cvt_u32_f32_e32 v4, v4
	v_cvt_u32_f32_e32 v2, v2
	v_readfirstlane_b32 s2, v4
	v_readfirstlane_b32 s6, v2
	s_mul_i32 s21, s9, s2
	s_mul_hi_u32 s23, s9, s6
	s_mul_i32 s22, s20, s6
	s_add_i32 s21, s23, s21
	s_mul_i32 s25, s9, s6
	s_add_i32 s21, s21, s22
	s_mul_hi_u32 s23, s6, s25
	s_mul_i32 s49, s6, s21
	s_mul_hi_u32 s27, s2, s25
	s_mul_i32 s22, s2, s25
	s_mul_hi_u32 s25, s6, s21
	s_add_u32 s23, s23, s49
	s_addc_u32 s25, 0, s25
	s_mul_hi_u32 s60, s2, s21
	s_add_u32 s22, s23, s22
	s_mul_i32 s21, s2, s21
	s_addc_u32 s22, s25, s27
	s_addc_u32 s23, s60, 0
	s_add_u32 s21, s22, s21
	s_addc_u32 s22, 0, s23
	s_add_u32 s6, s6, s21
	s_cselect_b32 s21, -1, 0
	s_mul_hi_u32 s23, s9, s6
	s_cmp_lg_u32 s21, 0
	s_mul_i32 s21, s9, s6
	s_addc_u32 s2, s2, s22
	s_mul_i32 s20, s20, s6
	s_mul_i32 s9, s9, s2
	s_mul_hi_u32 s22, s6, s21
	s_add_i32 s9, s23, s9
	s_mul_hi_u32 s23, s2, s21
	s_add_i32 s9, s9, s20
	s_mul_i32 s20, s2, s21
	s_mul_i32 s27, s6, s9
	s_mul_hi_u32 s25, s6, s9
	s_add_u32 s22, s22, s27
	s_addc_u32 s25, 0, s25
	s_mul_hi_u32 s21, s2, s9
	s_add_u32 s20, s22, s20
	s_mul_i32 s9, s2, s9
	s_addc_u32 s20, s25, s23
	s_addc_u32 s21, s21, 0
	s_add_u32 s9, s20, s9
	s_addc_u32 s20, 0, s21
	s_add_u32 s6, s6, s9
	s_cselect_b32 s9, -1, 0
	s_mul_hi_u32 s21, s95, s6
	s_cmp_lg_u32 s9, 0
	s_mul_hi_u32 s9, s63, s6
	s_addc_u32 s2, s2, s20
	s_mul_i32 s6, s63, s6
	s_mul_i32 s22, s95, s2
	s_mul_hi_u32 s20, s95, s2
	s_add_u32 s21, s21, s22
	s_addc_u32 s20, 0, s20
	s_mul_hi_u32 s23, s63, s2
	s_add_u32 s6, s21, s6
	s_mul_i32 s2, s63, s2
	s_addc_u32 s6, s20, s9
	s_addc_u32 s9, s23, 0
	s_add_u32 s2, s6, s2
	s_addc_u32 s6, 0, s9
	s_mul_hi_u32 s9, s33, s2
	s_mul_i32 s6, s33, s6
	s_mul_i32 s2, s33, s2
	s_add_i32 s9, s9, s6
	s_sub_u32 s2, s95, s2
	s_cselect_b32 s6, -1, 0
	s_cmp_lg_u32 s6, 0
	s_subb_u32 s6, s63, s9
	s_sub_u32 s9, s2, s33
	s_cselect_b32 s20, -1, 0
	s_cmp_lg_u32 s20, 0
	s_subb_u32 s20, s6, 0
	s_sub_u32 s21, s9, s33
	s_cselect_b32 s22, -1, 0
	s_cmp_lg_u32 s22, 0
	s_subb_u32 s22, s20, 0
	s_cmp_ge_u32 s9, s33
	s_cselect_b32 s23, -1, 0
	s_cmp_eq_u32 s20, 0
	s_cselect_b32 s23, s23, -1
	s_cmp_lg_u32 s23, 0
	s_cselect_b32 s20, s22, s20
	s_cselect_b32 s9, s21, s9
	s_cmp_ge_u32 s2, s33
	s_cselect_b32 s21, -1, 0
	s_cmp_eq_u32 s6, 0
	s_cselect_b32 s21, s21, -1
	s_cmp_lg_u32 s21, 0
	s_cselect_b32 s21, s20, s6
	s_cselect_b32 s20, s9, s2
	s_cbranch_execnz .LBB177_319
.LBB177_318:                            ;   in Loop: Header=BB177_31 Depth=1
	v_cvt_f32_u32_e32 v2, s33
	s_sub_i32 s6, 0, s33
	v_rcp_iflag_f32_e32 v2, v2
	v_mul_f32_e32 v2, 0x4f7ffffe, v2
	v_cvt_u32_f32_e32 v2, v2
	v_readfirstlane_b32 s2, v2
	s_mul_i32 s6, s6, s2
	s_mul_hi_u32 s6, s2, s6
	s_add_i32 s2, s2, s6
	s_mul_hi_u32 s2, s95, s2
	s_mul_i32 s2, s2, s33
	s_sub_i32 s2, s95, s2
	s_sub_i32 s6, s2, s33
	s_cmp_ge_u32 s2, s33
	s_cselect_b32 s2, s6, s2
	s_sub_i32 s6, s2, s33
	s_cmp_ge_u32 s2, s33
	s_cselect_b32 s60, s6, s2
	s_mov_b64 s[20:21], s[60:61]
.LBB177_319:                            ;   in Loop: Header=BB177_31 Depth=1
	s_sub_u32 s20, s95, s20
	s_subb_u32 s21, s63, s21
	s_mov_b32 s9, exec_lo
                                        ; implicit-def: $vgpr51
	v_cmpx_gt_u64_e64 s[20:21], v[0:1]
	s_cbranch_execz .LBB177_328
; %bb.320:                              ;   in Loop: Header=BB177_31 Depth=1
	v_mov_b32_e32 v4, v27
	v_mov_b32_e32 v7, v1
	;; [unrolled: 1-line block ×4, first 2 shown]
	s_mov_b32 s22, 0
                                        ; implicit-def: $sgpr23
	s_inst_prefetch 0x1
	s_branch .LBB177_323
	.p2align	6
.LBB177_321:                            ;   in Loop: Header=BB177_323 Depth=2
	s_or_b32 exec_lo, exec_lo, s6
	s_waitcnt lgkmcnt(0)
	s_barrier
	buffer_gl0_inv
	ds_read_b32 v2, v3 offset:3072
	s_mov_b32 s2, -1
	s_waitcnt lgkmcnt(0)
	s_barrier
	buffer_gl0_inv
	v_cmp_ne_u32_sdwa s6, v2, v3 src0_sel:WORD_0 src1_sel:DWORD
	s_and_b32 vcc_lo, exec_lo, s6
	s_mov_b32 s6, -1
	s_cbranch_vccz .LBB177_326
.LBB177_322:                            ;   in Loop: Header=BB177_323 Depth=2
	s_and_b32 s2, exec_lo, s2
	s_or_b32 s22, s2, s22
	s_andn2_b32 s2, s23, exec_lo
	s_and_b32 s6, s6, exec_lo
	s_or_b32 s23, s2, s6
	s_andn2_b32 exec_lo, exec_lo, s22
	s_cbranch_execz .LBB177_327
.LBB177_323:                            ;   Parent Loop BB177_31 Depth=1
                                        ; =>  This Inner Loop Header: Depth=2
	s_mov_b32 s6, exec_lo
	v_cmpx_gt_u64_e64 s[36:37], v[6:7]
	s_cbranch_execz .LBB177_321
; %bb.324:                              ;   in Loop: Header=BB177_323 Depth=2
	global_load_ushort v2, v[4:5], off
	s_waitcnt vmcnt(0)
	v_add_nc_u32_sdwa v8, sext(v2), v49 dst_sel:DWORD dst_unused:UNUSED_PAD src0_sel:WORD_0 src1_sel:DWORD
	v_and_b32_e32 v8, v8, v50
	v_cmp_eq_u32_e32 vcc_lo, v8, v47
	s_and_b32 exec_lo, exec_lo, vcc_lo
	s_cbranch_execz .LBB177_321
; %bb.325:                              ;   in Loop: Header=BB177_323 Depth=2
	v_perm_b32 v2, v2, 1, 0x5040100
	ds_write_b32 v3, v2 offset:3072
	s_branch .LBB177_321
.LBB177_326:                            ;   in Loop: Header=BB177_323 Depth=2
	v_add_co_u32 v6, vcc_lo, v6, s33
	v_add_co_ci_u32_e64 v7, null, 0, v7, vcc_lo
	v_add_co_u32 v4, s6, v4, s44
	v_add_co_ci_u32_e64 v5, null, s45, v5, s6
	v_cmp_le_u64_e32 vcc_lo, s[20:21], v[6:7]
	s_mov_b32 s6, 0
	s_orn2_b32 s2, vcc_lo, exec_lo
	s_branch .LBB177_322
.LBB177_327:                            ;   in Loop: Header=BB177_31 Depth=1
	s_inst_prefetch 0x2
	s_or_b32 exec_lo, exec_lo, s22
	v_lshrrev_b32_e32 v51, 16, v2
	s_andn2_b32 s2, s24, exec_lo
	s_and_b32 s6, s23, exec_lo
	s_or_b32 s24, s2, s6
.LBB177_328:                            ;   in Loop: Header=BB177_31 Depth=1
	s_or_b32 exec_lo, exec_lo, s9
	s_mov_b32 s27, 0
	s_mov_b32 s9, -1
.LBB177_329:                            ;   in Loop: Header=BB177_31 Depth=1
	s_orn2_b32 s6, s24, exec_lo
.LBB177_330:                            ;   in Loop: Header=BB177_31 Depth=1
	s_or_b32 exec_lo, exec_lo, s48
                                        ; implicit-def: $vgpr4_vgpr5
                                        ; implicit-def: $vgpr2
	s_and_saveexec_b32 s24, s6
	s_cbranch_execz .LBB177_488
; %bb.331:                              ;   in Loop: Header=BB177_31 Depth=1
	v_mov_b32_e32 v4, 1
	v_mov_b32_e32 v5, 0
	;; [unrolled: 1-line block ×3, first 2 shown]
	s_xor_b32 s2, s74, -1
	s_mov_b32 s20, 0
	s_and_saveexec_b32 s6, s2
	s_cbranch_execz .LBB177_340
; %bb.332:                              ;   in Loop: Header=BB177_31 Depth=1
	s_mov_b32 s2, exec_lo
	v_cmpx_ge_u64_e64 s[18:19], v[29:30]
	s_xor_b32 s20, exec_lo, s2
	s_cbranch_execz .LBB177_337
; %bb.333:                              ;   in Loop: Header=BB177_31 Depth=1
	ds_read_b64 v[4:5], v3 offset:5120
	v_or_b32_e32 v47, s11, v47
	v_or_b32_e32 v50, s11, v50
	s_waitcnt lgkmcnt(0)
	v_cmp_ne_u64_e32 vcc_lo, 0, v[4:5]
	s_cbranch_vccnz .LBB177_337
; %bb.334:                              ;   in Loop: Header=BB177_31 Depth=1
	s_and_saveexec_b32 s2, s3
; %bb.335:                              ;   in Loop: Header=BB177_31 Depth=1
	v_mov_b32_e32 v4, s18
	v_mov_b32_e32 v5, s19
	ds_write_b64 v3, v[4:5] offset:5128
; %bb.336:                              ;   in Loop: Header=BB177_31 Depth=1
	s_or_b32 exec_lo, exec_lo, s2
	s_waitcnt lgkmcnt(0)
	s_barrier
	buffer_gl0_inv
.LBB177_337:                            ;   in Loop: Header=BB177_31 Depth=1
	s_or_saveexec_b32 s20, s20
	v_mov_b32_e32 v2, 5
	s_mov_b32 s21, 0
	s_xor_b32 exec_lo, exec_lo, s20
; %bb.338:                              ;   in Loop: Header=BB177_31 Depth=1
	v_sub_co_u32 v29, vcc_lo, v29, s18
	v_subrev_co_ci_u32_e64 v30, null, s19, v30, vcc_lo
	v_mov_b32_e32 v2, 0
	s_mov_b32 s21, exec_lo
; %bb.339:                              ;   in Loop: Header=BB177_31 Depth=1
	s_or_b32 exec_lo, exec_lo, s20
	v_mov_b32_e32 v4, v29
	v_mov_b32_e32 v5, v30
	s_and_b32 s20, s21, exec_lo
.LBB177_340:                            ;   in Loop: Header=BB177_31 Depth=1
	s_or_b32 exec_lo, exec_lo, s6
	s_mov_b32 s6, -1
                                        ; implicit-def: $sgpr74
                                        ; implicit-def: $sgpr75
	s_and_saveexec_b32 s2, s20
	s_xor_b32 s25, exec_lo, s2
	s_cbranch_execz .LBB177_485
; %bb.341:                              ;   in Loop: Header=BB177_31 Depth=1
	v_cmp_eq_u64_e32 vcc_lo, 1, v[4:5]
	s_cmp_eq_u64 s[16:17], 1
                                        ; implicit-def: $sgpr75
                                        ; implicit-def: $sgpr74
	s_cselect_b32 s2, -1, 0
	s_and_b32 s76, s2, vcc_lo
	s_and_saveexec_b32 s48, s76
	s_cbranch_execz .LBB177_375
; %bb.342:                              ;   in Loop: Header=BB177_31 Depth=1
	ds_read_b64 v[6:7], v3 offset:5120
	s_waitcnt lgkmcnt(0)
	s_barrier
	buffer_gl0_inv
	v_readfirstlane_b32 s18, v6
	v_readfirstlane_b32 s19, v7
	s_and_saveexec_b32 s2, s10
; %bb.343:                              ;   in Loop: Header=BB177_31 Depth=1
	ds_write_b16 v44, v3
; %bb.344:                              ;   in Loop: Header=BB177_31 Depth=1
	s_or_b32 exec_lo, exec_lo, s2
	s_lshl_b32 s2, 2, s56
	v_or_b32_e32 v50, s11, v50
	v_and_or_b32 v47, v47, s26, s2
	s_mov_b32 s74, -1
	s_mov_b32 s75, 0
	s_cmp_eq_u64 s[18:19], 0
	s_mov_b32 s22, 0
	s_waitcnt lgkmcnt(0)
	s_barrier
	buffer_gl0_inv
                                        ; implicit-def: $vgpr51
	s_cbranch_scc1 .LBB177_360
; %bb.345:                              ;   in Loop: Header=BB177_31 Depth=1
	s_add_u32 s6, s18, s93
	s_addc_u32 s21, s19, s94
	s_mov_b32 s20, s61
	s_cmp_lg_u64 s[20:21], 0
	s_cbranch_scc0 .LBB177_401
; %bb.346:                              ;   in Loop: Header=BB177_31 Depth=1
	v_cvt_f32_u32_e32 v6, s33
	s_sub_u32 s22, 0, s33
	s_subb_u32 s23, 0, 0
	v_fmac_f32_e64 v6, 0x4f800000, 0
	v_rcp_f32_e32 v6, v6
	v_mul_f32_e32 v6, 0x5f7ffffc, v6
	v_mul_f32_e32 v7, 0x2f800000, v6
	v_trunc_f32_e32 v7, v7
	v_fmac_f32_e32 v6, 0xcf800000, v7
	v_cvt_u32_f32_e32 v7, v7
	v_cvt_u32_f32_e32 v6, v6
	v_readfirstlane_b32 s2, v7
	v_readfirstlane_b32 s20, v6
	s_mul_i32 s49, s22, s2
	s_mul_hi_u32 s62, s22, s20
	s_mul_i32 s60, s23, s20
	s_add_i32 s49, s62, s49
	s_mul_i32 s66, s22, s20
	s_add_i32 s49, s49, s60
	s_mul_hi_u32 s62, s20, s66
	s_mul_i32 s77, s20, s49
	s_mul_hi_u32 s67, s2, s66
	s_mul_i32 s60, s2, s66
	s_mul_hi_u32 s66, s20, s49
	s_add_u32 s62, s62, s77
	s_addc_u32 s66, 0, s66
	s_mul_hi_u32 s78, s2, s49
	s_add_u32 s60, s62, s60
	s_mul_i32 s49, s2, s49
	s_addc_u32 s60, s66, s67
	s_addc_u32 s62, s78, 0
	s_add_u32 s49, s60, s49
	s_addc_u32 s60, 0, s62
	s_add_u32 s20, s20, s49
	s_cselect_b32 s49, -1, 0
	s_mul_hi_u32 s62, s22, s20
	s_cmp_lg_u32 s49, 0
	s_mul_i32 s49, s22, s20
	s_addc_u32 s2, s2, s60
	s_mul_i32 s23, s23, s20
	s_mul_i32 s22, s22, s2
	s_mul_hi_u32 s60, s20, s49
	s_add_i32 s22, s62, s22
	s_mul_hi_u32 s62, s2, s49
	s_add_i32 s22, s22, s23
	s_mul_i32 s23, s2, s49
	s_mul_i32 s67, s20, s22
	s_mul_hi_u32 s66, s20, s22
	s_add_u32 s60, s60, s67
	s_addc_u32 s66, 0, s66
	s_mul_hi_u32 s49, s2, s22
	s_add_u32 s23, s60, s23
	s_mul_i32 s22, s2, s22
	s_addc_u32 s23, s66, s62
	s_addc_u32 s49, s49, 0
	s_add_u32 s22, s23, s22
	s_addc_u32 s23, 0, s49
	s_add_u32 s20, s20, s22
	s_cselect_b32 s22, -1, 0
	s_mul_hi_u32 s49, s6, s20
	s_cmp_lg_u32 s22, 0
	s_mul_hi_u32 s22, s21, s20
	s_addc_u32 s2, s2, s23
	s_mul_i32 s20, s21, s20
	s_mul_i32 s60, s6, s2
	s_mul_hi_u32 s23, s6, s2
	s_add_u32 s49, s49, s60
	s_addc_u32 s23, 0, s23
	s_mul_hi_u32 s62, s21, s2
	s_add_u32 s20, s49, s20
	s_mul_i32 s2, s21, s2
	s_addc_u32 s20, s23, s22
	s_addc_u32 s22, s62, 0
	s_add_u32 s2, s20, s2
	s_addc_u32 s20, 0, s22
	s_mul_hi_u32 s22, s33, s2
	s_mul_i32 s20, s33, s20
	s_mul_i32 s2, s33, s2
	s_add_i32 s22, s22, s20
	s_sub_u32 s2, s6, s2
	s_cselect_b32 s20, -1, 0
	s_cmp_lg_u32 s20, 0
	s_subb_u32 s20, s21, s22
	s_sub_u32 s22, s2, s33
	s_cselect_b32 s23, -1, 0
	s_cmp_lg_u32 s23, 0
	s_subb_u32 s23, s20, 0
	;; [unrolled: 4-line block ×3, first 2 shown]
	s_cmp_ge_u32 s22, s33
	s_cselect_b32 s62, -1, 0
	s_cmp_eq_u32 s23, 0
	s_cselect_b32 s62, s62, -1
	s_cmp_lg_u32 s62, 0
	s_cselect_b32 s23, s60, s23
	s_cselect_b32 s22, s49, s22
	s_cmp_ge_u32 s2, s33
	s_cselect_b32 s49, -1, 0
	s_cmp_eq_u32 s20, 0
	s_cselect_b32 s49, s49, -1
	s_cmp_lg_u32 s49, 0
	s_cselect_b32 s23, s23, s20
	s_cselect_b32 s22, s22, s2
	s_cbranch_execnz .LBB177_348
.LBB177_347:                            ;   in Loop: Header=BB177_31 Depth=1
	v_cvt_f32_u32_e32 v6, s33
	s_sub_i32 s20, 0, s33
	v_rcp_iflag_f32_e32 v6, v6
	v_mul_f32_e32 v6, 0x4f7ffffe, v6
	v_cvt_u32_f32_e32 v6, v6
	v_readfirstlane_b32 s2, v6
	s_mul_i32 s20, s20, s2
	s_mul_hi_u32 s20, s2, s20
	s_add_i32 s2, s2, s20
	s_mul_hi_u32 s2, s6, s2
	s_mul_i32 s2, s2, s33
	s_sub_i32 s2, s6, s2
	s_sub_i32 s20, s2, s33
	s_cmp_ge_u32 s2, s33
	s_cselect_b32 s2, s20, s2
	s_sub_i32 s20, s2, s33
	s_cmp_ge_u32 s2, s33
	s_cselect_b32 s60, s20, s2
	s_mov_b64 s[22:23], s[60:61]
.LBB177_348:                            ;   in Loop: Header=BB177_31 Depth=1
	s_sub_u32 s20, s6, s22
	s_subb_u32 s21, s21, s23
	s_mov_b32 s6, 0
	s_mov_b32 s22, 0
	s_mov_b32 s23, exec_lo
                                        ; implicit-def: $vgpr51
	v_cmpx_gt_u64_e64 s[20:21], v[0:1]
	s_cbranch_execz .LBB177_359
; %bb.349:                              ;   in Loop: Header=BB177_31 Depth=1
	v_mov_b32_e32 v7, v1
	v_mov_b32_e32 v8, v43
	;; [unrolled: 1-line block ×3, first 2 shown]
                                        ; implicit-def: $sgpr49
	s_inst_prefetch 0x1
	s_branch .LBB177_352
	.p2align	6
.LBB177_350:                            ;   in Loop: Header=BB177_352 Depth=2
	s_or_b32 exec_lo, exec_lo, s60
	s_waitcnt lgkmcnt(0)
	s_barrier
	buffer_gl0_inv
	ds_read_b32 v9, v3 offset:3072
	s_mov_b32 s2, -1
	s_waitcnt lgkmcnt(0)
	s_barrier
	buffer_gl0_inv
	v_cmp_ne_u32_sdwa s60, v9, v3 src0_sel:WORD_0 src1_sel:DWORD
	s_and_b32 vcc_lo, exec_lo, s60
	s_mov_b32 s60, -1
	s_cbranch_vccz .LBB177_355
.LBB177_351:                            ;   in Loop: Header=BB177_352 Depth=2
	s_and_b32 s2, exec_lo, s2
	s_or_b32 s22, s2, s22
	s_andn2_b32 s2, s49, exec_lo
	s_and_b32 s49, s60, exec_lo
	s_or_b32 s49, s2, s49
	s_andn2_b32 exec_lo, exec_lo, s22
	s_cbranch_execz .LBB177_358
.LBB177_352:                            ;   Parent Loop BB177_31 Depth=1
                                        ; =>  This Inner Loop Header: Depth=2
	s_mov_b32 s60, exec_lo
	v_cmpx_gt_u64_e64 s[18:19], v[6:7]
	s_cbranch_execz .LBB177_350
; %bb.353:                              ;   in Loop: Header=BB177_352 Depth=2
	ds_read_u16 v9, v8
	s_waitcnt lgkmcnt(0)
	v_add_nc_u32_sdwa v10, sext(v9), v49 dst_sel:DWORD dst_unused:UNUSED_PAD src0_sel:WORD_0 src1_sel:DWORD
	v_and_b32_e32 v10, v10, v50
	v_cmp_eq_u32_e32 vcc_lo, v10, v47
	s_and_b32 exec_lo, exec_lo, vcc_lo
	s_cbranch_execz .LBB177_350
; %bb.354:                              ;   in Loop: Header=BB177_352 Depth=2
	v_perm_b32 v9, v9, 1, 0x5040100
	ds_write_b32 v3, v9 offset:3072
	s_branch .LBB177_350
.LBB177_355:                            ;   in Loop: Header=BB177_352 Depth=2
	v_add_co_u32 v6, vcc_lo, v6, s33
	v_add_co_ci_u32_e64 v7, null, 0, v7, vcc_lo
	v_add_nc_u32_e32 v8, vcc_hi, v8
	s_mov_b32 s60, 0
	v_cmp_le_u64_e32 vcc_lo, s[20:21], v[6:7]
	s_orn2_b32 s2, vcc_lo, exec_lo
	s_branch .LBB177_351
.LBB177_356:                            ;   in Loop: Header=BB177_31 Depth=1
                                        ; implicit-def: $sgpr24_sgpr25
	s_branch .LBB177_303
.LBB177_357:                            ;   in Loop: Header=BB177_31 Depth=1
                                        ; implicit-def: $sgpr20_sgpr21
	s_branch .LBB177_318
.LBB177_358:                            ;   in Loop: Header=BB177_31 Depth=1
	s_inst_prefetch 0x2
	s_or_b32 exec_lo, exec_lo, s22
	v_lshrrev_b32_e32 v51, 16, v9
	s_and_b32 s22, s49, exec_lo
.LBB177_359:                            ;   in Loop: Header=BB177_31 Depth=1
	s_or_b32 exec_lo, exec_lo, s23
.LBB177_360:                            ;   in Loop: Header=BB177_31 Depth=1
	s_and_b32 vcc_lo, exec_lo, s6
	s_cbranch_vccz .LBB177_374
; %bb.361:                              ;   in Loop: Header=BB177_31 Depth=1
	s_mov_b32 s62, s61
	s_cmp_lg_u64 s[62:63], 0
	s_cbranch_scc0 .LBB177_402
; %bb.362:                              ;   in Loop: Header=BB177_31 Depth=1
	v_cvt_f32_u32_e32 v6, s33
	s_sub_u32 s18, 0, s33
	s_subb_u32 s19, 0, 0
	v_fmac_f32_e64 v6, 0x4f800000, 0
	v_rcp_f32_e32 v6, v6
	v_mul_f32_e32 v6, 0x5f7ffffc, v6
	v_mul_f32_e32 v7, 0x2f800000, v6
	v_trunc_f32_e32 v7, v7
	v_fmac_f32_e32 v6, 0xcf800000, v7
	v_cvt_u32_f32_e32 v7, v7
	v_cvt_u32_f32_e32 v6, v6
	v_readfirstlane_b32 s2, v7
	v_readfirstlane_b32 s6, v6
	s_mul_i32 s20, s18, s2
	s_mul_hi_u32 s23, s18, s6
	s_mul_i32 s21, s19, s6
	s_add_i32 s20, s23, s20
	s_mul_i32 s49, s18, s6
	s_add_i32 s20, s20, s21
	s_mul_hi_u32 s23, s6, s49
	s_mul_i32 s62, s6, s20
	s_mul_hi_u32 s60, s2, s49
	s_mul_i32 s21, s2, s49
	s_mul_hi_u32 s49, s6, s20
	s_add_u32 s23, s23, s62
	s_addc_u32 s49, 0, s49
	s_mul_hi_u32 s66, s2, s20
	s_add_u32 s21, s23, s21
	s_mul_i32 s20, s2, s20
	s_addc_u32 s21, s49, s60
	s_addc_u32 s23, s66, 0
	s_add_u32 s20, s21, s20
	s_addc_u32 s21, 0, s23
	s_add_u32 s6, s6, s20
	s_cselect_b32 s20, -1, 0
	s_mul_hi_u32 s23, s18, s6
	s_cmp_lg_u32 s20, 0
	s_mul_i32 s20, s18, s6
	s_addc_u32 s2, s2, s21
	s_mul_i32 s19, s19, s6
	s_mul_i32 s18, s18, s2
	s_mul_hi_u32 s21, s6, s20
	s_add_i32 s18, s23, s18
	s_mul_hi_u32 s23, s2, s20
	s_add_i32 s18, s18, s19
	s_mul_i32 s19, s2, s20
	s_mul_i32 s60, s6, s18
	s_mul_hi_u32 s49, s6, s18
	s_add_u32 s21, s21, s60
	s_addc_u32 s49, 0, s49
	s_mul_hi_u32 s20, s2, s18
	s_add_u32 s19, s21, s19
	s_mul_i32 s18, s2, s18
	s_addc_u32 s19, s49, s23
	s_addc_u32 s20, s20, 0
	s_add_u32 s18, s19, s18
	s_addc_u32 s19, 0, s20
	s_add_u32 s6, s6, s18
	s_cselect_b32 s18, -1, 0
	s_mul_hi_u32 s20, s95, s6
	s_cmp_lg_u32 s18, 0
	s_mul_hi_u32 s18, s63, s6
	s_addc_u32 s2, s2, s19
	s_mul_i32 s6, s63, s6
	s_mul_i32 s21, s95, s2
	s_mul_hi_u32 s19, s95, s2
	s_add_u32 s20, s20, s21
	s_addc_u32 s19, 0, s19
	s_mul_hi_u32 s23, s63, s2
	s_add_u32 s6, s20, s6
	s_mul_i32 s2, s63, s2
	s_addc_u32 s6, s19, s18
	s_addc_u32 s18, s23, 0
	s_add_u32 s2, s6, s2
	s_addc_u32 s6, 0, s18
	s_mul_hi_u32 s18, s33, s2
	s_mul_i32 s6, s33, s6
	s_mul_i32 s2, s33, s2
	s_add_i32 s18, s18, s6
	s_sub_u32 s2, s95, s2
	s_cselect_b32 s6, -1, 0
	s_cmp_lg_u32 s6, 0
	s_subb_u32 s6, s63, s18
	s_sub_u32 s18, s2, s33
	s_cselect_b32 s19, -1, 0
	s_cmp_lg_u32 s19, 0
	s_subb_u32 s19, s6, 0
	;; [unrolled: 4-line block ×3, first 2 shown]
	s_cmp_ge_u32 s18, s33
	s_cselect_b32 s23, -1, 0
	s_cmp_eq_u32 s19, 0
	s_cselect_b32 s23, s23, -1
	s_cmp_lg_u32 s23, 0
	s_cselect_b32 s19, s21, s19
	s_cselect_b32 s18, s20, s18
	s_cmp_ge_u32 s2, s33
	s_cselect_b32 s20, -1, 0
	s_cmp_eq_u32 s6, 0
	s_cselect_b32 s20, s20, -1
	s_cmp_lg_u32 s20, 0
	s_cselect_b32 s19, s19, s6
	s_cselect_b32 s18, s18, s2
	s_cbranch_execnz .LBB177_364
.LBB177_363:                            ;   in Loop: Header=BB177_31 Depth=1
	v_cvt_f32_u32_e32 v6, s33
	s_sub_i32 s6, 0, s33
	v_rcp_iflag_f32_e32 v6, v6
	v_mul_f32_e32 v6, 0x4f7ffffe, v6
	v_cvt_u32_f32_e32 v6, v6
	v_readfirstlane_b32 s2, v6
	s_mul_i32 s6, s6, s2
	s_mul_hi_u32 s6, s2, s6
	s_add_i32 s2, s2, s6
	s_mul_hi_u32 s2, s95, s2
	s_mul_i32 s2, s2, s33
	s_sub_i32 s2, s95, s2
	s_sub_i32 s6, s2, s33
	s_cmp_ge_u32 s2, s33
	s_cselect_b32 s2, s6, s2
	s_sub_i32 s6, s2, s33
	s_cmp_ge_u32 s2, s33
	s_cselect_b32 s60, s6, s2
	s_mov_b64 s[18:19], s[60:61]
.LBB177_364:                            ;   in Loop: Header=BB177_31 Depth=1
	s_sub_u32 s18, s95, s18
	s_subb_u32 s19, s63, s19
	s_mov_b32 s20, exec_lo
                                        ; implicit-def: $vgpr51
	v_cmpx_gt_u64_e64 s[18:19], v[0:1]
	s_cbranch_execz .LBB177_373
; %bb.365:                              ;   in Loop: Header=BB177_31 Depth=1
	v_mov_b32_e32 v6, v27
	v_mov_b32_e32 v9, v1
	;; [unrolled: 1-line block ×4, first 2 shown]
	s_mov_b32 s21, 0
                                        ; implicit-def: $sgpr23
	s_inst_prefetch 0x1
	s_branch .LBB177_368
	.p2align	6
.LBB177_366:                            ;   in Loop: Header=BB177_368 Depth=2
	s_or_b32 exec_lo, exec_lo, s6
	s_waitcnt lgkmcnt(0)
	s_barrier
	buffer_gl0_inv
	ds_read_b32 v10, v3 offset:3072
	s_mov_b32 s2, -1
	s_waitcnt lgkmcnt(0)
	s_barrier
	buffer_gl0_inv
	v_cmp_eq_u32_sdwa s6, v10, v3 src0_sel:WORD_0 src1_sel:DWORD
	s_and_b32 vcc_lo, exec_lo, s6
	s_mov_b32 s6, -1
	s_cbranch_vccnz .LBB177_371
.LBB177_367:                            ;   in Loop: Header=BB177_368 Depth=2
	s_and_b32 s2, exec_lo, s2
	s_or_b32 s21, s2, s21
	s_andn2_b32 s2, s23, exec_lo
	s_and_b32 s6, s6, exec_lo
	s_or_b32 s23, s2, s6
	s_andn2_b32 exec_lo, exec_lo, s21
	s_cbranch_execz .LBB177_372
.LBB177_368:                            ;   Parent Loop BB177_31 Depth=1
                                        ; =>  This Inner Loop Header: Depth=2
	s_mov_b32 s6, exec_lo
	v_cmpx_gt_u64_e64 s[36:37], v[8:9]
	s_cbranch_execz .LBB177_366
; %bb.369:                              ;   in Loop: Header=BB177_368 Depth=2
	global_load_ushort v10, v[6:7], off
	s_waitcnt vmcnt(0)
	v_add_nc_u32_sdwa v11, sext(v10), v49 dst_sel:DWORD dst_unused:UNUSED_PAD src0_sel:WORD_0 src1_sel:DWORD
	v_and_b32_e32 v11, v11, v50
	v_cmp_eq_u32_e32 vcc_lo, v11, v47
	s_and_b32 exec_lo, exec_lo, vcc_lo
	s_cbranch_execz .LBB177_366
; %bb.370:                              ;   in Loop: Header=BB177_368 Depth=2
	v_perm_b32 v10, v10, 1, 0x5040100
	ds_write_b32 v3, v10 offset:3072
	s_branch .LBB177_366
.LBB177_371:                            ;   in Loop: Header=BB177_368 Depth=2
	v_add_co_u32 v8, vcc_lo, v8, s33
	v_add_co_ci_u32_e64 v9, null, 0, v9, vcc_lo
	v_add_co_u32 v6, s6, v6, s44
	v_add_co_ci_u32_e64 v7, null, s45, v7, s6
	v_cmp_le_u64_e32 vcc_lo, s[18:19], v[8:9]
	s_mov_b32 s6, 0
	s_orn2_b32 s2, vcc_lo, exec_lo
	s_branch .LBB177_367
.LBB177_372:                            ;   in Loop: Header=BB177_31 Depth=1
	s_inst_prefetch 0x2
	s_or_b32 exec_lo, exec_lo, s21
	v_lshrrev_b32_e32 v51, 16, v10
	s_andn2_b32 s2, s22, exec_lo
	s_and_b32 s6, s23, exec_lo
	s_or_b32 s22, s2, s6
.LBB177_373:                            ;   in Loop: Header=BB177_31 Depth=1
	s_or_b32 exec_lo, exec_lo, s20
	s_mov_b32 s74, 0
	s_mov_b32 s75, -1
.LBB177_374:                            ;   in Loop: Header=BB177_31 Depth=1
	s_orn2_b32 s6, s22, exec_lo
.LBB177_375:                            ;   in Loop: Header=BB177_31 Depth=1
	s_or_b32 exec_lo, exec_lo, s48
	s_mov_b32 s18, 0
	s_and_saveexec_b32 s22, s6
	s_cbranch_execz .LBB177_484
; %bb.376:                              ;   in Loop: Header=BB177_31 Depth=1
	v_mov_b32_e32 v6, 1
	v_mov_b32_e32 v7, 0
	;; [unrolled: 1-line block ×3, first 2 shown]
	s_xor_b32 s2, s76, -1
	s_and_saveexec_b32 s6, s2
	s_cbranch_execz .LBB177_385
; %bb.377:                              ;   in Loop: Header=BB177_31 Depth=1
	s_mov_b32 s2, exec_lo
	v_cmpx_ge_u64_e64 s[16:17], v[4:5]
	s_xor_b32 s18, exec_lo, s2
	s_cbranch_execz .LBB177_382
; %bb.378:                              ;   in Loop: Header=BB177_31 Depth=1
	ds_read_b64 v[6:7], v3 offset:5120
	s_lshl_b32 s2, 2, s56
	v_or_b32_e32 v50, s11, v50
	v_and_or_b32 v47, v47, s26, s2
	s_waitcnt lgkmcnt(0)
	v_cmp_ne_u64_e32 vcc_lo, 0, v[6:7]
	s_cbranch_vccnz .LBB177_382
; %bb.379:                              ;   in Loop: Header=BB177_31 Depth=1
	s_and_saveexec_b32 s2, s3
; %bb.380:                              ;   in Loop: Header=BB177_31 Depth=1
	v_mov_b32_e32 v6, s16
	v_mov_b32_e32 v7, s17
	ds_write_b64 v3, v[6:7] offset:5128
; %bb.381:                              ;   in Loop: Header=BB177_31 Depth=1
	s_or_b32 exec_lo, exec_lo, s2
	s_waitcnt lgkmcnt(0)
	s_barrier
	buffer_gl0_inv
.LBB177_382:                            ;   in Loop: Header=BB177_31 Depth=1
	s_or_saveexec_b32 s18, s18
	v_mov_b32_e32 v2, 5
	s_mov_b32 s19, 0
	s_xor_b32 exec_lo, exec_lo, s18
; %bb.383:                              ;   in Loop: Header=BB177_31 Depth=1
	v_sub_co_u32 v4, vcc_lo, v4, s16
	v_subrev_co_ci_u32_e64 v5, null, s17, v5, vcc_lo
	v_mov_b32_e32 v2, 0
	s_mov_b32 s19, exec_lo
; %bb.384:                              ;   in Loop: Header=BB177_31 Depth=1
	s_or_b32 exec_lo, exec_lo, s18
	v_mov_b32_e32 v7, v5
	v_mov_b32_e32 v6, v4
	s_and_b32 s18, s19, exec_lo
.LBB177_385:                            ;   in Loop: Header=BB177_31 Depth=1
	s_or_b32 exec_lo, exec_lo, s6
	s_mov_b32 s6, -1
                                        ; implicit-def: $sgpr76
                                        ; implicit-def: $sgpr77
	s_and_saveexec_b32 s23, s18
	s_cbranch_execz .LBB177_483
; %bb.386:                              ;   in Loop: Header=BB177_31 Depth=1
	v_cmp_eq_u64_e32 vcc_lo, 1, v[6:7]
	s_cmp_eq_u64 s[14:15], 1
                                        ; implicit-def: $sgpr77
                                        ; implicit-def: $sgpr76
	s_cselect_b32 s2, -1, 0
	s_and_b32 s78, s2, vcc_lo
	s_and_saveexec_b32 s79, s78
	s_cbranch_execz .LBB177_420
; %bb.387:                              ;   in Loop: Header=BB177_31 Depth=1
	ds_read_b64 v[4:5], v3 offset:5120
	s_waitcnt lgkmcnt(0)
	s_barrier
	buffer_gl0_inv
	v_readfirstlane_b32 s16, v4
	v_readfirstlane_b32 s17, v5
	s_and_saveexec_b32 s2, s10
; %bb.388:                              ;   in Loop: Header=BB177_31 Depth=1
	ds_write_b16 v44, v3
; %bb.389:                              ;   in Loop: Header=BB177_31 Depth=1
	s_or_b32 exec_lo, exec_lo, s2
	s_lshl_b32 s2, 1, s56
	v_or_b32_e32 v50, s11, v50
	v_and_or_b32 v47, v47, s26, s2
	s_mov_b32 s76, -1
	s_mov_b32 s77, 0
	s_cmp_eq_u64 s[16:17], 0
	s_mov_b32 s20, 0
	s_waitcnt lgkmcnt(0)
	s_barrier
	buffer_gl0_inv
                                        ; implicit-def: $vgpr51
	s_cbranch_scc1 .LBB177_405
; %bb.390:                              ;   in Loop: Header=BB177_31 Depth=1
	s_add_u32 s6, s16, s93
	s_addc_u32 s19, s17, s94
	s_mov_b32 s18, s61
	s_cmp_lg_u64 s[18:19], 0
	s_cbranch_scc0 .LBB177_437
; %bb.391:                              ;   in Loop: Header=BB177_31 Depth=1
	v_cvt_f32_u32_e32 v4, s33
	s_sub_u32 s20, 0, s33
	s_subb_u32 s21, 0, 0
	v_fmac_f32_e64 v4, 0x4f800000, 0
	v_rcp_f32_e32 v4, v4
	v_mul_f32_e32 v4, 0x5f7ffffc, v4
	v_mul_f32_e32 v5, 0x2f800000, v4
	v_trunc_f32_e32 v5, v5
	v_fmac_f32_e32 v4, 0xcf800000, v5
	v_cvt_u32_f32_e32 v5, v5
	v_cvt_u32_f32_e32 v4, v4
	v_readfirstlane_b32 s2, v5
	v_readfirstlane_b32 s18, v4
	s_mul_i32 s48, s20, s2
	s_mul_hi_u32 s60, s20, s18
	s_mul_i32 s49, s21, s18
	s_add_i32 s48, s60, s48
	s_mul_i32 s62, s20, s18
	s_add_i32 s48, s48, s49
	s_mul_hi_u32 s60, s18, s62
	s_mul_i32 s67, s18, s48
	s_mul_hi_u32 s66, s2, s62
	s_mul_i32 s49, s2, s62
	s_mul_hi_u32 s62, s18, s48
	s_add_u32 s60, s60, s67
	s_addc_u32 s62, 0, s62
	s_mul_hi_u32 s80, s2, s48
	s_add_u32 s49, s60, s49
	s_mul_i32 s48, s2, s48
	s_addc_u32 s49, s62, s66
	s_addc_u32 s60, s80, 0
	s_add_u32 s48, s49, s48
	s_addc_u32 s49, 0, s60
	s_add_u32 s18, s18, s48
	s_cselect_b32 s48, -1, 0
	s_mul_hi_u32 s60, s20, s18
	s_cmp_lg_u32 s48, 0
	s_mul_i32 s48, s20, s18
	s_addc_u32 s2, s2, s49
	s_mul_i32 s21, s21, s18
	s_mul_i32 s20, s20, s2
	s_mul_hi_u32 s49, s18, s48
	s_add_i32 s20, s60, s20
	s_mul_hi_u32 s60, s2, s48
	s_add_i32 s20, s20, s21
	s_mul_i32 s21, s2, s48
	s_mul_i32 s66, s18, s20
	s_mul_hi_u32 s62, s18, s20
	s_add_u32 s49, s49, s66
	s_addc_u32 s62, 0, s62
	s_mul_hi_u32 s48, s2, s20
	s_add_u32 s21, s49, s21
	s_mul_i32 s20, s2, s20
	s_addc_u32 s21, s62, s60
	s_addc_u32 s48, s48, 0
	s_add_u32 s20, s21, s20
	s_addc_u32 s21, 0, s48
	s_add_u32 s18, s18, s20
	s_cselect_b32 s20, -1, 0
	s_mul_hi_u32 s48, s6, s18
	s_cmp_lg_u32 s20, 0
	s_mul_hi_u32 s20, s19, s18
	s_addc_u32 s2, s2, s21
	s_mul_i32 s18, s19, s18
	s_mul_i32 s49, s6, s2
	s_mul_hi_u32 s21, s6, s2
	s_add_u32 s48, s48, s49
	s_addc_u32 s21, 0, s21
	s_mul_hi_u32 s60, s19, s2
	s_add_u32 s18, s48, s18
	s_mul_i32 s2, s19, s2
	s_addc_u32 s18, s21, s20
	s_addc_u32 s20, s60, 0
	s_add_u32 s2, s18, s2
	s_addc_u32 s18, 0, s20
	s_mul_hi_u32 s20, s33, s2
	s_mul_i32 s18, s33, s18
	s_mul_i32 s2, s33, s2
	s_add_i32 s20, s20, s18
	s_sub_u32 s2, s6, s2
	s_cselect_b32 s18, -1, 0
	s_cmp_lg_u32 s18, 0
	s_subb_u32 s18, s19, s20
	s_sub_u32 s20, s2, s33
	s_cselect_b32 s21, -1, 0
	s_cmp_lg_u32 s21, 0
	s_subb_u32 s21, s18, 0
	;; [unrolled: 4-line block ×3, first 2 shown]
	s_cmp_ge_u32 s20, s33
	s_cselect_b32 s60, -1, 0
	s_cmp_eq_u32 s21, 0
	s_cselect_b32 s60, s60, -1
	s_cmp_lg_u32 s60, 0
	s_cselect_b32 s21, s49, s21
	s_cselect_b32 s20, s48, s20
	s_cmp_ge_u32 s2, s33
	s_cselect_b32 s48, -1, 0
	s_cmp_eq_u32 s18, 0
	s_cselect_b32 s48, s48, -1
	s_cmp_lg_u32 s48, 0
	s_cselect_b32 s21, s21, s18
	s_cselect_b32 s20, s20, s2
	s_cbranch_execnz .LBB177_393
.LBB177_392:                            ;   in Loop: Header=BB177_31 Depth=1
	v_cvt_f32_u32_e32 v4, s33
	s_sub_i32 s18, 0, s33
	v_rcp_iflag_f32_e32 v4, v4
	v_mul_f32_e32 v4, 0x4f7ffffe, v4
	v_cvt_u32_f32_e32 v4, v4
	v_readfirstlane_b32 s2, v4
	s_mul_i32 s18, s18, s2
	s_mul_hi_u32 s18, s2, s18
	s_add_i32 s2, s2, s18
	s_mul_hi_u32 s2, s6, s2
	s_mul_i32 s2, s2, s33
	s_sub_i32 s2, s6, s2
	s_sub_i32 s18, s2, s33
	s_cmp_ge_u32 s2, s33
	s_cselect_b32 s2, s18, s2
	s_sub_i32 s18, s2, s33
	s_cmp_ge_u32 s2, s33
	s_cselect_b32 s60, s18, s2
	s_mov_b64 s[20:21], s[60:61]
.LBB177_393:                            ;   in Loop: Header=BB177_31 Depth=1
	s_sub_u32 s18, s6, s20
	s_subb_u32 s19, s19, s21
	s_mov_b32 s6, 0
	s_mov_b32 s20, 0
	s_mov_b32 s21, exec_lo
                                        ; implicit-def: $vgpr51
	v_cmpx_gt_u64_e64 s[18:19], v[0:1]
	s_cbranch_execz .LBB177_404
; %bb.394:                              ;   in Loop: Header=BB177_31 Depth=1
	v_mov_b32_e32 v5, v1
	v_mov_b32_e32 v8, v43
	;; [unrolled: 1-line block ×3, first 2 shown]
                                        ; implicit-def: $sgpr48
	s_inst_prefetch 0x1
	s_branch .LBB177_397
	.p2align	6
.LBB177_395:                            ;   in Loop: Header=BB177_397 Depth=2
	s_or_b32 exec_lo, exec_lo, s49
	s_waitcnt lgkmcnt(0)
	s_barrier
	buffer_gl0_inv
	ds_read_b32 v9, v3 offset:3072
	s_mov_b32 s2, -1
	s_waitcnt lgkmcnt(0)
	s_barrier
	buffer_gl0_inv
	v_cmp_ne_u32_sdwa s49, v9, v3 src0_sel:WORD_0 src1_sel:DWORD
	s_and_b32 vcc_lo, exec_lo, s49
	s_mov_b32 s49, -1
	s_cbranch_vccz .LBB177_400
.LBB177_396:                            ;   in Loop: Header=BB177_397 Depth=2
	s_and_b32 s2, exec_lo, s2
	s_or_b32 s20, s2, s20
	s_andn2_b32 s2, s48, exec_lo
	s_and_b32 s48, s49, exec_lo
	s_or_b32 s48, s2, s48
	s_andn2_b32 exec_lo, exec_lo, s20
	s_cbranch_execz .LBB177_403
.LBB177_397:                            ;   Parent Loop BB177_31 Depth=1
                                        ; =>  This Inner Loop Header: Depth=2
	s_mov_b32 s49, exec_lo
	v_cmpx_gt_u64_e64 s[16:17], v[4:5]
	s_cbranch_execz .LBB177_395
; %bb.398:                              ;   in Loop: Header=BB177_397 Depth=2
	ds_read_u16 v9, v8
	s_waitcnt lgkmcnt(0)
	v_add_nc_u32_sdwa v10, sext(v9), v49 dst_sel:DWORD dst_unused:UNUSED_PAD src0_sel:WORD_0 src1_sel:DWORD
	v_and_b32_e32 v10, v10, v50
	v_cmp_eq_u32_e32 vcc_lo, v10, v47
	s_and_b32 exec_lo, exec_lo, vcc_lo
	s_cbranch_execz .LBB177_395
; %bb.399:                              ;   in Loop: Header=BB177_397 Depth=2
	v_perm_b32 v9, v9, 1, 0x5040100
	ds_write_b32 v3, v9 offset:3072
	s_branch .LBB177_395
.LBB177_400:                            ;   in Loop: Header=BB177_397 Depth=2
	v_add_co_u32 v4, vcc_lo, v4, s33
	v_add_co_ci_u32_e64 v5, null, 0, v5, vcc_lo
	v_add_nc_u32_e32 v8, vcc_hi, v8
	s_mov_b32 s49, 0
	v_cmp_le_u64_e32 vcc_lo, s[18:19], v[4:5]
	s_orn2_b32 s2, vcc_lo, exec_lo
	s_branch .LBB177_396
.LBB177_401:                            ;   in Loop: Header=BB177_31 Depth=1
                                        ; implicit-def: $sgpr22_sgpr23
	s_branch .LBB177_347
.LBB177_402:                            ;   in Loop: Header=BB177_31 Depth=1
                                        ; implicit-def: $sgpr18_sgpr19
	s_branch .LBB177_363
.LBB177_403:                            ;   in Loop: Header=BB177_31 Depth=1
	s_inst_prefetch 0x2
	s_or_b32 exec_lo, exec_lo, s20
	v_lshrrev_b32_e32 v51, 16, v9
	s_and_b32 s20, s48, exec_lo
.LBB177_404:                            ;   in Loop: Header=BB177_31 Depth=1
	s_or_b32 exec_lo, exec_lo, s21
.LBB177_405:                            ;   in Loop: Header=BB177_31 Depth=1
	s_and_b32 vcc_lo, exec_lo, s6
	s_cbranch_vccz .LBB177_419
; %bb.406:                              ;   in Loop: Header=BB177_31 Depth=1
	s_mov_b32 s62, s61
	s_cmp_lg_u64 s[62:63], 0
	s_cbranch_scc0 .LBB177_438
; %bb.407:                              ;   in Loop: Header=BB177_31 Depth=1
	v_cvt_f32_u32_e32 v4, s33
	s_sub_u32 s16, 0, s33
	s_subb_u32 s17, 0, 0
	v_fmac_f32_e64 v4, 0x4f800000, 0
	v_rcp_f32_e32 v4, v4
	v_mul_f32_e32 v4, 0x5f7ffffc, v4
	v_mul_f32_e32 v5, 0x2f800000, v4
	v_trunc_f32_e32 v5, v5
	v_fmac_f32_e32 v4, 0xcf800000, v5
	v_cvt_u32_f32_e32 v5, v5
	v_cvt_u32_f32_e32 v4, v4
	v_readfirstlane_b32 s2, v5
	v_readfirstlane_b32 s6, v4
	s_mul_i32 s18, s16, s2
	s_mul_hi_u32 s21, s16, s6
	s_mul_i32 s19, s17, s6
	s_add_i32 s18, s21, s18
	s_mul_i32 s48, s16, s6
	s_add_i32 s18, s18, s19
	s_mul_hi_u32 s21, s6, s48
	s_mul_i32 s60, s6, s18
	s_mul_hi_u32 s49, s2, s48
	s_mul_i32 s19, s2, s48
	s_mul_hi_u32 s48, s6, s18
	s_add_u32 s21, s21, s60
	s_addc_u32 s48, 0, s48
	s_mul_hi_u32 s62, s2, s18
	s_add_u32 s19, s21, s19
	s_mul_i32 s18, s2, s18
	s_addc_u32 s19, s48, s49
	s_addc_u32 s21, s62, 0
	s_add_u32 s18, s19, s18
	s_addc_u32 s19, 0, s21
	s_add_u32 s6, s6, s18
	s_cselect_b32 s18, -1, 0
	s_mul_hi_u32 s21, s16, s6
	s_cmp_lg_u32 s18, 0
	s_mul_i32 s18, s16, s6
	s_addc_u32 s2, s2, s19
	s_mul_i32 s17, s17, s6
	s_mul_i32 s16, s16, s2
	s_mul_hi_u32 s19, s6, s18
	s_add_i32 s16, s21, s16
	s_mul_hi_u32 s21, s2, s18
	s_add_i32 s16, s16, s17
	s_mul_i32 s17, s2, s18
	s_mul_i32 s49, s6, s16
	s_mul_hi_u32 s48, s6, s16
	s_add_u32 s19, s19, s49
	s_addc_u32 s48, 0, s48
	s_mul_hi_u32 s18, s2, s16
	s_add_u32 s17, s19, s17
	s_mul_i32 s16, s2, s16
	s_addc_u32 s17, s48, s21
	s_addc_u32 s18, s18, 0
	s_add_u32 s16, s17, s16
	s_addc_u32 s17, 0, s18
	s_add_u32 s6, s6, s16
	s_cselect_b32 s16, -1, 0
	s_mul_hi_u32 s18, s95, s6
	s_cmp_lg_u32 s16, 0
	s_mul_hi_u32 s16, s63, s6
	s_addc_u32 s2, s2, s17
	s_mul_i32 s6, s63, s6
	s_mul_i32 s19, s95, s2
	s_mul_hi_u32 s17, s95, s2
	s_add_u32 s18, s18, s19
	s_addc_u32 s17, 0, s17
	s_mul_hi_u32 s21, s63, s2
	s_add_u32 s6, s18, s6
	s_mul_i32 s2, s63, s2
	s_addc_u32 s6, s17, s16
	s_addc_u32 s16, s21, 0
	s_add_u32 s2, s6, s2
	s_addc_u32 s6, 0, s16
	s_mul_hi_u32 s16, s33, s2
	s_mul_i32 s6, s33, s6
	s_mul_i32 s2, s33, s2
	s_add_i32 s16, s16, s6
	s_sub_u32 s2, s95, s2
	s_cselect_b32 s6, -1, 0
	s_cmp_lg_u32 s6, 0
	s_subb_u32 s6, s63, s16
	s_sub_u32 s16, s2, s33
	s_cselect_b32 s17, -1, 0
	s_cmp_lg_u32 s17, 0
	s_subb_u32 s17, s6, 0
	;; [unrolled: 4-line block ×3, first 2 shown]
	s_cmp_ge_u32 s16, s33
	s_cselect_b32 s21, -1, 0
	s_cmp_eq_u32 s17, 0
	s_cselect_b32 s21, s21, -1
	s_cmp_lg_u32 s21, 0
	s_cselect_b32 s17, s19, s17
	s_cselect_b32 s16, s18, s16
	s_cmp_ge_u32 s2, s33
	s_cselect_b32 s18, -1, 0
	s_cmp_eq_u32 s6, 0
	s_cselect_b32 s18, s18, -1
	s_cmp_lg_u32 s18, 0
	s_cselect_b32 s17, s17, s6
	s_cselect_b32 s16, s16, s2
	s_cbranch_execnz .LBB177_409
.LBB177_408:                            ;   in Loop: Header=BB177_31 Depth=1
	v_cvt_f32_u32_e32 v4, s33
	s_sub_i32 s6, 0, s33
	v_rcp_iflag_f32_e32 v4, v4
	v_mul_f32_e32 v4, 0x4f7ffffe, v4
	v_cvt_u32_f32_e32 v4, v4
	v_readfirstlane_b32 s2, v4
	s_mul_i32 s6, s6, s2
	s_mul_hi_u32 s6, s2, s6
	s_add_i32 s2, s2, s6
	s_mul_hi_u32 s2, s95, s2
	s_mul_i32 s2, s2, s33
	s_sub_i32 s2, s95, s2
	s_sub_i32 s6, s2, s33
	s_cmp_ge_u32 s2, s33
	s_cselect_b32 s2, s6, s2
	s_sub_i32 s6, s2, s33
	s_cmp_ge_u32 s2, s33
	s_cselect_b32 s60, s6, s2
	s_mov_b64 s[16:17], s[60:61]
.LBB177_409:                            ;   in Loop: Header=BB177_31 Depth=1
	s_sub_u32 s16, s95, s16
	s_subb_u32 s17, s63, s17
	s_mov_b32 s18, exec_lo
                                        ; implicit-def: $vgpr51
	v_cmpx_gt_u64_e64 s[16:17], v[0:1]
	s_cbranch_execz .LBB177_418
; %bb.410:                              ;   in Loop: Header=BB177_31 Depth=1
	v_mov_b32_e32 v4, v27
	v_mov_b32_e32 v9, v1
	;; [unrolled: 1-line block ×4, first 2 shown]
	s_mov_b32 s19, 0
                                        ; implicit-def: $sgpr21
	s_inst_prefetch 0x1
	s_branch .LBB177_413
	.p2align	6
.LBB177_411:                            ;   in Loop: Header=BB177_413 Depth=2
	s_or_b32 exec_lo, exec_lo, s6
	s_waitcnt lgkmcnt(0)
	s_barrier
	buffer_gl0_inv
	ds_read_b32 v10, v3 offset:3072
	s_mov_b32 s2, -1
	s_waitcnt lgkmcnt(0)
	s_barrier
	buffer_gl0_inv
	v_cmp_eq_u32_sdwa s6, v10, v3 src0_sel:WORD_0 src1_sel:DWORD
	s_and_b32 vcc_lo, exec_lo, s6
	s_mov_b32 s6, -1
	s_cbranch_vccnz .LBB177_416
.LBB177_412:                            ;   in Loop: Header=BB177_413 Depth=2
	s_and_b32 s2, exec_lo, s2
	s_or_b32 s19, s2, s19
	s_andn2_b32 s2, s21, exec_lo
	s_and_b32 s6, s6, exec_lo
	s_or_b32 s21, s2, s6
	s_andn2_b32 exec_lo, exec_lo, s19
	s_cbranch_execz .LBB177_417
.LBB177_413:                            ;   Parent Loop BB177_31 Depth=1
                                        ; =>  This Inner Loop Header: Depth=2
	s_mov_b32 s6, exec_lo
	v_cmpx_gt_u64_e64 s[36:37], v[8:9]
	s_cbranch_execz .LBB177_411
; %bb.414:                              ;   in Loop: Header=BB177_413 Depth=2
	global_load_ushort v10, v[4:5], off
	s_waitcnt vmcnt(0)
	v_add_nc_u32_sdwa v11, sext(v10), v49 dst_sel:DWORD dst_unused:UNUSED_PAD src0_sel:WORD_0 src1_sel:DWORD
	v_and_b32_e32 v11, v11, v50
	v_cmp_eq_u32_e32 vcc_lo, v11, v47
	s_and_b32 exec_lo, exec_lo, vcc_lo
	s_cbranch_execz .LBB177_411
; %bb.415:                              ;   in Loop: Header=BB177_413 Depth=2
	v_perm_b32 v10, v10, 1, 0x5040100
	ds_write_b32 v3, v10 offset:3072
	s_branch .LBB177_411
.LBB177_416:                            ;   in Loop: Header=BB177_413 Depth=2
	v_add_co_u32 v8, vcc_lo, v8, s33
	v_add_co_ci_u32_e64 v9, null, 0, v9, vcc_lo
	v_add_co_u32 v4, s6, v4, s44
	v_add_co_ci_u32_e64 v5, null, s45, v5, s6
	v_cmp_le_u64_e32 vcc_lo, s[16:17], v[8:9]
	s_mov_b32 s6, 0
	s_orn2_b32 s2, vcc_lo, exec_lo
	s_branch .LBB177_412
.LBB177_417:                            ;   in Loop: Header=BB177_31 Depth=1
	s_inst_prefetch 0x2
	s_or_b32 exec_lo, exec_lo, s19
	v_lshrrev_b32_e32 v51, 16, v10
	s_andn2_b32 s2, s20, exec_lo
	s_and_b32 s6, s21, exec_lo
	s_or_b32 s20, s2, s6
.LBB177_418:                            ;   in Loop: Header=BB177_31 Depth=1
	s_or_b32 exec_lo, exec_lo, s18
	s_mov_b32 s76, 0
	s_mov_b32 s77, -1
.LBB177_419:                            ;   in Loop: Header=BB177_31 Depth=1
	s_orn2_b32 s6, s20, exec_lo
.LBB177_420:                            ;   in Loop: Header=BB177_31 Depth=1
	s_or_b32 exec_lo, exec_lo, s79
	s_mov_b32 s16, 0
	s_and_saveexec_b32 s20, s6
	s_cbranch_execz .LBB177_482
; %bb.421:                              ;   in Loop: Header=BB177_31 Depth=1
	v_mov_b32_e32 v4, 1
	v_mov_b32_e32 v5, 0
	;; [unrolled: 1-line block ×3, first 2 shown]
	s_xor_b32 s2, s78, -1
	s_and_saveexec_b32 s6, s2
	s_cbranch_execz .LBB177_430
; %bb.422:                              ;   in Loop: Header=BB177_31 Depth=1
	s_mov_b32 s2, exec_lo
	v_cmpx_ge_u64_e64 s[14:15], v[6:7]
	s_xor_b32 s16, exec_lo, s2
	s_cbranch_execz .LBB177_427
; %bb.423:                              ;   in Loop: Header=BB177_31 Depth=1
	ds_read_b64 v[4:5], v3 offset:5120
	s_lshl_b32 s2, 1, s56
	v_or_b32_e32 v50, s11, v50
	v_and_or_b32 v47, v47, s26, s2
	s_waitcnt lgkmcnt(0)
	v_cmp_ne_u64_e32 vcc_lo, 0, v[4:5]
	s_cbranch_vccnz .LBB177_427
; %bb.424:                              ;   in Loop: Header=BB177_31 Depth=1
	s_and_saveexec_b32 s2, s3
; %bb.425:                              ;   in Loop: Header=BB177_31 Depth=1
	v_mov_b32_e32 v4, s14
	v_mov_b32_e32 v5, s15
	ds_write_b64 v3, v[4:5] offset:5128
; %bb.426:                              ;   in Loop: Header=BB177_31 Depth=1
	s_or_b32 exec_lo, exec_lo, s2
	s_waitcnt lgkmcnt(0)
	s_barrier
	buffer_gl0_inv
.LBB177_427:                            ;   in Loop: Header=BB177_31 Depth=1
	s_or_saveexec_b32 s16, s16
	v_mov_b32_e32 v2, 5
	s_mov_b32 s17, 0
	s_xor_b32 exec_lo, exec_lo, s16
; %bb.428:                              ;   in Loop: Header=BB177_31 Depth=1
	v_sub_co_u32 v6, vcc_lo, v6, s14
	v_subrev_co_ci_u32_e64 v7, null, s15, v7, vcc_lo
	v_mov_b32_e32 v2, 0
	s_mov_b32 s17, exec_lo
; %bb.429:                              ;   in Loop: Header=BB177_31 Depth=1
	s_or_b32 exec_lo, exec_lo, s16
	v_mov_b32_e32 v4, v6
	v_mov_b32_e32 v5, v7
	s_and_b32 s16, s17, exec_lo
.LBB177_430:                            ;   in Loop: Header=BB177_31 Depth=1
	s_or_b32 exec_lo, exec_lo, s6
	s_mov_b32 s14, -1
                                        ; implicit-def: $sgpr49
                                        ; implicit-def: $sgpr6
	s_and_saveexec_b32 s21, s16
	s_cbranch_execz .LBB177_481
; %bb.431:                              ;   in Loop: Header=BB177_31 Depth=1
	v_cmp_eq_u64_e32 vcc_lo, 1, v[4:5]
	s_cmp_eq_u64 s[12:13], 1
	s_mov_b32 s15, -1
	s_cselect_b32 s2, -1, 0
                                        ; implicit-def: $sgpr49
                                        ; implicit-def: $sgpr6
	s_and_b32 s78, s2, vcc_lo
	s_and_saveexec_b32 s48, s78
	s_cbranch_execz .LBB177_469
; %bb.432:                              ;   in Loop: Header=BB177_31 Depth=1
	ds_read_b64 v[6:7], v3 offset:5120
	s_waitcnt lgkmcnt(0)
	s_barrier
	buffer_gl0_inv
	v_readfirstlane_b32 s14, v6
	v_readfirstlane_b32 s15, v7
	s_and_saveexec_b32 s2, s10
; %bb.433:                              ;   in Loop: Header=BB177_31 Depth=1
	ds_write_b16 v44, v3
; %bb.434:                              ;   in Loop: Header=BB177_31 Depth=1
	s_or_b32 exec_lo, exec_lo, s2
	v_and_b32_e32 v47, s26, v47
	v_or_b32_e32 v50, s11, v50
	s_mov_b32 s6, -1
	s_mov_b32 s49, 0
	s_cmp_eq_u64 s[14:15], 0
	s_mov_b32 s18, 0
	s_mov_b32 s19, -1
	s_waitcnt lgkmcnt(0)
	s_barrier
	buffer_gl0_inv
                                        ; implicit-def: $vgpr51
	s_cbranch_scc1 .LBB177_452
; %bb.435:                              ;   in Loop: Header=BB177_31 Depth=1
	s_add_u32 s62, s14, s93
	s_addc_u32 s17, s15, s94
	s_mov_b32 s16, s61
	s_cmp_lg_u64 s[16:17], 0
	s_cbranch_scc0 .LBB177_439
; %bb.436:                              ;   in Loop: Header=BB177_31 Depth=1
	v_cvt_f32_u32_e32 v6, s33
	s_sub_u32 s18, 0, s33
	s_subb_u32 s19, 0, 0
	v_fmac_f32_e64 v6, 0x4f800000, 0
	v_rcp_f32_e32 v6, v6
	v_mul_f32_e32 v6, 0x5f7ffffc, v6
	v_mul_f32_e32 v7, 0x2f800000, v6
	v_trunc_f32_e32 v7, v7
	v_fmac_f32_e32 v6, 0xcf800000, v7
	v_cvt_u32_f32_e32 v7, v7
	v_cvt_u32_f32_e32 v6, v6
	v_readfirstlane_b32 s2, v7
	v_readfirstlane_b32 s16, v6
	s_mul_i32 s60, s18, s2
	s_mul_hi_u32 s67, s18, s16
	s_mul_i32 s66, s19, s16
	s_add_i32 s60, s67, s60
	s_mul_i32 s79, s18, s16
	s_add_i32 s60, s60, s66
	s_mul_hi_u32 s67, s16, s79
	s_mul_i32 s81, s16, s60
	s_mul_hi_u32 s80, s2, s79
	s_mul_i32 s66, s2, s79
	s_mul_hi_u32 s79, s16, s60
	s_add_u32 s67, s67, s81
	s_addc_u32 s79, 0, s79
	s_mul_hi_u32 s82, s2, s60
	s_add_u32 s66, s67, s66
	s_mul_i32 s60, s2, s60
	s_addc_u32 s66, s79, s80
	s_addc_u32 s67, s82, 0
	s_add_u32 s60, s66, s60
	s_addc_u32 s66, 0, s67
	s_add_u32 s16, s16, s60
	s_cselect_b32 s60, -1, 0
	s_mul_hi_u32 s67, s18, s16
	s_cmp_lg_u32 s60, 0
	s_mul_i32 s60, s18, s16
	s_addc_u32 s2, s2, s66
	s_mul_i32 s19, s19, s16
	s_mul_i32 s18, s18, s2
	s_mul_hi_u32 s66, s16, s60
	s_add_i32 s18, s67, s18
	s_mul_hi_u32 s67, s2, s60
	s_add_i32 s18, s18, s19
	s_mul_i32 s19, s2, s60
	s_mul_i32 s80, s16, s18
	s_mul_hi_u32 s79, s16, s18
	s_add_u32 s66, s66, s80
	s_addc_u32 s79, 0, s79
	s_mul_hi_u32 s60, s2, s18
	s_add_u32 s19, s66, s19
	s_mul_i32 s18, s2, s18
	s_addc_u32 s19, s79, s67
	s_addc_u32 s60, s60, 0
	s_add_u32 s18, s19, s18
	s_addc_u32 s19, 0, s60
	s_add_u32 s16, s16, s18
	s_cselect_b32 s18, -1, 0
	s_mul_hi_u32 s60, s62, s16
	s_cmp_lg_u32 s18, 0
	s_mul_hi_u32 s18, s17, s16
	s_addc_u32 s2, s2, s19
	s_mul_i32 s16, s17, s16
	s_mul_i32 s66, s62, s2
	s_mul_hi_u32 s19, s62, s2
	s_add_u32 s60, s60, s66
	s_addc_u32 s19, 0, s19
	s_mul_hi_u32 s67, s17, s2
	s_add_u32 s16, s60, s16
	s_mul_i32 s2, s17, s2
	s_addc_u32 s16, s19, s18
	s_addc_u32 s18, s67, 0
	s_add_u32 s2, s16, s2
	s_addc_u32 s16, 0, s18
	s_mul_hi_u32 s18, s33, s2
	s_mul_i32 s16, s33, s16
	s_mul_i32 s2, s33, s2
	s_add_i32 s18, s18, s16
	s_sub_u32 s2, s62, s2
	s_cselect_b32 s16, -1, 0
	s_cmp_lg_u32 s16, 0
	s_subb_u32 s16, s17, s18
	s_sub_u32 s18, s2, s33
	s_cselect_b32 s19, -1, 0
	s_cmp_lg_u32 s19, 0
	s_subb_u32 s19, s16, 0
	;; [unrolled: 4-line block ×3, first 2 shown]
	s_cmp_ge_u32 s18, s33
	s_cselect_b32 s67, -1, 0
	s_cmp_eq_u32 s19, 0
	s_cselect_b32 s67, s67, -1
	s_cmp_lg_u32 s67, 0
	s_cselect_b32 s19, s66, s19
	s_cselect_b32 s18, s60, s18
	s_cmp_ge_u32 s2, s33
	s_cselect_b32 s60, -1, 0
	s_cmp_eq_u32 s16, 0
	s_cselect_b32 s60, s60, -1
	s_cmp_lg_u32 s60, 0
	s_cselect_b32 s19, s19, s16
	s_cselect_b32 s18, s18, s2
	s_mov_b32 s2, 0
	s_branch .LBB177_440
.LBB177_437:                            ;   in Loop: Header=BB177_31 Depth=1
                                        ; implicit-def: $sgpr20_sgpr21
	s_branch .LBB177_392
.LBB177_438:                            ;   in Loop: Header=BB177_31 Depth=1
                                        ; implicit-def: $sgpr16_sgpr17
	s_branch .LBB177_408
.LBB177_439:                            ;   in Loop: Header=BB177_31 Depth=1
	s_mov_b32 s2, -1
                                        ; implicit-def: $sgpr18_sgpr19
.LBB177_440:                            ;   in Loop: Header=BB177_31 Depth=1
	s_andn2_b32 vcc_lo, exec_lo, s2
	s_cbranch_vccnz .LBB177_442
; %bb.441:                              ;   in Loop: Header=BB177_31 Depth=1
	v_cvt_f32_u32_e32 v6, s33
	s_sub_i32 s16, 0, s33
	v_rcp_iflag_f32_e32 v6, v6
	v_mul_f32_e32 v6, 0x4f7ffffe, v6
	v_cvt_u32_f32_e32 v6, v6
	v_readfirstlane_b32 s2, v6
	s_mul_i32 s16, s16, s2
	s_mul_hi_u32 s16, s2, s16
	s_add_i32 s2, s2, s16
	s_mul_hi_u32 s2, s62, s2
	s_mul_i32 s2, s2, s33
	s_sub_i32 s2, s62, s2
	s_sub_i32 s16, s2, s33
	s_cmp_ge_u32 s2, s33
	s_cselect_b32 s2, s16, s2
	s_sub_i32 s16, s2, s33
	s_cmp_ge_u32 s2, s33
	s_cselect_b32 s60, s16, s2
	s_mov_b64 s[18:19], s[60:61]
.LBB177_442:                            ;   in Loop: Header=BB177_31 Depth=1
	s_sub_u32 s16, s62, s18
	s_subb_u32 s17, s17, s19
	s_mov_b32 s19, 0
	s_mov_b32 s18, 0
	s_mov_b32 s60, exec_lo
                                        ; implicit-def: $vgpr51
	v_cmpx_gt_u64_e64 s[16:17], v[0:1]
	s_cbranch_execz .LBB177_451
; %bb.443:                              ;   in Loop: Header=BB177_31 Depth=1
	v_mov_b32_e32 v7, v1
	v_mov_b32_e32 v8, v43
	;; [unrolled: 1-line block ×3, first 2 shown]
                                        ; implicit-def: $sgpr62
	s_inst_prefetch 0x1
	s_branch .LBB177_446
	.p2align	6
.LBB177_444:                            ;   in Loop: Header=BB177_446 Depth=2
	s_or_b32 exec_lo, exec_lo, s79
	s_waitcnt lgkmcnt(0)
	s_barrier
	buffer_gl0_inv
	ds_read_b32 v9, v3 offset:3072
	s_mov_b32 s2, -1
	s_waitcnt lgkmcnt(0)
	s_barrier
	buffer_gl0_inv
	v_cmp_ne_u32_sdwa s66, v9, v3 src0_sel:WORD_0 src1_sel:DWORD
	s_and_b32 vcc_lo, exec_lo, s66
	s_mov_b32 s66, -1
	s_cbranch_vccz .LBB177_449
.LBB177_445:                            ;   in Loop: Header=BB177_446 Depth=2
	s_and_b32 s2, exec_lo, s2
	s_or_b32 s18, s2, s18
	s_andn2_b32 s2, s62, exec_lo
	s_and_b32 s62, s66, exec_lo
	s_or_b32 s62, s2, s62
	s_andn2_b32 exec_lo, exec_lo, s18
	s_cbranch_execz .LBB177_450
.LBB177_446:                            ;   Parent Loop BB177_31 Depth=1
                                        ; =>  This Inner Loop Header: Depth=2
	s_mov_b32 s79, exec_lo
	v_cmpx_gt_u64_e64 s[14:15], v[6:7]
	s_cbranch_execz .LBB177_444
; %bb.447:                              ;   in Loop: Header=BB177_446 Depth=2
	ds_read_u16 v9, v8
	s_waitcnt lgkmcnt(0)
	v_add_nc_u32_sdwa v10, sext(v9), v49 dst_sel:DWORD dst_unused:UNUSED_PAD src0_sel:WORD_0 src1_sel:DWORD
	v_and_b32_e32 v10, v10, v50
	v_cmp_eq_u32_e32 vcc_lo, v10, v47
	s_and_b32 exec_lo, exec_lo, vcc_lo
	s_cbranch_execz .LBB177_444
; %bb.448:                              ;   in Loop: Header=BB177_446 Depth=2
	v_perm_b32 v9, v9, 1, 0x5040100
	ds_write_b32 v3, v9 offset:3072
	s_branch .LBB177_444
.LBB177_449:                            ;   in Loop: Header=BB177_446 Depth=2
	v_add_co_u32 v6, vcc_lo, v6, s33
	v_add_co_ci_u32_e64 v7, null, 0, v7, vcc_lo
	v_add_nc_u32_e32 v8, vcc_hi, v8
	s_mov_b32 s66, 0
	v_cmp_le_u64_e32 vcc_lo, s[16:17], v[6:7]
	s_orn2_b32 s2, vcc_lo, exec_lo
	s_branch .LBB177_445
.LBB177_450:                            ;   in Loop: Header=BB177_31 Depth=1
	s_inst_prefetch 0x2
	s_or_b32 exec_lo, exec_lo, s18
	v_lshrrev_b32_e32 v51, 16, v9
	s_and_b32 s18, s62, exec_lo
.LBB177_451:                            ;   in Loop: Header=BB177_31 Depth=1
	s_or_b32 exec_lo, exec_lo, s60
.LBB177_452:                            ;   in Loop: Header=BB177_31 Depth=1
	s_and_b32 vcc_lo, exec_lo, s19
	s_cbranch_vccz .LBB177_468
; %bb.453:                              ;   in Loop: Header=BB177_31 Depth=1
	s_mov_b32 s62, s61
	s_cmp_lg_u64 s[62:63], 0
	s_cbranch_scc0 .LBB177_455
; %bb.454:                              ;   in Loop: Header=BB177_31 Depth=1
	v_cvt_f32_u32_e32 v6, s33
	s_sub_u32 s14, 0, s33
	s_subb_u32 s15, 0, 0
	v_fmac_f32_e64 v6, 0x4f800000, 0
	v_rcp_f32_e32 v6, v6
	v_mul_f32_e32 v6, 0x5f7ffffc, v6
	v_mul_f32_e32 v7, 0x2f800000, v6
	v_trunc_f32_e32 v7, v7
	v_fmac_f32_e32 v6, 0xcf800000, v7
	v_cvt_u32_f32_e32 v7, v7
	v_cvt_u32_f32_e32 v6, v6
	v_readfirstlane_b32 s2, v7
	v_readfirstlane_b32 s6, v6
	s_mul_i32 s16, s14, s2
	s_mul_hi_u32 s19, s14, s6
	s_mul_i32 s17, s15, s6
	s_add_i32 s16, s19, s16
	s_mul_i32 s49, s14, s6
	s_add_i32 s16, s16, s17
	s_mul_hi_u32 s19, s6, s49
	s_mul_i32 s62, s6, s16
	s_mul_hi_u32 s60, s2, s49
	s_mul_i32 s17, s2, s49
	s_mul_hi_u32 s49, s6, s16
	s_add_u32 s19, s19, s62
	s_addc_u32 s49, 0, s49
	s_mul_hi_u32 s66, s2, s16
	s_add_u32 s17, s19, s17
	s_mul_i32 s16, s2, s16
	s_addc_u32 s17, s49, s60
	s_addc_u32 s19, s66, 0
	s_add_u32 s16, s17, s16
	s_addc_u32 s17, 0, s19
	s_add_u32 s6, s6, s16
	s_cselect_b32 s16, -1, 0
	s_mul_hi_u32 s19, s14, s6
	s_cmp_lg_u32 s16, 0
	s_mul_i32 s16, s14, s6
	s_addc_u32 s2, s2, s17
	s_mul_i32 s15, s15, s6
	s_mul_i32 s14, s14, s2
	s_mul_hi_u32 s17, s6, s16
	s_add_i32 s14, s19, s14
	s_mul_hi_u32 s19, s2, s16
	s_add_i32 s14, s14, s15
	s_mul_i32 s15, s2, s16
	s_mul_i32 s60, s6, s14
	s_mul_hi_u32 s49, s6, s14
	s_add_u32 s17, s17, s60
	s_addc_u32 s49, 0, s49
	s_mul_hi_u32 s16, s2, s14
	s_add_u32 s15, s17, s15
	s_mul_i32 s14, s2, s14
	s_addc_u32 s15, s49, s19
	s_addc_u32 s16, s16, 0
	s_add_u32 s14, s15, s14
	s_addc_u32 s15, 0, s16
	s_add_u32 s6, s6, s14
	s_cselect_b32 s14, -1, 0
	s_mul_hi_u32 s16, s95, s6
	s_cmp_lg_u32 s14, 0
	s_mul_hi_u32 s14, s63, s6
	s_addc_u32 s2, s2, s15
	s_mul_i32 s6, s63, s6
	s_mul_i32 s17, s95, s2
	s_mul_hi_u32 s15, s95, s2
	s_add_u32 s16, s16, s17
	s_addc_u32 s15, 0, s15
	s_mul_hi_u32 s19, s63, s2
	s_add_u32 s6, s16, s6
	s_mul_i32 s2, s63, s2
	s_addc_u32 s6, s15, s14
	s_addc_u32 s14, s19, 0
	s_add_u32 s2, s6, s2
	s_addc_u32 s6, 0, s14
	s_mul_hi_u32 s14, s33, s2
	s_mul_i32 s6, s33, s6
	s_mul_i32 s2, s33, s2
	s_add_i32 s14, s14, s6
	s_sub_u32 s2, s95, s2
	s_cselect_b32 s6, -1, 0
	s_cmp_lg_u32 s6, 0
	s_subb_u32 s6, s63, s14
	s_sub_u32 s14, s2, s33
	s_cselect_b32 s15, -1, 0
	s_cmp_lg_u32 s15, 0
	s_subb_u32 s15, s6, 0
	;; [unrolled: 4-line block ×3, first 2 shown]
	s_cmp_ge_u32 s14, s33
	s_cselect_b32 s19, -1, 0
	s_cmp_eq_u32 s15, 0
	s_cselect_b32 s19, s19, -1
	s_cmp_lg_u32 s19, 0
	s_cselect_b32 s15, s17, s15
	s_cselect_b32 s14, s16, s14
	s_cmp_ge_u32 s2, s33
	s_cselect_b32 s16, -1, 0
	s_cmp_eq_u32 s6, 0
	s_cselect_b32 s16, s16, -1
	s_cmp_lg_u32 s16, 0
	s_cselect_b32 s15, s15, s6
	s_cselect_b32 s14, s14, s2
	s_mov_b32 s2, 0
	s_branch .LBB177_456
.LBB177_455:                            ;   in Loop: Header=BB177_31 Depth=1
	s_mov_b32 s2, -1
                                        ; implicit-def: $sgpr14_sgpr15
.LBB177_456:                            ;   in Loop: Header=BB177_31 Depth=1
	s_andn2_b32 vcc_lo, exec_lo, s2
	s_cbranch_vccnz .LBB177_458
; %bb.457:                              ;   in Loop: Header=BB177_31 Depth=1
	v_cvt_f32_u32_e32 v6, s33
	s_sub_i32 s6, 0, s33
	v_rcp_iflag_f32_e32 v6, v6
	v_mul_f32_e32 v6, 0x4f7ffffe, v6
	v_cvt_u32_f32_e32 v6, v6
	v_readfirstlane_b32 s2, v6
	s_mul_i32 s6, s6, s2
	s_mul_hi_u32 s6, s2, s6
	s_add_i32 s2, s2, s6
	s_mul_hi_u32 s2, s95, s2
	s_mul_i32 s2, s2, s33
	s_sub_i32 s2, s95, s2
	s_sub_i32 s6, s2, s33
	s_cmp_ge_u32 s2, s33
	s_cselect_b32 s2, s6, s2
	s_sub_i32 s6, s2, s33
	s_cmp_ge_u32 s2, s33
	s_cselect_b32 s60, s6, s2
	s_mov_b64 s[14:15], s[60:61]
.LBB177_458:                            ;   in Loop: Header=BB177_31 Depth=1
	s_sub_u32 s14, s95, s14
	s_subb_u32 s15, s63, s15
	s_mov_b32 s16, exec_lo
                                        ; implicit-def: $vgpr51
	v_cmpx_gt_u64_e64 s[14:15], v[0:1]
	s_cbranch_execz .LBB177_467
; %bb.459:                              ;   in Loop: Header=BB177_31 Depth=1
	v_mov_b32_e32 v6, v27
	v_mov_b32_e32 v9, v1
	v_mov_b32_e32 v7, v28
	v_mov_b32_e32 v8, v0
	s_mov_b32 s17, 0
                                        ; implicit-def: $sgpr19
	s_inst_prefetch 0x1
	s_branch .LBB177_462
	.p2align	6
.LBB177_460:                            ;   in Loop: Header=BB177_462 Depth=2
	s_or_b32 exec_lo, exec_lo, s6
	s_waitcnt lgkmcnt(0)
	s_barrier
	buffer_gl0_inv
	ds_read_b32 v10, v3 offset:3072
	s_mov_b32 s2, -1
	s_waitcnt lgkmcnt(0)
	s_barrier
	buffer_gl0_inv
	v_cmp_eq_u32_sdwa s6, v10, v3 src0_sel:WORD_0 src1_sel:DWORD
	s_and_b32 vcc_lo, exec_lo, s6
	s_mov_b32 s6, -1
	s_cbranch_vccnz .LBB177_465
.LBB177_461:                            ;   in Loop: Header=BB177_462 Depth=2
	s_and_b32 s2, exec_lo, s2
	s_or_b32 s17, s2, s17
	s_andn2_b32 s2, s19, exec_lo
	s_and_b32 s6, s6, exec_lo
	s_or_b32 s19, s2, s6
	s_andn2_b32 exec_lo, exec_lo, s17
	s_cbranch_execz .LBB177_466
.LBB177_462:                            ;   Parent Loop BB177_31 Depth=1
                                        ; =>  This Inner Loop Header: Depth=2
	s_mov_b32 s6, exec_lo
	v_cmpx_gt_u64_e64 s[36:37], v[8:9]
	s_cbranch_execz .LBB177_460
; %bb.463:                              ;   in Loop: Header=BB177_462 Depth=2
	global_load_ushort v10, v[6:7], off
	s_waitcnt vmcnt(0)
	v_add_nc_u32_sdwa v11, sext(v10), v49 dst_sel:DWORD dst_unused:UNUSED_PAD src0_sel:WORD_0 src1_sel:DWORD
	v_and_b32_e32 v11, v11, v50
	v_cmp_eq_u32_e32 vcc_lo, v11, v47
	s_and_b32 exec_lo, exec_lo, vcc_lo
	s_cbranch_execz .LBB177_460
; %bb.464:                              ;   in Loop: Header=BB177_462 Depth=2
	v_perm_b32 v10, v10, 1, 0x5040100
	ds_write_b32 v3, v10 offset:3072
	s_branch .LBB177_460
.LBB177_465:                            ;   in Loop: Header=BB177_462 Depth=2
	v_add_co_u32 v8, vcc_lo, v8, s33
	v_add_co_ci_u32_e64 v9, null, 0, v9, vcc_lo
	v_add_co_u32 v6, s6, v6, s44
	v_add_co_ci_u32_e64 v7, null, s45, v7, s6
	v_cmp_le_u64_e32 vcc_lo, s[14:15], v[8:9]
	s_mov_b32 s6, 0
	s_orn2_b32 s2, vcc_lo, exec_lo
	s_branch .LBB177_461
.LBB177_466:                            ;   in Loop: Header=BB177_31 Depth=1
	s_inst_prefetch 0x2
	s_or_b32 exec_lo, exec_lo, s17
	v_lshrrev_b32_e32 v51, 16, v10
	s_andn2_b32 s2, s18, exec_lo
	s_and_b32 s6, s19, exec_lo
	s_or_b32 s18, s2, s6
.LBB177_467:                            ;   in Loop: Header=BB177_31 Depth=1
	s_or_b32 exec_lo, exec_lo, s16
	s_mov_b32 s6, 0
	s_mov_b32 s49, -1
.LBB177_468:                            ;   in Loop: Header=BB177_31 Depth=1
	s_orn2_b32 s15, s18, exec_lo
.LBB177_469:                            ;   in Loop: Header=BB177_31 Depth=1
	s_or_b32 exec_lo, exec_lo, s48
	s_mov_b32 s16, 0
	s_and_saveexec_b32 s14, s15
	s_cbranch_execz .LBB177_480
; %bb.470:                              ;   in Loop: Header=BB177_31 Depth=1
	v_mov_b32_e32 v6, 1
	v_mov_b32_e32 v7, 0
	;; [unrolled: 1-line block ×3, first 2 shown]
	s_xor_b32 s2, s78, -1
	s_and_saveexec_b32 s15, s2
	s_cbranch_execz .LBB177_479
; %bb.471:                              ;   in Loop: Header=BB177_31 Depth=1
	s_mov_b32 s2, exec_lo
	v_cmpx_ge_u64_e64 s[12:13], v[4:5]
	s_xor_b32 s16, exec_lo, s2
	s_cbranch_execz .LBB177_476
; %bb.472:                              ;   in Loop: Header=BB177_31 Depth=1
	ds_read_b64 v[6:7], v3 offset:5120
	v_and_b32_e32 v47, s26, v47
	v_or_b32_e32 v50, s11, v50
	s_waitcnt lgkmcnt(0)
	v_cmp_ne_u64_e32 vcc_lo, 0, v[6:7]
	s_cbranch_vccnz .LBB177_476
; %bb.473:                              ;   in Loop: Header=BB177_31 Depth=1
	s_and_saveexec_b32 s2, s3
; %bb.474:                              ;   in Loop: Header=BB177_31 Depth=1
	v_mov_b32_e32 v6, s12
	v_mov_b32_e32 v7, s13
	ds_write_b64 v3, v[6:7] offset:5128
; %bb.475:                              ;   in Loop: Header=BB177_31 Depth=1
	s_or_b32 exec_lo, exec_lo, s2
	s_waitcnt lgkmcnt(0)
	s_barrier
	buffer_gl0_inv
.LBB177_476:                            ;   in Loop: Header=BB177_31 Depth=1
	s_andn2_saveexec_b32 s11, s16
; %bb.477:                              ;   in Loop: Header=BB177_31 Depth=1
	v_sub_co_u32 v4, vcc_lo, v4, s12
	v_subrev_co_ci_u32_e64 v5, null, s13, v5, vcc_lo
; %bb.478:                              ;   in Loop: Header=BB177_31 Depth=1
	s_or_b32 exec_lo, exec_lo, s11
	v_mov_b32_e32 v7, v5
	v_mov_b32_e32 v2, 5
	;; [unrolled: 1-line block ×3, first 2 shown]
.LBB177_479:                            ;   in Loop: Header=BB177_31 Depth=1
	s_or_b32 exec_lo, exec_lo, s15
	v_mov_b32_e32 v4, v6
	v_mov_b32_e32 v5, v7
	s_mov_b32 s16, exec_lo
.LBB177_480:                            ;   in Loop: Header=BB177_31 Depth=1
	s_or_b32 exec_lo, exec_lo, s14
	s_orn2_b32 s14, s16, exec_lo
.LBB177_481:                            ;   in Loop: Header=BB177_31 Depth=1
	s_or_b32 exec_lo, exec_lo, s21
	v_mov_b32_e32 v7, v5
	v_mov_b32_e32 v6, v4
	s_andn2_b32 s2, s77, exec_lo
	s_and_b32 s11, s49, exec_lo
	s_andn2_b32 s12, s76, exec_lo
	s_and_b32 s6, s6, exec_lo
	s_or_b32 s77, s2, s11
	s_or_b32 s76, s12, s6
	s_and_b32 s16, s14, exec_lo
.LBB177_482:                            ;   in Loop: Header=BB177_31 Depth=1
	s_or_b32 exec_lo, exec_lo, s20
	s_orn2_b32 s6, s16, exec_lo
.LBB177_483:                            ;   in Loop: Header=BB177_31 Depth=1
	s_or_b32 exec_lo, exec_lo, s23
	v_mov_b32_e32 v4, v6
	v_mov_b32_e32 v5, v7
	s_andn2_b32 s2, s75, exec_lo
	s_and_b32 s11, s77, exec_lo
	s_andn2_b32 s12, s74, exec_lo
	s_and_b32 s13, s76, exec_lo
	s_or_b32 s75, s2, s11
	s_or_b32 s74, s12, s13
	s_and_b32 s18, s6, exec_lo
.LBB177_484:                            ;   in Loop: Header=BB177_31 Depth=1
	s_or_b32 exec_lo, exec_lo, s22
	s_orn2_b32 s6, s18, exec_lo
.LBB177_485:                            ;   in Loop: Header=BB177_31 Depth=1
	s_or_b32 exec_lo, exec_lo, s25
	s_mov_b32 s11, s73
	s_mov_b32 s12, s72
	s_and_saveexec_b32 s13, s6
; %bb.486:                              ;   in Loop: Header=BB177_31 Depth=1
	v_cmp_ne_u32_e32 vcc_lo, 5, v2
	v_cmp_eq_u32_e64 s6, 5, v2
	s_andn2_b32 s2, s72, exec_lo
	s_andn2_b32 s11, s73, exec_lo
	s_and_b32 s12, vcc_lo, exec_lo
	s_and_b32 s6, s6, exec_lo
	s_or_b32 s12, s2, s12
	s_or_b32 s11, s11, s6
; %bb.487:                              ;   in Loop: Header=BB177_31 Depth=1
	s_or_b32 exec_lo, exec_lo, s13
	s_andn2_b32 s2, s9, exec_lo
	s_and_b32 s6, s75, exec_lo
	s_andn2_b32 s13, s27, exec_lo
	s_and_b32 s14, s74, exec_lo
	s_or_b32 s9, s2, s6
	s_andn2_b32 s2, s72, exec_lo
	s_and_b32 s6, s12, exec_lo
	s_andn2_b32 s12, s73, exec_lo
	s_and_b32 s11, s11, exec_lo
	s_or_b32 s27, s13, s14
	s_or_b32 s72, s2, s6
	;; [unrolled: 1-line block ×3, first 2 shown]
.LBB177_488:                            ;   in Loop: Header=BB177_31 Depth=1
	s_or_b32 exec_lo, exec_lo, s24
	s_mov_b32 s74, 0
	s_mov_b32 s75, 0
	s_and_saveexec_b32 s2, s73
.LBB177_489:                            ;   in Loop: Header=BB177_31 Depth=1
	v_mov_b32_e32 v2, 0
	s_or_b32 s72, s72, exec_lo
.LBB177_490:                            ;   in Loop: Header=BB177_31 Depth=1
	s_or_b32 exec_lo, exec_lo, s2
	s_andn2_b32 s1, s1, exec_lo
	s_and_b32 s2, s9, exec_lo
	s_andn2_b32 s6, s8, exec_lo
	s_and_b32 s8, s27, exec_lo
	v_mov_b32_e32 v30, v5
	v_mov_b32_e32 v29, v4
	s_or_b32 s1, s1, s2
	s_or_b32 s8, s6, s8
	s_andn2_b32 s2, s41, exec_lo
	s_and_b32 s6, s75, exec_lo
	s_andn2_b32 s9, s40, exec_lo
	s_and_b32 s12, s74, exec_lo
	s_mov_b32 s11, -1
	s_andn2_b32 s7, s7, exec_lo
	s_or_b32 s41, s2, s6
	s_or_b32 s40, s9, s12
	s_and_saveexec_b32 s2, s72
	s_xor_b32 s6, exec_lo, s2
	s_cbranch_execz .LBB177_30
; %bb.491:                              ;   in Loop: Header=BB177_31 Depth=1
	s_mov_b32 s9, -1
	s_mov_b32 s2, exec_lo
	v_cmpx_eq_u32_e32 0, v2
	s_cbranch_execz .LBB177_29
; %bb.492:                              ;   in Loop: Header=BB177_31 Depth=1
	s_xor_b32 s58, s58, 1
	s_add_i32 s12, s56, -2
	s_cmp_eq_u32 s56, 0
	s_mov_b32 s56, s12
	s_cselect_b32 s9, -1, 0
	s_xor_b32 s11, exec_lo, -1
	s_orn2_b32 s9, s9, exec_lo
	s_branch .LBB177_29
.LBB177_493:
	s_or_b32 exec_lo, exec_lo, s54
	s_xor_b32 s6, s57, -1
	s_xor_b32 s8, s46, -1
	;; [unrolled: 1-line block ×5, first 2 shown]
	s_mov_b32 s7, 0
	s_and_saveexec_b32 s10, s9
	s_xor_b32 s12, exec_lo, s10
	s_cbranch_execnz .LBB177_498
; %bb.494:
	s_andn2_saveexec_b32 s0, s12
	s_cbranch_execnz .LBB177_517
.LBB177_495:
	s_or_b32 exec_lo, exec_lo, s0
	s_and_saveexec_b32 s0, s7
.LBB177_496:
	; divergent unreachable
.LBB177_497:
	s_endpgm
.LBB177_498:
	s_and_saveexec_b32 s9, s2
	s_xor_b32 s13, exec_lo, s9
	s_cbranch_execz .LBB177_515
; %bb.499:
	s_and_saveexec_b32 s2, s8
	s_xor_b32 s14, exec_lo, s2
	s_cbranch_execz .LBB177_513
; %bb.500:
	;; [unrolled: 4-line block ×3, first 2 shown]
	s_and_saveexec_b32 s2, s1
	s_xor_b32 s1, exec_lo, s2
; %bb.502:
	v_xor_b32_e32 v51, 0xffff8000, v47
; %bb.503:
	s_or_b32 exec_lo, exec_lo, s1
	s_and_saveexec_b32 s1, s3
	v_readlane_b32 s40, v52, 6
; %bb.504:
	v_mov_b32_e32 v2, 0
	v_mov_b32_e32 v3, v2
	ds_write_b64 v2, v[2:3] offset:5136
; %bb.505:
	s_or_b32 exec_lo, exec_lo, s1
	v_mov_b32_e32 v16, 0
	s_waitcnt lgkmcnt(0)
	s_barrier
	buffer_gl0_inv
	s_mov_b32 s1, exec_lo
	v_readlane_b32 s2, v52, 7
	s_and_b32 s2, s1, s2
	s_mov_b32 exec_lo, s2
	s_cbranch_execz .LBB177_507
; %bb.506:
	global_load_ushort v16, v[12:13], off
.LBB177_507:
	s_or_b32 exec_lo, exec_lo, s1
	s_load_dwordx2 s[16:17], s[4:5], 0x440
	v_readlane_b32 s10, v52, 0
	v_readlane_b32 s11, v52, 1
	s_add_u32 s1, s36, 31
	s_addc_u32 s7, s37, 0
	s_and_b32 s6, s1, 0xffffffe0
	s_mul_i32 s2, s10, s35
	s_mul_hi_u32 s3, s10, s34
	v_cmp_gt_u64_e32 vcc_lo, s[6:7], v[0:1]
	s_add_i32 s1, s3, s2
	s_mul_i32 s2, s11, s34
	s_mov_b32 s20, -1
	s_add_i32 s3, s1, s2
	s_mul_i32 s2, s10, s34
	s_lshl_b64 s[2:3], s[2:3], 1
	s_waitcnt lgkmcnt(0)
	s_mul_i32 s8, s16, s53
	s_mul_hi_u32 s9, s16, s52
	s_mul_i32 s18, s16, s52
	s_add_i32 s1, s9, s8
	s_mul_i32 s8, s17, s52
	s_add_i32 s19, s1, s8
	s_clause 0x1
	s_load_dwordx2 s[8:9], s[4:5], 0x368
	s_load_dwordx2 s[10:11], s[4:5], 0x510
	v_readlane_b32 s4, v52, 2
	v_readlane_b32 s5, v52, 3
	s_add_u32 s1, s4, s2
	s_addc_u32 s4, s5, s3
	s_lshl_b64 s[2:3], s[28:29], 1
	s_add_u32 s5, s1, s2
	s_addc_u32 s16, s4, s3
	s_lshl_b64 s[2:3], s[18:19], 3
	v_readlane_b32 s18, v52, 4
	v_readlane_b32 s19, v52, 5
	s_add_u32 s1, s18, s2
	s_addc_u32 s4, s19, s3
	s_lshl_b64 s[2:3], s[42:43], 3
	s_add_u32 s17, s1, s2
	s_addc_u32 s18, s4, s3
	s_mov_b32 s1, 0
	s_mov_b32 s3, 0
	s_and_saveexec_b32 s19, vcc_lo
	s_cbranch_execnz .LBB177_518
; %bb.508:
	s_or_b32 exec_lo, exec_lo, s19
	s_and_saveexec_b32 s4, s20
	s_cbranch_execnz .LBB177_533
.LBB177_509:
	s_or_b32 exec_lo, exec_lo, s4
	s_and_saveexec_b32 s0, s3
	s_xor_b32 s0, exec_lo, s0
	s_cbranch_execnz .LBB177_556
.LBB177_510:
	s_or_b32 exec_lo, exec_lo, s0
	s_and_b32 s7, s1, exec_lo
.LBB177_511:
	s_andn2_saveexec_b32 s0, s15
	s_cbranch_execnz .LBB177_558
.LBB177_512:
	s_or_b32 exec_lo, exec_lo, s0
	s_and_b32 s7, s7, exec_lo
.LBB177_513:
	s_andn2_saveexec_b32 s0, s14
	s_cbranch_execnz .LBB177_557
.LBB177_514:
	s_or_b32 exec_lo, exec_lo, s0
	s_and_b32 s7, s7, exec_lo
.LBB177_515:
	s_andn2_saveexec_b32 s0, s13
	s_cbranch_execnz .LBB177_552
.LBB177_516:
	s_or_b32 exec_lo, exec_lo, s0
	s_and_b32 s7, s7, exec_lo
	s_andn2_saveexec_b32 s0, s12
	s_cbranch_execz .LBB177_495
.LBB177_517:
	s_or_b32 s7, s7, exec_lo
	s_trap 2
	s_or_b32 exec_lo, exec_lo, s0
	s_and_saveexec_b32 s0, s7
	s_cbranch_execnz .LBB177_496
	s_branch .LBB177_497
.LBB177_518:
	v_add_co_u32 v2, s2, v0, s33
	v_add_co_ci_u32_e64 v3, null, 0, 0, s2
	v_readlane_b32 s20, v52, 14
	v_mul_lo_u32 v6, s31, v2
	v_mad_u64_u32 v[4:5], null, s30, v2, 0
	v_mul_lo_u32 v3, s30, v3
	v_readlane_b32 s21, v52, 15
	s_add_u32 s2, s98, s50
	v_mov_b32_e32 v17, 0x8000
	s_addc_u32 s3, s99, s51
	s_add_u32 s2, s2, s20
	s_addc_u32 s4, s3, s21
	v_mov_b32_e32 v11, v1
	v_add3_u32 v5, v5, v3, v6
	v_mov_b32_e32 v3, 0
	v_add_nc_u32_sdwa v18, sext(v51), v17 dst_sel:DWORD dst_unused:UNUSED_PAD src0_sel:WORD_0 src1_sel:DWORD
	v_mov_b32_e32 v10, v0
	s_mov_b32 s20, 0
	v_lshlrev_b64 v[4:5], 1, v[4:5]
                                        ; implicit-def: $sgpr21
                                        ; implicit-def: $vgpr8_vgpr9
	v_add_co_u32 v4, s3, s2, v4
	v_add_co_ci_u32_e64 v5, null, s4, v5, s3
	s_branch .LBB177_520
.LBB177_519:                            ;   in Loop: Header=BB177_520 Depth=1
	s_or_b32 exec_lo, exec_lo, s22
	s_xor_b32 s2, s2, -1
	s_and_b32 s3, exec_lo, s4
	v_mov_b32_e32 v11, v7
	v_mov_b32_e32 v16, v19
	s_or_b32 s20, s3, s20
	v_mov_b32_e32 v10, v6
	s_andn2_b32 s3, s21, exec_lo
	s_and_b32 s2, s2, exec_lo
	s_or_b32 s21, s3, s2
	s_andn2_b32 exec_lo, exec_lo, s20
	s_cbranch_execz .LBB177_532
.LBB177_520:                            ; =>This Inner Loop Header: Depth=1
	v_add_co_u32 v6, s3, v10, s33
	v_add_co_ci_u32_e64 v7, null, 0, v11, s3
	v_mov_b32_e32 v19, 0
	s_mov_b32 s2, exec_lo
	v_cmpx_gt_u64_e64 s[36:37], v[6:7]
	s_cbranch_execz .LBB177_522
; %bb.521:                              ;   in Loop: Header=BB177_520 Depth=1
	global_load_ushort v19, v[4:5], off
.LBB177_522:                            ;   in Loop: Header=BB177_520 Depth=1
	s_or_b32 exec_lo, exec_lo, s2
	s_waitcnt vmcnt(0)
	v_add_nc_u32_sdwa v2, sext(v16), v17 dst_sel:DWORD dst_unused:UNUSED_PAD src0_sel:WORD_0 src1_sel:DWORD
	v_cmp_gt_u32_e64 s3, v2, v18
	v_cndmask_b32_e64 v14, 0, 1, s3
	v_cmp_lt_u32_e64 s3, v2, v18
	v_cndmask_b32_e64 v2, 0, 1, s3
	v_cmp_gt_u64_e64 s3, s[36:37], v[10:11]
	v_cndmask_b32_e64 v2, v2, v14, s40
	v_and_b32_e32 v2, 1, v2
	v_cmp_eq_u32_e64 s4, 1, v2
	s_and_b32 s23, s3, s4
	v_cndmask_b32_e64 v2, 0, 1, s23
	v_cmp_ne_u32_e64 s3, 0, v2
	s_cmp_lg_u32 s3, 0
	s_cselect_b32 s2, -1, 0
	s_and_b32 s2, s0, s2
	s_and_saveexec_b32 s22, s2
	s_cbranch_execz .LBB177_526
; %bb.523:                              ;   in Loop: Header=BB177_520 Depth=1
	s_mov_b32 s25, exec_lo
	s_bcnt1_i32_b32 s24, s3
	v_mbcnt_lo_u32_b32 v14, s25, 0
	s_mov_b32 s2, exec_lo
                                        ; implicit-def: $vgpr8_vgpr9
	v_cmpx_eq_u32_e32 0, v14
	s_cbranch_execz .LBB177_525
; %bb.524:                              ;   in Loop: Header=BB177_520 Depth=1
	s_bcnt1_i32_b32 s4, s25
	s_mul_i32 s4, s24, s4
	v_mov_b32_e32 v2, s4
	s_waitcnt lgkmcnt(0)
	ds_add_rtn_u64 v[8:9], v3, v[2:3] offset:5136
.LBB177_525:                            ;   in Loop: Header=BB177_520 Depth=1
	s_or_b32 exec_lo, exec_lo, s2
	s_waitcnt lgkmcnt(0)
	v_readfirstlane_b32 s27, v9
	v_readfirstlane_b32 s26, v8
	v_mad_u64_u32 v[8:9], null, s24, v14, s[26:27]
.LBB177_526:                            ;   in Loop: Header=BB177_520 Depth=1
	s_or_b32 exec_lo, exec_lo, s22
	s_waitcnt lgkmcnt(0)
	ds_bpermute_b32 v8, v3, v8
	ds_bpermute_b32 v9, v3, v9
	s_mov_b32 s4, -1
	s_mov_b32 s24, -1
	s_and_saveexec_b32 s22, s23
	s_cbranch_execz .LBB177_530
; %bb.527:                              ;   in Loop: Header=BB177_520 Depth=1
	v_and_b32_e32 v2, s3, v41
	s_mov_b32 s23, 0
	s_mov_b32 s24, exec_lo
	v_bcnt_u32_b32 v2, v2, 0
	s_waitcnt lgkmcnt(0)
	v_add_co_u32 v14, s3, v8, v2
	v_add_co_ci_u32_e64 v15, null, 0, v9, s3
	v_cmpx_gt_u64_e64 s[38:39], v[14:15]
; %bb.528:                              ;   in Loop: Header=BB177_520 Depth=1
	v_mul_lo_u32 v2, v15, s8
	v_mul_lo_u32 v22, v14, s9
	v_mad_u64_u32 v[20:21], null, v14, s8, 0
	v_mul_lo_u32 v23, v15, s10
	v_mul_lo_u32 v24, v14, s11
	v_mad_u64_u32 v[14:15], null, v14, s10, 0
	s_mov_b32 s23, exec_lo
	v_add3_u32 v21, v21, v22, v2
	v_add3_u32 v15, v15, v24, v23
	v_lshlrev_b64 v[20:21], 1, v[20:21]
	v_lshlrev_b64 v[14:15], 3, v[14:15]
	v_add_co_u32 v20, s3, s5, v20
	v_add_co_ci_u32_e64 v21, null, s16, v21, s3
	v_add_co_u32 v14, s3, s17, v14
	v_add_co_ci_u32_e64 v15, null, s18, v15, s3
	global_store_short v[20:21], v16, off
	global_store_dwordx2 v[14:15], v[10:11], off
; %bb.529:                              ;   in Loop: Header=BB177_520 Depth=1
	s_or_b32 exec_lo, exec_lo, s24
	s_orn2_b32 s24, s23, exec_lo
.LBB177_530:                            ;   in Loop: Header=BB177_520 Depth=1
	s_or_b32 exec_lo, exec_lo, s22
	s_mov_b32 s2, -1
	s_and_saveexec_b32 s22, s24
	s_cbranch_execz .LBB177_519
; %bb.531:                              ;   in Loop: Header=BB177_520 Depth=1
	v_cmp_le_u64_e64 s3, s[6:7], v[6:7]
	v_add_co_u32 v4, s4, v4, s44
	v_add_co_ci_u32_e64 v5, null, s45, v5, s4
	s_xor_b32 s2, exec_lo, -1
	s_orn2_b32 s4, s3, exec_lo
	s_branch .LBB177_519
.LBB177_532:
	s_or_b32 exec_lo, exec_lo, s20
	s_mov_b32 s3, exec_lo
	s_orn2_b32 s20, s21, exec_lo
	s_or_b32 exec_lo, exec_lo, s19
	s_and_saveexec_b32 s4, s20
	s_cbranch_execz .LBB177_509
.LBB177_533:
	v_mov_b32_e32 v4, 0
	s_waitcnt vmcnt(0) lgkmcnt(0)
	s_waitcnt_vscnt null, 0x0
	s_barrier
	buffer_gl0_inv
	s_mov_b32 s1, exec_lo
	v_readlane_b32 s2, v52, 7
	s_and_b32 s2, s1, s2
	s_mov_b32 exec_lo, s2
	s_cbranch_execz .LBB177_535
; %bb.534:
	global_load_ushort v4, v[12:13], off
.LBB177_535:
	s_or_b32 exec_lo, exec_lo, s1
	s_mov_b32 s1, 0
	s_and_saveexec_b32 s2, vcc_lo
	s_cbranch_execz .LBB177_555
; %bb.536:
	v_add_co_u32 v2, s1, v0, s33
	v_add_co_ci_u32_e64 v3, null, 0, 0, s1
	v_readlane_b32 s20, v52, 14
	v_mul_lo_u32 v5, s31, v2
	v_readlane_b32 s21, v52, 15
	v_mul_lo_u32 v6, s30, v3
	v_mad_u64_u32 v[2:3], null, s30, v2, 0
	s_add_u32 s1, s98, s50
	s_addc_u32 s19, s99, s51
	s_add_u32 s1, s1, s20
	s_addc_u32 s19, s19, s21
                                        ; implicit-def: $sgpr20
                                        ; implicit-def: $vgpr8_vgpr9
	v_add3_u32 v3, v3, v6, v5
	v_mov_b32_e32 v5, 0
	v_lshlrev_b64 v[2:3], 1, v[2:3]
	v_add_co_u32 v2, vcc_lo, s1, v2
	v_add_co_ci_u32_e64 v3, null, s19, v3, vcc_lo
	s_mov_b32 s19, 0
	s_branch .LBB177_539
.LBB177_537:                            ;   in Loop: Header=BB177_539 Depth=1
	s_or_b32 exec_lo, exec_lo, s22
	s_orn2_b32 s24, s23, exec_lo
	s_orn2_b32 s23, s1, exec_lo
.LBB177_538:                            ;   in Loop: Header=BB177_539 Depth=1
	s_or_b32 exec_lo, exec_lo, s21
	s_xor_b32 s1, s24, -1
	s_and_b32 s21, exec_lo, s23
	v_mov_b32_e32 v0, v6
	v_mov_b32_e32 v1, v7
	s_or_b32 s19, s21, s19
	v_mov_b32_e32 v4, v12
	s_andn2_b32 s20, s20, exec_lo
	s_and_b32 s1, s1, exec_lo
	s_or_b32 s20, s20, s1
	s_andn2_b32 exec_lo, exec_lo, s19
	s_cbranch_execz .LBB177_553
.LBB177_539:                            ; =>This Inner Loop Header: Depth=1
	v_add_co_u32 v6, vcc_lo, v0, s33
	v_add_co_ci_u32_e64 v7, null, 0, v1, vcc_lo
	v_mov_b32_e32 v12, 0
	s_mov_b32 s1, exec_lo
	v_cmpx_gt_u64_e64 s[36:37], v[6:7]
	s_cbranch_execz .LBB177_541
; %bb.540:                              ;   in Loop: Header=BB177_539 Depth=1
	global_load_ushort v12, v[2:3], off
.LBB177_541:                            ;   in Loop: Header=BB177_539 Depth=1
	s_or_b32 exec_lo, exec_lo, s1
	v_cmp_gt_u64_e32 vcc_lo, s[36:37], v[0:1]
	s_waitcnt vmcnt(0)
	v_cmp_eq_u16_e64 s1, v4, v51
	s_and_b32 s22, vcc_lo, s1
	v_cndmask_b32_e64 v4, 0, 1, s22
	v_cmp_ne_u32_e32 vcc_lo, 0, v4
	s_cmp_lg_u32 vcc_lo, 0
	s_cselect_b32 s1, -1, 0
	s_and_b32 s1, s0, s1
	s_and_saveexec_b32 s21, s1
	s_cbranch_execz .LBB177_545
; %bb.542:                              ;   in Loop: Header=BB177_539 Depth=1
	s_mov_b32 s25, exec_lo
	s_bcnt1_i32_b32 s23, vcc_lo
	v_mbcnt_lo_u32_b32 v10, s25, 0
	s_mov_b32 s24, exec_lo
                                        ; implicit-def: $vgpr8_vgpr9
	v_cmpx_eq_u32_e32 0, v10
; %bb.543:                              ;   in Loop: Header=BB177_539 Depth=1
	s_bcnt1_i32_b32 s1, s25
	s_mul_i32 s1, s23, s1
	v_mov_b32_e32 v4, s1
	ds_add_rtn_u64 v[8:9], v5, v[4:5] offset:5136
; %bb.544:                              ;   in Loop: Header=BB177_539 Depth=1
	s_or_b32 exec_lo, exec_lo, s24
	s_waitcnt lgkmcnt(0)
	v_readfirstlane_b32 s25, v9
	v_readfirstlane_b32 s24, v8
	v_mad_u64_u32 v[8:9], null, s23, v10, s[24:25]
.LBB177_545:                            ;   in Loop: Header=BB177_539 Depth=1
	s_or_b32 exec_lo, exec_lo, s21
	ds_bpermute_b32 v8, v5, v8
	ds_bpermute_b32 v9, v5, v9
	s_cmp_eq_u32 vcc_lo, 0
	s_mov_b32 s23, -1
	s_cselect_b32 s21, -1, 0
	s_mov_b32 s24, -1
	s_waitcnt lgkmcnt(0)
	v_cmp_gt_u64_e64 s1, s[38:39], v[8:9]
	s_or_b32 s1, s21, s1
	s_and_saveexec_b32 s21, s1
	s_cbranch_execz .LBB177_538
; %bb.546:                              ;   in Loop: Header=BB177_539 Depth=1
	v_and_b32_e32 v4, vcc_lo, v41
	v_sub_co_u32 v10, vcc_lo, s38, v8
	v_sub_co_ci_u32_e64 v11, null, s39, v9, vcc_lo
	v_bcnt_u32_b32 v4, v4, 0
	s_mov_b32 s1, -1
	v_bcnt_u32_b32 v4, 0, v4
	v_cmp_gt_u64_e32 vcc_lo, v[10:11], v[4:5]
	s_and_b32 s25, s22, vcc_lo
	s_and_saveexec_b32 s22, s25
	s_cbranch_execz .LBB177_550
; %bb.547:                              ;   in Loop: Header=BB177_539 Depth=1
	v_add_co_u32 v10, vcc_lo, v8, v4
	v_add_co_ci_u32_e64 v11, null, 0, v9, vcc_lo
	s_mov_b32 s24, 0
	s_mov_b32 s23, exec_lo
	v_cmpx_gt_u64_e64 s[38:39], v[10:11]
; %bb.548:                              ;   in Loop: Header=BB177_539 Depth=1
	v_mul_lo_u32 v4, v11, s8
	v_mul_lo_u32 v15, v10, s9
	v_mad_u64_u32 v[13:14], null, v10, s8, 0
	v_mul_lo_u32 v16, v11, s10
	v_mul_lo_u32 v17, v10, s11
	v_mad_u64_u32 v[10:11], null, v10, s10, 0
	s_mov_b32 s24, exec_lo
	v_add3_u32 v14, v14, v15, v4
	v_add3_u32 v11, v11, v17, v16
	v_lshlrev_b64 v[13:14], 1, v[13:14]
	v_lshlrev_b64 v[10:11], 3, v[10:11]
	v_add_co_u32 v13, vcc_lo, s5, v13
	v_add_co_ci_u32_e64 v14, null, s16, v14, vcc_lo
	v_add_co_u32 v10, vcc_lo, s17, v10
	v_add_co_ci_u32_e64 v11, null, s18, v11, vcc_lo
	global_store_short v[13:14], v51, off
	global_store_dwordx2 v[10:11], v[0:1], off
; %bb.549:                              ;   in Loop: Header=BB177_539 Depth=1
	s_or_b32 exec_lo, exec_lo, s23
	s_xor_b32 s23, exec_lo, -1
	s_orn2_b32 s24, s24, exec_lo
.LBB177_550:                            ;   in Loop: Header=BB177_539 Depth=1
	s_or_b32 exec_lo, exec_lo, s22
	s_and_saveexec_b32 s22, s24
	s_cbranch_execz .LBB177_537
; %bb.551:                              ;   in Loop: Header=BB177_539 Depth=1
	v_cmp_le_u64_e32 vcc_lo, s[6:7], v[6:7]
	v_add_co_u32 v2, s1, v2, s44
	v_add_co_ci_u32_e64 v3, null, s45, v3, s1
	s_or_b32 s23, s23, exec_lo
	s_orn2_b32 s1, vcc_lo, exec_lo
	s_branch .LBB177_537
.LBB177_552:
	s_or_b32 s7, s7, exec_lo
	s_trap 2
	s_branch .LBB177_516
.LBB177_553:
	s_or_b32 exec_lo, exec_lo, s19
	s_mov_b32 s0, 0
	s_and_saveexec_b32 s1, s20
	s_xor_b32 s1, exec_lo, s1
	s_cbranch_execnz .LBB177_559
.LBB177_554:
	s_or_b32 exec_lo, exec_lo, s1
	s_and_b32 s1, s0, exec_lo
.LBB177_555:
	s_or_b32 exec_lo, exec_lo, s2
	s_and_b32 s1, s1, exec_lo
	s_andn2_b32 s3, s3, exec_lo
	s_or_b32 exec_lo, exec_lo, s4
	s_and_saveexec_b32 s0, s3
	s_xor_b32 s0, exec_lo, s0
	s_cbranch_execz .LBB177_510
.LBB177_556:
	s_or_b32 s1, s1, exec_lo
	s_trap 2
	s_branch .LBB177_510
.LBB177_557:
	s_or_b32 s7, s7, exec_lo
	s_trap 2
	s_branch .LBB177_514
.LBB177_558:
	s_or_b32 s7, s7, exec_lo
	s_trap 2
	s_branch .LBB177_512
.LBB177_559:
	s_mov_b32 s0, exec_lo
	s_trap 2
	s_branch .LBB177_554
	.section	.rodata,"a",@progbits
	.p2align	6, 0x0
	.amdhsa_kernel _ZN2at6native6sbtopk10gatherTopKIsmLin1ELb0EEEvNS_4cuda6detail10TensorInfoIKT_T0_EES8_S8_bS8_S8_NS5_IS6_S8_EES8_NS5_IlS8_EES8_PS6_
		.amdhsa_group_segment_fixed_size 5152
		.amdhsa_private_segment_fixed_size 0
		.amdhsa_kernarg_size 1568
		.amdhsa_user_sgpr_count 6
		.amdhsa_user_sgpr_private_segment_buffer 1
		.amdhsa_user_sgpr_dispatch_ptr 0
		.amdhsa_user_sgpr_queue_ptr 0
		.amdhsa_user_sgpr_kernarg_segment_ptr 1
		.amdhsa_user_sgpr_dispatch_id 0
		.amdhsa_user_sgpr_flat_scratch_init 0
		.amdhsa_user_sgpr_private_segment_size 0
		.amdhsa_wavefront_size32 1
		.amdhsa_uses_dynamic_stack 0
		.amdhsa_system_sgpr_private_segment_wavefront_offset 0
		.amdhsa_system_sgpr_workgroup_id_x 1
		.amdhsa_system_sgpr_workgroup_id_y 1
		.amdhsa_system_sgpr_workgroup_id_z 1
		.amdhsa_system_sgpr_workgroup_info 0
		.amdhsa_system_vgpr_workitem_id 0
		.amdhsa_next_free_vgpr 53
		.amdhsa_next_free_sgpr 105
		.amdhsa_reserve_vcc 1
		.amdhsa_reserve_flat_scratch 0
		.amdhsa_float_round_mode_32 0
		.amdhsa_float_round_mode_16_64 0
		.amdhsa_float_denorm_mode_32 3
		.amdhsa_float_denorm_mode_16_64 3
		.amdhsa_dx10_clamp 1
		.amdhsa_ieee_mode 1
		.amdhsa_fp16_overflow 0
		.amdhsa_workgroup_processor_mode 1
		.amdhsa_memory_ordered 1
		.amdhsa_forward_progress 1
		.amdhsa_shared_vgpr_count 0
		.amdhsa_exception_fp_ieee_invalid_op 0
		.amdhsa_exception_fp_denorm_src 0
		.amdhsa_exception_fp_ieee_div_zero 0
		.amdhsa_exception_fp_ieee_overflow 0
		.amdhsa_exception_fp_ieee_underflow 0
		.amdhsa_exception_fp_ieee_inexact 0
		.amdhsa_exception_int_div_zero 0
	.end_amdhsa_kernel
	.section	.text._ZN2at6native6sbtopk10gatherTopKIsmLin1ELb0EEEvNS_4cuda6detail10TensorInfoIKT_T0_EES8_S8_bS8_S8_NS5_IS6_S8_EES8_NS5_IlS8_EES8_PS6_,"axG",@progbits,_ZN2at6native6sbtopk10gatherTopKIsmLin1ELb0EEEvNS_4cuda6detail10TensorInfoIKT_T0_EES8_S8_bS8_S8_NS5_IS6_S8_EES8_NS5_IlS8_EES8_PS6_,comdat
.Lfunc_end177:
	.size	_ZN2at6native6sbtopk10gatherTopKIsmLin1ELb0EEEvNS_4cuda6detail10TensorInfoIKT_T0_EES8_S8_bS8_S8_NS5_IS6_S8_EES8_NS5_IlS8_EES8_PS6_, .Lfunc_end177-_ZN2at6native6sbtopk10gatherTopKIsmLin1ELb0EEEvNS_4cuda6detail10TensorInfoIKT_T0_EES8_S8_bS8_S8_NS5_IS6_S8_EES8_NS5_IlS8_EES8_PS6_
                                        ; -- End function
	.set _ZN2at6native6sbtopk10gatherTopKIsmLin1ELb0EEEvNS_4cuda6detail10TensorInfoIKT_T0_EES8_S8_bS8_S8_NS5_IS6_S8_EES8_NS5_IlS8_EES8_PS6_.num_vgpr, 53
	.set _ZN2at6native6sbtopk10gatherTopKIsmLin1ELb0EEEvNS_4cuda6detail10TensorInfoIKT_T0_EES8_S8_bS8_S8_NS5_IS6_S8_EES8_NS5_IlS8_EES8_PS6_.num_agpr, 0
	.set _ZN2at6native6sbtopk10gatherTopKIsmLin1ELb0EEEvNS_4cuda6detail10TensorInfoIKT_T0_EES8_S8_bS8_S8_NS5_IS6_S8_EES8_NS5_IlS8_EES8_PS6_.numbered_sgpr, 105
	.set _ZN2at6native6sbtopk10gatherTopKIsmLin1ELb0EEEvNS_4cuda6detail10TensorInfoIKT_T0_EES8_S8_bS8_S8_NS5_IS6_S8_EES8_NS5_IlS8_EES8_PS6_.num_named_barrier, 0
	.set _ZN2at6native6sbtopk10gatherTopKIsmLin1ELb0EEEvNS_4cuda6detail10TensorInfoIKT_T0_EES8_S8_bS8_S8_NS5_IS6_S8_EES8_NS5_IlS8_EES8_PS6_.private_seg_size, 0
	.set _ZN2at6native6sbtopk10gatherTopKIsmLin1ELb0EEEvNS_4cuda6detail10TensorInfoIKT_T0_EES8_S8_bS8_S8_NS5_IS6_S8_EES8_NS5_IlS8_EES8_PS6_.uses_vcc, 1
	.set _ZN2at6native6sbtopk10gatherTopKIsmLin1ELb0EEEvNS_4cuda6detail10TensorInfoIKT_T0_EES8_S8_bS8_S8_NS5_IS6_S8_EES8_NS5_IlS8_EES8_PS6_.uses_flat_scratch, 0
	.set _ZN2at6native6sbtopk10gatherTopKIsmLin1ELb0EEEvNS_4cuda6detail10TensorInfoIKT_T0_EES8_S8_bS8_S8_NS5_IS6_S8_EES8_NS5_IlS8_EES8_PS6_.has_dyn_sized_stack, 0
	.set _ZN2at6native6sbtopk10gatherTopKIsmLin1ELb0EEEvNS_4cuda6detail10TensorInfoIKT_T0_EES8_S8_bS8_S8_NS5_IS6_S8_EES8_NS5_IlS8_EES8_PS6_.has_recursion, 0
	.set _ZN2at6native6sbtopk10gatherTopKIsmLin1ELb0EEEvNS_4cuda6detail10TensorInfoIKT_T0_EES8_S8_bS8_S8_NS5_IS6_S8_EES8_NS5_IlS8_EES8_PS6_.has_indirect_call, 0
	.section	.AMDGPU.csdata,"",@progbits
; Kernel info:
; codeLenInByte = 28276
; TotalNumSgprs: 107
; NumVgprs: 53
; ScratchSize: 0
; MemoryBound: 0
; FloatMode: 240
; IeeeMode: 1
; LDSByteSize: 5152 bytes/workgroup (compile time only)
; SGPRBlocks: 0
; VGPRBlocks: 6
; NumSGPRsForWavesPerEU: 107
; NumVGPRsForWavesPerEU: 53
; Occupancy: 16
; WaveLimiterHint : 1
; COMPUTE_PGM_RSRC2:SCRATCH_EN: 0
; COMPUTE_PGM_RSRC2:USER_SGPR: 6
; COMPUTE_PGM_RSRC2:TRAP_HANDLER: 0
; COMPUTE_PGM_RSRC2:TGID_X_EN: 1
; COMPUTE_PGM_RSRC2:TGID_Y_EN: 1
; COMPUTE_PGM_RSRC2:TGID_Z_EN: 1
; COMPUTE_PGM_RSRC2:TIDIG_COMP_CNT: 0
	.section	.text._ZN2at6native6mbtopk23computeBlockDigitCountsIdmmLi1EEEvNS_4cuda6detail10TensorInfoIKT_T0_EEjPjjS8_iijT1_PSB_Ps,"axG",@progbits,_ZN2at6native6mbtopk23computeBlockDigitCountsIdmmLi1EEEvNS_4cuda6detail10TensorInfoIKT_T0_EEjPjjS8_iijT1_PSB_Ps,comdat
	.protected	_ZN2at6native6mbtopk23computeBlockDigitCountsIdmmLi1EEEvNS_4cuda6detail10TensorInfoIKT_T0_EEjPjjS8_iijT1_PSB_Ps ; -- Begin function _ZN2at6native6mbtopk23computeBlockDigitCountsIdmmLi1EEEvNS_4cuda6detail10TensorInfoIKT_T0_EEjPjjS8_iijT1_PSB_Ps
	.globl	_ZN2at6native6mbtopk23computeBlockDigitCountsIdmmLi1EEEvNS_4cuda6detail10TensorInfoIKT_T0_EEjPjjS8_iijT1_PSB_Ps
	.p2align	8
	.type	_ZN2at6native6mbtopk23computeBlockDigitCountsIdmmLi1EEEvNS_4cuda6detail10TensorInfoIKT_T0_EEjPjjS8_iijT1_PSB_Ps,@function
_ZN2at6native6mbtopk23computeBlockDigitCountsIdmmLi1EEEvNS_4cuda6detail10TensorInfoIKT_T0_EEjPjjS8_iijT1_PSB_Ps: ; @_ZN2at6native6mbtopk23computeBlockDigitCountsIdmmLi1EEEvNS_4cuda6detail10TensorInfoIKT_T0_EEjPjjS8_iijT1_PSB_Ps
; %bb.0:
	s_clause 0x2
	s_load_dwordx4 s[0:3], s[4:5], 0x1c0
	s_load_dword s9, s[4:5], 0x1b0
	s_load_dwordx2 s[10:11], s[4:5], 0x1e8
	s_mov_b32 s13, 0
	s_waitcnt lgkmcnt(0)
	v_cvt_f32_u32_e32 v1, s2
	s_mul_i32 s8, s11, s8
	s_sub_i32 s11, 0, s2
	s_add_i32 s7, s8, s7
	v_rcp_iflag_f32_e32 v1, v1
	s_mul_i32 s16, s7, s10
	s_add_i32 s16, s16, s6
	v_mul_f32_e32 v1, 0x4f7ffffe, v1
	v_cvt_u32_f32_e32 v1, v1
	v_readfirstlane_b32 s3, v1
	s_mul_i32 s11, s11, s3
	s_mul_hi_u32 s7, s3, s11
	s_add_i32 s3, s3, s7
	s_mul_hi_u32 s3, s16, s3
	s_mul_i32 s6, s3, s2
	s_add_i32 s7, s3, 1
	s_sub_i32 s6, s16, s6
	s_sub_i32 s8, s6, s2
	s_cmp_ge_u32 s6, s2
	s_cselect_b32 s3, s7, s3
	s_cselect_b32 s6, s8, s6
	s_add_i32 s7, s3, 1
	s_cmp_ge_u32 s6, s2
	s_cselect_b32 s12, s7, s3
	s_cmp_ge_u32 s12, s9
	s_cbranch_scc1 .LBB178_21
; %bb.1:
	s_clause 0x1
	s_load_dwordx4 s[8:11], s[4:5], 0x1d0
	s_load_dwordx2 s[6:7], s[4:5], 0x1e0
	s_lshl_b64 s[14:15], s[12:13], 3
	v_cmp_gt_u32_e32 vcc_lo, 0x100, v0
	v_lshlrev_b32_e32 v3, 2, v0
	s_waitcnt lgkmcnt(0)
	s_add_u32 s14, s10, s14
	s_addc_u32 s15, s11, s15
	s_and_saveexec_b32 s3, vcc_lo
; %bb.2:
	v_mov_b32_e32 v1, 0
	ds_write_b32 v3, v1
; %bb.3:
	s_or_b32 exec_lo, exec_lo, s3
	s_load_dword s13, s[4:5], 0x1a0
	s_mul_i32 s3, s12, s2
	s_mov_b32 s18, 0
	s_sub_i32 s3, s16, s3
	s_waitcnt lgkmcnt(0)
	s_mul_i32 s10, s1, s3
	s_add_i32 s3, s3, 1
	s_lshl_b32 s19, s10, 8
	s_barrier
	buffer_gl0_inv
	s_sub_i32 s10, s13, s19
	s_add_u32 s10, s10, 0xff
	s_addc_u32 s11, 0, 0
	s_lshr_b64 s[10:11], s[10:11], 8
	s_cmp_lt_u32 s3, s2
	s_cselect_b32 s17, s1, s10
	s_cmp_lt_i32 s17, 1
	s_cbranch_scc1 .LBB178_19
; %bb.4:
	s_clause 0x2
	s_load_dwordx2 s[20:21], s[4:5], 0xd0
	s_load_dwordx2 s[10:11], s[4:5], 0x1b8
	;; [unrolled: 1-line block ×4, first 2 shown]
	v_add_nc_u32_e32 v4, s19, v0
	s_waitcnt lgkmcnt(0)
	s_mul_i32 s1, s21, s12
	s_mul_hi_u32 s15, s20, s12
	s_mul_i32 s14, s20, s12
	s_add_i32 s15, s15, s1
	s_lshl_b64 s[14:15], s[14:15], 3
	s_add_u32 s4, s4, s14
	s_addc_u32 s5, s5, s15
	s_and_b32 s1, s0, 0xff
	s_cmp_eq_u32 s17, 1
	s_cbranch_scc1 .LBB178_14
; %bb.5:
	v_mov_b32_e32 v5, 1
	v_mov_b32_e32 v6, 2
	;; [unrolled: 1-line block ×3, first 2 shown]
	s_and_b32 s12, s17, 0x7ffffffe
	s_mov_b32 s14, 0
	s_branch .LBB178_7
.LBB178_6:                              ;   in Loop: Header=BB178_7 Depth=1
	s_or_b32 exec_lo, exec_lo, s15
	v_add_nc_u32_e32 v7, 0x200, v7
	s_add_i32 s14, s14, 2
	s_cmp_eq_u32 s12, s14
	s_cbranch_scc1 .LBB178_13
.LBB178_7:                              ; =>This Inner Loop Header: Depth=1
	s_mov_b32 s15, exec_lo
	v_cmpx_gt_u32_e64 s13, v7
	s_cbranch_execz .LBB178_10
; %bb.8:                                ;   in Loop: Header=BB178_7 Depth=1
	v_mad_u64_u32 v[1:2], null, s10, v7, 0
	v_mad_u64_u32 v[8:9], null, s11, v7, v[2:3]
	v_mov_b32_e32 v2, v8
	v_lshlrev_b64 v[1:2], 3, v[1:2]
	v_add_co_u32 v1, s0, s4, v1
	v_add_co_ci_u32_e64 v2, null, s5, v2, s0
	global_load_dwordx2 v[1:2], v[1:2], off
	s_waitcnt vmcnt(0)
	v_cmp_o_f64_e64 s0, v[1:2], v[1:2]
	v_ashrrev_i32_e32 v8, 31, v2
	v_or_b32_e32 v9, 0x80000000, v8
	v_xor_b32_e32 v1, v8, v1
	v_xor_b32_e32 v9, v9, v2
	v_cndmask_b32_e64 v2, -1, v9, s0
	v_cndmask_b32_e64 v1, -1, v1, s0
	v_xor_b32_e32 v8, s3, v2
	v_xor_b32_e32 v10, s2, v1
	v_and_b32_e32 v9, s9, v8
	v_and_b32_e32 v8, s8, v10
	v_cmp_eq_u64_e64 s0, 0, v[8:9]
	s_and_b32 exec_lo, exec_lo, s0
; %bb.9:                                ;   in Loop: Header=BB178_7 Depth=1
	v_lshrrev_b64 v[1:2], s1, v[1:2]
	v_lshlrev_b32_sdwa v1, v6, v1 dst_sel:DWORD dst_unused:UNUSED_PAD src0_sel:DWORD src1_sel:BYTE_0
	ds_add_u32 v1, v5
.LBB178_10:                             ;   in Loop: Header=BB178_7 Depth=1
	s_or_b32 exec_lo, exec_lo, s15
	v_add_nc_u32_e32 v1, 0x100, v7
	s_mov_b32 s15, exec_lo
	v_cmpx_gt_u32_e64 s13, v1
	s_cbranch_execz .LBB178_6
; %bb.11:                               ;   in Loop: Header=BB178_7 Depth=1
	v_mad_u64_u32 v[8:9], null, s10, v1, 0
	v_mov_b32_e32 v2, v9
	v_mad_u64_u32 v[1:2], null, s11, v1, v[2:3]
	v_mov_b32_e32 v9, v1
	v_lshlrev_b64 v[1:2], 3, v[8:9]
	v_add_co_u32 v1, s0, s4, v1
	v_add_co_ci_u32_e64 v2, null, s5, v2, s0
	global_load_dwordx2 v[1:2], v[1:2], off
	s_waitcnt vmcnt(0)
	v_cmp_o_f64_e64 s0, v[1:2], v[1:2]
	v_ashrrev_i32_e32 v8, 31, v2
	v_or_b32_e32 v9, 0x80000000, v8
	v_xor_b32_e32 v1, v8, v1
	v_xor_b32_e32 v9, v9, v2
	v_cndmask_b32_e64 v2, -1, v9, s0
	v_cndmask_b32_e64 v1, -1, v1, s0
	v_xor_b32_e32 v8, s3, v2
	v_xor_b32_e32 v10, s2, v1
	v_and_b32_e32 v9, s9, v8
	v_and_b32_e32 v8, s8, v10
	v_cmp_eq_u64_e64 s0, 0, v[8:9]
	s_and_b32 exec_lo, exec_lo, s0
	s_cbranch_execz .LBB178_6
; %bb.12:                               ;   in Loop: Header=BB178_7 Depth=1
	v_lshrrev_b64 v[1:2], s1, v[1:2]
	v_lshlrev_b32_sdwa v1, v6, v1 dst_sel:DWORD dst_unused:UNUSED_PAD src0_sel:DWORD src1_sel:BYTE_0
	ds_add_u32 v1, v5
	s_branch .LBB178_6
.LBB178_13:
	s_lshl_b32 s18, s12, 8
.LBB178_14:
	s_bitcmp0_b32 s17, 0
	s_cbranch_scc1 .LBB178_19
; %bb.15:
	v_add_nc_u32_e32 v1, s18, v4
	s_mov_b32 s12, exec_lo
	v_cmpx_gt_u32_e64 s13, v1
	s_cbranch_execz .LBB178_18
; %bb.16:
	v_mad_u64_u32 v[4:5], null, s10, v1, 0
	v_mov_b32_e32 v2, v5
	v_mad_u64_u32 v[1:2], null, s11, v1, v[2:3]
	v_mov_b32_e32 v5, v1
	v_lshlrev_b64 v[1:2], 3, v[4:5]
	v_add_co_u32 v1, s0, s4, v1
	v_add_co_ci_u32_e64 v2, null, s5, v2, s0
	global_load_dwordx2 v[1:2], v[1:2], off
	s_waitcnt vmcnt(0)
	v_cmp_o_f64_e64 s0, v[1:2], v[1:2]
	v_ashrrev_i32_e32 v4, 31, v2
	v_or_b32_e32 v5, 0x80000000, v4
	v_xor_b32_e32 v1, v4, v1
	v_xor_b32_e32 v5, v5, v2
	v_cndmask_b32_e64 v2, -1, v5, s0
	v_cndmask_b32_e64 v1, -1, v1, s0
	v_xor_b32_e32 v4, s3, v2
	v_xor_b32_e32 v6, s2, v1
	v_and_b32_e32 v5, s9, v4
	v_and_b32_e32 v4, s8, v6
	v_cmp_eq_u64_e64 s0, 0, v[4:5]
	s_and_b32 exec_lo, exec_lo, s0
	s_cbranch_execz .LBB178_18
; %bb.17:
	v_lshrrev_b64 v[1:2], s1, v[1:2]
	v_mov_b32_e32 v2, 2
	v_lshlrev_b32_sdwa v1, v2, v1 dst_sel:DWORD dst_unused:UNUSED_PAD src0_sel:DWORD src1_sel:BYTE_0
	v_mov_b32_e32 v2, 1
	ds_add_u32 v1, v2
.LBB178_18:
	s_or_b32 exec_lo, exec_lo, s12
.LBB178_19:
	s_waitcnt lgkmcnt(0)
	s_barrier
	buffer_gl0_inv
	s_and_saveexec_b32 s0, vcc_lo
	s_cbranch_execz .LBB178_21
; %bb.20:
	ds_read_b32 v2, v3
	v_lshl_or_b32 v0, s16, 8, v0
	v_mov_b32_e32 v1, 0
	v_lshlrev_b64 v[0:1], 1, v[0:1]
	v_add_co_u32 v0, vcc_lo, s6, v0
	v_add_co_ci_u32_e64 v1, null, s7, v1, vcc_lo
	s_waitcnt lgkmcnt(0)
	global_store_short v[0:1], v2, off
.LBB178_21:
	s_endpgm
	.section	.rodata,"a",@progbits
	.p2align	6, 0x0
	.amdhsa_kernel _ZN2at6native6mbtopk23computeBlockDigitCountsIdmmLi1EEEvNS_4cuda6detail10TensorInfoIKT_T0_EEjPjjS8_iijT1_PSB_Ps
		.amdhsa_group_segment_fixed_size 1024
		.amdhsa_private_segment_fixed_size 0
		.amdhsa_kernarg_size 744
		.amdhsa_user_sgpr_count 6
		.amdhsa_user_sgpr_private_segment_buffer 1
		.amdhsa_user_sgpr_dispatch_ptr 0
		.amdhsa_user_sgpr_queue_ptr 0
		.amdhsa_user_sgpr_kernarg_segment_ptr 1
		.amdhsa_user_sgpr_dispatch_id 0
		.amdhsa_user_sgpr_flat_scratch_init 0
		.amdhsa_user_sgpr_private_segment_size 0
		.amdhsa_wavefront_size32 1
		.amdhsa_uses_dynamic_stack 0
		.amdhsa_system_sgpr_private_segment_wavefront_offset 0
		.amdhsa_system_sgpr_workgroup_id_x 1
		.amdhsa_system_sgpr_workgroup_id_y 1
		.amdhsa_system_sgpr_workgroup_id_z 1
		.amdhsa_system_sgpr_workgroup_info 0
		.amdhsa_system_vgpr_workitem_id 0
		.amdhsa_next_free_vgpr 11
		.amdhsa_next_free_sgpr 22
		.amdhsa_reserve_vcc 1
		.amdhsa_reserve_flat_scratch 0
		.amdhsa_float_round_mode_32 0
		.amdhsa_float_round_mode_16_64 0
		.amdhsa_float_denorm_mode_32 3
		.amdhsa_float_denorm_mode_16_64 3
		.amdhsa_dx10_clamp 1
		.amdhsa_ieee_mode 1
		.amdhsa_fp16_overflow 0
		.amdhsa_workgroup_processor_mode 1
		.amdhsa_memory_ordered 1
		.amdhsa_forward_progress 1
		.amdhsa_shared_vgpr_count 0
		.amdhsa_exception_fp_ieee_invalid_op 0
		.amdhsa_exception_fp_denorm_src 0
		.amdhsa_exception_fp_ieee_div_zero 0
		.amdhsa_exception_fp_ieee_overflow 0
		.amdhsa_exception_fp_ieee_underflow 0
		.amdhsa_exception_fp_ieee_inexact 0
		.amdhsa_exception_int_div_zero 0
	.end_amdhsa_kernel
	.section	.text._ZN2at6native6mbtopk23computeBlockDigitCountsIdmmLi1EEEvNS_4cuda6detail10TensorInfoIKT_T0_EEjPjjS8_iijT1_PSB_Ps,"axG",@progbits,_ZN2at6native6mbtopk23computeBlockDigitCountsIdmmLi1EEEvNS_4cuda6detail10TensorInfoIKT_T0_EEjPjjS8_iijT1_PSB_Ps,comdat
.Lfunc_end178:
	.size	_ZN2at6native6mbtopk23computeBlockDigitCountsIdmmLi1EEEvNS_4cuda6detail10TensorInfoIKT_T0_EEjPjjS8_iijT1_PSB_Ps, .Lfunc_end178-_ZN2at6native6mbtopk23computeBlockDigitCountsIdmmLi1EEEvNS_4cuda6detail10TensorInfoIKT_T0_EEjPjjS8_iijT1_PSB_Ps
                                        ; -- End function
	.set _ZN2at6native6mbtopk23computeBlockDigitCountsIdmmLi1EEEvNS_4cuda6detail10TensorInfoIKT_T0_EEjPjjS8_iijT1_PSB_Ps.num_vgpr, 11
	.set _ZN2at6native6mbtopk23computeBlockDigitCountsIdmmLi1EEEvNS_4cuda6detail10TensorInfoIKT_T0_EEjPjjS8_iijT1_PSB_Ps.num_agpr, 0
	.set _ZN2at6native6mbtopk23computeBlockDigitCountsIdmmLi1EEEvNS_4cuda6detail10TensorInfoIKT_T0_EEjPjjS8_iijT1_PSB_Ps.numbered_sgpr, 22
	.set _ZN2at6native6mbtopk23computeBlockDigitCountsIdmmLi1EEEvNS_4cuda6detail10TensorInfoIKT_T0_EEjPjjS8_iijT1_PSB_Ps.num_named_barrier, 0
	.set _ZN2at6native6mbtopk23computeBlockDigitCountsIdmmLi1EEEvNS_4cuda6detail10TensorInfoIKT_T0_EEjPjjS8_iijT1_PSB_Ps.private_seg_size, 0
	.set _ZN2at6native6mbtopk23computeBlockDigitCountsIdmmLi1EEEvNS_4cuda6detail10TensorInfoIKT_T0_EEjPjjS8_iijT1_PSB_Ps.uses_vcc, 1
	.set _ZN2at6native6mbtopk23computeBlockDigitCountsIdmmLi1EEEvNS_4cuda6detail10TensorInfoIKT_T0_EEjPjjS8_iijT1_PSB_Ps.uses_flat_scratch, 0
	.set _ZN2at6native6mbtopk23computeBlockDigitCountsIdmmLi1EEEvNS_4cuda6detail10TensorInfoIKT_T0_EEjPjjS8_iijT1_PSB_Ps.has_dyn_sized_stack, 0
	.set _ZN2at6native6mbtopk23computeBlockDigitCountsIdmmLi1EEEvNS_4cuda6detail10TensorInfoIKT_T0_EEjPjjS8_iijT1_PSB_Ps.has_recursion, 0
	.set _ZN2at6native6mbtopk23computeBlockDigitCountsIdmmLi1EEEvNS_4cuda6detail10TensorInfoIKT_T0_EEjPjjS8_iijT1_PSB_Ps.has_indirect_call, 0
	.section	.AMDGPU.csdata,"",@progbits
; Kernel info:
; codeLenInByte = 1084
; TotalNumSgprs: 24
; NumVgprs: 11
; ScratchSize: 0
; MemoryBound: 0
; FloatMode: 240
; IeeeMode: 1
; LDSByteSize: 1024 bytes/workgroup (compile time only)
; SGPRBlocks: 0
; VGPRBlocks: 1
; NumSGPRsForWavesPerEU: 24
; NumVGPRsForWavesPerEU: 11
; Occupancy: 16
; WaveLimiterHint : 1
; COMPUTE_PGM_RSRC2:SCRATCH_EN: 0
; COMPUTE_PGM_RSRC2:USER_SGPR: 6
; COMPUTE_PGM_RSRC2:TRAP_HANDLER: 0
; COMPUTE_PGM_RSRC2:TGID_X_EN: 1
; COMPUTE_PGM_RSRC2:TGID_Y_EN: 1
; COMPUTE_PGM_RSRC2:TGID_Z_EN: 1
; COMPUTE_PGM_RSRC2:TIDIG_COMP_CNT: 0
	.section	.text._ZN2at6native6mbtopk10gatherTopKIdmLi1EEEvNS_4cuda6detail10TensorInfoIKT_T0_EES8_S8_bjS8_NS5_IS6_S8_EES8_NS5_IlS8_EES8_jjPS6_PjSD_j,"axG",@progbits,_ZN2at6native6mbtopk10gatherTopKIdmLi1EEEvNS_4cuda6detail10TensorInfoIKT_T0_EES8_S8_bjS8_NS5_IS6_S8_EES8_NS5_IlS8_EES8_jjPS6_PjSD_j,comdat
	.protected	_ZN2at6native6mbtopk10gatherTopKIdmLi1EEEvNS_4cuda6detail10TensorInfoIKT_T0_EES8_S8_bjS8_NS5_IS6_S8_EES8_NS5_IlS8_EES8_jjPS6_PjSD_j ; -- Begin function _ZN2at6native6mbtopk10gatherTopKIdmLi1EEEvNS_4cuda6detail10TensorInfoIKT_T0_EES8_S8_bjS8_NS5_IS6_S8_EES8_NS5_IlS8_EES8_jjPS6_PjSD_j
	.globl	_ZN2at6native6mbtopk10gatherTopKIdmLi1EEEvNS_4cuda6detail10TensorInfoIKT_T0_EES8_S8_bjS8_NS5_IS6_S8_EES8_NS5_IlS8_EES8_jjPS6_PjSD_j
	.p2align	8
	.type	_ZN2at6native6mbtopk10gatherTopKIdmLi1EEEvNS_4cuda6detail10TensorInfoIKT_T0_EES8_S8_bjS8_NS5_IS6_S8_EES8_NS5_IlS8_EES8_jjPS6_PjSD_j,@function
_ZN2at6native6mbtopk10gatherTopKIdmLi1EEEvNS_4cuda6detail10TensorInfoIKT_T0_EES8_S8_bjS8_NS5_IS6_S8_EES8_NS5_IlS8_EES8_jjPS6_PjSD_j: ; @_ZN2at6native6mbtopk10gatherTopKIdmLi1EEEvNS_4cuda6detail10TensorInfoIKT_T0_EES8_S8_bjS8_NS5_IS6_S8_EES8_NS5_IlS8_EES8_jjPS6_PjSD_j
; %bb.0:
	s_clause 0x1
	s_load_dwordx2 s[0:1], s[4:5], 0x538
	s_load_dword s2, s[4:5], 0x530
	s_waitcnt lgkmcnt(0)
	s_mul_i32 s1, s1, s8
	s_add_i32 s1, s1, s7
	s_mul_i32 s0, s1, s0
	s_add_i32 s0, s0, s6
	s_cmp_ge_u32 s0, s2
	s_cbranch_scc1 .LBB179_42
; %bb.1:
	s_clause 0x1
	s_load_dwordx2 s[6:7], s[4:5], 0x510
	s_load_dwordx4 s[8:11], s[4:5], 0x1a0
	s_mov_b32 s21, 0
	s_waitcnt lgkmcnt(0)
	v_cvt_f32_u32_e32 v1, s7
	s_sub_i32 s2, 0, s7
	s_lshl_b32 s33, s6, 8
	v_rcp_iflag_f32_e32 v1, v1
	v_mul_f32_e32 v1, 0x4f7ffffe, v1
	v_cvt_u32_f32_e32 v1, v1
	v_readfirstlane_b32 s1, v1
	s_mul_i32 s2, s2, s1
	s_mul_hi_u32 s2, s1, s2
	s_add_i32 s1, s1, s2
	s_mul_hi_u32 s1, s0, s1
	s_mul_i32 s2, s1, s7
	s_add_i32 s3, s1, 1
	s_sub_i32 s2, s0, s2
	s_sub_i32 s12, s2, s7
	s_cmp_ge_u32 s2, s7
	s_cselect_b32 s1, s3, s1
	s_cselect_b32 s2, s12, s2
	s_add_i32 s3, s1, 1
	s_cmp_ge_u32 s2, s7
	s_cselect_b32 s20, s3, s1
	s_mul_i32 s16, s20, s7
	s_sub_i32 s38, s0, s16
	s_add_i32 s0, s38, 1
	s_cmp_lt_u32 s0, s7
	s_cbranch_scc1 .LBB179_3
; %bb.2:
	s_mul_i32 s0, s38, s33
	s_sub_u32 s0, s8, s0
	s_subb_u32 s1, s9, 0
	s_add_u32 s0, s0, 0xff
	s_addc_u32 s1, s1, 0
	s_ashr_i32 s2, s1, 31
	s_lshr_b32 s2, s2, 24
	s_add_u32 s0, s0, s2
	s_addc_u32 s1, s1, 0
	s_lshr_b64 s[0:1], s[0:1], 8
	s_mov_b32 s6, s0
.LBB179_3:
	s_load_dwordx4 s[0:3], s[4:5], 0x518
	s_lshl_b64 s[12:13], s[20:21], 3
	s_waitcnt lgkmcnt(0)
	s_add_u32 s0, s0, s12
	s_addc_u32 s1, s1, s13
	s_clause 0x3
	s_load_dwordx2 s[24:25], s[4:5], 0x0
	s_load_dwordx2 s[30:31], s[4:5], 0xd0
	;; [unrolled: 1-line block ×5, first 2 shown]
	v_cmp_ne_u32_e64 s0, 0, v0
	v_cmp_eq_u32_e64 s1, 0, v0
	s_and_saveexec_b32 s21, s1
	s_cbranch_execz .LBB179_19
; %bb.4:
	s_load_dwordx2 s[18:19], s[4:5], 0x528
	s_mov_b32 s17, 0
	s_mov_b32 s39, 0
	s_lshl_b64 s[34:35], s[16:17], 2
	s_mov_b32 s16, 0
	s_add_u32 s12, s2, s34
	s_addc_u32 s13, s3, s35
	s_waitcnt lgkmcnt(0)
	s_add_u32 s14, s18, s34
	s_addc_u32 s15, s19, s35
	s_cmp_lt_u32 s7, 4
	s_cbranch_scc1 .LBB179_16
; %bb.5:
	s_mov_b32 s40, 0
.LBB179_6:                              ; =>This Inner Loop Header: Depth=1
	s_add_u32 s12, s2, s34
	s_addc_u32 s13, s3, s35
	s_add_u32 s36, s18, s34
	s_load_dwordx4 s[12:15], s[12:13], 0x0
	s_addc_u32 s37, s19, s35
	s_cmp_ge_u32 s40, s38
	s_cbranch_scc0 .LBB179_13
; %bb.7:                                ;   in Loop: Header=BB179_6 Depth=1
	s_add_i32 s41, s40, 1
	s_cmp_ge_u32 s41, s38
	s_cbranch_scc0 .LBB179_14
.LBB179_8:                              ;   in Loop: Header=BB179_6 Depth=1
	s_add_i32 s41, s41, 1
	s_cmp_ge_u32 s41, s38
	s_cbranch_scc0 .LBB179_15
.LBB179_9:                              ;   in Loop: Header=BB179_6 Depth=1
	s_add_i32 s41, s41, 1
	s_cmp_ge_u32 s41, s38
	s_cbranch_scc1 .LBB179_11
.LBB179_10:                             ;   in Loop: Header=BB179_6 Depth=1
	s_load_dword s36, s[36:37], 0xc
	s_waitcnt lgkmcnt(0)
	s_add_i32 s17, s17, s15
	s_add_i32 s16, s36, s16
.LBB179_11:                             ;   in Loop: Header=BB179_6 Depth=1
	s_waitcnt lgkmcnt(0)
	s_add_i32 s12, s12, s39
	s_add_i32 s12, s12, s13
	;; [unrolled: 1-line block ×4, first 2 shown]
	s_add_u32 s2, s2, 16
	s_addc_u32 s3, s3, 0
	s_add_u32 s18, s18, 16
	s_addc_u32 s19, s19, 0
	s_add_i32 s37, s41, 4
	s_add_u32 s14, s18, s34
	s_addc_u32 s15, s19, s35
	s_add_u32 s12, s2, s34
	s_addc_u32 s13, s3, s35
	s_add_i32 s36, s41, 1
	s_cmp_ge_u32 s37, s7
	s_cbranch_scc1 .LBB179_17
; %bb.12:                               ;   in Loop: Header=BB179_6 Depth=1
	s_mov_b32 s40, s36
	s_branch .LBB179_6
.LBB179_13:                             ;   in Loop: Header=BB179_6 Depth=1
	s_load_dword s41, s[36:37], 0x0
	s_waitcnt lgkmcnt(0)
	s_add_i32 s17, s12, s17
	s_add_i32 s16, s41, s16
	;; [unrolled: 1-line block ×3, first 2 shown]
	s_cmp_ge_u32 s41, s38
	s_cbranch_scc1 .LBB179_8
.LBB179_14:                             ;   in Loop: Header=BB179_6 Depth=1
	s_load_dword s42, s[36:37], 0x4
	s_waitcnt lgkmcnt(0)
	s_add_i32 s17, s17, s13
	s_add_i32 s16, s42, s16
	;; [unrolled: 1-line block ×3, first 2 shown]
	s_cmp_ge_u32 s41, s38
	s_cbranch_scc1 .LBB179_9
.LBB179_15:                             ;   in Loop: Header=BB179_6 Depth=1
	s_load_dword s42, s[36:37], 0x8
	s_waitcnt lgkmcnt(0)
	s_add_i32 s17, s17, s14
	s_add_i32 s16, s42, s16
	;; [unrolled: 1-line block ×3, first 2 shown]
	s_cmp_ge_u32 s41, s38
	s_cbranch_scc0 .LBB179_10
	s_branch .LBB179_11
.LBB179_16:
	s_mov_b32 s2, 0
	s_cmp_ge_u32 s2, s7
	s_cbranch_scc0 .LBB179_40
	s_branch .LBB179_18
.LBB179_17:
	s_add_i32 s2, s40, 4
	s_cmp_ge_u32 s2, s7
	s_cbranch_scc0 .LBB179_40
.LBB179_18:
	v_mov_b32_e32 v1, s16
	v_mov_b32_e32 v2, s39
	;; [unrolled: 1-line block ×4, first 2 shown]
	ds_write_b96 v4, v[1:3] offset:1056
.LBB179_19:
	s_or_b32 exec_lo, exec_lo, s21
	s_clause 0x1
	s_load_dwordx4 s[12:15], s[4:5], 0x1b8
	s_load_dwordx4 s[16:19], s[4:5], 0x360
	s_cmp_eq_u32 s6, 0
	s_waitcnt lgkmcnt(0)
	s_barrier
	buffer_gl0_inv
	s_cbranch_scc1 .LBB179_42
; %bb.20:
	s_mul_i32 s2, s31, s20
	s_mul_hi_u32 s3, s30, s20
	v_mov_b32_e32 v5, 0
	s_add_i32 s3, s3, s2
	s_mul_i32 s2, s30, s20
	v_cmp_o_f64_e64 s30, s[22:23], s[22:23]
	s_mul_i32 s7, s29, s20
	s_mul_hi_u32 s21, s28, s20
	s_lshl_b64 s[2:3], s[2:3], 3
	s_add_i32 s29, s21, s7
	s_mul_i32 s7, s27, s20
	s_mul_hi_u32 s21, s26, s20
	s_mul_i32 s28, s28, s20
	s_add_i32 s27, s21, s7
	ds_read_b96 v[1:3], v5 offset:1056
	s_add_u32 s7, s24, s2
	s_mul_i32 s26, s26, s20
	s_addc_u32 s20, s25, s3
	s_lshl_b64 s[2:3], s[28:29], 3
	v_add_nc_u32_e32 v4, -1, v0
	s_add_u32 s21, s14, s2
	s_addc_u32 s24, s15, s3
	s_lshl_b64 s[2:3], s[26:27], 3
	v_lshrrev_b32_e32 v6, 3, v0
	s_add_u32 s18, s18, s2
	s_addc_u32 s19, s19, s3
	s_ashr_i32 s2, s23, 31
	v_lshrrev_b32_e32 v7, 3, v4
	s_or_b32 s3, s2, 0x80000000
	v_and_b32_e32 v8, 0xfc, v0
	s_xor_b64 s[2:3], s[2:3], s[22:23]
	s_and_b32 s14, s30, exec_lo
	s_cselect_b32 s15, s3, -1
	s_clause 0x1
	s_load_dword s3, s[4:5], 0x1b0
	s_load_dwordx2 s[4:5], s[4:5], 0x508
	s_waitcnt lgkmcnt(0)
	v_add_nc_u32_e32 v1, v1, v2
	v_and_b32_e32 v2, 28, v6
	v_and_b32_e32 v12, 0x1ffffffc, v7
	v_lshlrev_b32_e32 v9, 5, v0
	v_mbcnt_lo_u32_b32 v10, -1, 0
	v_mad_u64_u32 v[6:7], null, s38, s33, v[0:1]
	s_cselect_b32 s14, s2, -1
	v_lshl_add_u32 v11, v0, 2, v2
	v_cmp_gt_u32_e64 s2, 32, v0
	v_lshl_add_u32 v0, v4, 2, v12
	v_add_nc_u32_e32 v12, v8, v9
	v_and_b32_e32 v13, 15, v10
	v_bfe_i32 v14, v10, 4, 1
	v_add_nc_u32_e32 v15, -1, v10
	v_mov_b32_e32 v4, v6
                                        ; implicit-def: $vgpr6_vgpr7
	s_bitcmp1_b32 s3, 0
	s_cselect_b32 s3, -1, 0
	s_branch .LBB179_23
.LBB179_21:                             ;   in Loop: Header=BB179_23 Depth=1
	s_or_b32 exec_lo, exec_lo, s22
	v_add_nc_u32_e32 v1, v2, v1
.LBB179_22:                             ;   in Loop: Header=BB179_23 Depth=1
	v_add_nc_u32_e32 v3, v16, v3
	v_add_nc_u32_e32 v4, 0x100, v4
	s_add_i32 s6, s6, -1
	s_cmp_lg_u32 s6, 0
	s_cbranch_scc0 .LBB179_42
.LBB179_23:                             ; =>This Inner Loop Header: Depth=1
	v_mov_b32_e32 v2, v5
	v_mov_b32_e32 v8, v5
	s_mov_b32 s22, exec_lo
	v_cmpx_gt_u64_e64 s[8:9], v[4:5]
	s_cbranch_execz .LBB179_25
; %bb.24:                               ;   in Loop: Header=BB179_23 Depth=1
	v_mad_u64_u32 v[6:7], null, s12, v4, 0
	v_mov_b32_e32 v2, v7
	v_mad_u64_u32 v[7:8], null, s13, v4, v[2:3]
	v_lshlrev_b64 v[6:7], 3, v[6:7]
	v_add_co_u32 v6, vcc_lo, s7, v6
	v_add_co_ci_u32_e64 v7, null, s20, v7, vcc_lo
	global_load_dwordx2 v[6:7], v[6:7], off
	s_waitcnt vmcnt(0)
	v_cmp_o_f64_e32 vcc_lo, v[6:7], v[6:7]
	v_ashrrev_i32_e32 v2, 31, v7
	v_or_b32_e32 v8, 0x80000000, v2
	v_xor_b32_e32 v2, v2, v6
	v_xor_b32_e32 v8, v8, v7
	v_cndmask_b32_e32 v9, -1, v8, vcc_lo
	v_cndmask_b32_e32 v8, -1, v2, vcc_lo
	v_cmp_lt_u64_e32 vcc_lo, s[14:15], v[8:9]
	v_cndmask_b32_e64 v2, 0, 1, vcc_lo
	v_cmp_gt_u64_e32 vcc_lo, s[14:15], v[8:9]
	v_cndmask_b32_e64 v16, 0, 1, vcc_lo
	v_cmp_eq_u64_e32 vcc_lo, s[14:15], v[8:9]
	v_cndmask_b32_e64 v2, v16, v2, s3
	v_cndmask_b32_e64 v8, 0, 1, vcc_lo
	v_and_b32_e32 v2, 1, v2
.LBB179_25:                             ;   in Loop: Header=BB179_23 Depth=1
	s_or_b32 exec_lo, exec_lo, s22
	ds_write_b32 v11, v2
	s_waitcnt lgkmcnt(0)
	s_barrier
	buffer_gl0_inv
	s_and_saveexec_b32 s22, s2
	s_cbranch_execz .LBB179_27
; %bb.26:                               ;   in Loop: Header=BB179_23 Depth=1
	ds_read2_b32 v[16:17], v12 offset1:1
	ds_read2_b32 v[18:19], v12 offset0:2 offset1:3
	ds_read2_b32 v[20:21], v12 offset0:4 offset1:5
	;; [unrolled: 1-line block ×3, first 2 shown]
	v_cmp_ne_u32_e32 vcc_lo, 0, v13
	; wave barrier
	s_waitcnt lgkmcnt(3)
	v_add_nc_u32_e32 v9, v17, v16
	s_waitcnt lgkmcnt(2)
	v_add3_u32 v9, v9, v18, v19
	s_waitcnt lgkmcnt(1)
	v_add3_u32 v9, v9, v20, v21
	;; [unrolled: 2-line block ×3, first 2 shown]
	v_mov_b32_dpp v17, v9 row_shr:1 row_mask:0xf bank_mask:0xf
	v_cndmask_b32_e32 v17, 0, v17, vcc_lo
	v_cmp_lt_u32_e32 vcc_lo, 1, v13
	v_add_nc_u32_e32 v9, v17, v9
	v_mov_b32_dpp v17, v9 row_shr:2 row_mask:0xf bank_mask:0xf
	v_cndmask_b32_e32 v17, 0, v17, vcc_lo
	v_cmp_lt_u32_e32 vcc_lo, 3, v13
	v_add_nc_u32_e32 v9, v9, v17
	;; [unrolled: 4-line block ×3, first 2 shown]
	v_mov_b32_dpp v17, v9 row_shr:8 row_mask:0xf bank_mask:0xf
	v_cndmask_b32_e32 v17, 0, v17, vcc_lo
	v_cmp_gt_i32_e32 vcc_lo, 0, v15
	v_add_nc_u32_e32 v9, v9, v17
	v_cndmask_b32_e32 v18, v15, v10, vcc_lo
	ds_swizzle_b32 v17, v9 offset:swizzle(BROADCAST,32,15)
	v_lshlrev_b32_e32 v18, 2, v18
	s_waitcnt lgkmcnt(0)
	v_and_b32_e32 v17, v14, v17
	v_add_nc_u32_e32 v9, v9, v17
	ds_bpermute_b32 v9, v18, v9
	s_waitcnt lgkmcnt(0)
	v_add_nc_u32_e32 v9, v9, v16
	v_cndmask_b32_e64 v9, v9, v2, s1
	ds_write_b32 v12, v9
	; wave barrier
	ds_read2_b32 v[16:17], v12 offset0:1 offset1:2
	ds_read2_b32 v[18:19], v12 offset0:3 offset1:4
	;; [unrolled: 1-line block ×3, first 2 shown]
	ds_read_b32 v22, v12 offset:28
	s_waitcnt lgkmcnt(3)
	v_add_nc_u32_e32 v9, v16, v9
	v_add_nc_u32_e32 v16, v17, v9
	s_waitcnt lgkmcnt(2)
	v_add_nc_u32_e32 v17, v18, v16
	v_add_nc_u32_e32 v18, v19, v17
	;; [unrolled: 3-line block ×3, first 2 shown]
	s_waitcnt lgkmcnt(0)
	v_add_nc_u32_e32 v21, v22, v20
	ds_write2_b32 v12, v9, v16 offset0:1 offset1:2
	ds_write2_b32 v12, v17, v18 offset0:3 offset1:4
	;; [unrolled: 1-line block ×3, first 2 shown]
	ds_write_b32 v12, v21 offset:28
.LBB179_27:                             ;   in Loop: Header=BB179_23 Depth=1
	s_or_b32 exec_lo, exec_lo, s22
	v_mov_b32_e32 v9, 0
	s_waitcnt lgkmcnt(0)
	s_barrier
	buffer_gl0_inv
	s_and_saveexec_b32 s22, s0
; %bb.28:                               ;   in Loop: Header=BB179_23 Depth=1
	ds_read_b32 v9, v0
; %bb.29:                               ;   in Loop: Header=BB179_23 Depth=1
	s_or_b32 exec_lo, exec_lo, s22
	ds_read_b32 v16, v5 offset:1048
	s_mov_b32 s22, exec_lo
	s_waitcnt lgkmcnt(0)
	s_barrier
	buffer_gl0_inv
	v_cmpx_ne_u32_e32 0, v2
	s_cbranch_execz .LBB179_31
; %bb.30:                               ;   in Loop: Header=BB179_23 Depth=1
	v_add_nc_u32_e32 v22, v9, v3
	v_mad_u64_u32 v[17:18], null, s16, v22, 0
	v_mad_u64_u32 v[19:20], null, s4, v22, 0
	v_mov_b32_e32 v2, v18
	v_mov_b32_e32 v9, v20
	v_mad_u64_u32 v[20:21], null, s17, v22, v[2:3]
	v_mad_u64_u32 v[21:22], null, s5, v22, v[9:10]
	v_mov_b32_e32 v18, v20
	v_mov_b32_e32 v20, v21
	v_lshlrev_b64 v[17:18], 3, v[17:18]
	v_lshlrev_b64 v[19:20], 3, v[19:20]
	v_add_co_u32 v17, vcc_lo, s21, v17
	v_add_co_ci_u32_e64 v18, null, s24, v18, vcc_lo
	v_add_co_u32 v19, vcc_lo, s18, v19
	v_add_co_ci_u32_e64 v20, null, s19, v20, vcc_lo
	global_store_dwordx2 v[17:18], v[6:7], off
	global_store_dwordx2 v[19:20], v[4:5], off
.LBB179_31:                             ;   in Loop: Header=BB179_23 Depth=1
	s_or_b32 exec_lo, exec_lo, s22
	v_mov_b32_e32 v2, v5
	v_cmp_le_u64_e32 vcc_lo, s[10:11], v[1:2]
	s_cbranch_vccnz .LBB179_22
; %bb.32:                               ;   in Loop: Header=BB179_23 Depth=1
	ds_write_b32 v11, v8
	s_waitcnt lgkmcnt(0)
	s_waitcnt_vscnt null, 0x0
	s_barrier
	buffer_gl0_inv
	s_and_saveexec_b32 s22, s2
	s_cbranch_execz .LBB179_34
; %bb.33:                               ;   in Loop: Header=BB179_23 Depth=1
	ds_read2_b32 v[17:18], v12 offset1:1
	ds_read2_b32 v[19:20], v12 offset0:2 offset1:3
	ds_read2_b32 v[21:22], v12 offset0:4 offset1:5
	;; [unrolled: 1-line block ×3, first 2 shown]
	v_cmp_ne_u32_e32 vcc_lo, 0, v13
	; wave barrier
	s_waitcnt lgkmcnt(3)
	v_add_nc_u32_e32 v2, v18, v17
	s_waitcnt lgkmcnt(2)
	v_add3_u32 v2, v2, v19, v20
	s_waitcnt lgkmcnt(1)
	v_add3_u32 v2, v2, v21, v22
	;; [unrolled: 2-line block ×3, first 2 shown]
	v_mov_b32_dpp v9, v2 row_shr:1 row_mask:0xf bank_mask:0xf
	v_cndmask_b32_e32 v9, 0, v9, vcc_lo
	v_cmp_lt_u32_e32 vcc_lo, 1, v13
	v_add_nc_u32_e32 v2, v9, v2
	v_mov_b32_dpp v9, v2 row_shr:2 row_mask:0xf bank_mask:0xf
	v_cndmask_b32_e32 v9, 0, v9, vcc_lo
	v_cmp_lt_u32_e32 vcc_lo, 3, v13
	v_add_nc_u32_e32 v2, v2, v9
	;; [unrolled: 4-line block ×3, first 2 shown]
	v_mov_b32_dpp v9, v2 row_shr:8 row_mask:0xf bank_mask:0xf
	v_cndmask_b32_e32 v9, 0, v9, vcc_lo
	v_cmp_gt_i32_e32 vcc_lo, 0, v15
	v_add_nc_u32_e32 v2, v2, v9
	v_cndmask_b32_e32 v18, v15, v10, vcc_lo
	ds_swizzle_b32 v9, v2 offset:swizzle(BROADCAST,32,15)
	v_lshlrev_b32_e32 v18, 2, v18
	s_waitcnt lgkmcnt(0)
	v_and_b32_e32 v9, v14, v9
	v_add_nc_u32_e32 v2, v2, v9
	ds_bpermute_b32 v2, v18, v2
	s_waitcnt lgkmcnt(0)
	v_add_nc_u32_e32 v2, v2, v17
	v_cndmask_b32_e64 v2, v2, v8, s1
	ds_write_b32 v12, v2
	; wave barrier
	ds_read2_b32 v[17:18], v12 offset0:1 offset1:2
	ds_read2_b32 v[19:20], v12 offset0:3 offset1:4
	;; [unrolled: 1-line block ×3, first 2 shown]
	ds_read_b32 v9, v12 offset:28
	s_waitcnt lgkmcnt(3)
	v_add_nc_u32_e32 v2, v17, v2
	v_add_nc_u32_e32 v17, v18, v2
	s_waitcnt lgkmcnt(2)
	v_add_nc_u32_e32 v18, v19, v17
	v_add_nc_u32_e32 v19, v20, v18
	;; [unrolled: 3-line block ×3, first 2 shown]
	s_waitcnt lgkmcnt(0)
	v_add_nc_u32_e32 v9, v9, v21
	ds_write2_b32 v12, v2, v17 offset0:1 offset1:2
	ds_write2_b32 v12, v18, v19 offset0:3 offset1:4
	;; [unrolled: 1-line block ×3, first 2 shown]
	ds_write_b32 v12, v9 offset:28
.LBB179_34:                             ;   in Loop: Header=BB179_23 Depth=1
	s_or_b32 exec_lo, exec_lo, s22
	v_mov_b32_e32 v9, 0
	s_waitcnt lgkmcnt(0)
	s_barrier
	buffer_gl0_inv
	s_and_saveexec_b32 s22, s0
; %bb.35:                               ;   in Loop: Header=BB179_23 Depth=1
	ds_read_b32 v9, v0
; %bb.36:                               ;   in Loop: Header=BB179_23 Depth=1
	s_or_b32 exec_lo, exec_lo, s22
	ds_read_b32 v2, v5 offset:1048
	s_mov_b32 s22, exec_lo
	s_waitcnt lgkmcnt(0)
	s_barrier
	buffer_gl0_inv
	v_cmpx_ne_u32_e32 0, v8
	s_cbranch_execz .LBB179_21
; %bb.37:                               ;   in Loop: Header=BB179_23 Depth=1
	v_add_nc_u32_e32 v8, v9, v1
	v_mov_b32_e32 v9, v5
	v_cmp_gt_u64_e32 vcc_lo, s[10:11], v[8:9]
	s_and_b32 exec_lo, exec_lo, vcc_lo
	s_cbranch_execz .LBB179_21
; %bb.38:                               ;   in Loop: Header=BB179_23 Depth=1
	v_mad_u64_u32 v[17:18], null, s16, v8, 0
	v_mad_u64_u32 v[19:20], null, s4, v8, 0
	v_mov_b32_e32 v9, v18
	v_mov_b32_e32 v18, v20
	v_mad_u64_u32 v[20:21], null, s17, v8, v[9:10]
	v_mad_u64_u32 v[8:9], null, s5, v8, v[18:19]
	v_mov_b32_e32 v18, v20
	v_mov_b32_e32 v20, v8
	v_lshlrev_b64 v[8:9], 3, v[17:18]
	v_lshlrev_b64 v[17:18], 3, v[19:20]
	v_add_co_u32 v8, vcc_lo, s21, v8
	v_add_co_ci_u32_e64 v9, null, s24, v9, vcc_lo
	v_add_co_u32 v17, vcc_lo, s18, v17
	v_add_co_ci_u32_e64 v18, null, s19, v18, vcc_lo
	global_store_dwordx2 v[8:9], v[6:7], off
	global_store_dwordx2 v[17:18], v[4:5], off
	s_branch .LBB179_21
	.p2align	6
.LBB179_39:                             ;   in Loop: Header=BB179_40 Depth=1
	s_add_u32 s12, s12, 4
	s_addc_u32 s13, s13, 0
	s_waitcnt lgkmcnt(0)
	s_add_i32 s39, s3, s39
	s_add_u32 s14, s14, 4
	s_addc_u32 s15, s15, 0
	s_add_i32 s2, s2, 1
	s_cmp_lt_u32 s2, s7
	s_cbranch_scc0 .LBB179_18
.LBB179_40:                             ; =>This Inner Loop Header: Depth=1
	s_load_dword s3, s[12:13], 0x0
	s_cmp_ge_u32 s2, s38
	s_cbranch_scc1 .LBB179_39
; %bb.41:                               ;   in Loop: Header=BB179_40 Depth=1
	s_load_dword s18, s[14:15], 0x0
	s_waitcnt lgkmcnt(0)
	s_add_i32 s17, s3, s17
	s_add_i32 s16, s18, s16
	s_branch .LBB179_39
.LBB179_42:
	s_endpgm
	.section	.rodata,"a",@progbits
	.p2align	6, 0x0
	.amdhsa_kernel _ZN2at6native6mbtopk10gatherTopKIdmLi1EEEvNS_4cuda6detail10TensorInfoIKT_T0_EES8_S8_bjS8_NS5_IS6_S8_EES8_NS5_IlS8_EES8_jjPS6_PjSD_j
		.amdhsa_group_segment_fixed_size 1068
		.amdhsa_private_segment_fixed_size 0
		.amdhsa_kernarg_size 1592
		.amdhsa_user_sgpr_count 6
		.amdhsa_user_sgpr_private_segment_buffer 1
		.amdhsa_user_sgpr_dispatch_ptr 0
		.amdhsa_user_sgpr_queue_ptr 0
		.amdhsa_user_sgpr_kernarg_segment_ptr 1
		.amdhsa_user_sgpr_dispatch_id 0
		.amdhsa_user_sgpr_flat_scratch_init 0
		.amdhsa_user_sgpr_private_segment_size 0
		.amdhsa_wavefront_size32 1
		.amdhsa_uses_dynamic_stack 0
		.amdhsa_system_sgpr_private_segment_wavefront_offset 0
		.amdhsa_system_sgpr_workgroup_id_x 1
		.amdhsa_system_sgpr_workgroup_id_y 1
		.amdhsa_system_sgpr_workgroup_id_z 1
		.amdhsa_system_sgpr_workgroup_info 0
		.amdhsa_system_vgpr_workitem_id 0
		.amdhsa_next_free_vgpr 25
		.amdhsa_next_free_sgpr 43
		.amdhsa_reserve_vcc 1
		.amdhsa_reserve_flat_scratch 0
		.amdhsa_float_round_mode_32 0
		.amdhsa_float_round_mode_16_64 0
		.amdhsa_float_denorm_mode_32 3
		.amdhsa_float_denorm_mode_16_64 3
		.amdhsa_dx10_clamp 1
		.amdhsa_ieee_mode 1
		.amdhsa_fp16_overflow 0
		.amdhsa_workgroup_processor_mode 1
		.amdhsa_memory_ordered 1
		.amdhsa_forward_progress 1
		.amdhsa_shared_vgpr_count 0
		.amdhsa_exception_fp_ieee_invalid_op 0
		.amdhsa_exception_fp_denorm_src 0
		.amdhsa_exception_fp_ieee_div_zero 0
		.amdhsa_exception_fp_ieee_overflow 0
		.amdhsa_exception_fp_ieee_underflow 0
		.amdhsa_exception_fp_ieee_inexact 0
		.amdhsa_exception_int_div_zero 0
	.end_amdhsa_kernel
	.section	.text._ZN2at6native6mbtopk10gatherTopKIdmLi1EEEvNS_4cuda6detail10TensorInfoIKT_T0_EES8_S8_bjS8_NS5_IS6_S8_EES8_NS5_IlS8_EES8_jjPS6_PjSD_j,"axG",@progbits,_ZN2at6native6mbtopk10gatherTopKIdmLi1EEEvNS_4cuda6detail10TensorInfoIKT_T0_EES8_S8_bjS8_NS5_IS6_S8_EES8_NS5_IlS8_EES8_jjPS6_PjSD_j,comdat
.Lfunc_end179:
	.size	_ZN2at6native6mbtopk10gatherTopKIdmLi1EEEvNS_4cuda6detail10TensorInfoIKT_T0_EES8_S8_bjS8_NS5_IS6_S8_EES8_NS5_IlS8_EES8_jjPS6_PjSD_j, .Lfunc_end179-_ZN2at6native6mbtopk10gatherTopKIdmLi1EEEvNS_4cuda6detail10TensorInfoIKT_T0_EES8_S8_bjS8_NS5_IS6_S8_EES8_NS5_IlS8_EES8_jjPS6_PjSD_j
                                        ; -- End function
	.set _ZN2at6native6mbtopk10gatherTopKIdmLi1EEEvNS_4cuda6detail10TensorInfoIKT_T0_EES8_S8_bjS8_NS5_IS6_S8_EES8_NS5_IlS8_EES8_jjPS6_PjSD_j.num_vgpr, 25
	.set _ZN2at6native6mbtopk10gatherTopKIdmLi1EEEvNS_4cuda6detail10TensorInfoIKT_T0_EES8_S8_bjS8_NS5_IS6_S8_EES8_NS5_IlS8_EES8_jjPS6_PjSD_j.num_agpr, 0
	.set _ZN2at6native6mbtopk10gatherTopKIdmLi1EEEvNS_4cuda6detail10TensorInfoIKT_T0_EES8_S8_bjS8_NS5_IS6_S8_EES8_NS5_IlS8_EES8_jjPS6_PjSD_j.numbered_sgpr, 43
	.set _ZN2at6native6mbtopk10gatherTopKIdmLi1EEEvNS_4cuda6detail10TensorInfoIKT_T0_EES8_S8_bjS8_NS5_IS6_S8_EES8_NS5_IlS8_EES8_jjPS6_PjSD_j.num_named_barrier, 0
	.set _ZN2at6native6mbtopk10gatherTopKIdmLi1EEEvNS_4cuda6detail10TensorInfoIKT_T0_EES8_S8_bjS8_NS5_IS6_S8_EES8_NS5_IlS8_EES8_jjPS6_PjSD_j.private_seg_size, 0
	.set _ZN2at6native6mbtopk10gatherTopKIdmLi1EEEvNS_4cuda6detail10TensorInfoIKT_T0_EES8_S8_bjS8_NS5_IS6_S8_EES8_NS5_IlS8_EES8_jjPS6_PjSD_j.uses_vcc, 1
	.set _ZN2at6native6mbtopk10gatherTopKIdmLi1EEEvNS_4cuda6detail10TensorInfoIKT_T0_EES8_S8_bjS8_NS5_IS6_S8_EES8_NS5_IlS8_EES8_jjPS6_PjSD_j.uses_flat_scratch, 0
	.set _ZN2at6native6mbtopk10gatherTopKIdmLi1EEEvNS_4cuda6detail10TensorInfoIKT_T0_EES8_S8_bjS8_NS5_IS6_S8_EES8_NS5_IlS8_EES8_jjPS6_PjSD_j.has_dyn_sized_stack, 0
	.set _ZN2at6native6mbtopk10gatherTopKIdmLi1EEEvNS_4cuda6detail10TensorInfoIKT_T0_EES8_S8_bjS8_NS5_IS6_S8_EES8_NS5_IlS8_EES8_jjPS6_PjSD_j.has_recursion, 0
	.set _ZN2at6native6mbtopk10gatherTopKIdmLi1EEEvNS_4cuda6detail10TensorInfoIKT_T0_EES8_S8_bjS8_NS5_IS6_S8_EES8_NS5_IlS8_EES8_jjPS6_PjSD_j.has_indirect_call, 0
	.section	.AMDGPU.csdata,"",@progbits
; Kernel info:
; codeLenInByte = 2448
; TotalNumSgprs: 45
; NumVgprs: 25
; ScratchSize: 0
; MemoryBound: 0
; FloatMode: 240
; IeeeMode: 1
; LDSByteSize: 1068 bytes/workgroup (compile time only)
; SGPRBlocks: 0
; VGPRBlocks: 3
; NumSGPRsForWavesPerEU: 45
; NumVGPRsForWavesPerEU: 25
; Occupancy: 16
; WaveLimiterHint : 1
; COMPUTE_PGM_RSRC2:SCRATCH_EN: 0
; COMPUTE_PGM_RSRC2:USER_SGPR: 6
; COMPUTE_PGM_RSRC2:TRAP_HANDLER: 0
; COMPUTE_PGM_RSRC2:TGID_X_EN: 1
; COMPUTE_PGM_RSRC2:TGID_Y_EN: 1
; COMPUTE_PGM_RSRC2:TGID_Z_EN: 1
; COMPUTE_PGM_RSRC2:TIDIG_COMP_CNT: 0
	.section	.text._ZN2at6native6sbtopk10gatherTopKIdmLi1ELb0EEEvNS_4cuda6detail10TensorInfoIKT_T0_EES8_S8_bS8_S8_NS5_IS6_S8_EES8_NS5_IlS8_EES8_PS6_,"axG",@progbits,_ZN2at6native6sbtopk10gatherTopKIdmLi1ELb0EEEvNS_4cuda6detail10TensorInfoIKT_T0_EES8_S8_bS8_S8_NS5_IS6_S8_EES8_NS5_IlS8_EES8_PS6_,comdat
	.protected	_ZN2at6native6sbtopk10gatherTopKIdmLi1ELb0EEEvNS_4cuda6detail10TensorInfoIKT_T0_EES8_S8_bS8_S8_NS5_IS6_S8_EES8_NS5_IlS8_EES8_PS6_ ; -- Begin function _ZN2at6native6sbtopk10gatherTopKIdmLi1ELb0EEEvNS_4cuda6detail10TensorInfoIKT_T0_EES8_S8_bS8_S8_NS5_IS6_S8_EES8_NS5_IlS8_EES8_PS6_
	.globl	_ZN2at6native6sbtopk10gatherTopKIdmLi1ELb0EEEvNS_4cuda6detail10TensorInfoIKT_T0_EES8_S8_bS8_S8_NS5_IS6_S8_EES8_NS5_IlS8_EES8_PS6_
	.p2align	8
	.type	_ZN2at6native6sbtopk10gatherTopKIdmLi1ELb0EEEvNS_4cuda6detail10TensorInfoIKT_T0_EES8_S8_bS8_S8_NS5_IS6_S8_EES8_NS5_IlS8_EES8_PS6_,@function
_ZN2at6native6sbtopk10gatherTopKIdmLi1ELb0EEEvNS_4cuda6detail10TensorInfoIKT_T0_EES8_S8_bS8_S8_NS5_IS6_S8_EES8_NS5_IlS8_EES8_PS6_: ; @_ZN2at6native6sbtopk10gatherTopKIdmLi1ELb0EEEvNS_4cuda6detail10TensorInfoIKT_T0_EES8_S8_bS8_S8_NS5_IS6_S8_EES8_NS5_IlS8_EES8_PS6_
; %bb.0:
	s_clause 0x1
	s_load_dwordx2 s[12:13], s[4:5], 0x520
	s_load_dwordx4 s[36:39], s[4:5], 0x1b8
	s_add_u32 s10, s4, 0x520
	s_addc_u32 s11, s5, 0
	s_mov_b32 s43, 0
	s_waitcnt lgkmcnt(0)
	s_mul_i32 s0, s13, s8
	s_add_i32 s0, s0, s7
	s_mul_i32 s0, s0, s12
	s_add_i32 s42, s0, s6
	v_cmp_le_u64_e64 s0, s[36:37], s[42:43]
	s_and_b32 vcc_lo, exec_lo, s0
	s_cbranch_vccnz .LBB180_483
; %bb.1:
	s_load_dwordx2 s[0:1], s[4:5], 0x370
                                        ; implicit-def: $vgpr59 : SGPR spill to VGPR lane
	v_cmp_eq_u32_e64 s3, 0, v0
	s_waitcnt lgkmcnt(0)
	v_writelane_b32 v59, s0, 0
	v_writelane_b32 v59, s1, 1
	s_clause 0x1
	s_load_dwordx4 s[28:31], s[4:5], 0x1a0
	s_load_dwordx2 s[0:1], s[4:5], 0x1c8
	s_waitcnt lgkmcnt(0)
	v_writelane_b32 v59, s0, 2
	v_writelane_b32 v59, s1, 3
	s_clause 0x1
	s_load_dwordx2 s[0:1], s[4:5], 0xd0
	s_load_dwordx2 s[36:37], s[4:5], 0x0
	s_and_saveexec_b32 s2, s3
	s_cbranch_execz .LBB180_3
; %bb.2:
	v_mov_b32_e32 v1, 0
	v_mov_b32_e32 v3, s28
	;; [unrolled: 1-line block ×4, first 2 shown]
	ds_write_b32 v1, v1 offset:5144
	ds_write_b128 v1, v[1:4] offset:5120
.LBB180_3:
	s_or_b32 exec_lo, exec_lo, s2
	v_mad_u64_u32 v[2:3], null, s38, v0, 0
	s_load_dword s2, s[4:5], 0x1b0
	s_waitcnt lgkmcnt(0)
	s_mul_i32 s1, s1, s42
	s_mul_hi_u32 s7, s0, s42
	s_barrier
	buffer_gl0_inv
	v_mov_b32_e32 v1, v3
	s_add_i32 s1, s7, s1
	s_load_dword s7, s[10:11], 0xc
	v_mbcnt_lo_u32_b32 v42, -1, 0
	v_lshlrev_b32_e32 v45, 5, v0
	v_mad_u64_u32 v[3:4], null, s39, v0, v[1:2]
	s_mul_i32 s0, s0, s42
	v_cmp_gt_u32_e32 vcc_lo, 32, v0
	s_lshl_b64 s[40:41], s[0:1], 3
	v_cmp_gt_i32_e64 s1, 4, v42
	v_or_b32_e32 v7, 24, v45
	v_or_b32_e32 v9, 16, v45
	v_lshlrev_b64 v[4:5], 3, v[2:3]
	s_add_u32 s52, s36, s40
	s_addc_u32 s53, s37, s41
	s_bitcmp1_b32 s2, 0
	v_mad_u64_u32 v[22:23], null, s38, v7, 0
	s_cselect_b32 s2, -1, 0
	s_and_b32 s76, vcc_lo, s1
	v_add_co_u32 v16, vcc_lo, s52, v4
	v_mad_u64_u32 v[24:25], null, s38, v9, 0
	v_add_co_ci_u32_e64 v17, null, s53, v5, vcc_lo
	v_lshlrev_b64 v[4:5], v42, -1
	v_or_b32_e32 v10, 8, v45
	s_waitcnt lgkmcnt(0)
	s_and_b32 s33, s7, 0xffff
	s_xor_b32 s43, s2, -1
	s_bfe_u32 s9, s33, 0x80008
	v_mov_b32_e32 v5, v25
	v_mad_u64_u32 v[26:27], null, s38, v10, 0
	v_not_b32_e32 v41, v4
	v_mov_b32_e32 v4, v23
	s_lshl_b32 s78, s9, 3
	s_bfe_u32 s7, s7, 0xb0005
	s_cmp_gt_u32 s33, 31
	v_mov_b32_e32 v19, 0
	s_cselect_b32 s79, -1, 0
	s_add_u32 s80, s33, -1
	v_mad_u64_u32 v[7:8], null, s39, v7, v[4:5]
	s_addc_u32 s81, 0, -1
	s_add_u32 s82, s80, s28
	v_mov_b32_e32 v6, v27
	s_addc_u32 s55, s81, s29
	s_cmp_lt_u32 s6, s12
	v_mov_b32_e32 v1, v19
	s_cselect_b32 s6, 12, 18
	v_mad_u64_u32 v[4:5], null, s39, v9, v[5:6]
	s_add_u32 s56, s10, s6
	v_mad_u64_u32 v[5:6], null, s39, v10, v[6:7]
	s_addc_u32 s57, s11, 0
	s_add_i32 s7, s7, -1
	v_lshlrev_b32_e32 v43, 3, v0
	s_and_b32 s7, s7, 0xffff
	s_bfe_u32 s83, s33, 0x30005
	s_movk_i32 s6, 0x3e0
	s_cmp_gt_u32 s7, 6
	v_cmp_lt_u64_e64 s77, 0x180, s[28:29]
	v_cmp_gt_u64_e64 s1, s[28:29], v[0:1]
	s_cselect_b32 s84, -1, 0
	s_cmp_lg_u32 s83, 0
	v_and_or_b32 v23, v0, s6, 0xc00
	v_mov_b32_e32 v25, v7
	v_lshlrev_b64 v[29:30], 5, v[2:3]
	s_mul_i32 s6, s39, s33
	s_mul_hi_u32 s7, s38, s33
	v_mov_b32_e32 v27, 0
	v_mov_b32_e32 v6, 0
	;; [unrolled: 1-line block ×4, first 2 shown]
	v_cmp_eq_u32_e64 s0, 0, v42
	v_lshlrev_b32_e32 v20, 2, v0
	v_mov_b32_e32 v21, v19
	v_cmp_gt_u32_e64 s8, 2, v0
	v_add_nc_u32_e32 v44, 0xc00, v43
	v_mov_b32_e32 v46, v4
	v_mov_b32_e32 v47, v5
	v_lshl_or_b32 v48, v42, 3, 0xc00
	v_mov_b32_e32 v28, 0
	v_mov_b32_e32 v7, 0
	;; [unrolled: 1-line block ×5, first 2 shown]
	s_cselect_b32 s85, -1, 0
	s_add_i32 s7, s7, s6
	s_mul_i32 s6, s38, s33
	s_mov_b32 s27, 0
	s_lshl_b64 s[58:59], s[38:39], 3
	s_lshl_b64 s[60:61], s[38:39], 5
	s_lshl_b32 s86, s33, 3
	s_lshl_b64 s[34:35], s[6:7], 3
	s_mov_b32 s93, 62
	s_mov_b32 s87, 0
	;; [unrolled: 1-line block ×3, first 2 shown]
                                        ; implicit-def: $sgpr88
                                        ; implicit-def: $sgpr92
                                        ; implicit-def: $sgpr91
                                        ; implicit-def: $sgpr94
                                        ; implicit-def: $sgpr90
                                        ; implicit-def: $sgpr98
                                        ; implicit-def: $sgpr99
                                        ; implicit-def: $sgpr95
                                        ; implicit-def: $sgpr97
                                        ; implicit-def: $sgpr96
	s_branch .LBB180_6
.LBB180_4:                              ;   in Loop: Header=BB180_6 Depth=1
	s_or_b32 exec_lo, exec_lo, s10
	v_mov_b32_e32 v33, v35
	v_mov_b32_e32 v34, v36
	s_andn2_b32 s10, s96, exec_lo
	s_and_b32 s9, s9, exec_lo
	s_andn2_b32 s97, s97, exec_lo
	s_or_b32 s96, s10, s9
	s_andn2_b32 s95, s95, exec_lo
	s_andn2_b32 s99, s99, exec_lo
	;; [unrolled: 1-line block ×3, first 2 shown]
	s_orn2_b32 s7, s7, exec_lo
.LBB180_5:                              ;   in Loop: Header=BB180_6 Depth=1
	s_or_b32 exec_lo, exec_lo, s6
	s_and_b32 s6, exec_lo, s7
	s_or_b32 s87, s6, s87
	s_andn2_b32 s6, s90, exec_lo
	s_and_b32 s7, s96, exec_lo
	s_andn2_b32 s9, s94, exec_lo
	s_or_b32 s90, s6, s7
	s_and_b32 s6, s97, exec_lo
	s_andn2_b32 s7, s91, exec_lo
	s_and_b32 s10, s95, exec_lo
	s_or_b32 s94, s9, s6
	s_or_b32 s91, s7, s10
	s_andn2_b32 s6, s92, exec_lo
	s_and_b32 s7, s99, exec_lo
	s_andn2_b32 s9, s88, exec_lo
	s_and_b32 s10, s98, exec_lo
	s_or_b32 s92, s6, s7
	s_or_b32 s88, s9, s10
	s_andn2_b32 exec_lo, exec_lo, s87
	s_cbranch_execz .LBB180_479
.LBB180_6:                              ; =>This Loop Header: Depth=1
                                        ;     Child Loop BB180_12 Depth 2
                                        ;     Child Loop BB180_25 Depth 2
	;; [unrolled: 1-line block ×24, first 2 shown]
	ds_read_b128 v[8:11], v19 offset:5120
	s_waitcnt lgkmcnt(0)
	v_readfirstlane_b32 s63, v9
	v_readfirstlane_b32 s62, v8
	s_cmp_lg_u64 s[62:63], 0
	s_cbranch_scc1 .LBB180_33
; %bb.7:                                ;   in Loop: Header=BB180_6 Depth=1
	s_and_b32 vcc_lo, exec_lo, s77
	s_cbranch_vccz .LBB180_20
; %bb.8:                                ;   in Loop: Header=BB180_6 Depth=1
	v_cmp_gt_u64_e32 vcc_lo, 0x181, v[10:11]
	s_mov_b32 s9, 0
	s_mov_b32 s6, 0
	s_cbranch_vccz .LBB180_21
; %bb.9:                                ;   in Loop: Header=BB180_6 Depth=1
	s_and_saveexec_b32 s10, s1
	s_cbranch_execz .LBB180_88
; %bb.10:                               ;   in Loop: Header=BB180_6 Depth=1
	global_load_ushort v12, v19, s[56:57]
	global_load_dwordx2 v[8:9], v[16:17], off
	s_mov_b32 s13, 0
	s_waitcnt vmcnt(1)
	v_readfirstlane_b32 s6, v12
	s_and_b32 s6, 0xffff, s6
	v_add_nc_u32_e32 v10, s6, v0
	s_mul_i32 s7, s59, s6
	s_mul_hi_u32 s11, s58, s6
	s_mul_i32 s12, s58, s6
	s_add_i32 s11, s11, s7
	v_mad_u64_u32 v[4:5], null, s58, v10, s[52:53]
	v_mov_b32_e32 v2, v5
	v_mad_u64_u32 v[10:11], null, s59, v10, v[2:3]
	v_and_b32_e32 v2, 0xffff, v12
	v_mov_b32_e32 v5, v10
	v_mov_b32_e32 v11, v1
	;; [unrolled: 1-line block ×3, first 2 shown]
	s_branch .LBB180_12
.LBB180_11:                             ;   in Loop: Header=BB180_12 Depth=2
	s_or_b32 exec_lo, exec_lo, s7
	v_add_co_u32 v4, vcc_lo, v4, s12
	v_mov_b32_e32 v8, v12
	v_add_co_ci_u32_e64 v5, null, s11, v5, vcc_lo
	v_mov_b32_e32 v9, v13
	s_andn2_b32 exec_lo, exec_lo, s13
	s_cbranch_execz .LBB180_88
.LBB180_12:                             ;   Parent Loop BB180_6 Depth=1
                                        ; =>  This Inner Loop Header: Depth=2
	v_add_co_u32 v10, vcc_lo, v10, v2
	v_mov_b32_e32 v12, 0
	v_add_co_ci_u32_e64 v11, null, 0, v11, vcc_lo
	v_mov_b32_e32 v13, 0
	s_mov_b32 s7, exec_lo
	v_cmp_le_u64_e32 vcc_lo, s[28:29], v[10:11]
	v_cmpx_gt_u64_e64 s[28:29], v[10:11]
	s_cbranch_execz .LBB180_14
; %bb.13:                               ;   in Loop: Header=BB180_12 Depth=2
	global_load_dwordx2 v[12:13], v[4:5], off
.LBB180_14:                             ;   in Loop: Header=BB180_12 Depth=2
	s_or_b32 exec_lo, exec_lo, s7
	s_waitcnt vmcnt(0)
	v_cmp_o_f64_e64 s6, v[8:9], v[8:9]
	s_waitcnt lgkmcnt(0)
	v_ashrrev_i32_e32 v14, 31, v9
	v_or_b32_e32 v15, 0x80000000, v14
	v_xor_b32_e32 v14, v14, v8
	v_xor_b32_e32 v15, v15, v9
	v_cndmask_b32_e64 v15, -1, v15, s6
	v_cndmask_b32_e64 v14, -1, v14, s6
	v_and_b32_e32 v15, v15, v32
	v_and_b32_e32 v14, v14, v31
	v_cmp_eq_u64_e64 s6, v[14:15], v[27:28]
	v_mov_b32_e32 v14, 0
	s_cmp_lg_u32 s6, 0
	s_cselect_b32 s7, -1, 0
	s_and_b32 s7, s0, s7
	s_and_saveexec_b32 s14, s7
	s_cbranch_execz .LBB180_18
; %bb.15:                               ;   in Loop: Header=BB180_12 Depth=2
	s_mov_b32 s17, exec_lo
	s_bcnt1_i32_b32 s15, s6
	v_mbcnt_lo_u32_b32 v14, s17, 0
	s_mov_b32 s16, exec_lo
                                        ; implicit-def: $vgpr15
	v_cmpx_eq_u32_e32 0, v14
; %bb.16:                               ;   in Loop: Header=BB180_12 Depth=2
	s_bcnt1_i32_b32 s7, s17
	s_mul_i32 s7, s15, s7
	v_mov_b32_e32 v15, s7
	ds_add_rtn_u32 v15, v19, v15 offset:5144
; %bb.17:                               ;   in Loop: Header=BB180_12 Depth=2
	s_or_b32 exec_lo, exec_lo, s16
	s_waitcnt lgkmcnt(0)
	v_readfirstlane_b32 s7, v15
	v_mad_u32_u24 v14, s15, v14, s7
.LBB180_18:                             ;   in Loop: Header=BB180_12 Depth=2
	s_or_b32 exec_lo, exec_lo, s14
	ds_bpermute_b32 v14, v19, v14
	s_and_b32 s7, exec_lo, vcc_lo
	s_or_b32 s13, s7, s13
	s_and_saveexec_b32 s7, s6
	s_cbranch_execz .LBB180_11
; %bb.19:                               ;   in Loop: Header=BB180_12 Depth=2
	v_and_b32_e32 v15, s6, v41
	v_bcnt_u32_b32 v15, v15, 0
	v_lshlrev_b32_e32 v15, 3, v15
	s_waitcnt lgkmcnt(0)
	v_lshl_add_u32 v14, v14, 3, v15
	ds_write_b64 v14, v[8:9]
	s_branch .LBB180_11
.LBB180_20:                             ;   in Loop: Header=BB180_6 Depth=1
	s_mov_b32 s9, -1
	s_mov_b32 s6, 0
.LBB180_21:                             ;   in Loop: Header=BB180_6 Depth=1
	s_and_b32 vcc_lo, exec_lo, s9
	s_cbranch_vccz .LBB180_31
.LBB180_22:                             ;   in Loop: Header=BB180_6 Depth=1
	s_and_saveexec_b32 s7, s1
	s_cbranch_execz .LBB180_28
; %bb.23:                               ;   in Loop: Header=BB180_6 Depth=1
	global_load_ushort v2, v19, s[56:57]
	global_load_dwordx2 v[4:5], v[16:17], off
	s_mov_b32 s9, exec_lo
	s_waitcnt vmcnt(1)
	v_add_nc_u32_sdwa v18, v2, v0 dst_sel:DWORD dst_unused:UNUSED_PAD src0_sel:WORD_0 src1_sel:DWORD
	v_readfirstlane_b32 s6, v2
	v_mov_b32_e32 v2, v0
	v_cmpx_gt_u64_e64 s[28:29], v[18:19]
	s_cbranch_execz .LBB180_27
; %bb.24:                               ;   in Loop: Header=BB180_6 Depth=1
	v_mad_u64_u32 v[8:9], null, s58, v18, s[52:53]
	s_and_b32 s10, s6, 0xffff
	v_mov_b32_e32 v15, v1
	v_mov_b32_e32 v14, v0
	s_mul_i32 s6, s59, s10
	s_mul_hi_u32 s11, s58, s10
	s_mul_i32 s13, s58, s10
	v_mov_b32_e32 v2, v9
	s_add_i32 s11, s11, s6
	s_mov_b32 s12, 0
	v_mad_u64_u32 v[9:10], null, s59, v18, v[2:3]
	v_mov_b32_e32 v10, v18
	v_mov_b32_e32 v11, v19
	.p2align	6
.LBB180_25:                             ;   Parent Loop BB180_6 Depth=1
                                        ; =>  This Inner Loop Header: Depth=2
	global_load_dwordx2 v[12:13], v[8:9], off
	v_mov_b32_e32 v36, v11
	v_mov_b32_e32 v35, v10
	v_lshlrev_b32_e32 v2, 3, v14
	v_add_co_u32 v10, vcc_lo, v35, s10
	v_add_co_ci_u32_e64 v11, null, 0, v36, vcc_lo
	v_add_co_u32 v8, vcc_lo, v8, s13
	s_waitcnt vmcnt(1)
	ds_write_b64 v2, v[4:5]
	v_cmp_le_u64_e64 s6, s[28:29], v[10:11]
	v_add_co_ci_u32_e64 v9, null, s11, v9, vcc_lo
	v_mov_b32_e32 v14, v35
	v_mov_b32_e32 v15, v36
	s_or_b32 s12, s6, s12
	s_waitcnt vmcnt(0)
	v_mov_b32_e32 v4, v12
	v_mov_b32_e32 v5, v13
	s_andn2_b32 exec_lo, exec_lo, s12
	s_cbranch_execnz .LBB180_25
; %bb.26:                               ;   in Loop: Header=BB180_6 Depth=1
	s_or_b32 exec_lo, exec_lo, s12
	v_mov_b32_e32 v4, v12
	v_subrev_nc_u32_e32 v2, s10, v10
	v_mov_b32_e32 v5, v13
.LBB180_27:                             ;   in Loop: Header=BB180_6 Depth=1
	s_or_b32 exec_lo, exec_lo, s9
	v_lshlrev_b32_e32 v2, 3, v2
	s_waitcnt vmcnt(0)
	ds_write_b64 v2, v[4:5]
.LBB180_28:                             ;   in Loop: Header=BB180_6 Depth=1
	s_or_b32 exec_lo, exec_lo, s7
	s_waitcnt lgkmcnt(0)
	s_barrier
	buffer_gl0_inv
	s_and_saveexec_b32 s6, s3
; %bb.29:                               ;   in Loop: Header=BB180_6 Depth=1
	v_mov_b32_e32 v4, s28
	v_mov_b32_e32 v5, s29
	ds_write_b64 v19, v[4:5] offset:5120
; %bb.30:                               ;   in Loop: Header=BB180_6 Depth=1
	s_or_b32 exec_lo, exec_lo, s6
	s_mov_b32 s6, -1
	s_waitcnt lgkmcnt(0)
	s_barrier
.LBB180_31:                             ;   in Loop: Header=BB180_6 Depth=1
	s_and_b32 vcc_lo, exec_lo, s6
	s_mov_b64 s[62:63], 0
	s_cbranch_vccz .LBB180_33
; %bb.32:                               ;   in Loop: Header=BB180_6 Depth=1
	buffer_gl0_inv
	ds_read_b64 v[4:5], v19 offset:5120
	s_waitcnt lgkmcnt(0)
	v_readfirstlane_b32 s62, v4
.LBB180_33:                             ;   in Loop: Header=BB180_6 Depth=1
	s_cmp_lt_i32 s62, 1
	s_mov_b32 s6, -1
                                        ; implicit-def: $vgpr8_vgpr9
                                        ; implicit-def: $vgpr12_vgpr13
	s_cbranch_scc1 .LBB180_43
; %bb.34:                               ;   in Loop: Header=BB180_6 Depth=1
	s_and_b32 vcc_lo, exec_lo, s6
	s_cbranch_vccnz .LBB180_57
.LBB180_35:                             ;   in Loop: Header=BB180_6 Depth=1
	s_lshl_b32 s6, s89, 7
	s_and_saveexec_b32 s7, s0
	s_cbranch_execz .LBB180_37
.LBB180_36:                             ;   in Loop: Header=BB180_6 Depth=1
	v_lshl_add_u32 v2, s6, 3, v23
	ds_write_b128 v2, v[8:11]
	ds_write_b128 v2, v[12:15] offset:16
.LBB180_37:                             ;   in Loop: Header=BB180_6 Depth=1
	s_or_b32 exec_lo, exec_lo, s7
	s_waitcnt lgkmcnt(0)
	s_barrier
	buffer_gl0_inv
	s_and_saveexec_b32 s7, s76
	s_cbranch_execz .LBB180_71
; %bb.38:                               ;   in Loop: Header=BB180_6 Depth=1
	v_mov_b32_e32 v4, 0
	v_mov_b32_e32 v5, 0
	s_andn2_b32 vcc_lo, exec_lo, s79
	s_cbranch_vccnz .LBB180_70
; %bb.39:                               ;   in Loop: Header=BB180_6 Depth=1
	v_mov_b32_e32 v4, 0
	v_mov_b32_e32 v5, 0
	s_andn2_b32 vcc_lo, exec_lo, s84
	s_cbranch_vccnz .LBB180_67
; %bb.40:                               ;   in Loop: Header=BB180_6 Depth=1
	v_lshl_add_u32 v2, s89, 10, v48
	s_mov_b32 s9, 0
	s_inst_prefetch 0x1
	.p2align	6
.LBB180_41:                             ;   Parent Loop BB180_6 Depth=1
                                        ; =>  This Inner Loop Header: Depth=2
	ds_read2_b64 v[8:11], v2 offset1:4
	ds_read2_b64 v[12:15], v2 offset0:8 offset1:12
	ds_read2_b64 v[35:38], v2 offset0:16 offset1:20
	s_add_i32 s9, s9, 8
	s_cmp_eq_u32 s78, s9
	s_waitcnt lgkmcnt(2)
	v_add_co_u32 v4, vcc_lo, v8, v4
	v_add_co_ci_u32_e64 v5, null, v9, v5, vcc_lo
	v_add_co_u32 v4, vcc_lo, v10, v4
	v_add_co_ci_u32_e64 v5, null, v11, v5, vcc_lo
	ds_read2_b64 v[8:11], v2 offset0:24 offset1:28
	s_waitcnt lgkmcnt(2)
	v_add_co_u32 v4, vcc_lo, v12, v4
	v_add_co_ci_u32_e64 v5, null, v13, v5, vcc_lo
	v_add_nc_u32_e32 v2, 0x100, v2
	v_add_co_u32 v4, vcc_lo, v14, v4
	v_add_co_ci_u32_e64 v5, null, v15, v5, vcc_lo
	s_waitcnt lgkmcnt(1)
	v_add_co_u32 v4, vcc_lo, v35, v4
	v_add_co_ci_u32_e64 v5, null, v36, v5, vcc_lo
	v_add_co_u32 v4, vcc_lo, v37, v4
	v_add_co_ci_u32_e64 v5, null, v38, v5, vcc_lo
	s_waitcnt lgkmcnt(0)
	v_add_co_u32 v4, vcc_lo, v8, v4
	v_add_co_ci_u32_e64 v5, null, v9, v5, vcc_lo
	v_add_co_u32 v4, vcc_lo, v10, v4
	v_add_co_ci_u32_e64 v5, null, v11, v5, vcc_lo
	s_cbranch_scc0 .LBB180_41
; %bb.42:                               ;   in Loop: Header=BB180_6 Depth=1
	s_inst_prefetch 0x2
	s_mov_b32 s9, s78
	s_andn2_b32 vcc_lo, exec_lo, s85
	s_cbranch_vccz .LBB180_68
	s_branch .LBB180_70
.LBB180_43:                             ;   in Loop: Header=BB180_6 Depth=1
	global_load_ushort v2, v19, s[56:57]
	s_mov_b32 s7, s29
	s_waitcnt vmcnt(0)
	v_readfirstlane_b32 s6, v2
	s_and_b32 s54, s6, 0xffff
	s_mov_b32 s6, s27
	s_lshl_b32 s50, s54, 2
	s_cmp_lg_u64 s[6:7], 0
	s_cbranch_scc0 .LBB180_66
; %bb.44:                               ;   in Loop: Header=BB180_6 Depth=1
	v_cvt_f32_u32_e32 v2, s50
	s_sub_u32 s9, 0, s50
	s_subb_u32 s10, 0, 0
	v_fmac_f32_e64 v2, 0x4f800000, 0
	v_rcp_f32_e32 v2, v2
	v_mul_f32_e32 v2, 0x5f7ffffc, v2
	v_mul_f32_e32 v4, 0x2f800000, v2
	v_trunc_f32_e32 v4, v4
	v_fmac_f32_e32 v2, 0xcf800000, v4
	v_cvt_u32_f32_e32 v4, v4
	v_cvt_u32_f32_e32 v2, v2
	v_readfirstlane_b32 s6, v4
	v_readfirstlane_b32 s7, v2
	s_mul_i32 s11, s9, s6
	s_mul_hi_u32 s13, s9, s7
	s_mul_i32 s12, s10, s7
	s_add_i32 s11, s13, s11
	s_mul_i32 s14, s9, s7
	s_add_i32 s11, s11, s12
	s_mul_hi_u32 s13, s7, s14
	s_mul_i32 s16, s7, s11
	s_mul_hi_u32 s15, s6, s14
	s_mul_i32 s12, s6, s14
	s_mul_hi_u32 s14, s7, s11
	s_add_u32 s13, s13, s16
	s_addc_u32 s14, 0, s14
	s_mul_hi_u32 s17, s6, s11
	s_add_u32 s12, s13, s12
	s_mul_i32 s11, s6, s11
	s_addc_u32 s12, s14, s15
	s_addc_u32 s13, s17, 0
	s_add_u32 s11, s12, s11
	s_addc_u32 s12, 0, s13
	s_add_u32 s7, s7, s11
	s_cselect_b32 s11, -1, 0
	s_mul_hi_u32 s13, s9, s7
	s_cmp_lg_u32 s11, 0
	s_mul_i32 s11, s9, s7
	s_addc_u32 s6, s6, s12
	s_mul_i32 s10, s10, s7
	s_mul_i32 s9, s9, s6
	s_mul_hi_u32 s12, s7, s11
	s_add_i32 s9, s13, s9
	s_mul_hi_u32 s13, s6, s11
	s_add_i32 s9, s9, s10
	s_mul_i32 s10, s6, s11
	s_mul_i32 s15, s7, s9
	s_mul_hi_u32 s14, s7, s9
	s_add_u32 s12, s12, s15
	s_addc_u32 s14, 0, s14
	s_mul_hi_u32 s11, s6, s9
	s_add_u32 s10, s12, s10
	s_mul_i32 s9, s6, s9
	s_addc_u32 s10, s14, s13
	s_addc_u32 s11, s11, 0
	s_add_u32 s9, s10, s9
	s_addc_u32 s10, 0, s11
	s_add_u32 s7, s7, s9
	s_cselect_b32 s9, -1, 0
	s_mul_hi_u32 s11, s28, s7
	s_cmp_lg_u32 s9, 0
	s_mul_hi_u32 s9, s29, s7
	s_addc_u32 s6, s6, s10
	s_mul_i32 s7, s29, s7
	s_mul_i32 s12, s28, s6
	s_mul_hi_u32 s10, s28, s6
	s_add_u32 s11, s11, s12
	s_addc_u32 s10, 0, s10
	s_mul_hi_u32 s13, s29, s6
	s_add_u32 s7, s11, s7
	s_mul_i32 s6, s29, s6
	s_addc_u32 s7, s10, s9
	s_addc_u32 s9, s13, 0
	s_add_u32 s6, s7, s6
	s_addc_u32 s7, 0, s9
	s_mul_hi_u32 s9, s50, s6
	s_mul_i32 s7, s50, s7
	s_mul_i32 s6, s50, s6
	s_add_i32 s9, s9, s7
	s_sub_u32 s6, s28, s6
	s_cselect_b32 s7, -1, 0
	s_cmp_lg_u32 s7, 0
	s_subb_u32 s7, s29, s9
	s_sub_u32 s9, s6, s50
	s_cselect_b32 s10, -1, 0
	s_cmp_lg_u32 s10, 0
	s_subb_u32 s10, s7, 0
	;; [unrolled: 4-line block ×3, first 2 shown]
	s_cmp_ge_u32 s9, s50
	s_cselect_b32 s13, -1, 0
	s_cmp_eq_u32 s10, 0
	s_cselect_b32 s13, s13, -1
	s_cmp_lg_u32 s13, 0
	s_cselect_b32 s10, s12, s10
	s_cselect_b32 s9, s11, s9
	s_cmp_ge_u32 s6, s50
	s_cselect_b32 s11, -1, 0
	s_cmp_eq_u32 s7, 0
	s_cselect_b32 s11, s11, -1
	s_cmp_lg_u32 s11, 0
	s_cselect_b32 s7, s10, s7
	s_cselect_b32 s6, s9, s6
	s_cbranch_execnz .LBB180_46
.LBB180_45:                             ;   in Loop: Header=BB180_6 Depth=1
	v_cvt_f32_u32_e32 v2, s50
	s_sub_i32 s7, 0, s50
	v_rcp_iflag_f32_e32 v2, v2
	v_mul_f32_e32 v2, 0x4f7ffffe, v2
	v_cvt_u32_f32_e32 v2, v2
	v_readfirstlane_b32 s6, v2
	s_mul_i32 s7, s7, s6
	s_mul_hi_u32 s7, s6, s7
	s_add_i32 s6, s6, s7
	s_mul_hi_u32 s6, s28, s6
	s_mul_i32 s6, s6, s50
	s_sub_i32 s6, s28, s6
	s_sub_i32 s7, s6, s50
	s_cmp_ge_u32 s6, s50
	s_cselect_b32 s6, s7, s6
	s_sub_i32 s7, s6, s50
	s_cmp_ge_u32 s6, s50
	s_cselect_b32 s26, s7, s6
	s_mov_b64 s[6:7], s[26:27]
.LBB180_46:                             ;   in Loop: Header=BB180_6 Depth=1
	v_mov_b32_e32 v8, 0
	v_mov_b32_e32 v10, 0
	;; [unrolled: 1-line block ×8, first 2 shown]
	s_sub_u32 s64, s28, s6
	s_subb_u32 s65, s29, s7
	s_mov_b32 s51, exec_lo
	v_cmpx_gt_u64_e64 s[64:65], v[20:21]
	s_cbranch_execz .LBB180_50
; %bb.47:                               ;   in Loop: Header=BB180_6 Depth=1
	v_mov_b32_e32 v4, v20
	v_mov_b32_e32 v5, v21
	s_mul_i32 s6, s61, s54
	s_mul_hi_u32 s7, s60, s54
	s_mul_i32 s104, s60, s54
	s_add_i32 s63, s7, s6
	s_mov_b64 s[66:67], 0
	s_mov_b32 vcc_hi, 0
	s_mov_b64 s[68:69], s[52:53]
	s_mov_b64 s[70:71], 0
	;; [unrolled: 1-line block ×4, first 2 shown]
.LBB180_48:                             ;   Parent Loop BB180_6 Depth=1
                                        ; =>  This Inner Loop Header: Depth=2
	v_add_co_u32 v8, vcc_lo, s68, v29
	v_add_co_ci_u32_e64 v9, null, s69, v30, vcc_lo
	v_add_co_u32 v10, vcc_lo, s68, v26
	v_add_co_ci_u32_e64 v11, null, s69, v47, vcc_lo
	;; [unrolled: 2-line block ×4, first 2 shown]
	s_clause 0x3
	global_load_dwordx2 v[8:9], v[8:9], off
	global_load_dwordx2 v[10:11], v[10:11], off
	;; [unrolled: 1-line block ×4, first 2 shown]
	v_mov_b32_e32 v36, v19
	v_mov_b32_e32 v38, v19
	;; [unrolled: 1-line block ×3, first 2 shown]
	v_add_co_u32 v4, vcc_lo, v4, s50
	v_add_co_ci_u32_e64 v5, null, 0, v5, vcc_lo
	v_cmp_le_u64_e32 vcc_lo, s[64:65], v[4:5]
	s_waitcnt vmcnt(3)
	v_cmp_o_f64_e64 s6, v[8:9], v[8:9]
	s_waitcnt vmcnt(2)
	v_cmp_o_f64_e64 s7, v[10:11], v[10:11]
	;; [unrolled: 2-line block ×4, first 2 shown]
	v_ashrrev_i32_e32 v2, 31, v9
	v_ashrrev_i32_e32 v18, 31, v11
	;; [unrolled: 1-line block ×4, first 2 shown]
	v_or_b32_e32 v39, 0x80000000, v2
	v_or_b32_e32 v49, 0x80000000, v18
	;; [unrolled: 1-line block ×4, first 2 shown]
	v_xor_b32_e32 v2, v2, v8
	v_xor_b32_e32 v39, v39, v9
	;; [unrolled: 1-line block ×8, first 2 shown]
	v_cndmask_b32_e64 v9, -1, v39, s6
	v_cndmask_b32_e64 v11, -1, v8, s7
	;; [unrolled: 1-line block ×7, first 2 shown]
	v_and_b32_e32 v50, v9, v32
	v_and_b32_e32 v49, v8, v31
	v_lshrrev_b64 v[8:9], s93, v[8:9]
	v_cndmask_b32_e64 v14, -1, v37, s10
	v_and_b32_e32 v51, v10, v31
	v_lshrrev_b64 v[9:10], s93, v[10:11]
	v_and_b32_e32 v52, v11, v32
	v_lshrrev_b64 v[10:11], s93, v[12:13]
	;; [unrolled: 2-line block ×3, first 2 shown]
	v_and_b32_e32 v18, 3, v8
	v_and_b32_e32 v35, 3, v9
	v_and_b32_e32 v54, v13, v32
	v_and_b32_e32 v37, 3, v10
	v_cmp_eq_u64_e64 s6, v[49:50], v[27:28]
	v_cmp_eq_u64_e64 s11, 0, v[18:19]
	v_and_b32_e32 v56, v15, v32
	v_and_b32_e32 v55, v14, v31
	;; [unrolled: 1-line block ×3, first 2 shown]
	v_cmp_eq_u64_e64 s7, v[51:52], v[27:28]
	v_cmp_eq_u64_e64 s12, 0, v[35:36]
	;; [unrolled: 1-line block ×6, first 2 shown]
	s_and_b32 s11, s6, s11
	v_cmp_eq_u64_e64 s15, 1, v[18:19]
	v_cndmask_b32_e64 v2, 0, 1, s11
	s_and_b32 s11, s7, s12
	v_cmp_eq_u64_e64 s16, 1, v[35:36]
	v_cndmask_b32_e64 v8, 0, 1, s11
	;; [unrolled: 3-line block ×3, first 2 shown]
	s_and_b32 s11, s10, s14
	v_cmp_ne_u32_e64 s12, 0, v8
	v_cndmask_b32_e64 v10, 0, 1, s11
	v_cmp_ne_u32_e64 s11, 0, v2
	v_cmp_ne_u32_e64 s13, 0, v9
	v_cmp_eq_u64_e64 s18, 1, v[39:40]
	s_bcnt1_i32_b32 s12, s12
	v_cmp_ne_u32_e64 s14, 0, v10
	s_bcnt1_i32_b32 s11, s11
	s_bcnt1_i32_b32 s13, s13
	s_add_i32 s11, s12, s11
	v_cmp_eq_u64_e64 s19, 2, v[18:19]
	s_bcnt1_i32_b32 s14, s14
	s_add_i32 s11, s11, s13
	v_cmp_eq_u64_e64 s20, 2, v[35:36]
	s_add_i32 s11, s11, s14
	v_cmp_eq_u64_e64 s21, 2, v[37:38]
	s_add_u32 s74, s74, s11
	s_addc_u32 s75, s75, 0
	s_and_b32 s11, s6, s15
	v_cmp_eq_u64_e64 s22, 2, v[39:40]
	v_cndmask_b32_e64 v2, 0, 1, s11
	s_and_b32 s11, s7, s16
	v_cmp_eq_u64_e64 s23, 3, v[18:19]
	v_cndmask_b32_e64 v10, 0, 1, s11
	;; [unrolled: 3-line block ×3, first 2 shown]
	s_and_b32 s11, s10, s18
	v_cmp_ne_u32_e64 s12, 0, v10
	v_cndmask_b32_e64 v12, 0, 1, s11
	v_cmp_ne_u32_e64 s11, 0, v2
	v_cmp_ne_u32_e64 s13, 0, v11
	v_cmp_eq_u64_e64 s25, 3, v[37:38]
	s_bcnt1_i32_b32 s12, s12
	v_cmp_ne_u32_e64 s14, 0, v12
	s_bcnt1_i32_b32 s11, s11
	s_bcnt1_i32_b32 s13, s13
	s_add_i32 s11, s12, s11
	v_cmp_eq_u64_e64 s26, 3, v[39:40]
	s_bcnt1_i32_b32 s14, s14
	s_add_i32 s11, s11, s13
	v_mov_b32_e32 v8, s74
	s_add_i32 s11, s11, s14
	v_mov_b32_e32 v9, s75
	s_add_u32 s72, s72, s11
	s_addc_u32 s73, s73, 0
	s_and_b32 s11, s6, s19
	v_cndmask_b32_e64 v2, 0, 1, s11
	s_and_b32 s11, s7, s20
	v_cndmask_b32_e64 v10, 0, 1, s11
	;; [unrolled: 2-line block ×3, first 2 shown]
	s_and_b32 s11, s10, s22
	v_cmp_ne_u32_e64 s12, 0, v10
	v_cndmask_b32_e64 v12, 0, 1, s11
	v_cmp_ne_u32_e64 s11, 0, v2
	v_cmp_ne_u32_e64 s13, 0, v11
	s_bcnt1_i32_b32 s12, s12
	v_cmp_ne_u32_e64 s14, 0, v12
	s_bcnt1_i32_b32 s11, s11
	s_bcnt1_i32_b32 s13, s13
	s_add_i32 s11, s12, s11
	s_bcnt1_i32_b32 s14, s14
	s_add_i32 s11, s11, s13
	s_add_i32 s11, s11, s14
	s_add_u32 s70, s70, s11
	s_addc_u32 s71, s71, 0
	s_and_b32 s6, s6, s23
	v_cndmask_b32_e64 v2, 0, 1, s6
	s_and_b32 s6, s7, s24
	v_cndmask_b32_e64 v10, 0, 1, s6
	;; [unrolled: 2-line block ×3, first 2 shown]
	s_and_b32 s6, s10, s26
	v_cmp_ne_u32_e64 s7, 0, v10
	v_cndmask_b32_e64 v12, 0, 1, s6
	v_cmp_ne_u32_e64 s6, 0, v2
	v_cmp_ne_u32_e64 s9, 0, v11
	v_mov_b32_e32 v10, s72
	s_bcnt1_i32_b32 s7, s7
	v_cmp_ne_u32_e64 s10, 0, v12
	s_bcnt1_i32_b32 s6, s6
	s_bcnt1_i32_b32 s9, s9
	s_add_i32 s6, s7, s6
	v_mov_b32_e32 v12, s70
	s_bcnt1_i32_b32 s7, s10
	s_add_i32 s6, s6, s9
	v_mov_b32_e32 v11, s73
	s_add_i32 s6, s6, s7
	v_mov_b32_e32 v13, s71
	s_add_u32 s66, s66, s6
	s_addc_u32 s67, s67, 0
	v_mov_b32_e32 v14, s66
	v_mov_b32_e32 v15, s67
	s_add_u32 s68, s68, s104
	s_addc_u32 s69, s69, s63
	s_or_b32 vcc_hi, vcc_lo, vcc_hi
	s_andn2_b32 exec_lo, exec_lo, vcc_hi
	s_cbranch_execnz .LBB180_48
; %bb.49:                               ;   in Loop: Header=BB180_6 Depth=1
	s_or_b32 exec_lo, exec_lo, vcc_hi
.LBB180_50:                             ;   in Loop: Header=BB180_6 Depth=1
	s_or_b32 exec_lo, exec_lo, s51
	v_add_co_u32 v4, s6, s64, v0
	v_add_co_ci_u32_e64 v5, null, s65, 0, s6
	s_mov_b32 s11, exec_lo
	v_cmpx_gt_u64_e64 s[28:29], v[4:5]
	s_cbranch_execz .LBB180_56
; %bb.51:                               ;   in Loop: Header=BB180_6 Depth=1
	v_mul_lo_u32 v2, v5, s38
	v_mul_lo_u32 v18, v4, s39
	v_mad_u64_u32 v[35:36], null, v4, s38, 0
	s_mov_b32 s12, 0
	v_add3_u32 v36, v36, v18, v2
	v_lshlrev_b64 v[35:36], 3, v[35:36]
	v_add_co_u32 v35, vcc_lo, s52, v35
	v_add_co_ci_u32_e64 v36, null, s53, v36, vcc_lo
	global_load_dwordx2 v[37:38], v[35:36], off
	s_branch .LBB180_53
.LBB180_52:                             ;   in Loop: Header=BB180_53 Depth=2
	s_or_b32 exec_lo, exec_lo, s7
	s_waitcnt vmcnt(0)
	v_cmp_o_f64_e64 s6, v[37:38], v[37:38]
	v_ashrrev_i32_e32 v2, 31, v38
	s_and_b32 s9, exec_lo, vcc_lo
	s_or_b32 s12, s9, s12
	v_or_b32_e32 v18, 0x80000000, v2
	v_xor_b32_e32 v2, v2, v37
	v_xor_b32_e32 v18, v18, v38
	v_cndmask_b32_e64 v38, -1, v18, s6
	v_cndmask_b32_e64 v37, -1, v2, s6
	v_lshrrev_b64 v[39:40], s93, v[37:38]
	v_and_b32_e32 v38, v38, v32
	v_and_b32_e32 v37, v37, v31
	v_and_b32_e32 v18, 3, v39
	v_cmp_eq_u64_e64 s6, v[37:38], v[27:28]
	v_cmp_eq_u64_e64 s7, 0, v[18:19]
	v_cmp_eq_u64_e32 vcc_lo, 1, v[18:19]
	v_cmp_eq_u64_e64 s9, 2, v[18:19]
	v_cmp_eq_u64_e64 s10, 3, v[18:19]
	s_and_b32 s7, s6, s7
	v_cndmask_b32_e64 v2, 0, 1, s7
	s_and_b32 s7, s6, vcc_lo
	v_cndmask_b32_e64 v18, 0, 1, s7
	s_and_b32 s7, s6, s9
	s_and_b32 s6, s6, s10
	v_cndmask_b32_e64 v37, 0, 1, s7
	v_cmp_ne_u32_e32 vcc_lo, 0, v2
	v_cndmask_b32_e64 v38, 0, 1, s6
	v_cmp_ne_u32_e64 s6, 0, v18
	v_cmp_ne_u32_e64 s7, 0, v37
	s_bcnt1_i32_b32 s10, vcc_lo
	v_cmp_ne_u32_e64 s9, 0, v38
	s_bcnt1_i32_b32 s6, s6
	v_add_co_u32 v8, vcc_lo, v8, s10
	s_bcnt1_i32_b32 s7, s7
	v_add_co_ci_u32_e64 v9, null, 0, v9, vcc_lo
	v_add_co_u32 v10, vcc_lo, v10, s6
	s_bcnt1_i32_b32 s9, s9
	v_add_co_ci_u32_e64 v11, null, 0, v11, vcc_lo
	v_add_co_u32 v12, vcc_lo, v12, s7
	v_add_co_ci_u32_e64 v13, null, 0, v13, vcc_lo
	v_add_co_u32 v14, vcc_lo, v14, s9
	v_mov_b32_e32 v38, v36
	v_add_co_ci_u32_e64 v15, null, 0, v15, vcc_lo
	v_mov_b32_e32 v37, v35
	s_andn2_b32 exec_lo, exec_lo, s12
	s_cbranch_execz .LBB180_55
.LBB180_53:                             ;   Parent Loop BB180_6 Depth=1
                                        ; =>  This Inner Loop Header: Depth=2
	v_add_co_u32 v4, vcc_lo, v4, s54
	v_mov_b32_e32 v35, 0
	v_add_co_ci_u32_e64 v5, null, 0, v5, vcc_lo
	v_mov_b32_e32 v36, 0
	s_mov_b32 s7, exec_lo
	v_cmp_le_u64_e32 vcc_lo, s[28:29], v[4:5]
	v_cmpx_gt_u64_e64 s[28:29], v[4:5]
	s_cbranch_execz .LBB180_52
; %bb.54:                               ;   in Loop: Header=BB180_53 Depth=2
	v_mul_lo_u32 v2, v5, s38
	v_mul_lo_u32 v18, v4, s39
	v_mad_u64_u32 v[35:36], null, v4, s38, 0
	v_add3_u32 v36, v36, v18, v2
	v_lshlrev_b64 v[35:36], 3, v[35:36]
	v_add_co_u32 v35, s6, s52, v35
	v_add_co_ci_u32_e64 v36, null, s53, v36, s6
	global_load_dwordx2 v[35:36], v[35:36], off
	s_branch .LBB180_52
.LBB180_55:                             ;   in Loop: Header=BB180_6 Depth=1
	s_or_b32 exec_lo, exec_lo, s12
.LBB180_56:                             ;   in Loop: Header=BB180_6 Depth=1
	s_or_b32 exec_lo, exec_lo, s11
	s_branch .LBB180_35
.LBB180_57:                             ;   in Loop: Header=BB180_6 Depth=1
	global_load_ushort v2, v19, s[56:57]
	v_mov_b32_e32 v8, 0
	v_mov_b32_e32 v10, 0
	;; [unrolled: 1-line block ×8, first 2 shown]
	s_mov_b32 s54, exec_lo
	s_waitcnt vmcnt(0)
	v_readfirstlane_b32 s6, v2
	s_and_b32 s50, 0xffff, s6
	s_lshl_b32 s51, s50, 2
	v_cvt_f32_u32_e32 v4, s51
	s_sub_i32 s7, 0, s51
	v_rcp_iflag_f32_e32 v4, v4
	v_mul_f32_e32 v4, 0x4f7ffffe, v4
	v_cvt_u32_f32_e32 v4, v4
	v_readfirstlane_b32 s6, v4
	s_mul_i32 s7, s7, s6
	s_mul_hi_u32 s7, s6, s7
	s_add_i32 s6, s6, s7
	s_mul_hi_u32 s6, s62, s6
	s_mul_i32 s7, s6, s51
	s_add_i32 s9, s6, 1
	s_sub_i32 s7, s62, s7
	s_sub_i32 s10, s7, s51
	s_cmp_ge_u32 s7, s51
	s_cselect_b32 s6, s9, s6
	s_cselect_b32 s7, s10, s7
	s_add_i32 s9, s6, 1
	s_cmp_ge_u32 s7, s51
	s_cselect_b32 s6, s9, s6
	s_mul_hi_u32 s65, s50, s6
	s_mul_i32 s64, s50, s6
	s_lshl_b64 s[66:67], s[64:65], 2
	v_cmpx_gt_u64_e64 s[66:67], v[20:21]
	s_cbranch_execz .LBB180_61
; %bb.58:                               ;   in Loop: Header=BB180_6 Depth=1
	v_mov_b32_e32 v4, v20
	v_mov_b32_e32 v35, v45
	;; [unrolled: 1-line block ×3, first 2 shown]
	s_lshl_b32 s63, s50, 5
	s_mov_b64 s[68:69], 0
	s_mov_b32 s65, 0
	s_mov_b64 s[70:71], 0
	s_mov_b64 s[72:73], 0
	;; [unrolled: 1-line block ×3, first 2 shown]
.LBB180_59:                             ;   Parent Loop BB180_6 Depth=1
                                        ; =>  This Inner Loop Header: Depth=2
	ds_read_b128 v[8:11], v35
	ds_read_b128 v[12:15], v35 offset:16
	v_mov_b32_e32 v37, v19
	v_mov_b32_e32 v39, v19
	;; [unrolled: 1-line block ×3, first 2 shown]
	v_add_co_u32 v4, vcc_lo, v4, s51
	v_add_co_ci_u32_e64 v5, null, 0, v5, vcc_lo
	v_add_nc_u32_e32 v35, s63, v35
	v_cmp_le_u64_e32 vcc_lo, s[66:67], v[4:5]
	s_waitcnt lgkmcnt(1)
	v_cmp_o_f64_e64 s6, v[8:9], v[8:9]
	v_cmp_o_f64_e64 s7, v[10:11], v[10:11]
	s_waitcnt lgkmcnt(0)
	v_cmp_o_f64_e64 s9, v[12:13], v[12:13]
	v_cmp_o_f64_e64 s10, v[14:15], v[14:15]
	v_ashrrev_i32_e32 v18, 31, v9
	v_ashrrev_i32_e32 v36, 31, v11
	;; [unrolled: 1-line block ×4, first 2 shown]
	v_or_b32_e32 v49, 0x80000000, v18
	v_or_b32_e32 v51, 0x80000000, v36
	;; [unrolled: 1-line block ×4, first 2 shown]
	v_xor_b32_e32 v18, v18, v8
	v_xor_b32_e32 v49, v49, v9
	;; [unrolled: 1-line block ×8, first 2 shown]
	v_cndmask_b32_e64 v9, -1, v49, s6
	v_cndmask_b32_e64 v11, -1, v8, s7
	;; [unrolled: 1-line block ×7, first 2 shown]
	v_and_b32_e32 v52, v9, v32
	v_and_b32_e32 v51, v8, v31
	v_lshrrev_b64 v[8:9], s93, v[8:9]
	v_cndmask_b32_e64 v14, -1, v40, s10
	v_and_b32_e32 v53, v10, v31
	v_lshrrev_b64 v[9:10], s93, v[10:11]
	v_and_b32_e32 v54, v11, v32
	v_lshrrev_b64 v[10:11], s93, v[12:13]
	;; [unrolled: 2-line block ×3, first 2 shown]
	v_and_b32_e32 v18, 3, v8
	v_and_b32_e32 v36, 3, v9
	;; [unrolled: 1-line block ×4, first 2 shown]
	v_cmp_eq_u64_e64 s6, v[51:52], v[27:28]
	v_cmp_eq_u64_e64 s11, 0, v[18:19]
	v_and_b32_e32 v58, v15, v32
	v_and_b32_e32 v57, v14, v31
	v_and_b32_e32 v49, 3, v11
	v_cmp_eq_u64_e64 s7, v[53:54], v[27:28]
	v_cmp_eq_u64_e64 s12, 0, v[36:37]
	;; [unrolled: 1-line block ×6, first 2 shown]
	s_and_b32 s11, s6, s11
	v_cmp_eq_u64_e64 s15, 1, v[18:19]
	v_cndmask_b32_e64 v8, 0, 1, s11
	s_and_b32 s11, s7, s12
	v_cmp_eq_u64_e64 s16, 1, v[36:37]
	v_cndmask_b32_e64 v9, 0, 1, s11
	;; [unrolled: 3-line block ×3, first 2 shown]
	s_and_b32 s11, s10, s14
	v_cmp_ne_u32_e64 s12, 0, v9
	v_cndmask_b32_e64 v11, 0, 1, s11
	v_cmp_ne_u32_e64 s11, 0, v8
	v_cmp_ne_u32_e64 s13, 0, v10
	v_cmp_eq_u64_e64 s18, 1, v[49:50]
	s_bcnt1_i32_b32 s12, s12
	v_cmp_ne_u32_e64 s14, 0, v11
	s_bcnt1_i32_b32 s11, s11
	s_bcnt1_i32_b32 s13, s13
	s_add_i32 s11, s12, s11
	v_cmp_eq_u64_e64 s19, 2, v[18:19]
	s_bcnt1_i32_b32 s14, s14
	s_add_i32 s11, s11, s13
	v_cmp_eq_u64_e64 s20, 2, v[36:37]
	s_add_i32 s11, s11, s14
	v_cmp_eq_u64_e64 s21, 2, v[38:39]
	s_add_u32 s74, s74, s11
	s_addc_u32 s75, s75, 0
	s_and_b32 s11, s6, s15
	v_cmp_eq_u64_e64 s22, 2, v[49:50]
	v_cndmask_b32_e64 v8, 0, 1, s11
	s_and_b32 s11, s7, s16
	v_cmp_eq_u64_e64 s23, 3, v[18:19]
	v_cndmask_b32_e64 v9, 0, 1, s11
	;; [unrolled: 3-line block ×3, first 2 shown]
	s_and_b32 s11, s10, s18
	v_cmp_ne_u32_e64 s12, 0, v9
	v_cndmask_b32_e64 v11, 0, 1, s11
	v_cmp_ne_u32_e64 s11, 0, v8
	v_cmp_ne_u32_e64 s13, 0, v10
	v_cmp_eq_u64_e64 s25, 3, v[38:39]
	s_bcnt1_i32_b32 s12, s12
	v_cmp_ne_u32_e64 s14, 0, v11
	s_bcnt1_i32_b32 s11, s11
	s_bcnt1_i32_b32 s13, s13
	s_add_i32 s11, s12, s11
	v_cmp_eq_u64_e64 s26, 3, v[49:50]
	s_bcnt1_i32_b32 s14, s14
	s_add_i32 s11, s11, s13
	s_add_i32 s11, s11, s14
	s_add_u32 s72, s72, s11
	s_addc_u32 s73, s73, 0
	s_and_b32 s11, s6, s19
	v_cndmask_b32_e64 v8, 0, 1, s11
	s_and_b32 s11, s7, s20
	v_cndmask_b32_e64 v9, 0, 1, s11
	;; [unrolled: 2-line block ×3, first 2 shown]
	s_and_b32 s11, s10, s22
	v_cmp_ne_u32_e64 s12, 0, v9
	v_cndmask_b32_e64 v11, 0, 1, s11
	v_cmp_ne_u32_e64 s11, 0, v8
	v_cmp_ne_u32_e64 s13, 0, v10
	s_bcnt1_i32_b32 s12, s12
	v_cmp_ne_u32_e64 s14, 0, v11
	s_bcnt1_i32_b32 s11, s11
	s_bcnt1_i32_b32 s13, s13
	s_add_i32 s11, s12, s11
	s_bcnt1_i32_b32 s14, s14
	s_add_i32 s11, s11, s13
	s_add_i32 s11, s11, s14
	s_add_u32 s70, s70, s11
	s_addc_u32 s71, s71, 0
	s_and_b32 s6, s6, s23
	v_mov_b32_e32 v12, s70
	v_cndmask_b32_e64 v8, 0, 1, s6
	s_and_b32 s6, s7, s24
	v_mov_b32_e32 v13, s71
	v_cndmask_b32_e64 v9, 0, 1, s6
	s_and_b32 s6, s9, s25
	v_cndmask_b32_e64 v10, 0, 1, s6
	s_and_b32 s6, s10, s26
	v_cmp_ne_u32_e64 s7, 0, v9
	v_cndmask_b32_e64 v11, 0, 1, s6
	v_cmp_ne_u32_e64 s6, 0, v8
	v_cmp_ne_u32_e64 s9, 0, v10
	v_mov_b32_e32 v8, s74
	s_bcnt1_i32_b32 s7, s7
	v_cmp_ne_u32_e64 s10, 0, v11
	s_bcnt1_i32_b32 s6, s6
	s_bcnt1_i32_b32 s9, s9
	s_add_i32 s6, s7, s6
	v_mov_b32_e32 v10, s72
	s_bcnt1_i32_b32 s7, s10
	s_add_i32 s6, s6, s9
	v_mov_b32_e32 v9, s75
	s_add_i32 s6, s6, s7
	v_mov_b32_e32 v11, s73
	s_add_u32 s68, s68, s6
	s_addc_u32 s69, s69, 0
	v_mov_b32_e32 v14, s68
	v_mov_b32_e32 v15, s69
	s_or_b32 s65, vcc_lo, s65
	s_andn2_b32 exec_lo, exec_lo, s65
	s_cbranch_execnz .LBB180_59
; %bb.60:                               ;   in Loop: Header=BB180_6 Depth=1
	s_or_b32 exec_lo, exec_lo, s65
.LBB180_61:                             ;   in Loop: Header=BB180_6 Depth=1
	s_or_b32 exec_lo, exec_lo, s54
	v_add_co_u32 v4, s6, s66, v0
	v_and_b32_e32 v2, 0xffff, v2
	v_add_co_ci_u32_e64 v5, null, s67, 0, s6
	s_and_b32 s26, s62, 0x7fffffff
	s_mov_b32 s12, exec_lo
	v_cmpx_gt_u64_e64 s[26:27], v[4:5]
	s_cbranch_execz .LBB180_65
; %bb.62:                               ;   in Loop: Header=BB180_6 Depth=1
	v_lshl_add_u32 v35, s64, 5, v43
	s_lshl_b32 s14, s50, 3
	s_mov_b32 s13, 0
.LBB180_63:                             ;   Parent Loop BB180_6 Depth=1
                                        ; =>  This Inner Loop Header: Depth=2
	ds_read_b64 v[36:37], v35
	v_add_co_u32 v4, vcc_lo, v4, v2
	v_add_co_ci_u32_e64 v5, null, 0, v5, vcc_lo
	v_add_nc_u32_e32 v35, s14, v35
	v_cmp_le_u64_e32 vcc_lo, s[26:27], v[4:5]
	s_waitcnt lgkmcnt(0)
	v_cmp_o_f64_e64 s6, v[36:37], v[36:37]
	v_ashrrev_i32_e32 v18, 31, v37
	v_or_b32_e32 v38, 0x80000000, v18
	v_xor_b32_e32 v18, v18, v36
	v_xor_b32_e32 v38, v38, v37
	v_cndmask_b32_e64 v37, -1, v38, s6
	v_cndmask_b32_e64 v36, -1, v18, s6
	v_and_b32_e32 v39, v37, v32
	v_and_b32_e32 v38, v36, v31
	v_lshrrev_b64 v[36:37], s93, v[36:37]
	v_cmp_eq_u64_e64 s6, v[38:39], v[27:28]
	v_and_b32_e32 v18, 3, v36
	v_cmp_eq_u64_e64 s7, 0, v[18:19]
	v_cmp_eq_u64_e64 s9, 1, v[18:19]
	;; [unrolled: 1-line block ×4, first 2 shown]
	s_and_b32 s7, s6, s7
	v_cndmask_b32_e64 v18, 0, 1, s7
	s_and_b32 s7, s6, s9
	v_cndmask_b32_e64 v36, 0, 1, s7
	s_and_b32 s7, s6, s10
	s_and_b32 s6, s6, s11
	v_cndmask_b32_e64 v37, 0, 1, s7
	v_cndmask_b32_e64 v38, 0, 1, s6
	v_cmp_ne_u32_e64 s6, 0, v18
	v_cmp_ne_u32_e64 s7, 0, v36
	;; [unrolled: 1-line block ×4, first 2 shown]
	s_bcnt1_i32_b32 s6, s6
	s_bcnt1_i32_b32 s7, s7
	v_add_co_u32 v8, s6, v8, s6
	s_bcnt1_i32_b32 s9, s9
	v_add_co_ci_u32_e64 v9, null, 0, v9, s6
	v_add_co_u32 v10, s6, v10, s7
	s_bcnt1_i32_b32 s10, s10
	v_add_co_ci_u32_e64 v11, null, 0, v11, s6
	v_add_co_u32 v12, s6, v12, s9
	v_add_co_ci_u32_e64 v13, null, 0, v13, s6
	v_add_co_u32 v14, s6, v14, s10
	v_add_co_ci_u32_e64 v15, null, 0, v15, s6
	s_or_b32 s13, vcc_lo, s13
	s_andn2_b32 exec_lo, exec_lo, s13
	s_cbranch_execnz .LBB180_63
; %bb.64:                               ;   in Loop: Header=BB180_6 Depth=1
	s_or_b32 exec_lo, exec_lo, s13
.LBB180_65:                             ;   in Loop: Header=BB180_6 Depth=1
	s_or_b32 exec_lo, exec_lo, s12
	s_lshl_b32 s6, s89, 7
	s_and_saveexec_b32 s7, s0
	s_cbranch_execnz .LBB180_36
	s_branch .LBB180_37
.LBB180_66:                             ;   in Loop: Header=BB180_6 Depth=1
                                        ; implicit-def: $sgpr6_sgpr7
	s_branch .LBB180_45
.LBB180_67:                             ;   in Loop: Header=BB180_6 Depth=1
	s_mov_b32 s9, 0
	s_andn2_b32 vcc_lo, exec_lo, s85
	s_cbranch_vccnz .LBB180_70
.LBB180_68:                             ;   in Loop: Header=BB180_6 Depth=1
	s_lshl_b32 s10, s89, 10
	s_lshl_b32 s9, s9, 5
	v_add3_u32 v2, s10, s9, v48
	s_mov_b32 s9, s83
.LBB180_69:                             ;   Parent Loop BB180_6 Depth=1
                                        ; =>  This Inner Loop Header: Depth=2
	ds_read_b64 v[8:9], v2
	v_add_nc_u32_e32 v2, 32, v2
	s_add_i32 s9, s9, -1
	s_cmp_lg_u32 s9, 0
	s_waitcnt lgkmcnt(0)
	v_add_co_u32 v4, vcc_lo, v8, v4
	v_add_co_ci_u32_e64 v5, null, v9, v5, vcc_lo
	s_cbranch_scc1 .LBB180_69
.LBB180_70:                             ;   in Loop: Header=BB180_6 Depth=1
	v_add_lshl_u32 v2, s6, v42, 3
	ds_write_b64 v2, v[4:5] offset:3072
.LBB180_71:                             ;   in Loop: Header=BB180_6 Depth=1
	s_or_b32 exec_lo, exec_lo, s7
	s_lshl_b32 s6, s6, 3
	s_waitcnt lgkmcnt(0)
	v_mov_b32_e32 v2, s6
	s_barrier
	buffer_gl0_inv
	v_cmp_eq_u64_e64 s7, 1, v[33:34]
	s_lshl_b64 s[12:13], 3, s93
	ds_read_b128 v[8:11], v2 offset:3072
	ds_read_b128 v[12:15], v2 offset:3088
	s_mov_b32 s66, -1
	s_not_b64 s[14:15], s[12:13]
	s_mov_b32 s9, 0
	s_andn2_b32 vcc_lo, exec_lo, s43
	s_mov_b32 s63, 0
	s_mov_b32 s62, 0
                                        ; implicit-def: $sgpr64
                                        ; implicit-def: $sgpr65
                                        ; implicit-def: $vgpr35_vgpr36
                                        ; implicit-def: $vgpr49
	s_waitcnt lgkmcnt(1)
	v_readfirstlane_b32 s11, v9
	v_readfirstlane_b32 s10, v8
	;; [unrolled: 1-line block ×4, first 2 shown]
	s_waitcnt lgkmcnt(0)
	v_readfirstlane_b32 s19, v13
	v_readfirstlane_b32 s18, v12
	;; [unrolled: 1-line block ×4, first 2 shown]
                                        ; implicit-def: $vgpr14_vgpr15
                                        ; implicit-def: $vgpr12_vgpr13
                                        ; implicit-def: $vgpr10_vgpr11
	s_cbranch_vccnz .LBB180_274
; %bb.72:                               ;   in Loop: Header=BB180_6 Depth=1
	s_cmp_eq_u64 s[10:11], 1
	v_mov_b32_e32 v14, v27
	v_mov_b32_e32 v12, v31
	;; [unrolled: 1-line block ×6, first 2 shown]
	s_cselect_b32 s6, -1, 0
                                        ; implicit-def: $sgpr65
                                        ; implicit-def: $sgpr64
	s_and_b32 s68, s6, s7
	s_mov_b32 s6, -1
	s_and_saveexec_b32 s66, s68
	s_cbranch_execz .LBB180_109
; %bb.73:                               ;   in Loop: Header=BB180_6 Depth=1
	ds_read_b64 v[4:5], v19 offset:5120
	s_waitcnt lgkmcnt(0)
	s_barrier
	buffer_gl0_inv
	v_readfirstlane_b32 s22, v4
	v_readfirstlane_b32 s23, v5
	s_and_saveexec_b32 s6, s8
; %bb.74:                               ;   in Loop: Header=BB180_6 Depth=1
	v_mov_b32_e32 v18, v19
	ds_write_b64 v44, v[18:19]
; %bb.75:                               ;   in Loop: Header=BB180_6 Depth=1
	s_or_b32 exec_lo, exec_lo, s6
	v_and_b32_e32 v15, s15, v28
	v_and_b32_e32 v14, s14, v27
	v_or_b32_e32 v13, s13, v32
	v_or_b32_e32 v12, s12, v31
	s_mov_b32 s64, -1
	s_mov_b32 s65, 0
	s_cmp_eq_u64 s[22:23], 0
	s_mov_b32 s50, 0
	s_mov_b32 s6, -1
	s_waitcnt lgkmcnt(0)
	s_barrier
	buffer_gl0_inv
                                        ; implicit-def: $vgpr10_vgpr11
	s_cbranch_scc1 .LBB180_93
; %bb.76:                               ;   in Loop: Header=BB180_6 Depth=1
	s_add_u32 s6, s22, s80
	s_addc_u32 s25, s23, s81
	s_mov_b32 s24, s27
	s_cmp_lg_u64 s[24:25], 0
	s_cbranch_scc0 .LBB180_136
; %bb.77:                               ;   in Loop: Header=BB180_6 Depth=1
	v_cvt_f32_u32_e32 v2, s33
	s_sub_u32 s44, 0, s33
	s_subb_u32 s45, 0, 0
	v_fmac_f32_e64 v2, 0x4f800000, 0
	v_rcp_f32_e32 v2, v2
	v_mul_f32_e32 v2, 0x5f7ffffc, v2
	v_mul_f32_e32 v4, 0x2f800000, v2
	v_trunc_f32_e32 v4, v4
	v_fmac_f32_e32 v2, 0xcf800000, v4
	v_cvt_u32_f32_e32 v4, v4
	v_cvt_u32_f32_e32 v2, v2
	v_readfirstlane_b32 s24, v4
	v_readfirstlane_b32 s26, v2
	s_mul_i32 s46, s44, s24
	s_mul_hi_u32 s48, s44, s26
	s_mul_i32 s47, s45, s26
	s_add_i32 s46, s48, s46
	s_mul_i32 s49, s44, s26
	s_add_i32 s46, s46, s47
	s_mul_hi_u32 s48, s26, s49
	s_mul_i32 s51, s26, s46
	s_mul_hi_u32 s50, s24, s49
	s_mul_i32 s47, s24, s49
	s_mul_hi_u32 s49, s26, s46
	s_add_u32 s48, s48, s51
	s_addc_u32 s49, 0, s49
	s_mul_hi_u32 s54, s24, s46
	s_add_u32 s47, s48, s47
	s_mul_i32 s46, s24, s46
	s_addc_u32 s47, s49, s50
	s_addc_u32 s48, s54, 0
	s_add_u32 s46, s47, s46
	s_addc_u32 s47, 0, s48
	s_add_u32 s26, s26, s46
	s_cselect_b32 s46, -1, 0
	s_mul_hi_u32 s48, s44, s26
	s_cmp_lg_u32 s46, 0
	s_mul_i32 s46, s44, s26
	s_addc_u32 s24, s24, s47
	s_mul_i32 s45, s45, s26
	s_mul_i32 s44, s44, s24
	s_mul_hi_u32 s47, s26, s46
	s_add_i32 s44, s48, s44
	s_mul_hi_u32 s48, s24, s46
	s_add_i32 s44, s44, s45
	s_mul_i32 s45, s24, s46
	s_mul_i32 s50, s26, s44
	s_mul_hi_u32 s49, s26, s44
	s_add_u32 s47, s47, s50
	s_addc_u32 s49, 0, s49
	s_mul_hi_u32 s46, s24, s44
	s_add_u32 s45, s47, s45
	s_mul_i32 s44, s24, s44
	s_addc_u32 s45, s49, s48
	s_addc_u32 s46, s46, 0
	s_add_u32 s44, s45, s44
	s_addc_u32 s45, 0, s46
	s_add_u32 s26, s26, s44
	s_cselect_b32 s44, -1, 0
	s_mul_hi_u32 s46, s6, s26
	s_cmp_lg_u32 s44, 0
	s_mul_hi_u32 s44, s25, s26
	s_addc_u32 s24, s24, s45
	s_mul_i32 s26, s25, s26
	s_mul_i32 s47, s6, s24
	s_mul_hi_u32 s45, s6, s24
	s_add_u32 s46, s46, s47
	s_addc_u32 s45, 0, s45
	s_mul_hi_u32 s48, s25, s24
	s_add_u32 s26, s46, s26
	s_mul_i32 s24, s25, s24
	s_addc_u32 s26, s45, s44
	s_addc_u32 s44, s48, 0
	s_add_u32 s24, s26, s24
	s_addc_u32 s26, 0, s44
	s_mul_hi_u32 s44, s33, s24
	s_mul_i32 s26, s33, s26
	s_mul_i32 s24, s33, s24
	s_add_i32 s44, s44, s26
	s_sub_u32 s24, s6, s24
	s_cselect_b32 s26, -1, 0
	s_cmp_lg_u32 s26, 0
	s_subb_u32 s26, s25, s44
	s_sub_u32 s44, s24, s33
	s_cselect_b32 s45, -1, 0
	s_cmp_lg_u32 s45, 0
	s_subb_u32 s45, s26, 0
	;; [unrolled: 4-line block ×3, first 2 shown]
	s_cmp_ge_u32 s44, s33
	s_cselect_b32 s48, -1, 0
	s_cmp_eq_u32 s45, 0
	s_cselect_b32 s48, s48, -1
	s_cmp_lg_u32 s48, 0
	s_cselect_b32 s45, s47, s45
	s_cselect_b32 s44, s46, s44
	s_cmp_ge_u32 s24, s33
	s_cselect_b32 s46, -1, 0
	s_cmp_eq_u32 s26, 0
	s_cselect_b32 s46, s46, -1
	s_cmp_lg_u32 s46, 0
	s_cselect_b32 s63, s45, s26
	s_cselect_b32 s62, s44, s24
	s_cbranch_execnz .LBB180_79
.LBB180_78:                             ;   in Loop: Header=BB180_6 Depth=1
	v_cvt_f32_u32_e32 v2, s33
	s_sub_i32 s26, 0, s33
	v_rcp_iflag_f32_e32 v2, v2
	v_mul_f32_e32 v2, 0x4f7ffffe, v2
	v_cvt_u32_f32_e32 v2, v2
	v_readfirstlane_b32 s24, v2
	s_mul_i32 s26, s26, s24
	s_mul_hi_u32 s26, s24, s26
	s_add_i32 s24, s24, s26
	s_mul_hi_u32 s24, s6, s24
	s_mul_i32 s24, s24, s33
	s_sub_i32 s24, s6, s24
	s_sub_i32 s26, s24, s33
	s_cmp_ge_u32 s24, s33
	s_cselect_b32 s24, s26, s24
	s_sub_i32 s26, s24, s33
	s_cmp_ge_u32 s24, s33
	s_cselect_b32 s26, s26, s24
	s_mov_b64 s[62:63], s[26:27]
.LBB180_79:                             ;   in Loop: Header=BB180_6 Depth=1
	s_sub_u32 s24, s6, s62
	s_subb_u32 s25, s25, s63
	s_mov_b32 s6, 0
	s_mov_b32 s50, 0
	s_mov_b32 s26, exec_lo
                                        ; implicit-def: $vgpr10_vgpr11
	v_cmpx_gt_u64_e64 s[24:25], v[0:1]
	s_cbranch_execz .LBB180_92
; %bb.80:                               ;   in Loop: Header=BB180_6 Depth=1
	v_mov_b32_e32 v36, v1
	v_mov_b32_e32 v18, v43
	;; [unrolled: 1-line block ×3, first 2 shown]
                                        ; implicit-def: $sgpr51
	s_branch .LBB180_84
.LBB180_81:                             ;   in Loop: Header=BB180_84 Depth=2
	s_or_b32 exec_lo, exec_lo, s44
	s_waitcnt lgkmcnt(0)
	s_barrier
	buffer_gl0_inv
	ds_read_b128 v[8:11], v19 offset:3072
	s_waitcnt lgkmcnt(0)
	s_barrier
	buffer_gl0_inv
	v_cmp_neq_f64_e32 vcc_lo, 0, v[8:9]
	s_cbranch_vccnz .LBB180_87
; %bb.82:                               ;   in Loop: Header=BB180_84 Depth=2
	v_add_co_u32 v35, vcc_lo, v35, s33
	v_add_co_ci_u32_e64 v36, null, 0, v36, vcc_lo
	v_add_nc_u32_e32 v18, s86, v18
	s_mov_b32 s44, 0
	v_cmp_le_u64_e32 vcc_lo, s[24:25], v[35:36]
	s_orn2_b32 s45, vcc_lo, exec_lo
.LBB180_83:                             ;   in Loop: Header=BB180_84 Depth=2
	s_and_b32 s45, exec_lo, s45
	s_or_b32 s50, s45, s50
	s_andn2_b32 s45, s51, exec_lo
	s_and_b32 s44, s44, exec_lo
	s_or_b32 s51, s45, s44
	s_andn2_b32 exec_lo, exec_lo, s50
	s_cbranch_execz .LBB180_91
.LBB180_84:                             ;   Parent Loop BB180_6 Depth=1
                                        ; =>  This Inner Loop Header: Depth=2
	s_mov_b32 s44, exec_lo
	v_cmpx_gt_u64_e64 s[22:23], v[35:36]
	s_cbranch_execz .LBB180_81
; %bb.85:                               ;   in Loop: Header=BB180_84 Depth=2
	ds_read_b64 v[4:5], v18
	s_waitcnt lgkmcnt(0)
	v_cmp_o_f64_e32 vcc_lo, v[4:5], v[4:5]
	v_ashrrev_i32_e32 v2, 31, v5
	v_or_b32_e32 v8, 0x80000000, v2
	v_xor_b32_e32 v2, v2, v4
	v_xor_b32_e32 v8, v8, v5
	v_cndmask_b32_e32 v8, -1, v8, vcc_lo
	v_cndmask_b32_e32 v2, -1, v2, vcc_lo
	v_and_b32_e32 v9, v8, v13
	v_and_b32_e32 v8, v2, v12
	v_cmp_eq_u64_e32 vcc_lo, v[8:9], v[14:15]
	s_and_b32 exec_lo, exec_lo, vcc_lo
	s_cbranch_execz .LBB180_81
; %bb.86:                               ;   in Loop: Header=BB180_84 Depth=2
	v_mov_b32_e32 v2, v19
	ds_write_b128 v19, v[2:5] offset:3072
	s_branch .LBB180_81
.LBB180_87:                             ;   in Loop: Header=BB180_84 Depth=2
	s_mov_b32 s45, -1
	s_mov_b32 s44, -1
                                        ; implicit-def: $vgpr35_vgpr36
                                        ; implicit-def: $vgpr18
	s_branch .LBB180_83
.LBB180_88:                             ;   in Loop: Header=BB180_6 Depth=1
	s_or_b32 exec_lo, exec_lo, s10
	s_waitcnt lgkmcnt(0)
	s_barrier
	buffer_gl0_inv
	s_and_saveexec_b32 s6, s3
	s_cbranch_execz .LBB180_90
; %bb.89:                               ;   in Loop: Header=BB180_6 Depth=1
	ds_read_b32 v4, v19 offset:5144
	s_waitcnt lgkmcnt(0)
	v_ashrrev_i32_e32 v5, 31, v4
	ds_write_b64 v19, v[4:5] offset:5120
.LBB180_90:                             ;   in Loop: Header=BB180_6 Depth=1
	s_or_b32 exec_lo, exec_lo, s6
	s_waitcnt lgkmcnt(0)
	s_mov_b32 s6, -1
	s_barrier
	s_and_b32 vcc_lo, exec_lo, s9
	s_cbranch_vccnz .LBB180_22
	s_branch .LBB180_31
.LBB180_91:                             ;   in Loop: Header=BB180_6 Depth=1
	s_or_b32 exec_lo, exec_lo, s50
	s_and_b32 s50, s51, exec_lo
.LBB180_92:                             ;   in Loop: Header=BB180_6 Depth=1
	s_or_b32 exec_lo, exec_lo, s26
.LBB180_93:                             ;   in Loop: Header=BB180_6 Depth=1
	s_and_b32 vcc_lo, exec_lo, s6
	s_cbranch_vccz .LBB180_108
; %bb.94:                               ;   in Loop: Header=BB180_6 Depth=1
	s_mov_b32 s54, s27
	s_cmp_lg_u64 s[54:55], 0
	s_cbranch_scc0 .LBB180_137
; %bb.95:                               ;   in Loop: Header=BB180_6 Depth=1
	v_cvt_f32_u32_e32 v2, s33
	s_sub_u32 s23, 0, s33
	s_subb_u32 s24, 0, 0
	v_fmac_f32_e64 v2, 0x4f800000, 0
	v_rcp_f32_e32 v2, v2
	v_mul_f32_e32 v2, 0x5f7ffffc, v2
	v_mul_f32_e32 v4, 0x2f800000, v2
	v_trunc_f32_e32 v4, v4
	v_fmac_f32_e32 v2, 0xcf800000, v4
	v_cvt_u32_f32_e32 v4, v4
	v_cvt_u32_f32_e32 v2, v2
	v_readfirstlane_b32 s6, v4
	v_readfirstlane_b32 s22, v2
	s_mul_i32 s25, s23, s6
	s_mul_hi_u32 s44, s23, s22
	s_mul_i32 s26, s24, s22
	s_add_i32 s25, s44, s25
	s_mul_i32 s45, s23, s22
	s_add_i32 s25, s25, s26
	s_mul_hi_u32 s44, s22, s45
	s_mul_i32 s47, s22, s25
	s_mul_hi_u32 s46, s6, s45
	s_mul_i32 s26, s6, s45
	s_mul_hi_u32 s45, s22, s25
	s_add_u32 s44, s44, s47
	s_addc_u32 s45, 0, s45
	s_mul_hi_u32 s48, s6, s25
	s_add_u32 s26, s44, s26
	s_mul_i32 s25, s6, s25
	s_addc_u32 s26, s45, s46
	s_addc_u32 s44, s48, 0
	s_add_u32 s25, s26, s25
	s_addc_u32 s26, 0, s44
	s_add_u32 s22, s22, s25
	s_cselect_b32 s25, -1, 0
	s_mul_hi_u32 s44, s23, s22
	s_cmp_lg_u32 s25, 0
	s_mul_i32 s25, s23, s22
	s_addc_u32 s6, s6, s26
	s_mul_i32 s24, s24, s22
	s_mul_i32 s23, s23, s6
	s_mul_hi_u32 s26, s22, s25
	s_add_i32 s23, s44, s23
	s_mul_hi_u32 s44, s6, s25
	s_add_i32 s23, s23, s24
	s_mul_i32 s24, s6, s25
	s_mul_i32 s46, s22, s23
	s_mul_hi_u32 s45, s22, s23
	s_add_u32 s26, s26, s46
	s_addc_u32 s45, 0, s45
	s_mul_hi_u32 s25, s6, s23
	s_add_u32 s24, s26, s24
	s_mul_i32 s23, s6, s23
	s_addc_u32 s24, s45, s44
	s_addc_u32 s25, s25, 0
	s_add_u32 s23, s24, s23
	s_addc_u32 s24, 0, s25
	s_add_u32 s22, s22, s23
	s_cselect_b32 s23, -1, 0
	s_mul_hi_u32 s25, s82, s22
	s_cmp_lg_u32 s23, 0
	s_mul_hi_u32 s23, s55, s22
	s_addc_u32 s6, s6, s24
	s_mul_i32 s22, s55, s22
	s_mul_i32 s26, s82, s6
	s_mul_hi_u32 s24, s82, s6
	s_add_u32 s25, s25, s26
	s_addc_u32 s24, 0, s24
	s_mul_hi_u32 s44, s55, s6
	s_add_u32 s22, s25, s22
	s_mul_i32 s6, s55, s6
	s_addc_u32 s22, s24, s23
	s_addc_u32 s23, s44, 0
	s_add_u32 s6, s22, s6
	s_addc_u32 s22, 0, s23
	s_mul_hi_u32 s23, s33, s6
	s_mul_i32 s22, s33, s22
	s_mul_i32 s6, s33, s6
	s_add_i32 s23, s23, s22
	s_sub_u32 s6, s82, s6
	s_cselect_b32 s22, -1, 0
	s_cmp_lg_u32 s22, 0
	s_subb_u32 s22, s55, s23
	s_sub_u32 s23, s6, s33
	s_cselect_b32 s24, -1, 0
	s_cmp_lg_u32 s24, 0
	s_subb_u32 s24, s22, 0
	;; [unrolled: 4-line block ×3, first 2 shown]
	s_cmp_ge_u32 s23, s33
	s_cselect_b32 s44, -1, 0
	s_cmp_eq_u32 s24, 0
	s_cselect_b32 s44, s44, -1
	s_cmp_lg_u32 s44, 0
	s_cselect_b32 s24, s26, s24
	s_cselect_b32 s25, s25, s23
	s_cmp_ge_u32 s6, s33
	s_cselect_b32 s23, -1, 0
	s_cmp_eq_u32 s22, 0
	s_cselect_b32 s23, s23, -1
	s_cmp_lg_u32 s23, 0
	s_cselect_b32 s23, s24, s22
	s_cselect_b32 s22, s25, s6
	s_cbranch_execnz .LBB180_97
.LBB180_96:                             ;   in Loop: Header=BB180_6 Depth=1
	v_cvt_f32_u32_e32 v2, s33
	s_sub_i32 s22, 0, s33
	v_rcp_iflag_f32_e32 v2, v2
	v_mul_f32_e32 v2, 0x4f7ffffe, v2
	v_cvt_u32_f32_e32 v2, v2
	v_readfirstlane_b32 s6, v2
	s_mul_i32 s22, s22, s6
	s_mul_hi_u32 s22, s6, s22
	s_add_i32 s6, s6, s22
	s_mul_hi_u32 s6, s82, s6
	s_mul_i32 s6, s6, s33
	s_sub_i32 s6, s82, s6
	s_sub_i32 s22, s6, s33
	s_cmp_ge_u32 s6, s33
	s_cselect_b32 s6, s22, s6
	s_sub_i32 s22, s6, s33
	s_cmp_ge_u32 s6, s33
	s_cselect_b32 s26, s22, s6
	s_mov_b64 s[22:23], s[26:27]
.LBB180_97:                             ;   in Loop: Header=BB180_6 Depth=1
	s_sub_u32 s22, s82, s22
	s_subb_u32 s23, s55, s23
	s_mov_b32 s24, exec_lo
                                        ; implicit-def: $vgpr10_vgpr11
	v_cmpx_gt_u64_e64 s[22:23], v[0:1]
	s_cbranch_execz .LBB180_107
; %bb.98:                               ;   in Loop: Header=BB180_6 Depth=1
	v_mov_b32_e32 v36, v17
	v_mov_b32_e32 v38, v1
	;; [unrolled: 1-line block ×4, first 2 shown]
	s_mov_b32 s26, 0
                                        ; implicit-def: $sgpr25
	s_branch .LBB180_102
.LBB180_99:                             ;   in Loop: Header=BB180_102 Depth=2
	s_or_b32 exec_lo, exec_lo, s6
	s_waitcnt lgkmcnt(0)
	s_barrier
	buffer_gl0_inv
	ds_read_b128 v[8:11], v19 offset:3072
	s_waitcnt lgkmcnt(0)
	s_barrier
	buffer_gl0_inv
	v_cmp_neq_f64_e32 vcc_lo, 0, v[8:9]
	s_cbranch_vccnz .LBB180_105
; %bb.100:                              ;   in Loop: Header=BB180_102 Depth=2
	v_add_co_u32 v37, vcc_lo, v37, s33
	v_add_co_ci_u32_e64 v38, null, 0, v38, vcc_lo
	v_add_co_u32 v35, s6, v35, s34
	v_add_co_ci_u32_e64 v36, null, s35, v36, s6
	v_cmp_le_u64_e32 vcc_lo, s[22:23], v[37:38]
	s_mov_b32 s6, 0
	s_orn2_b32 s44, vcc_lo, exec_lo
.LBB180_101:                            ;   in Loop: Header=BB180_102 Depth=2
	s_and_b32 s44, exec_lo, s44
	s_or_b32 s26, s44, s26
	s_andn2_b32 s25, s25, exec_lo
	s_and_b32 s6, s6, exec_lo
	s_or_b32 s25, s25, s6
	s_andn2_b32 exec_lo, exec_lo, s26
	s_cbranch_execz .LBB180_106
.LBB180_102:                            ;   Parent Loop BB180_6 Depth=1
                                        ; =>  This Inner Loop Header: Depth=2
	s_mov_b32 s6, exec_lo
	v_cmpx_gt_u64_e64 s[28:29], v[37:38]
	s_cbranch_execz .LBB180_99
; %bb.103:                              ;   in Loop: Header=BB180_102 Depth=2
	global_load_dwordx2 v[4:5], v[35:36], off
	s_waitcnt vmcnt(0)
	v_cmp_o_f64_e32 vcc_lo, v[4:5], v[4:5]
	v_ashrrev_i32_e32 v2, 31, v5
	v_or_b32_e32 v8, 0x80000000, v2
	v_xor_b32_e32 v2, v2, v4
	v_xor_b32_e32 v8, v8, v5
	v_cndmask_b32_e32 v8, -1, v8, vcc_lo
	v_cndmask_b32_e32 v2, -1, v2, vcc_lo
	v_and_b32_e32 v9, v8, v13
	v_and_b32_e32 v8, v2, v12
	v_cmp_eq_u64_e32 vcc_lo, v[8:9], v[14:15]
	s_and_b32 exec_lo, exec_lo, vcc_lo
	s_cbranch_execz .LBB180_99
; %bb.104:                              ;   in Loop: Header=BB180_102 Depth=2
	v_mov_b32_e32 v2, v19
	ds_write_b128 v19, v[2:5] offset:3072
	s_branch .LBB180_99
.LBB180_105:                            ;   in Loop: Header=BB180_102 Depth=2
	s_mov_b32 s44, -1
	s_mov_b32 s6, -1
                                        ; implicit-def: $vgpr37_vgpr38
                                        ; implicit-def: $vgpr35_vgpr36
	s_branch .LBB180_101
.LBB180_106:                            ;   in Loop: Header=BB180_6 Depth=1
	s_or_b32 exec_lo, exec_lo, s26
	s_andn2_b32 s6, s50, exec_lo
	s_and_b32 s22, s25, exec_lo
	s_or_b32 s50, s6, s22
.LBB180_107:                            ;   in Loop: Header=BB180_6 Depth=1
	s_or_b32 exec_lo, exec_lo, s24
	s_mov_b32 s64, 0
	s_mov_b32 s65, -1
.LBB180_108:                            ;   in Loop: Header=BB180_6 Depth=1
	s_orn2_b32 s6, s50, exec_lo
.LBB180_109:                            ;   in Loop: Header=BB180_6 Depth=1
	s_or_b32 exec_lo, exec_lo, s66
	s_mov_b32 s66, 0
	s_mov_b32 s63, 0
	;; [unrolled: 1-line block ×3, first 2 shown]
                                        ; implicit-def: $vgpr35_vgpr36
                                        ; implicit-def: $vgpr49
	s_and_saveexec_b32 s67, s6
	s_cbranch_execz .LBB180_273
; %bb.110:                              ;   in Loop: Header=BB180_6 Depth=1
	v_mov_b32_e32 v35, 1
	v_mov_b32_e32 v36, 0
	v_mov_b32_e32 v49, 1
	s_xor_b32 s23, s68, -1
	s_mov_b32 s22, 0
	s_and_saveexec_b32 s6, s23
	s_cbranch_execz .LBB180_119
; %bb.111:                              ;   in Loop: Header=BB180_6 Depth=1
	s_mov_b32 s22, exec_lo
	v_cmpx_ge_u64_e64 s[10:11], v[33:34]
	s_xor_b32 s22, exec_lo, s22
	s_cbranch_execz .LBB180_116
; %bb.112:                              ;   in Loop: Header=BB180_6 Depth=1
	ds_read_b64 v[4:5], v19 offset:5120
	v_and_b32_e32 v15, s15, v15
	v_and_b32_e32 v14, s14, v14
	v_or_b32_e32 v13, s13, v13
	v_or_b32_e32 v12, s12, v12
	s_waitcnt lgkmcnt(0)
	v_cmp_ne_u64_e32 vcc_lo, 0, v[4:5]
	s_cbranch_vccnz .LBB180_116
; %bb.113:                              ;   in Loop: Header=BB180_6 Depth=1
	s_and_saveexec_b32 s23, s3
; %bb.114:                              ;   in Loop: Header=BB180_6 Depth=1
	v_mov_b32_e32 v4, s10
	v_mov_b32_e32 v5, s11
	ds_write_b64 v19, v[4:5] offset:5128
; %bb.115:                              ;   in Loop: Header=BB180_6 Depth=1
	s_or_b32 exec_lo, exec_lo, s23
	s_waitcnt lgkmcnt(0)
	s_barrier
	buffer_gl0_inv
.LBB180_116:                            ;   in Loop: Header=BB180_6 Depth=1
	s_or_saveexec_b32 s22, s22
	v_mov_b32_e32 v36, v34
	v_mov_b32_e32 v49, 8
	;; [unrolled: 1-line block ×3, first 2 shown]
	s_mov_b32 s23, 0
	s_xor_b32 exec_lo, exec_lo, s22
; %bb.117:                              ;   in Loop: Header=BB180_6 Depth=1
	v_sub_co_u32 v35, vcc_lo, v33, s10
	v_subrev_co_ci_u32_e64 v36, null, s11, v34, vcc_lo
	v_mov_b32_e32 v49, 0
	s_mov_b32 s23, exec_lo
; %bb.118:                              ;   in Loop: Header=BB180_6 Depth=1
	s_or_b32 exec_lo, exec_lo, s22
	s_and_b32 s22, s23, exec_lo
.LBB180_119:                            ;   in Loop: Header=BB180_6 Depth=1
	s_or_b32 exec_lo, exec_lo, s6
	s_mov_b32 s6, -1
                                        ; implicit-def: $sgpr69
                                        ; implicit-def: $sgpr70
	s_and_saveexec_b32 s23, s22
	s_xor_b32 s68, exec_lo, s23
	s_cbranch_execz .LBB180_270
; %bb.120:                              ;   in Loop: Header=BB180_6 Depth=1
	v_cmp_eq_u64_e32 vcc_lo, 1, v[35:36]
	s_cmp_eq_u64 s[16:17], 1
                                        ; implicit-def: $sgpr70
                                        ; implicit-def: $sgpr69
	s_cselect_b32 s6, -1, 0
	s_and_b32 s72, s6, vcc_lo
	s_mov_b32 s6, -1
	s_and_saveexec_b32 s71, s72
	s_cbranch_execz .LBB180_156
; %bb.121:                              ;   in Loop: Header=BB180_6 Depth=1
	ds_read_b64 v[4:5], v19 offset:5120
	s_waitcnt lgkmcnt(0)
	s_barrier
	buffer_gl0_inv
	v_readfirstlane_b32 s22, v4
	v_readfirstlane_b32 s23, v5
	s_and_saveexec_b32 s6, s8
; %bb.122:                              ;   in Loop: Header=BB180_6 Depth=1
	v_mov_b32_e32 v18, v19
	ds_write_b64 v44, v[18:19]
; %bb.123:                              ;   in Loop: Header=BB180_6 Depth=1
	s_or_b32 exec_lo, exec_lo, s6
	v_and_b32_e32 v2, s15, v15
	v_and_b32_e32 v4, s14, v14
	s_lshl_b64 s[24:25], 1, s93
	v_or_b32_e32 v13, s13, v13
	v_or_b32_e32 v12, s12, v12
	;; [unrolled: 1-line block ×4, first 2 shown]
	s_mov_b32 s69, -1
	s_mov_b32 s70, 0
	s_cmp_eq_u64 s[22:23], 0
	s_mov_b32 s50, 0
	s_mov_b32 s6, -1
	s_waitcnt lgkmcnt(0)
	s_barrier
	buffer_gl0_inv
                                        ; implicit-def: $vgpr10_vgpr11
	s_cbranch_scc1 .LBB180_140
; %bb.124:                              ;   in Loop: Header=BB180_6 Depth=1
	s_add_u32 s6, s22, s80
	s_addc_u32 s25, s23, s81
	s_mov_b32 s24, s27
	s_cmp_lg_u64 s[24:25], 0
	s_cbranch_scc0 .LBB180_183
; %bb.125:                              ;   in Loop: Header=BB180_6 Depth=1
	v_cvt_f32_u32_e32 v2, s33
	s_sub_u32 s44, 0, s33
	s_subb_u32 s45, 0, 0
	v_fmac_f32_e64 v2, 0x4f800000, 0
	v_rcp_f32_e32 v2, v2
	v_mul_f32_e32 v2, 0x5f7ffffc, v2
	v_mul_f32_e32 v4, 0x2f800000, v2
	v_trunc_f32_e32 v4, v4
	v_fmac_f32_e32 v2, 0xcf800000, v4
	v_cvt_u32_f32_e32 v4, v4
	v_cvt_u32_f32_e32 v2, v2
	v_readfirstlane_b32 s24, v4
	v_readfirstlane_b32 s26, v2
	s_mul_i32 s50, s44, s24
	s_mul_hi_u32 s54, s44, s26
	s_mul_i32 s51, s45, s26
	s_add_i32 s50, s54, s50
	s_mul_i32 s62, s44, s26
	s_add_i32 s50, s50, s51
	s_mul_hi_u32 s54, s26, s62
	s_mul_i32 s73, s26, s50
	s_mul_hi_u32 s63, s24, s62
	s_mul_i32 s51, s24, s62
	s_mul_hi_u32 s62, s26, s50
	s_add_u32 s54, s54, s73
	s_addc_u32 s62, 0, s62
	s_mul_hi_u32 s74, s24, s50
	s_add_u32 s51, s54, s51
	s_mul_i32 s50, s24, s50
	s_addc_u32 s51, s62, s63
	s_addc_u32 s54, s74, 0
	s_add_u32 s50, s51, s50
	s_addc_u32 s51, 0, s54
	s_add_u32 s26, s26, s50
	s_cselect_b32 s50, -1, 0
	s_mul_hi_u32 s54, s44, s26
	s_cmp_lg_u32 s50, 0
	s_mul_i32 s50, s44, s26
	s_addc_u32 s24, s24, s51
	s_mul_i32 s45, s45, s26
	s_mul_i32 s44, s44, s24
	s_mul_hi_u32 s51, s26, s50
	s_add_i32 s44, s54, s44
	s_mul_hi_u32 s54, s24, s50
	s_add_i32 s44, s44, s45
	s_mul_i32 s45, s24, s50
	s_mul_i32 s63, s26, s44
	s_mul_hi_u32 s62, s26, s44
	s_add_u32 s51, s51, s63
	s_addc_u32 s62, 0, s62
	s_mul_hi_u32 s50, s24, s44
	s_add_u32 s45, s51, s45
	s_mul_i32 s44, s24, s44
	s_addc_u32 s45, s62, s54
	s_addc_u32 s50, s50, 0
	s_add_u32 s44, s45, s44
	s_addc_u32 s45, 0, s50
	s_add_u32 s26, s26, s44
	s_cselect_b32 s44, -1, 0
	s_mul_hi_u32 s50, s6, s26
	s_cmp_lg_u32 s44, 0
	s_mul_hi_u32 s44, s25, s26
	s_addc_u32 s24, s24, s45
	s_mul_i32 s26, s25, s26
	s_mul_i32 s51, s6, s24
	s_mul_hi_u32 s45, s6, s24
	s_add_u32 s50, s50, s51
	s_addc_u32 s45, 0, s45
	s_mul_hi_u32 s54, s25, s24
	s_add_u32 s26, s50, s26
	s_mul_i32 s24, s25, s24
	s_addc_u32 s26, s45, s44
	s_addc_u32 s44, s54, 0
	s_add_u32 s24, s26, s24
	s_addc_u32 s26, 0, s44
	s_mul_hi_u32 s44, s33, s24
	s_mul_i32 s26, s33, s26
	s_mul_i32 s24, s33, s24
	s_add_i32 s44, s44, s26
	s_sub_u32 s24, s6, s24
	s_cselect_b32 s26, -1, 0
	s_cmp_lg_u32 s26, 0
	s_subb_u32 s26, s25, s44
	s_sub_u32 s44, s24, s33
	s_cselect_b32 s45, -1, 0
	s_cmp_lg_u32 s45, 0
	s_subb_u32 s45, s26, 0
	;; [unrolled: 4-line block ×3, first 2 shown]
	s_cmp_ge_u32 s44, s33
	s_cselect_b32 s54, -1, 0
	s_cmp_eq_u32 s45, 0
	s_cselect_b32 s54, s54, -1
	s_cmp_lg_u32 s54, 0
	s_cselect_b32 s45, s51, s45
	s_cselect_b32 s44, s50, s44
	s_cmp_ge_u32 s24, s33
	s_cselect_b32 s50, -1, 0
	s_cmp_eq_u32 s26, 0
	s_cselect_b32 s50, s50, -1
	s_cmp_lg_u32 s50, 0
	s_cselect_b32 s63, s45, s26
	s_cselect_b32 s62, s44, s24
	s_cbranch_execnz .LBB180_127
.LBB180_126:                            ;   in Loop: Header=BB180_6 Depth=1
	v_cvt_f32_u32_e32 v2, s33
	s_sub_i32 s26, 0, s33
	v_rcp_iflag_f32_e32 v2, v2
	v_mul_f32_e32 v2, 0x4f7ffffe, v2
	v_cvt_u32_f32_e32 v2, v2
	v_readfirstlane_b32 s24, v2
	s_mul_i32 s26, s26, s24
	s_mul_hi_u32 s26, s24, s26
	s_add_i32 s24, s24, s26
	s_mul_hi_u32 s24, s6, s24
	s_mul_i32 s24, s24, s33
	s_sub_i32 s24, s6, s24
	s_sub_i32 s26, s24, s33
	s_cmp_ge_u32 s24, s33
	s_cselect_b32 s24, s26, s24
	s_sub_i32 s26, s24, s33
	s_cmp_ge_u32 s24, s33
	s_cselect_b32 s26, s26, s24
	s_mov_b64 s[62:63], s[26:27]
.LBB180_127:                            ;   in Loop: Header=BB180_6 Depth=1
	s_sub_u32 s24, s6, s62
	s_subb_u32 s25, s25, s63
	s_mov_b32 s6, 0
	s_mov_b32 s50, 0
	s_mov_b32 s26, exec_lo
                                        ; implicit-def: $vgpr10_vgpr11
	v_cmpx_gt_u64_e64 s[24:25], v[0:1]
	s_cbranch_execz .LBB180_139
; %bb.128:                              ;   in Loop: Header=BB180_6 Depth=1
	v_mov_b32_e32 v38, v1
	v_mov_b32_e32 v18, v43
	;; [unrolled: 1-line block ×3, first 2 shown]
                                        ; implicit-def: $sgpr51
	s_branch .LBB180_132
.LBB180_129:                            ;   in Loop: Header=BB180_132 Depth=2
	s_or_b32 exec_lo, exec_lo, s54
	s_waitcnt lgkmcnt(0)
	s_barrier
	buffer_gl0_inv
	ds_read_b128 v[8:11], v19 offset:3072
	s_waitcnt lgkmcnt(0)
	s_barrier
	buffer_gl0_inv
	v_cmp_neq_f64_e32 vcc_lo, 0, v[8:9]
	s_cbranch_vccnz .LBB180_135
; %bb.130:                              ;   in Loop: Header=BB180_132 Depth=2
	v_add_co_u32 v37, vcc_lo, v37, s33
	v_add_co_ci_u32_e64 v38, null, 0, v38, vcc_lo
	v_add_nc_u32_e32 v18, s86, v18
	s_mov_b32 s44, 0
	v_cmp_le_u64_e32 vcc_lo, s[24:25], v[37:38]
	s_orn2_b32 s45, vcc_lo, exec_lo
.LBB180_131:                            ;   in Loop: Header=BB180_132 Depth=2
	s_and_b32 s45, exec_lo, s45
	s_or_b32 s50, s45, s50
	s_andn2_b32 s45, s51, exec_lo
	s_and_b32 s44, s44, exec_lo
	s_or_b32 s51, s45, s44
	s_andn2_b32 exec_lo, exec_lo, s50
	s_cbranch_execz .LBB180_138
.LBB180_132:                            ;   Parent Loop BB180_6 Depth=1
                                        ; =>  This Inner Loop Header: Depth=2
	s_mov_b32 s54, exec_lo
	v_cmpx_gt_u64_e64 s[22:23], v[37:38]
	s_cbranch_execz .LBB180_129
; %bb.133:                              ;   in Loop: Header=BB180_132 Depth=2
	ds_read_b64 v[4:5], v18
	s_waitcnt lgkmcnt(0)
	v_cmp_o_f64_e32 vcc_lo, v[4:5], v[4:5]
	v_ashrrev_i32_e32 v2, 31, v5
	v_or_b32_e32 v8, 0x80000000, v2
	v_xor_b32_e32 v2, v2, v4
	v_xor_b32_e32 v8, v8, v5
	v_cndmask_b32_e32 v8, -1, v8, vcc_lo
	v_cndmask_b32_e32 v2, -1, v2, vcc_lo
	v_and_b32_e32 v9, v8, v13
	v_and_b32_e32 v8, v2, v12
	v_cmp_eq_u64_e32 vcc_lo, v[8:9], v[14:15]
	s_and_b32 exec_lo, exec_lo, vcc_lo
	s_cbranch_execz .LBB180_129
; %bb.134:                              ;   in Loop: Header=BB180_132 Depth=2
	v_mov_b32_e32 v2, v19
	ds_write_b128 v19, v[2:5] offset:3072
	s_branch .LBB180_129
.LBB180_135:                            ;   in Loop: Header=BB180_132 Depth=2
	s_mov_b32 s45, -1
	s_mov_b32 s44, -1
                                        ; implicit-def: $vgpr37_vgpr38
                                        ; implicit-def: $vgpr18
	s_branch .LBB180_131
.LBB180_136:                            ;   in Loop: Header=BB180_6 Depth=1
                                        ; implicit-def: $sgpr62_sgpr63
	s_branch .LBB180_78
.LBB180_137:                            ;   in Loop: Header=BB180_6 Depth=1
                                        ; implicit-def: $sgpr22_sgpr23
	s_branch .LBB180_96
.LBB180_138:                            ;   in Loop: Header=BB180_6 Depth=1
	s_or_b32 exec_lo, exec_lo, s50
	s_and_b32 s50, s51, exec_lo
.LBB180_139:                            ;   in Loop: Header=BB180_6 Depth=1
	s_or_b32 exec_lo, exec_lo, s26
.LBB180_140:                            ;   in Loop: Header=BB180_6 Depth=1
	s_and_b32 vcc_lo, exec_lo, s6
	s_cbranch_vccz .LBB180_155
; %bb.141:                              ;   in Loop: Header=BB180_6 Depth=1
	s_mov_b32 s54, s27
	s_cmp_lg_u64 s[54:55], 0
	s_cbranch_scc0 .LBB180_184
; %bb.142:                              ;   in Loop: Header=BB180_6 Depth=1
	v_cvt_f32_u32_e32 v2, s33
	s_sub_u32 s23, 0, s33
	s_subb_u32 s24, 0, 0
	v_fmac_f32_e64 v2, 0x4f800000, 0
	v_rcp_f32_e32 v2, v2
	v_mul_f32_e32 v2, 0x5f7ffffc, v2
	v_mul_f32_e32 v4, 0x2f800000, v2
	v_trunc_f32_e32 v4, v4
	v_fmac_f32_e32 v2, 0xcf800000, v4
	v_cvt_u32_f32_e32 v4, v4
	v_cvt_u32_f32_e32 v2, v2
	v_readfirstlane_b32 s6, v4
	v_readfirstlane_b32 s22, v2
	s_mul_i32 s25, s23, s6
	s_mul_hi_u32 s44, s23, s22
	s_mul_i32 s26, s24, s22
	s_add_i32 s25, s44, s25
	s_mul_i32 s45, s23, s22
	s_add_i32 s25, s25, s26
	s_mul_hi_u32 s44, s22, s45
	s_mul_i32 s54, s22, s25
	s_mul_hi_u32 s51, s6, s45
	s_mul_i32 s26, s6, s45
	s_mul_hi_u32 s45, s22, s25
	s_add_u32 s44, s44, s54
	s_addc_u32 s45, 0, s45
	s_mul_hi_u32 s62, s6, s25
	s_add_u32 s26, s44, s26
	s_mul_i32 s25, s6, s25
	s_addc_u32 s26, s45, s51
	s_addc_u32 s44, s62, 0
	s_add_u32 s25, s26, s25
	s_addc_u32 s26, 0, s44
	s_add_u32 s22, s22, s25
	s_cselect_b32 s25, -1, 0
	s_mul_hi_u32 s44, s23, s22
	s_cmp_lg_u32 s25, 0
	s_mul_i32 s25, s23, s22
	s_addc_u32 s6, s6, s26
	s_mul_i32 s24, s24, s22
	s_mul_i32 s23, s23, s6
	s_mul_hi_u32 s26, s22, s25
	s_add_i32 s23, s44, s23
	s_mul_hi_u32 s44, s6, s25
	s_add_i32 s23, s23, s24
	s_mul_i32 s24, s6, s25
	s_mul_i32 s51, s22, s23
	s_mul_hi_u32 s45, s22, s23
	s_add_u32 s26, s26, s51
	s_addc_u32 s45, 0, s45
	s_mul_hi_u32 s25, s6, s23
	s_add_u32 s24, s26, s24
	s_mul_i32 s23, s6, s23
	s_addc_u32 s24, s45, s44
	s_addc_u32 s25, s25, 0
	s_add_u32 s23, s24, s23
	s_addc_u32 s24, 0, s25
	s_add_u32 s22, s22, s23
	s_cselect_b32 s23, -1, 0
	s_mul_hi_u32 s25, s82, s22
	s_cmp_lg_u32 s23, 0
	s_mul_hi_u32 s23, s55, s22
	s_addc_u32 s6, s6, s24
	s_mul_i32 s22, s55, s22
	s_mul_i32 s26, s82, s6
	s_mul_hi_u32 s24, s82, s6
	s_add_u32 s25, s25, s26
	s_addc_u32 s24, 0, s24
	s_mul_hi_u32 s44, s55, s6
	s_add_u32 s22, s25, s22
	s_mul_i32 s6, s55, s6
	s_addc_u32 s22, s24, s23
	s_addc_u32 s23, s44, 0
	s_add_u32 s6, s22, s6
	s_addc_u32 s22, 0, s23
	s_mul_hi_u32 s23, s33, s6
	s_mul_i32 s22, s33, s22
	s_mul_i32 s6, s33, s6
	s_add_i32 s23, s23, s22
	s_sub_u32 s6, s82, s6
	s_cselect_b32 s22, -1, 0
	s_cmp_lg_u32 s22, 0
	s_subb_u32 s22, s55, s23
	s_sub_u32 s23, s6, s33
	s_cselect_b32 s24, -1, 0
	s_cmp_lg_u32 s24, 0
	s_subb_u32 s24, s22, 0
	;; [unrolled: 4-line block ×3, first 2 shown]
	s_cmp_ge_u32 s23, s33
	s_cselect_b32 s44, -1, 0
	s_cmp_eq_u32 s24, 0
	s_cselect_b32 s44, s44, -1
	s_cmp_lg_u32 s44, 0
	s_cselect_b32 s24, s26, s24
	s_cselect_b32 s25, s25, s23
	s_cmp_ge_u32 s6, s33
	s_cselect_b32 s23, -1, 0
	s_cmp_eq_u32 s22, 0
	s_cselect_b32 s23, s23, -1
	s_cmp_lg_u32 s23, 0
	s_cselect_b32 s23, s24, s22
	s_cselect_b32 s22, s25, s6
	s_cbranch_execnz .LBB180_144
.LBB180_143:                            ;   in Loop: Header=BB180_6 Depth=1
	v_cvt_f32_u32_e32 v2, s33
	s_sub_i32 s22, 0, s33
	v_rcp_iflag_f32_e32 v2, v2
	v_mul_f32_e32 v2, 0x4f7ffffe, v2
	v_cvt_u32_f32_e32 v2, v2
	v_readfirstlane_b32 s6, v2
	s_mul_i32 s22, s22, s6
	s_mul_hi_u32 s22, s6, s22
	s_add_i32 s6, s6, s22
	s_mul_hi_u32 s6, s82, s6
	s_mul_i32 s6, s6, s33
	s_sub_i32 s6, s82, s6
	s_sub_i32 s22, s6, s33
	s_cmp_ge_u32 s6, s33
	s_cselect_b32 s6, s22, s6
	s_sub_i32 s22, s6, s33
	s_cmp_ge_u32 s6, s33
	s_cselect_b32 s26, s22, s6
	s_mov_b64 s[22:23], s[26:27]
.LBB180_144:                            ;   in Loop: Header=BB180_6 Depth=1
	s_sub_u32 s22, s82, s22
	s_subb_u32 s23, s55, s23
	s_mov_b32 s24, exec_lo
                                        ; implicit-def: $vgpr10_vgpr11
	v_cmpx_gt_u64_e64 s[22:23], v[0:1]
	s_cbranch_execz .LBB180_154
; %bb.145:                              ;   in Loop: Header=BB180_6 Depth=1
	v_mov_b32_e32 v38, v17
	v_mov_b32_e32 v40, v1
	;; [unrolled: 1-line block ×4, first 2 shown]
	s_mov_b32 s25, 0
                                        ; implicit-def: $sgpr26
	s_branch .LBB180_149
.LBB180_146:                            ;   in Loop: Header=BB180_149 Depth=2
	s_or_b32 exec_lo, exec_lo, s6
	s_waitcnt lgkmcnt(0)
	s_barrier
	buffer_gl0_inv
	ds_read_b128 v[8:11], v19 offset:3072
	s_waitcnt lgkmcnt(0)
	s_barrier
	buffer_gl0_inv
	v_cmp_eq_f64_e32 vcc_lo, 0, v[8:9]
	s_cbranch_vccz .LBB180_152
; %bb.147:                              ;   in Loop: Header=BB180_149 Depth=2
	v_add_co_u32 v39, vcc_lo, v39, s33
	v_add_co_ci_u32_e64 v40, null, 0, v40, vcc_lo
	v_add_co_u32 v37, s6, v37, s34
	v_add_co_ci_u32_e64 v38, null, s35, v38, s6
	v_cmp_le_u64_e32 vcc_lo, s[22:23], v[39:40]
	s_mov_b32 s6, 0
	s_orn2_b32 s44, vcc_lo, exec_lo
.LBB180_148:                            ;   in Loop: Header=BB180_149 Depth=2
	s_and_b32 s44, exec_lo, s44
	s_or_b32 s25, s44, s25
	s_andn2_b32 s26, s26, exec_lo
	s_and_b32 s6, s6, exec_lo
	s_or_b32 s26, s26, s6
	s_andn2_b32 exec_lo, exec_lo, s25
	s_cbranch_execz .LBB180_153
.LBB180_149:                            ;   Parent Loop BB180_6 Depth=1
                                        ; =>  This Inner Loop Header: Depth=2
	s_mov_b32 s6, exec_lo
	v_cmpx_gt_u64_e64 s[28:29], v[39:40]
	s_cbranch_execz .LBB180_146
; %bb.150:                              ;   in Loop: Header=BB180_149 Depth=2
	global_load_dwordx2 v[4:5], v[37:38], off
	s_waitcnt vmcnt(0)
	v_cmp_o_f64_e32 vcc_lo, v[4:5], v[4:5]
	v_ashrrev_i32_e32 v2, 31, v5
	v_or_b32_e32 v8, 0x80000000, v2
	v_xor_b32_e32 v2, v2, v4
	v_xor_b32_e32 v8, v8, v5
	v_cndmask_b32_e32 v8, -1, v8, vcc_lo
	v_cndmask_b32_e32 v2, -1, v2, vcc_lo
	v_and_b32_e32 v9, v8, v13
	v_and_b32_e32 v8, v2, v12
	v_cmp_eq_u64_e32 vcc_lo, v[8:9], v[14:15]
	s_and_b32 exec_lo, exec_lo, vcc_lo
	s_cbranch_execz .LBB180_146
; %bb.151:                              ;   in Loop: Header=BB180_149 Depth=2
	v_mov_b32_e32 v2, v19
	ds_write_b128 v19, v[2:5] offset:3072
	s_branch .LBB180_146
.LBB180_152:                            ;   in Loop: Header=BB180_149 Depth=2
	s_mov_b32 s44, -1
	s_mov_b32 s6, -1
                                        ; implicit-def: $vgpr39_vgpr40
                                        ; implicit-def: $vgpr37_vgpr38
	s_branch .LBB180_148
.LBB180_153:                            ;   in Loop: Header=BB180_6 Depth=1
	s_or_b32 exec_lo, exec_lo, s25
	s_andn2_b32 s6, s50, exec_lo
	s_and_b32 s22, s26, exec_lo
	s_or_b32 s50, s6, s22
.LBB180_154:                            ;   in Loop: Header=BB180_6 Depth=1
	s_or_b32 exec_lo, exec_lo, s24
	s_mov_b32 s69, 0
	s_mov_b32 s70, -1
.LBB180_155:                            ;   in Loop: Header=BB180_6 Depth=1
	s_orn2_b32 s6, s50, exec_lo
.LBB180_156:                            ;   in Loop: Header=BB180_6 Depth=1
	s_or_b32 exec_lo, exec_lo, s71
	s_mov_b32 s22, 0
	s_and_saveexec_b32 s71, s6
	s_cbranch_execz .LBB180_269
; %bb.157:                              ;   in Loop: Header=BB180_6 Depth=1
	v_mov_b32_e32 v37, 1
	v_mov_b32_e32 v38, 0
	;; [unrolled: 1-line block ×3, first 2 shown]
	s_xor_b32 s23, s72, -1
	s_and_saveexec_b32 s6, s23
	s_cbranch_execz .LBB180_166
; %bb.158:                              ;   in Loop: Header=BB180_6 Depth=1
	s_mov_b32 s22, exec_lo
	v_cmpx_ge_u64_e64 s[16:17], v[35:36]
	s_xor_b32 s22, exec_lo, s22
	s_cbranch_execz .LBB180_163
; %bb.159:                              ;   in Loop: Header=BB180_6 Depth=1
	ds_read_b64 v[4:5], v19 offset:5120
	v_and_b32_e32 v2, s15, v15
	v_and_b32_e32 v8, s14, v14
	s_lshl_b64 s[24:25], 1, s93
	v_or_b32_e32 v13, s13, v13
	v_or_b32_e32 v12, s12, v12
	;; [unrolled: 1-line block ×4, first 2 shown]
	s_waitcnt lgkmcnt(0)
	v_cmp_ne_u64_e32 vcc_lo, 0, v[4:5]
	s_cbranch_vccnz .LBB180_163
; %bb.160:                              ;   in Loop: Header=BB180_6 Depth=1
	s_and_saveexec_b32 s23, s3
; %bb.161:                              ;   in Loop: Header=BB180_6 Depth=1
	v_mov_b32_e32 v4, s16
	v_mov_b32_e32 v5, s17
	ds_write_b64 v19, v[4:5] offset:5128
; %bb.162:                              ;   in Loop: Header=BB180_6 Depth=1
	s_or_b32 exec_lo, exec_lo, s23
	s_waitcnt lgkmcnt(0)
	s_barrier
	buffer_gl0_inv
.LBB180_163:                            ;   in Loop: Header=BB180_6 Depth=1
	s_or_saveexec_b32 s22, s22
	v_mov_b32_e32 v49, 8
	s_mov_b32 s23, 0
	s_xor_b32 exec_lo, exec_lo, s22
; %bb.164:                              ;   in Loop: Header=BB180_6 Depth=1
	v_sub_co_u32 v35, vcc_lo, v35, s16
	v_subrev_co_ci_u32_e64 v36, null, s17, v36, vcc_lo
	v_mov_b32_e32 v49, 0
	s_mov_b32 s23, exec_lo
; %bb.165:                              ;   in Loop: Header=BB180_6 Depth=1
	s_or_b32 exec_lo, exec_lo, s22
	v_mov_b32_e32 v38, v36
	v_mov_b32_e32 v37, v35
	s_and_b32 s22, s23, exec_lo
.LBB180_166:                            ;   in Loop: Header=BB180_6 Depth=1
	s_or_b32 exec_lo, exec_lo, s6
	s_mov_b32 s6, -1
                                        ; implicit-def: $sgpr73
                                        ; implicit-def: $sgpr74
	s_and_saveexec_b32 s72, s22
	s_cbranch_execz .LBB180_268
; %bb.167:                              ;   in Loop: Header=BB180_6 Depth=1
	v_cmp_eq_u64_e32 vcc_lo, 1, v[37:38]
	s_cmp_eq_u64 s[18:19], 1
                                        ; implicit-def: $sgpr74
                                        ; implicit-def: $sgpr73
	s_cselect_b32 s6, -1, 0
	s_and_b32 s104, s6, vcc_lo
	s_mov_b32 s6, -1
	s_and_saveexec_b32 s75, s104
	s_cbranch_execz .LBB180_203
; %bb.168:                              ;   in Loop: Header=BB180_6 Depth=1
	ds_read_b64 v[4:5], v19 offset:5120
	s_waitcnt lgkmcnt(0)
	s_barrier
	buffer_gl0_inv
	v_readfirstlane_b32 s22, v4
	v_readfirstlane_b32 s23, v5
	s_and_saveexec_b32 s6, s8
; %bb.169:                              ;   in Loop: Header=BB180_6 Depth=1
	v_mov_b32_e32 v18, v19
	ds_write_b64 v44, v[18:19]
; %bb.170:                              ;   in Loop: Header=BB180_6 Depth=1
	s_or_b32 exec_lo, exec_lo, s6
	v_and_b32_e32 v2, s15, v15
	v_and_b32_e32 v4, s14, v14
	s_lshl_b64 s[24:25], 2, s93
	v_or_b32_e32 v13, s13, v13
	v_or_b32_e32 v12, s12, v12
	;; [unrolled: 1-line block ×4, first 2 shown]
	s_mov_b32 s73, -1
	s_mov_b32 s74, 0
	s_cmp_eq_u64 s[22:23], 0
	s_mov_b32 s50, 0
	s_mov_b32 s6, -1
	s_waitcnt lgkmcnt(0)
	s_barrier
	buffer_gl0_inv
                                        ; implicit-def: $vgpr10_vgpr11
	s_cbranch_scc1 .LBB180_187
; %bb.171:                              ;   in Loop: Header=BB180_6 Depth=1
	s_add_u32 s6, s22, s80
	s_addc_u32 s25, s23, s81
	s_mov_b32 s24, s27
	s_cmp_lg_u64 s[24:25], 0
	s_cbranch_scc0 .LBB180_220
; %bb.172:                              ;   in Loop: Header=BB180_6 Depth=1
	v_cvt_f32_u32_e32 v2, s33
	s_sub_u32 s44, 0, s33
	s_subb_u32 s45, 0, 0
	v_fmac_f32_e64 v2, 0x4f800000, 0
	v_rcp_f32_e32 v2, v2
	v_mul_f32_e32 v2, 0x5f7ffffc, v2
	v_mul_f32_e32 v4, 0x2f800000, v2
	v_trunc_f32_e32 v4, v4
	v_fmac_f32_e32 v2, 0xcf800000, v4
	v_cvt_u32_f32_e32 v4, v4
	v_cvt_u32_f32_e32 v2, v2
	v_readfirstlane_b32 s24, v4
	v_readfirstlane_b32 s26, v2
	s_mul_i32 s50, s44, s24
	s_mul_hi_u32 s54, s44, s26
	s_mul_i32 s51, s45, s26
	s_add_i32 s50, s54, s50
	s_mul_i32 s62, s44, s26
	s_add_i32 s50, s50, s51
	s_mul_hi_u32 s54, s26, s62
	s_mul_i32 vcc_lo, s26, s50
	s_mul_hi_u32 s63, s24, s62
	s_mul_i32 s51, s24, s62
	s_mul_hi_u32 s62, s26, s50
	s_add_u32 s54, s54, vcc_lo
	s_addc_u32 s62, 0, s62
	s_mul_hi_u32 vcc_hi, s24, s50
	s_add_u32 s51, s54, s51
	s_mul_i32 s50, s24, s50
	s_addc_u32 s51, s62, s63
	s_addc_u32 s54, vcc_hi, 0
	s_add_u32 s50, s51, s50
	s_addc_u32 s51, 0, s54
	s_add_u32 s26, s26, s50
	s_cselect_b32 s50, -1, 0
	s_mul_hi_u32 s54, s44, s26
	s_cmp_lg_u32 s50, 0
	s_mul_i32 s50, s44, s26
	s_addc_u32 s24, s24, s51
	s_mul_i32 s45, s45, s26
	s_mul_i32 s44, s44, s24
	s_mul_hi_u32 s51, s26, s50
	s_add_i32 s44, s54, s44
	s_mul_hi_u32 s54, s24, s50
	s_add_i32 s44, s44, s45
	s_mul_i32 s45, s24, s50
	s_mul_i32 s63, s26, s44
	s_mul_hi_u32 s62, s26, s44
	s_add_u32 s51, s51, s63
	s_addc_u32 s62, 0, s62
	s_mul_hi_u32 s50, s24, s44
	s_add_u32 s45, s51, s45
	s_mul_i32 s44, s24, s44
	s_addc_u32 s45, s62, s54
	s_addc_u32 s50, s50, 0
	s_add_u32 s44, s45, s44
	s_addc_u32 s45, 0, s50
	s_add_u32 s26, s26, s44
	s_cselect_b32 s44, -1, 0
	s_mul_hi_u32 s50, s6, s26
	s_cmp_lg_u32 s44, 0
	s_mul_hi_u32 s44, s25, s26
	s_addc_u32 s24, s24, s45
	s_mul_i32 s26, s25, s26
	s_mul_i32 s51, s6, s24
	s_mul_hi_u32 s45, s6, s24
	s_add_u32 s50, s50, s51
	s_addc_u32 s45, 0, s45
	s_mul_hi_u32 s54, s25, s24
	s_add_u32 s26, s50, s26
	s_mul_i32 s24, s25, s24
	s_addc_u32 s26, s45, s44
	s_addc_u32 s44, s54, 0
	s_add_u32 s24, s26, s24
	s_addc_u32 s26, 0, s44
	s_mul_hi_u32 s44, s33, s24
	s_mul_i32 s26, s33, s26
	s_mul_i32 s24, s33, s24
	s_add_i32 s44, s44, s26
	s_sub_u32 s24, s6, s24
	s_cselect_b32 s26, -1, 0
	s_cmp_lg_u32 s26, 0
	s_subb_u32 s26, s25, s44
	s_sub_u32 s44, s24, s33
	s_cselect_b32 s45, -1, 0
	s_cmp_lg_u32 s45, 0
	s_subb_u32 s45, s26, 0
	s_sub_u32 s50, s44, s33
	s_cselect_b32 s51, -1, 0
	s_cmp_lg_u32 s51, 0
	s_subb_u32 s51, s45, 0
	s_cmp_ge_u32 s44, s33
	s_cselect_b32 s54, -1, 0
	s_cmp_eq_u32 s45, 0
	s_cselect_b32 s54, s54, -1
	s_cmp_lg_u32 s54, 0
	s_cselect_b32 s45, s51, s45
	s_cselect_b32 s44, s50, s44
	s_cmp_ge_u32 s24, s33
	s_cselect_b32 s50, -1, 0
	s_cmp_eq_u32 s26, 0
	s_cselect_b32 s50, s50, -1
	s_cmp_lg_u32 s50, 0
	s_cselect_b32 s63, s45, s26
	s_cselect_b32 s62, s44, s24
	s_cbranch_execnz .LBB180_174
.LBB180_173:                            ;   in Loop: Header=BB180_6 Depth=1
	v_cvt_f32_u32_e32 v2, s33
	s_sub_i32 s26, 0, s33
	v_rcp_iflag_f32_e32 v2, v2
	v_mul_f32_e32 v2, 0x4f7ffffe, v2
	v_cvt_u32_f32_e32 v2, v2
	v_readfirstlane_b32 s24, v2
	s_mul_i32 s26, s26, s24
	s_mul_hi_u32 s26, s24, s26
	s_add_i32 s24, s24, s26
	s_mul_hi_u32 s24, s6, s24
	s_mul_i32 s24, s24, s33
	s_sub_i32 s24, s6, s24
	s_sub_i32 s26, s24, s33
	s_cmp_ge_u32 s24, s33
	s_cselect_b32 s24, s26, s24
	s_sub_i32 s26, s24, s33
	s_cmp_ge_u32 s24, s33
	s_cselect_b32 s26, s26, s24
	s_mov_b64 s[62:63], s[26:27]
.LBB180_174:                            ;   in Loop: Header=BB180_6 Depth=1
	s_sub_u32 s24, s6, s62
	s_subb_u32 s25, s25, s63
	s_mov_b32 s6, 0
	s_mov_b32 s50, 0
	s_mov_b32 s26, exec_lo
                                        ; implicit-def: $vgpr10_vgpr11
	v_cmpx_gt_u64_e64 s[24:25], v[0:1]
	s_cbranch_execz .LBB180_186
; %bb.175:                              ;   in Loop: Header=BB180_6 Depth=1
	v_mov_b32_e32 v36, v1
	v_mov_b32_e32 v18, v43
	;; [unrolled: 1-line block ×3, first 2 shown]
                                        ; implicit-def: $sgpr51
	s_branch .LBB180_179
.LBB180_176:                            ;   in Loop: Header=BB180_179 Depth=2
	s_or_b32 exec_lo, exec_lo, s54
	s_waitcnt lgkmcnt(0)
	s_barrier
	buffer_gl0_inv
	ds_read_b128 v[8:11], v19 offset:3072
	s_waitcnt lgkmcnt(0)
	s_barrier
	buffer_gl0_inv
	v_cmp_neq_f64_e32 vcc_lo, 0, v[8:9]
	s_cbranch_vccnz .LBB180_182
; %bb.177:                              ;   in Loop: Header=BB180_179 Depth=2
	v_add_co_u32 v35, vcc_lo, v35, s33
	v_add_co_ci_u32_e64 v36, null, 0, v36, vcc_lo
	v_add_nc_u32_e32 v18, s86, v18
	s_mov_b32 s44, 0
	v_cmp_le_u64_e32 vcc_lo, s[24:25], v[35:36]
	s_orn2_b32 s45, vcc_lo, exec_lo
.LBB180_178:                            ;   in Loop: Header=BB180_179 Depth=2
	s_and_b32 s45, exec_lo, s45
	s_or_b32 s50, s45, s50
	s_andn2_b32 s45, s51, exec_lo
	s_and_b32 s44, s44, exec_lo
	s_or_b32 s51, s45, s44
	s_andn2_b32 exec_lo, exec_lo, s50
	s_cbranch_execz .LBB180_185
.LBB180_179:                            ;   Parent Loop BB180_6 Depth=1
                                        ; =>  This Inner Loop Header: Depth=2
	s_mov_b32 s54, exec_lo
	v_cmpx_gt_u64_e64 s[22:23], v[35:36]
	s_cbranch_execz .LBB180_176
; %bb.180:                              ;   in Loop: Header=BB180_179 Depth=2
	ds_read_b64 v[4:5], v18
	s_waitcnt lgkmcnt(0)
	v_cmp_o_f64_e32 vcc_lo, v[4:5], v[4:5]
	v_ashrrev_i32_e32 v2, 31, v5
	v_or_b32_e32 v8, 0x80000000, v2
	v_xor_b32_e32 v2, v2, v4
	v_xor_b32_e32 v8, v8, v5
	v_cndmask_b32_e32 v8, -1, v8, vcc_lo
	v_cndmask_b32_e32 v2, -1, v2, vcc_lo
	v_and_b32_e32 v9, v8, v13
	v_and_b32_e32 v8, v2, v12
	v_cmp_eq_u64_e32 vcc_lo, v[8:9], v[14:15]
	s_and_b32 exec_lo, exec_lo, vcc_lo
	s_cbranch_execz .LBB180_176
; %bb.181:                              ;   in Loop: Header=BB180_179 Depth=2
	v_mov_b32_e32 v2, v19
	ds_write_b128 v19, v[2:5] offset:3072
	s_branch .LBB180_176
.LBB180_182:                            ;   in Loop: Header=BB180_179 Depth=2
	s_mov_b32 s45, -1
	s_mov_b32 s44, -1
                                        ; implicit-def: $vgpr35_vgpr36
                                        ; implicit-def: $vgpr18
	s_branch .LBB180_178
.LBB180_183:                            ;   in Loop: Header=BB180_6 Depth=1
                                        ; implicit-def: $sgpr62_sgpr63
	s_branch .LBB180_126
.LBB180_184:                            ;   in Loop: Header=BB180_6 Depth=1
                                        ; implicit-def: $sgpr22_sgpr23
	s_branch .LBB180_143
.LBB180_185:                            ;   in Loop: Header=BB180_6 Depth=1
	s_or_b32 exec_lo, exec_lo, s50
	s_and_b32 s50, s51, exec_lo
.LBB180_186:                            ;   in Loop: Header=BB180_6 Depth=1
	s_or_b32 exec_lo, exec_lo, s26
.LBB180_187:                            ;   in Loop: Header=BB180_6 Depth=1
	s_and_b32 vcc_lo, exec_lo, s6
	s_cbranch_vccz .LBB180_202
; %bb.188:                              ;   in Loop: Header=BB180_6 Depth=1
	s_mov_b32 s54, s27
	s_cmp_lg_u64 s[54:55], 0
	s_cbranch_scc0 .LBB180_221
; %bb.189:                              ;   in Loop: Header=BB180_6 Depth=1
	v_cvt_f32_u32_e32 v2, s33
	s_sub_u32 s23, 0, s33
	s_subb_u32 s24, 0, 0
	v_fmac_f32_e64 v2, 0x4f800000, 0
	v_rcp_f32_e32 v2, v2
	v_mul_f32_e32 v2, 0x5f7ffffc, v2
	v_mul_f32_e32 v4, 0x2f800000, v2
	v_trunc_f32_e32 v4, v4
	v_fmac_f32_e32 v2, 0xcf800000, v4
	v_cvt_u32_f32_e32 v4, v4
	v_cvt_u32_f32_e32 v2, v2
	v_readfirstlane_b32 s6, v4
	v_readfirstlane_b32 s22, v2
	s_mul_i32 s25, s23, s6
	s_mul_hi_u32 s44, s23, s22
	s_mul_i32 s26, s24, s22
	s_add_i32 s25, s44, s25
	s_mul_i32 s45, s23, s22
	s_add_i32 s25, s25, s26
	s_mul_hi_u32 s44, s22, s45
	s_mul_i32 s54, s22, s25
	s_mul_hi_u32 s51, s6, s45
	s_mul_i32 s26, s6, s45
	s_mul_hi_u32 s45, s22, s25
	s_add_u32 s44, s44, s54
	s_addc_u32 s45, 0, s45
	s_mul_hi_u32 s62, s6, s25
	s_add_u32 s26, s44, s26
	s_mul_i32 s25, s6, s25
	s_addc_u32 s26, s45, s51
	s_addc_u32 s44, s62, 0
	s_add_u32 s25, s26, s25
	s_addc_u32 s26, 0, s44
	s_add_u32 s22, s22, s25
	s_cselect_b32 s25, -1, 0
	s_mul_hi_u32 s44, s23, s22
	s_cmp_lg_u32 s25, 0
	s_mul_i32 s25, s23, s22
	s_addc_u32 s6, s6, s26
	s_mul_i32 s24, s24, s22
	s_mul_i32 s23, s23, s6
	s_mul_hi_u32 s26, s22, s25
	s_add_i32 s23, s44, s23
	s_mul_hi_u32 s44, s6, s25
	s_add_i32 s23, s23, s24
	s_mul_i32 s24, s6, s25
	s_mul_i32 s51, s22, s23
	s_mul_hi_u32 s45, s22, s23
	s_add_u32 s26, s26, s51
	s_addc_u32 s45, 0, s45
	s_mul_hi_u32 s25, s6, s23
	s_add_u32 s24, s26, s24
	s_mul_i32 s23, s6, s23
	s_addc_u32 s24, s45, s44
	s_addc_u32 s25, s25, 0
	s_add_u32 s23, s24, s23
	s_addc_u32 s24, 0, s25
	s_add_u32 s22, s22, s23
	s_cselect_b32 s23, -1, 0
	s_mul_hi_u32 s25, s82, s22
	s_cmp_lg_u32 s23, 0
	s_mul_hi_u32 s23, s55, s22
	s_addc_u32 s6, s6, s24
	s_mul_i32 s22, s55, s22
	s_mul_i32 s26, s82, s6
	s_mul_hi_u32 s24, s82, s6
	s_add_u32 s25, s25, s26
	s_addc_u32 s24, 0, s24
	s_mul_hi_u32 s44, s55, s6
	s_add_u32 s22, s25, s22
	s_mul_i32 s6, s55, s6
	s_addc_u32 s22, s24, s23
	s_addc_u32 s23, s44, 0
	s_add_u32 s6, s22, s6
	s_addc_u32 s22, 0, s23
	s_mul_hi_u32 s23, s33, s6
	s_mul_i32 s22, s33, s22
	s_mul_i32 s6, s33, s6
	s_add_i32 s23, s23, s22
	s_sub_u32 s6, s82, s6
	s_cselect_b32 s22, -1, 0
	s_cmp_lg_u32 s22, 0
	s_subb_u32 s22, s55, s23
	s_sub_u32 s23, s6, s33
	s_cselect_b32 s24, -1, 0
	s_cmp_lg_u32 s24, 0
	s_subb_u32 s24, s22, 0
	;; [unrolled: 4-line block ×3, first 2 shown]
	s_cmp_ge_u32 s23, s33
	s_cselect_b32 s44, -1, 0
	s_cmp_eq_u32 s24, 0
	s_cselect_b32 s44, s44, -1
	s_cmp_lg_u32 s44, 0
	s_cselect_b32 s24, s26, s24
	s_cselect_b32 s25, s25, s23
	s_cmp_ge_u32 s6, s33
	s_cselect_b32 s23, -1, 0
	s_cmp_eq_u32 s22, 0
	s_cselect_b32 s23, s23, -1
	s_cmp_lg_u32 s23, 0
	s_cselect_b32 s23, s24, s22
	s_cselect_b32 s22, s25, s6
	s_cbranch_execnz .LBB180_191
.LBB180_190:                            ;   in Loop: Header=BB180_6 Depth=1
	v_cvt_f32_u32_e32 v2, s33
	s_sub_i32 s22, 0, s33
	v_rcp_iflag_f32_e32 v2, v2
	v_mul_f32_e32 v2, 0x4f7ffffe, v2
	v_cvt_u32_f32_e32 v2, v2
	v_readfirstlane_b32 s6, v2
	s_mul_i32 s22, s22, s6
	s_mul_hi_u32 s22, s6, s22
	s_add_i32 s6, s6, s22
	s_mul_hi_u32 s6, s82, s6
	s_mul_i32 s6, s6, s33
	s_sub_i32 s6, s82, s6
	s_sub_i32 s22, s6, s33
	s_cmp_ge_u32 s6, s33
	s_cselect_b32 s6, s22, s6
	s_sub_i32 s22, s6, s33
	s_cmp_ge_u32 s6, s33
	s_cselect_b32 s26, s22, s6
	s_mov_b64 s[22:23], s[26:27]
.LBB180_191:                            ;   in Loop: Header=BB180_6 Depth=1
	s_sub_u32 s22, s82, s22
	s_subb_u32 s23, s55, s23
	s_mov_b32 s24, exec_lo
                                        ; implicit-def: $vgpr10_vgpr11
	v_cmpx_gt_u64_e64 s[22:23], v[0:1]
	s_cbranch_execz .LBB180_201
; %bb.192:                              ;   in Loop: Header=BB180_6 Depth=1
	v_mov_b32_e32 v36, v17
	v_mov_b32_e32 v40, v1
	;; [unrolled: 1-line block ×4, first 2 shown]
	s_mov_b32 s25, 0
                                        ; implicit-def: $sgpr26
	s_branch .LBB180_196
.LBB180_193:                            ;   in Loop: Header=BB180_196 Depth=2
	s_or_b32 exec_lo, exec_lo, s6
	s_waitcnt lgkmcnt(0)
	s_barrier
	buffer_gl0_inv
	ds_read_b128 v[8:11], v19 offset:3072
	s_waitcnt lgkmcnt(0)
	s_barrier
	buffer_gl0_inv
	v_cmp_eq_f64_e32 vcc_lo, 0, v[8:9]
	s_cbranch_vccz .LBB180_199
; %bb.194:                              ;   in Loop: Header=BB180_196 Depth=2
	v_add_co_u32 v39, vcc_lo, v39, s33
	v_add_co_ci_u32_e64 v40, null, 0, v40, vcc_lo
	v_add_co_u32 v35, s6, v35, s34
	v_add_co_ci_u32_e64 v36, null, s35, v36, s6
	v_cmp_le_u64_e32 vcc_lo, s[22:23], v[39:40]
	s_mov_b32 s6, 0
	s_orn2_b32 s44, vcc_lo, exec_lo
.LBB180_195:                            ;   in Loop: Header=BB180_196 Depth=2
	s_and_b32 s44, exec_lo, s44
	s_or_b32 s25, s44, s25
	s_andn2_b32 s26, s26, exec_lo
	s_and_b32 s6, s6, exec_lo
	s_or_b32 s26, s26, s6
	s_andn2_b32 exec_lo, exec_lo, s25
	s_cbranch_execz .LBB180_200
.LBB180_196:                            ;   Parent Loop BB180_6 Depth=1
                                        ; =>  This Inner Loop Header: Depth=2
	s_mov_b32 s6, exec_lo
	v_cmpx_gt_u64_e64 s[28:29], v[39:40]
	s_cbranch_execz .LBB180_193
; %bb.197:                              ;   in Loop: Header=BB180_196 Depth=2
	global_load_dwordx2 v[4:5], v[35:36], off
	s_waitcnt vmcnt(0)
	v_cmp_o_f64_e32 vcc_lo, v[4:5], v[4:5]
	v_ashrrev_i32_e32 v2, 31, v5
	v_or_b32_e32 v8, 0x80000000, v2
	v_xor_b32_e32 v2, v2, v4
	v_xor_b32_e32 v8, v8, v5
	v_cndmask_b32_e32 v8, -1, v8, vcc_lo
	v_cndmask_b32_e32 v2, -1, v2, vcc_lo
	v_and_b32_e32 v9, v8, v13
	v_and_b32_e32 v8, v2, v12
	v_cmp_eq_u64_e32 vcc_lo, v[8:9], v[14:15]
	s_and_b32 exec_lo, exec_lo, vcc_lo
	s_cbranch_execz .LBB180_193
; %bb.198:                              ;   in Loop: Header=BB180_196 Depth=2
	v_mov_b32_e32 v2, v19
	ds_write_b128 v19, v[2:5] offset:3072
	s_branch .LBB180_193
.LBB180_199:                            ;   in Loop: Header=BB180_196 Depth=2
	s_mov_b32 s44, -1
	s_mov_b32 s6, -1
                                        ; implicit-def: $vgpr39_vgpr40
                                        ; implicit-def: $vgpr35_vgpr36
	s_branch .LBB180_195
.LBB180_200:                            ;   in Loop: Header=BB180_6 Depth=1
	s_or_b32 exec_lo, exec_lo, s25
	s_andn2_b32 s6, s50, exec_lo
	s_and_b32 s22, s26, exec_lo
	s_or_b32 s50, s6, s22
.LBB180_201:                            ;   in Loop: Header=BB180_6 Depth=1
	s_or_b32 exec_lo, exec_lo, s24
	s_mov_b32 s73, 0
	s_mov_b32 s74, -1
.LBB180_202:                            ;   in Loop: Header=BB180_6 Depth=1
	s_orn2_b32 s6, s50, exec_lo
.LBB180_203:                            ;   in Loop: Header=BB180_6 Depth=1
	s_or_b32 exec_lo, exec_lo, s75
	s_mov_b32 s22, 0
	s_and_saveexec_b32 s75, s6
	s_cbranch_execz .LBB180_267
; %bb.204:                              ;   in Loop: Header=BB180_6 Depth=1
	v_mov_b32_e32 v35, 1
	v_mov_b32_e32 v36, 0
	;; [unrolled: 1-line block ×3, first 2 shown]
	s_xor_b32 s22, s104, -1
	s_mov_b32 s23, 0
	s_and_saveexec_b32 s6, s22
	s_cbranch_execz .LBB180_213
; %bb.205:                              ;   in Loop: Header=BB180_6 Depth=1
	s_mov_b32 s22, exec_lo
	v_cmpx_ge_u64_e64 s[18:19], v[37:38]
	s_xor_b32 s22, exec_lo, s22
	s_cbranch_execz .LBB180_210
; %bb.206:                              ;   in Loop: Header=BB180_6 Depth=1
	ds_read_b64 v[4:5], v19 offset:5120
	v_and_b32_e32 v2, s15, v15
	v_and_b32_e32 v8, s14, v14
	s_lshl_b64 s[24:25], 2, s93
	v_or_b32_e32 v13, s13, v13
	v_or_b32_e32 v12, s12, v12
	;; [unrolled: 1-line block ×4, first 2 shown]
	s_waitcnt lgkmcnt(0)
	v_cmp_ne_u64_e32 vcc_lo, 0, v[4:5]
	s_cbranch_vccnz .LBB180_210
; %bb.207:                              ;   in Loop: Header=BB180_6 Depth=1
	s_and_saveexec_b32 s23, s3
; %bb.208:                              ;   in Loop: Header=BB180_6 Depth=1
	v_mov_b32_e32 v4, s18
	v_mov_b32_e32 v5, s19
	ds_write_b64 v19, v[4:5] offset:5128
; %bb.209:                              ;   in Loop: Header=BB180_6 Depth=1
	s_or_b32 exec_lo, exec_lo, s23
	s_waitcnt lgkmcnt(0)
	s_barrier
	buffer_gl0_inv
.LBB180_210:                            ;   in Loop: Header=BB180_6 Depth=1
	s_or_saveexec_b32 s22, s22
	v_mov_b32_e32 v49, 8
	s_mov_b32 s23, 0
	s_xor_b32 exec_lo, exec_lo, s22
; %bb.211:                              ;   in Loop: Header=BB180_6 Depth=1
	v_sub_co_u32 v37, vcc_lo, v37, s18
	v_subrev_co_ci_u32_e64 v38, null, s19, v38, vcc_lo
	v_mov_b32_e32 v49, 0
	s_mov_b32 s23, exec_lo
; %bb.212:                              ;   in Loop: Header=BB180_6 Depth=1
	s_or_b32 exec_lo, exec_lo, s22
	v_mov_b32_e32 v35, v37
	v_mov_b32_e32 v36, v38
	s_and_b32 s23, s23, exec_lo
.LBB180_213:                            ;   in Loop: Header=BB180_6 Depth=1
	s_or_b32 exec_lo, exec_lo, s6
	s_mov_b32 s22, -1
                                        ; implicit-def: $sgpr51
                                        ; implicit-def: $sgpr6
	s_and_saveexec_b32 s104, s23
	s_cbranch_execz .LBB180_266
; %bb.214:                              ;   in Loop: Header=BB180_6 Depth=1
	v_cmp_eq_u64_e32 vcc_lo, 1, v[35:36]
	s_cmp_eq_u64 s[20:21], 1
	s_mov_b32 s23, -1
	s_cselect_b32 s6, -1, 0
                                        ; implicit-def: $sgpr51
	s_and_b32 vcc_hi, s6, vcc_lo
                                        ; implicit-def: $sgpr6
	s_and_saveexec_b32 s50, vcc_hi
	s_cbranch_execz .LBB180_254
; %bb.215:                              ;   in Loop: Header=BB180_6 Depth=1
	ds_read_b64 v[4:5], v19 offset:5120
	s_waitcnt lgkmcnt(0)
	s_barrier
	buffer_gl0_inv
	v_readfirstlane_b32 s22, v4
	v_readfirstlane_b32 s23, v5
	s_and_saveexec_b32 s6, s8
; %bb.216:                              ;   in Loop: Header=BB180_6 Depth=1
	v_mov_b32_e32 v18, v19
	ds_write_b64 v44, v[18:19]
; %bb.217:                              ;   in Loop: Header=BB180_6 Depth=1
	s_or_b32 exec_lo, exec_lo, s6
	v_or_b32_e32 v15, s13, v15
	v_or_b32_e32 v14, s12, v14
	;; [unrolled: 1-line block ×4, first 2 shown]
	s_mov_b32 s6, -1
	s_mov_b32 s51, 0
	s_cmp_eq_u64 s[22:23], 0
	s_mov_b32 s62, 0
	s_mov_b32 s26, -1
	s_waitcnt lgkmcnt(0)
	s_barrier
	buffer_gl0_inv
                                        ; implicit-def: $vgpr10_vgpr11
	s_cbranch_scc1 .LBB180_236
; %bb.218:                              ;   in Loop: Header=BB180_6 Depth=1
	s_add_u32 s54, s22, s80
	s_addc_u32 s25, s23, s81
	s_mov_b32 s24, s27
	s_cmp_lg_u64 s[24:25], 0
	s_cbranch_scc0 .LBB180_222
; %bb.219:                              ;   in Loop: Header=BB180_6 Depth=1
	v_cvt_f32_u32_e32 v2, s33
	s_sub_u32 s44, 0, s33
	s_subb_u32 s45, 0, 0
	v_fmac_f32_e64 v2, 0x4f800000, 0
	v_rcp_f32_e32 v2, v2
	v_mul_f32_e32 v2, 0x5f7ffffc, v2
	v_mul_f32_e32 v4, 0x2f800000, v2
	v_trunc_f32_e32 v4, v4
	v_fmac_f32_e32 v2, 0xcf800000, v4
	v_cvt_u32_f32_e32 v4, v4
	v_cvt_u32_f32_e32 v2, v2
	v_readfirstlane_b32 s24, v4
	v_readfirstlane_b32 s26, v2
	s_mul_i32 s62, s44, s24
	s_mul_hi_u32 vcc_lo, s44, s26
	s_mul_i32 s63, s45, s26
	s_add_i32 s47, vcc_lo, s62
	s_mul_i32 s46, s44, s26
	s_add_i32 s47, s47, s63
	s_mul_hi_u32 s62, s26, s46
	s_mul_i32 s48, s26, s47
	s_mul_hi_u32 s63, s26, s47
	s_mul_hi_u32 vcc_lo, s24, s46
	s_mul_i32 s46, s24, s46
	s_add_u32 s48, s62, s48
	s_addc_u32 s62, 0, s63
	s_mul_hi_u32 s49, s24, s47
	s_add_u32 s46, s48, s46
	s_mul_i32 s47, s24, s47
	s_addc_u32 s46, s62, vcc_lo
	s_addc_u32 s48, s49, 0
	s_add_u32 s46, s46, s47
	s_addc_u32 s47, 0, s48
	s_add_u32 s26, s26, s46
	s_cselect_b32 s46, -1, 0
	s_mul_hi_u32 s48, s44, s26
	s_cmp_lg_u32 s46, 0
	s_mul_i32 s46, s44, s26
	s_addc_u32 s24, s24, s47
	s_mul_i32 s45, s45, s26
	s_mul_i32 s44, s44, s24
	s_mul_hi_u32 s47, s26, s46
	s_add_i32 s44, s48, s44
	s_mul_hi_u32 s48, s24, s46
	s_add_i32 s44, s44, s45
	s_mul_i32 s45, s24, s46
	s_mul_i32 s62, s26, s44
	s_mul_hi_u32 s49, s26, s44
	s_add_u32 s47, s47, s62
	s_addc_u32 s49, 0, s49
	s_mul_hi_u32 s46, s24, s44
	s_add_u32 s45, s47, s45
	s_mul_i32 s44, s24, s44
	s_addc_u32 s45, s49, s48
	s_addc_u32 s46, s46, 0
	s_add_u32 s44, s45, s44
	s_addc_u32 s45, 0, s46
	s_add_u32 s26, s26, s44
	s_cselect_b32 s44, -1, 0
	s_mul_hi_u32 s46, s54, s26
	s_cmp_lg_u32 s44, 0
	s_mul_hi_u32 s44, s25, s26
	s_addc_u32 s24, s24, s45
	s_mul_i32 s26, s25, s26
	s_mul_i32 s47, s54, s24
	s_mul_hi_u32 s45, s54, s24
	s_add_u32 s46, s46, s47
	s_addc_u32 s45, 0, s45
	s_mul_hi_u32 s48, s25, s24
	s_add_u32 s26, s46, s26
	s_mul_i32 s24, s25, s24
	s_addc_u32 s26, s45, s44
	s_addc_u32 s44, s48, 0
	s_add_u32 s24, s26, s24
	s_addc_u32 s26, 0, s44
	s_mul_hi_u32 s44, s33, s24
	s_mul_i32 s26, s33, s26
	s_mul_i32 s24, s33, s24
	s_add_i32 s44, s44, s26
	s_sub_u32 s24, s54, s24
	s_cselect_b32 s26, -1, 0
	s_cmp_lg_u32 s26, 0
	s_subb_u32 s26, s25, s44
	s_sub_u32 s44, s24, s33
	s_cselect_b32 s45, -1, 0
	s_cmp_lg_u32 s45, 0
	s_subb_u32 s45, s26, 0
	;; [unrolled: 4-line block ×3, first 2 shown]
	s_cmp_ge_u32 s44, s33
	s_cselect_b32 s48, -1, 0
	s_cmp_eq_u32 s45, 0
	s_cselect_b32 s48, s48, -1
	s_cmp_lg_u32 s48, 0
	s_cselect_b32 s45, s47, s45
	s_cselect_b32 s44, s46, s44
	s_cmp_ge_u32 s24, s33
	s_cselect_b32 s46, -1, 0
	s_cmp_eq_u32 s26, 0
	s_cselect_b32 s46, s46, -1
	s_cmp_lg_u32 s46, 0
	s_cselect_b32 s63, s45, s26
	s_cselect_b32 s62, s44, s24
	s_mov_b32 s24, 0
	s_branch .LBB180_223
.LBB180_220:                            ;   in Loop: Header=BB180_6 Depth=1
                                        ; implicit-def: $sgpr62_sgpr63
	s_branch .LBB180_173
.LBB180_221:                            ;   in Loop: Header=BB180_6 Depth=1
                                        ; implicit-def: $sgpr22_sgpr23
	s_branch .LBB180_190
.LBB180_222:                            ;   in Loop: Header=BB180_6 Depth=1
	s_mov_b32 s24, -1
                                        ; implicit-def: $sgpr62_sgpr63
.LBB180_223:                            ;   in Loop: Header=BB180_6 Depth=1
	s_andn2_b32 vcc_lo, exec_lo, s24
	s_cbranch_vccnz .LBB180_225
; %bb.224:                              ;   in Loop: Header=BB180_6 Depth=1
	v_cvt_f32_u32_e32 v2, s33
	s_sub_i32 s26, 0, s33
	v_rcp_iflag_f32_e32 v2, v2
	v_mul_f32_e32 v2, 0x4f7ffffe, v2
	v_cvt_u32_f32_e32 v2, v2
	v_readfirstlane_b32 s24, v2
	s_mul_i32 s26, s26, s24
	s_mul_hi_u32 s26, s24, s26
	s_add_i32 s24, s24, s26
	s_mul_hi_u32 s24, s54, s24
	s_mul_i32 s24, s24, s33
	s_sub_i32 s24, s54, s24
	s_sub_i32 s26, s24, s33
	s_cmp_ge_u32 s24, s33
	s_cselect_b32 s24, s26, s24
	s_sub_i32 s26, s24, s33
	s_cmp_ge_u32 s24, s33
	s_cselect_b32 s26, s26, s24
	s_mov_b64 s[62:63], s[26:27]
.LBB180_225:                            ;   in Loop: Header=BB180_6 Depth=1
	s_sub_u32 s24, s54, s62
	s_subb_u32 s25, s25, s63
	s_mov_b32 s26, 0
	s_mov_b32 s62, 0
	s_mov_b32 s54, exec_lo
                                        ; implicit-def: $vgpr10_vgpr11
	v_cmpx_gt_u64_e64 s[24:25], v[0:1]
	s_cbranch_execz .LBB180_235
; %bb.226:                              ;   in Loop: Header=BB180_6 Depth=1
	v_mov_b32_e32 v38, v1
	v_mov_b32_e32 v18, v43
	;; [unrolled: 1-line block ×3, first 2 shown]
                                        ; implicit-def: $sgpr63
	s_branch .LBB180_230
.LBB180_227:                            ;   in Loop: Header=BB180_230 Depth=2
	s_or_b32 exec_lo, exec_lo, s44
	s_waitcnt lgkmcnt(0)
	s_barrier
	buffer_gl0_inv
	ds_read_b128 v[8:11], v19 offset:3072
	s_waitcnt lgkmcnt(0)
	s_barrier
	buffer_gl0_inv
	v_cmp_neq_f64_e32 vcc_lo, 0, v[8:9]
	s_cbranch_vccnz .LBB180_233
; %bb.228:                              ;   in Loop: Header=BB180_230 Depth=2
	v_add_co_u32 v37, vcc_lo, v37, s33
	v_add_co_ci_u32_e64 v38, null, 0, v38, vcc_lo
	v_add_nc_u32_e32 v18, s86, v18
	s_mov_b32 s44, 0
	v_cmp_le_u64_e32 vcc_lo, s[24:25], v[37:38]
	s_orn2_b32 s45, vcc_lo, exec_lo
.LBB180_229:                            ;   in Loop: Header=BB180_230 Depth=2
	s_and_b32 s45, exec_lo, s45
	s_or_b32 s62, s45, s62
	s_andn2_b32 s45, s63, exec_lo
	s_and_b32 s44, s44, exec_lo
	s_or_b32 s63, s45, s44
	s_andn2_b32 exec_lo, exec_lo, s62
	s_cbranch_execz .LBB180_234
.LBB180_230:                            ;   Parent Loop BB180_6 Depth=1
                                        ; =>  This Inner Loop Header: Depth=2
	s_mov_b32 s44, exec_lo
	v_cmpx_gt_u64_e64 s[22:23], v[37:38]
	s_cbranch_execz .LBB180_227
; %bb.231:                              ;   in Loop: Header=BB180_230 Depth=2
	ds_read_b64 v[4:5], v18
	s_waitcnt lgkmcnt(0)
	v_cmp_o_f64_e32 vcc_lo, v[4:5], v[4:5]
	v_ashrrev_i32_e32 v2, 31, v5
	v_or_b32_e32 v8, 0x80000000, v2
	v_xor_b32_e32 v2, v2, v4
	v_xor_b32_e32 v8, v8, v5
	v_cndmask_b32_e32 v8, -1, v8, vcc_lo
	v_cndmask_b32_e32 v2, -1, v2, vcc_lo
	v_and_b32_e32 v9, v8, v13
	v_and_b32_e32 v8, v2, v12
	v_cmp_eq_u64_e32 vcc_lo, v[8:9], v[14:15]
	s_and_b32 exec_lo, exec_lo, vcc_lo
	s_cbranch_execz .LBB180_227
; %bb.232:                              ;   in Loop: Header=BB180_230 Depth=2
	v_mov_b32_e32 v2, v19
	ds_write_b128 v19, v[2:5] offset:3072
	s_branch .LBB180_227
.LBB180_233:                            ;   in Loop: Header=BB180_230 Depth=2
	s_mov_b32 s45, -1
	s_mov_b32 s44, -1
                                        ; implicit-def: $vgpr37_vgpr38
                                        ; implicit-def: $vgpr18
	s_branch .LBB180_229
.LBB180_234:                            ;   in Loop: Header=BB180_6 Depth=1
	s_or_b32 exec_lo, exec_lo, s62
	s_and_b32 s62, s63, exec_lo
.LBB180_235:                            ;   in Loop: Header=BB180_6 Depth=1
	s_or_b32 exec_lo, exec_lo, s54
.LBB180_236:                            ;   in Loop: Header=BB180_6 Depth=1
	s_and_b32 vcc_lo, exec_lo, s26
	s_cbranch_vccz .LBB180_253
; %bb.237:                              ;   in Loop: Header=BB180_6 Depth=1
	s_mov_b32 s54, s27
	s_cmp_lg_u64 s[54:55], 0
	s_cbranch_scc0 .LBB180_239
; %bb.238:                              ;   in Loop: Header=BB180_6 Depth=1
	v_cvt_f32_u32_e32 v2, s33
	s_sub_u32 s23, 0, s33
	s_subb_u32 s24, 0, 0
	v_fmac_f32_e64 v2, 0x4f800000, 0
	v_rcp_f32_e32 v2, v2
	v_mul_f32_e32 v2, 0x5f7ffffc, v2
	v_mul_f32_e32 v4, 0x2f800000, v2
	v_trunc_f32_e32 v4, v4
	v_fmac_f32_e32 v2, 0xcf800000, v4
	v_cvt_u32_f32_e32 v4, v4
	v_cvt_u32_f32_e32 v2, v2
	v_readfirstlane_b32 s6, v4
	v_readfirstlane_b32 s22, v2
	s_mul_i32 s25, s23, s6
	s_mul_hi_u32 s44, s23, s22
	s_mul_i32 s26, s24, s22
	s_add_i32 s25, s44, s25
	s_mul_i32 s45, s23, s22
	s_add_i32 s25, s25, s26
	s_mul_hi_u32 s44, s22, s45
	s_mul_i32 s47, s22, s25
	s_mul_hi_u32 s46, s6, s45
	s_mul_i32 s26, s6, s45
	s_mul_hi_u32 s45, s22, s25
	s_add_u32 s44, s44, s47
	s_addc_u32 s45, 0, s45
	s_mul_hi_u32 s48, s6, s25
	s_add_u32 s26, s44, s26
	s_mul_i32 s25, s6, s25
	s_addc_u32 s26, s45, s46
	s_addc_u32 s44, s48, 0
	s_add_u32 s25, s26, s25
	s_addc_u32 s26, 0, s44
	s_add_u32 s22, s22, s25
	s_cselect_b32 s25, -1, 0
	s_mul_hi_u32 s44, s23, s22
	s_cmp_lg_u32 s25, 0
	s_mul_i32 s25, s23, s22
	s_addc_u32 s6, s6, s26
	s_mul_i32 s24, s24, s22
	s_mul_i32 s23, s23, s6
	s_mul_hi_u32 s26, s22, s25
	s_add_i32 s23, s44, s23
	s_mul_hi_u32 s44, s6, s25
	s_add_i32 s23, s23, s24
	s_mul_i32 s24, s6, s25
	s_mul_i32 s46, s22, s23
	s_mul_hi_u32 s45, s22, s23
	s_add_u32 s26, s26, s46
	s_addc_u32 s45, 0, s45
	s_mul_hi_u32 s25, s6, s23
	s_add_u32 s24, s26, s24
	s_mul_i32 s23, s6, s23
	s_addc_u32 s24, s45, s44
	s_addc_u32 s25, s25, 0
	s_add_u32 s23, s24, s23
	s_addc_u32 s24, 0, s25
	s_add_u32 s22, s22, s23
	s_cselect_b32 s23, -1, 0
	s_mul_hi_u32 s25, s82, s22
	s_cmp_lg_u32 s23, 0
	s_mul_hi_u32 s23, s55, s22
	s_addc_u32 s6, s6, s24
	s_mul_i32 s22, s55, s22
	s_mul_i32 s26, s82, s6
	s_mul_hi_u32 s24, s82, s6
	s_add_u32 s25, s25, s26
	s_addc_u32 s24, 0, s24
	s_mul_hi_u32 s44, s55, s6
	s_add_u32 s22, s25, s22
	s_mul_i32 s6, s55, s6
	s_addc_u32 s22, s24, s23
	s_addc_u32 s23, s44, 0
	s_add_u32 s6, s22, s6
	s_addc_u32 s22, 0, s23
	s_mul_hi_u32 s23, s33, s6
	s_mul_i32 s22, s33, s22
	s_mul_i32 s6, s33, s6
	s_add_i32 s23, s23, s22
	s_sub_u32 s6, s82, s6
	s_cselect_b32 s22, -1, 0
	s_cmp_lg_u32 s22, 0
	s_subb_u32 s22, s55, s23
	s_sub_u32 s23, s6, s33
	s_cselect_b32 s24, -1, 0
	s_cmp_lg_u32 s24, 0
	s_subb_u32 s24, s22, 0
	;; [unrolled: 4-line block ×3, first 2 shown]
	s_cmp_ge_u32 s23, s33
	s_cselect_b32 s44, -1, 0
	s_cmp_eq_u32 s24, 0
	s_cselect_b32 s44, s44, -1
	s_cmp_lg_u32 s44, 0
	s_cselect_b32 s24, s26, s24
	s_cselect_b32 s25, s25, s23
	s_cmp_ge_u32 s6, s33
	s_cselect_b32 s23, -1, 0
	s_cmp_eq_u32 s22, 0
	s_cselect_b32 s23, s23, -1
	s_cmp_lg_u32 s23, 0
	s_cselect_b32 s23, s24, s22
	s_cselect_b32 s22, s25, s6
	s_mov_b32 s6, 0
	s_branch .LBB180_240
.LBB180_239:                            ;   in Loop: Header=BB180_6 Depth=1
	s_mov_b32 s6, -1
                                        ; implicit-def: $sgpr22_sgpr23
.LBB180_240:                            ;   in Loop: Header=BB180_6 Depth=1
	s_andn2_b32 vcc_lo, exec_lo, s6
	s_cbranch_vccnz .LBB180_242
; %bb.241:                              ;   in Loop: Header=BB180_6 Depth=1
	v_cvt_f32_u32_e32 v2, s33
	s_sub_i32 s22, 0, s33
	v_rcp_iflag_f32_e32 v2, v2
	v_mul_f32_e32 v2, 0x4f7ffffe, v2
	v_cvt_u32_f32_e32 v2, v2
	v_readfirstlane_b32 s6, v2
	s_mul_i32 s22, s22, s6
	s_mul_hi_u32 s22, s6, s22
	s_add_i32 s6, s6, s22
	s_mul_hi_u32 s6, s82, s6
	s_mul_i32 s6, s6, s33
	s_sub_i32 s6, s82, s6
	s_sub_i32 s22, s6, s33
	s_cmp_ge_u32 s6, s33
	s_cselect_b32 s6, s22, s6
	s_sub_i32 s22, s6, s33
	s_cmp_ge_u32 s6, s33
	s_cselect_b32 s26, s22, s6
	s_mov_b64 s[22:23], s[26:27]
.LBB180_242:                            ;   in Loop: Header=BB180_6 Depth=1
	s_sub_u32 s22, s82, s22
	s_subb_u32 s23, s55, s23
	s_mov_b32 s24, exec_lo
                                        ; implicit-def: $vgpr10_vgpr11
	v_cmpx_gt_u64_e64 s[22:23], v[0:1]
	s_cbranch_execz .LBB180_252
; %bb.243:                              ;   in Loop: Header=BB180_6 Depth=1
	v_mov_b32_e32 v38, v17
	v_mov_b32_e32 v40, v1
	;; [unrolled: 1-line block ×4, first 2 shown]
	s_mov_b32 s25, 0
                                        ; implicit-def: $sgpr26
	s_branch .LBB180_247
.LBB180_244:                            ;   in Loop: Header=BB180_247 Depth=2
	s_or_b32 exec_lo, exec_lo, s6
	s_waitcnt lgkmcnt(0)
	s_barrier
	buffer_gl0_inv
	ds_read_b128 v[8:11], v19 offset:3072
	s_waitcnt lgkmcnt(0)
	s_barrier
	buffer_gl0_inv
	v_cmp_eq_f64_e32 vcc_lo, 0, v[8:9]
	s_cbranch_vccz .LBB180_250
; %bb.245:                              ;   in Loop: Header=BB180_247 Depth=2
	v_add_co_u32 v39, vcc_lo, v39, s33
	v_add_co_ci_u32_e64 v40, null, 0, v40, vcc_lo
	v_add_co_u32 v37, s6, v37, s34
	v_add_co_ci_u32_e64 v38, null, s35, v38, s6
	v_cmp_le_u64_e32 vcc_lo, s[22:23], v[39:40]
	s_mov_b32 s6, 0
	s_orn2_b32 s44, vcc_lo, exec_lo
.LBB180_246:                            ;   in Loop: Header=BB180_247 Depth=2
	s_and_b32 s44, exec_lo, s44
	s_or_b32 s25, s44, s25
	s_andn2_b32 s26, s26, exec_lo
	s_and_b32 s6, s6, exec_lo
	s_or_b32 s26, s26, s6
	s_andn2_b32 exec_lo, exec_lo, s25
	s_cbranch_execz .LBB180_251
.LBB180_247:                            ;   Parent Loop BB180_6 Depth=1
                                        ; =>  This Inner Loop Header: Depth=2
	s_mov_b32 s6, exec_lo
	v_cmpx_gt_u64_e64 s[28:29], v[39:40]
	s_cbranch_execz .LBB180_244
; %bb.248:                              ;   in Loop: Header=BB180_247 Depth=2
	global_load_dwordx2 v[4:5], v[37:38], off
	s_waitcnt vmcnt(0)
	v_cmp_o_f64_e32 vcc_lo, v[4:5], v[4:5]
	v_ashrrev_i32_e32 v2, 31, v5
	v_or_b32_e32 v8, 0x80000000, v2
	v_xor_b32_e32 v2, v2, v4
	v_xor_b32_e32 v8, v8, v5
	v_cndmask_b32_e32 v8, -1, v8, vcc_lo
	v_cndmask_b32_e32 v2, -1, v2, vcc_lo
	v_and_b32_e32 v9, v8, v13
	v_and_b32_e32 v8, v2, v12
	v_cmp_eq_u64_e32 vcc_lo, v[8:9], v[14:15]
	s_and_b32 exec_lo, exec_lo, vcc_lo
	s_cbranch_execz .LBB180_244
; %bb.249:                              ;   in Loop: Header=BB180_247 Depth=2
	v_mov_b32_e32 v2, v19
	ds_write_b128 v19, v[2:5] offset:3072
	s_branch .LBB180_244
.LBB180_250:                            ;   in Loop: Header=BB180_247 Depth=2
	s_mov_b32 s44, -1
	s_mov_b32 s6, -1
                                        ; implicit-def: $vgpr39_vgpr40
                                        ; implicit-def: $vgpr37_vgpr38
	s_branch .LBB180_246
.LBB180_251:                            ;   in Loop: Header=BB180_6 Depth=1
	s_or_b32 exec_lo, exec_lo, s25
	s_andn2_b32 s6, s62, exec_lo
	s_and_b32 s22, s26, exec_lo
	s_or_b32 s62, s6, s22
.LBB180_252:                            ;   in Loop: Header=BB180_6 Depth=1
	s_or_b32 exec_lo, exec_lo, s24
	s_mov_b32 s6, 0
	s_mov_b32 s51, -1
.LBB180_253:                            ;   in Loop: Header=BB180_6 Depth=1
	s_orn2_b32 s23, s62, exec_lo
.LBB180_254:                            ;   in Loop: Header=BB180_6 Depth=1
	s_or_b32 exec_lo, exec_lo, s50
	s_mov_b32 s24, 0
	s_and_saveexec_b32 s22, s23
	s_cbranch_execz .LBB180_265
; %bb.255:                              ;   in Loop: Header=BB180_6 Depth=1
	v_mov_b32_e32 v4, 1
	v_mov_b32_e32 v5, 0
	;; [unrolled: 1-line block ×3, first 2 shown]
	s_xor_b32 s24, vcc_hi, -1
	s_and_saveexec_b32 s23, s24
	s_cbranch_execz .LBB180_264
; %bb.256:                              ;   in Loop: Header=BB180_6 Depth=1
	s_mov_b32 s24, exec_lo
	v_cmpx_ge_u64_e64 s[20:21], v[35:36]
	s_xor_b32 s24, exec_lo, s24
	s_cbranch_execz .LBB180_261
; %bb.257:                              ;   in Loop: Header=BB180_6 Depth=1
	ds_read_b64 v[4:5], v19 offset:5120
	v_or_b32_e32 v15, s13, v15
	v_or_b32_e32 v14, s12, v14
	;; [unrolled: 1-line block ×4, first 2 shown]
	s_waitcnt lgkmcnt(0)
	v_cmp_ne_u64_e32 vcc_lo, 0, v[4:5]
	s_cbranch_vccnz .LBB180_261
; %bb.258:                              ;   in Loop: Header=BB180_6 Depth=1
	s_and_saveexec_b32 s25, s3
; %bb.259:                              ;   in Loop: Header=BB180_6 Depth=1
	v_mov_b32_e32 v4, s20
	v_mov_b32_e32 v5, s21
	ds_write_b64 v19, v[4:5] offset:5128
; %bb.260:                              ;   in Loop: Header=BB180_6 Depth=1
	s_or_b32 exec_lo, exec_lo, s25
	s_waitcnt lgkmcnt(0)
	s_barrier
	buffer_gl0_inv
.LBB180_261:                            ;   in Loop: Header=BB180_6 Depth=1
	s_andn2_saveexec_b32 s24, s24
; %bb.262:                              ;   in Loop: Header=BB180_6 Depth=1
	v_sub_co_u32 v35, vcc_lo, v35, s20
	v_subrev_co_ci_u32_e64 v36, null, s21, v36, vcc_lo
; %bb.263:                              ;   in Loop: Header=BB180_6 Depth=1
	s_or_b32 exec_lo, exec_lo, s24
	v_mov_b32_e32 v4, v35
	v_mov_b32_e32 v49, 8
	;; [unrolled: 1-line block ×3, first 2 shown]
.LBB180_264:                            ;   in Loop: Header=BB180_6 Depth=1
	s_or_b32 exec_lo, exec_lo, s23
	v_mov_b32_e32 v36, v5
	v_mov_b32_e32 v35, v4
	s_mov_b32 s24, exec_lo
.LBB180_265:                            ;   in Loop: Header=BB180_6 Depth=1
	s_or_b32 exec_lo, exec_lo, s22
	s_orn2_b32 s22, s24, exec_lo
.LBB180_266:                            ;   in Loop: Header=BB180_6 Depth=1
	s_or_b32 exec_lo, exec_lo, s104
	v_mov_b32_e32 v38, v36
	v_mov_b32_e32 v37, v35
	s_andn2_b32 s23, s74, exec_lo
	s_and_b32 s24, s51, exec_lo
	s_andn2_b32 s25, s73, exec_lo
	s_and_b32 s6, s6, exec_lo
	s_or_b32 s74, s23, s24
	s_or_b32 s73, s25, s6
	s_and_b32 s22, s22, exec_lo
.LBB180_267:                            ;   in Loop: Header=BB180_6 Depth=1
	s_or_b32 exec_lo, exec_lo, s75
	s_orn2_b32 s6, s22, exec_lo
.LBB180_268:                            ;   in Loop: Header=BB180_6 Depth=1
	s_or_b32 exec_lo, exec_lo, s72
	v_mov_b32_e32 v35, v37
	v_mov_b32_e32 v36, v38
	s_andn2_b32 s22, s70, exec_lo
	s_and_b32 s23, s74, exec_lo
	s_andn2_b32 s24, s69, exec_lo
	s_and_b32 s25, s73, exec_lo
	s_or_b32 s70, s22, s23
	s_or_b32 s69, s24, s25
	s_and_b32 s22, s6, exec_lo
.LBB180_269:                            ;   in Loop: Header=BB180_6 Depth=1
	s_or_b32 exec_lo, exec_lo, s71
	s_orn2_b32 s6, s22, exec_lo
.LBB180_270:                            ;   in Loop: Header=BB180_6 Depth=1
	s_or_b32 exec_lo, exec_lo, s68
	s_mov_b32 s22, 0
	s_mov_b32 s23, 0
	s_and_saveexec_b32 s24, s6
	s_xor_b32 s24, exec_lo, s24
; %bb.271:                              ;   in Loop: Header=BB180_6 Depth=1
	v_cmp_ne_u32_e32 vcc_lo, 8, v49
	v_cmp_eq_u32_e64 s6, 8, v49
	s_and_b32 s23, vcc_lo, exec_lo
	s_and_b32 s22, s6, exec_lo
; %bb.272:                              ;   in Loop: Header=BB180_6 Depth=1
	s_or_b32 exec_lo, exec_lo, s24
	s_andn2_b32 s6, s65, exec_lo
	s_and_b32 s24, s70, exec_lo
	s_andn2_b32 s25, s64, exec_lo
	s_and_b32 s26, s69, exec_lo
	s_or_b32 s65, s6, s24
	s_or_b32 s64, s25, s26
	s_and_b32 s62, s23, exec_lo
	s_and_b32 s63, s22, exec_lo
.LBB180_273:                            ;   in Loop: Header=BB180_6 Depth=1
	s_or_b32 exec_lo, exec_lo, s67
.LBB180_274:                            ;   in Loop: Header=BB180_6 Depth=1
	s_and_b32 vcc_lo, exec_lo, s66
	s_cbranch_vccz .LBB180_291
; %bb.275:                              ;   in Loop: Header=BB180_6 Depth=1
	s_cmp_eq_u64 s[20:21], 1
                                        ; implicit-def: $sgpr66
                                        ; implicit-def: $sgpr9
	s_cselect_b32 s6, -1, 0
	s_and_b32 s64, s6, s7
	s_mov_b32 s6, -1
	s_and_saveexec_b32 s65, s64
	s_cbranch_execz .LBB180_310
; %bb.276:                              ;   in Loop: Header=BB180_6 Depth=1
	ds_read_b64 v[4:5], v19 offset:5120
	s_waitcnt lgkmcnt(0)
	s_barrier
	buffer_gl0_inv
	v_readfirstlane_b32 s6, v4
	v_readfirstlane_b32 s7, v5
	s_and_saveexec_b32 s9, s8
; %bb.277:                              ;   in Loop: Header=BB180_6 Depth=1
	v_mov_b32_e32 v18, v19
	ds_write_b64 v44, v[18:19]
; %bb.278:                              ;   in Loop: Header=BB180_6 Depth=1
	s_or_b32 exec_lo, exec_lo, s9
	v_or_b32_e32 v28, s13, v28
	v_or_b32_e32 v27, s12, v27
	;; [unrolled: 1-line block ×4, first 2 shown]
	s_mov_b32 s9, -1
	s_mov_b32 s66, 0
	s_cmp_eq_u64 s[6:7], 0
	s_mov_b32 s24, 0
	s_mov_b32 s25, -1
	s_waitcnt lgkmcnt(0)
	s_barrier
	buffer_gl0_inv
                                        ; implicit-def: $vgpr6_vgpr7
	s_cbranch_scc1 .LBB180_294
; %bb.279:                              ;   in Loop: Header=BB180_6 Depth=1
	s_add_u32 s50, s6, s80
	s_addc_u32 s23, s7, s81
	s_mov_b32 s22, s27
	s_cmp_lg_u64 s[22:23], 0
	s_cbranch_scc0 .LBB180_337
; %bb.280:                              ;   in Loop: Header=BB180_6 Depth=1
	v_cvt_f32_u32_e32 v2, s33
	s_sub_u32 s25, 0, s33
	s_subb_u32 s26, 0, 0
	v_fmac_f32_e64 v2, 0x4f800000, 0
	v_rcp_f32_e32 v2, v2
	v_mul_f32_e32 v2, 0x5f7ffffc, v2
	v_mul_f32_e32 v4, 0x2f800000, v2
	v_trunc_f32_e32 v4, v4
	v_fmac_f32_e32 v2, 0xcf800000, v4
	v_cvt_u32_f32_e32 v4, v4
	v_cvt_u32_f32_e32 v2, v2
	v_readfirstlane_b32 s22, v4
	v_readfirstlane_b32 s24, v2
	s_mul_i32 s44, s25, s22
	s_mul_hi_u32 s51, s25, s24
	s_mul_i32 s45, s26, s24
	s_add_i32 s44, s51, s44
	s_mul_i32 s54, s25, s24
	s_add_i32 s44, s44, s45
	s_mul_hi_u32 s51, s24, s54
	s_mul_i32 s68, s24, s44
	s_mul_hi_u32 s67, s22, s54
	s_mul_i32 s45, s22, s54
	s_mul_hi_u32 s54, s24, s44
	s_add_u32 s51, s51, s68
	s_addc_u32 s54, 0, s54
	s_mul_hi_u32 s69, s22, s44
	s_add_u32 s45, s51, s45
	s_mul_i32 s44, s22, s44
	s_addc_u32 s45, s54, s67
	s_addc_u32 s51, s69, 0
	s_add_u32 s44, s45, s44
	s_addc_u32 s45, 0, s51
	s_add_u32 s24, s24, s44
	s_cselect_b32 s44, -1, 0
	s_mul_hi_u32 s51, s25, s24
	s_cmp_lg_u32 s44, 0
	s_mul_i32 s44, s25, s24
	s_addc_u32 s22, s22, s45
	s_mul_i32 s26, s26, s24
	s_mul_i32 s25, s25, s22
	s_mul_hi_u32 s45, s24, s44
	s_add_i32 s25, s51, s25
	s_mul_hi_u32 s51, s22, s44
	s_add_i32 s25, s25, s26
	s_mul_i32 s26, s22, s44
	s_mul_i32 s67, s24, s25
	s_mul_hi_u32 s54, s24, s25
	s_add_u32 s45, s45, s67
	s_addc_u32 s54, 0, s54
	s_mul_hi_u32 s44, s22, s25
	s_add_u32 s26, s45, s26
	s_mul_i32 s25, s22, s25
	s_addc_u32 s26, s54, s51
	s_addc_u32 s44, s44, 0
	s_add_u32 s25, s26, s25
	s_addc_u32 s26, 0, s44
	s_add_u32 s24, s24, s25
	s_cselect_b32 s25, -1, 0
	s_mul_hi_u32 s44, s50, s24
	s_cmp_lg_u32 s25, 0
	s_mul_hi_u32 s25, s23, s24
	s_addc_u32 s22, s22, s26
	s_mul_i32 s24, s23, s24
	s_mul_i32 s45, s50, s22
	s_mul_hi_u32 s26, s50, s22
	s_add_u32 s44, s44, s45
	s_addc_u32 s26, 0, s26
	s_mul_hi_u32 s51, s23, s22
	s_add_u32 s24, s44, s24
	s_mul_i32 s22, s23, s22
	s_addc_u32 s24, s26, s25
	s_addc_u32 s25, s51, 0
	s_add_u32 s22, s24, s22
	s_addc_u32 s24, 0, s25
	s_mul_hi_u32 s25, s33, s22
	s_mul_i32 s24, s33, s24
	s_mul_i32 s22, s33, s22
	s_add_i32 s25, s25, s24
	s_sub_u32 s22, s50, s22
	s_cselect_b32 s24, -1, 0
	s_cmp_lg_u32 s24, 0
	s_subb_u32 s24, s23, s25
	s_sub_u32 s25, s22, s33
	s_cselect_b32 s26, -1, 0
	s_cmp_lg_u32 s26, 0
	s_subb_u32 s26, s24, 0
	;; [unrolled: 4-line block ×3, first 2 shown]
	s_cmp_ge_u32 s25, s33
	s_cselect_b32 s51, -1, 0
	s_cmp_eq_u32 s26, 0
	s_cselect_b32 s51, s51, -1
	s_cmp_lg_u32 s51, 0
	s_cselect_b32 s26, s45, s26
	s_cselect_b32 s44, s44, s25
	s_cmp_ge_u32 s22, s33
	s_cselect_b32 s25, -1, 0
	s_cmp_eq_u32 s24, 0
	s_cselect_b32 s25, s25, -1
	s_cmp_lg_u32 s25, 0
	s_cselect_b32 s25, s26, s24
	s_cselect_b32 s24, s44, s22
	s_cbranch_execnz .LBB180_282
.LBB180_281:                            ;   in Loop: Header=BB180_6 Depth=1
	v_cvt_f32_u32_e32 v2, s33
	s_sub_i32 s24, 0, s33
	v_rcp_iflag_f32_e32 v2, v2
	v_mul_f32_e32 v2, 0x4f7ffffe, v2
	v_cvt_u32_f32_e32 v2, v2
	v_readfirstlane_b32 s22, v2
	s_mul_i32 s24, s24, s22
	s_mul_hi_u32 s24, s22, s24
	s_add_i32 s22, s22, s24
	s_mul_hi_u32 s22, s50, s22
	s_mul_i32 s22, s22, s33
	s_sub_i32 s22, s50, s22
	s_sub_i32 s24, s22, s33
	s_cmp_ge_u32 s22, s33
	s_cselect_b32 s22, s24, s22
	s_sub_i32 s24, s22, s33
	s_cmp_ge_u32 s22, s33
	s_cselect_b32 s26, s24, s22
	s_mov_b64 s[24:25], s[26:27]
.LBB180_282:                            ;   in Loop: Header=BB180_6 Depth=1
	s_sub_u32 s22, s50, s24
	s_subb_u32 s23, s23, s25
	s_mov_b32 s25, 0
	s_mov_b32 s24, 0
	s_mov_b32 s26, exec_lo
                                        ; implicit-def: $vgpr6_vgpr7
	v_cmpx_gt_u64_e64 s[22:23], v[0:1]
	s_cbranch_execz .LBB180_293
; %bb.283:                              ;   in Loop: Header=BB180_6 Depth=1
	v_mov_b32_e32 v9, v1
	v_mov_b32_e32 v10, v43
	;; [unrolled: 1-line block ×3, first 2 shown]
                                        ; implicit-def: $sgpr50
	s_branch .LBB180_287
.LBB180_284:                            ;   in Loop: Header=BB180_287 Depth=2
	s_or_b32 exec_lo, exec_lo, s51
	s_waitcnt lgkmcnt(0)
	s_barrier
	buffer_gl0_inv
	ds_read_b128 v[4:7], v19 offset:3072
	s_waitcnt lgkmcnt(0)
	s_barrier
	buffer_gl0_inv
	v_cmp_neq_f64_e32 vcc_lo, 0, v[4:5]
	s_cbranch_vccnz .LBB180_290
; %bb.285:                              ;   in Loop: Header=BB180_287 Depth=2
	v_add_co_u32 v8, vcc_lo, v8, s33
	v_add_co_ci_u32_e64 v9, null, 0, v9, vcc_lo
	v_add_nc_u32_e32 v10, s86, v10
	s_mov_b32 s44, 0
	v_cmp_le_u64_e32 vcc_lo, s[22:23], v[8:9]
	s_orn2_b32 s45, vcc_lo, exec_lo
.LBB180_286:                            ;   in Loop: Header=BB180_287 Depth=2
	s_and_b32 s45, exec_lo, s45
	s_or_b32 s24, s45, s24
	s_andn2_b32 s45, s50, exec_lo
	s_and_b32 s44, s44, exec_lo
	s_or_b32 s50, s45, s44
	s_andn2_b32 exec_lo, exec_lo, s24
	s_cbranch_execz .LBB180_292
.LBB180_287:                            ;   Parent Loop BB180_6 Depth=1
                                        ; =>  This Inner Loop Header: Depth=2
	s_mov_b32 s51, exec_lo
	v_cmpx_gt_u64_e64 s[6:7], v[8:9]
	s_cbranch_execz .LBB180_284
; %bb.288:                              ;   in Loop: Header=BB180_287 Depth=2
	ds_read_b64 v[4:5], v10
	s_waitcnt lgkmcnt(0)
	v_cmp_o_f64_e32 vcc_lo, v[4:5], v[4:5]
	v_ashrrev_i32_e32 v2, 31, v5
	v_or_b32_e32 v6, 0x80000000, v2
	v_xor_b32_e32 v2, v2, v4
	v_xor_b32_e32 v6, v6, v5
	v_cndmask_b32_e32 v6, -1, v6, vcc_lo
	v_cndmask_b32_e32 v2, -1, v2, vcc_lo
	v_and_b32_e32 v7, v6, v32
	v_and_b32_e32 v6, v2, v31
	v_cmp_eq_u64_e32 vcc_lo, v[6:7], v[27:28]
	s_and_b32 exec_lo, exec_lo, vcc_lo
	s_cbranch_execz .LBB180_284
; %bb.289:                              ;   in Loop: Header=BB180_287 Depth=2
	v_mov_b32_e32 v2, v19
	ds_write_b128 v19, v[2:5] offset:3072
	s_branch .LBB180_284
.LBB180_290:                            ;   in Loop: Header=BB180_287 Depth=2
	s_mov_b32 s45, -1
	s_mov_b32 s44, -1
                                        ; implicit-def: $vgpr8_vgpr9
                                        ; implicit-def: $vgpr10
	s_branch .LBB180_286
.LBB180_291:                            ;   in Loop: Header=BB180_6 Depth=1
	v_mov_b32_e32 v28, v15
	v_mov_b32_e32 v32, v13
	v_mov_b32_e32 v6, v10
	v_mov_b32_e32 v27, v14
	v_mov_b32_e32 v31, v12
	v_mov_b32_e32 v7, v11
	s_mov_b32 s66, 0
	s_and_saveexec_b32 s6, s63
	s_cbranch_execnz .LBB180_475
	s_branch .LBB180_476
.LBB180_292:                            ;   in Loop: Header=BB180_6 Depth=1
	s_or_b32 exec_lo, exec_lo, s24
	s_and_b32 s24, s50, exec_lo
.LBB180_293:                            ;   in Loop: Header=BB180_6 Depth=1
	s_or_b32 exec_lo, exec_lo, s26
.LBB180_294:                            ;   in Loop: Header=BB180_6 Depth=1
	s_and_b32 vcc_lo, exec_lo, s25
	s_cbranch_vccz .LBB180_309
; %bb.295:                              ;   in Loop: Header=BB180_6 Depth=1
	s_mov_b32 s54, s27
	s_cmp_lg_u64 s[54:55], 0
	s_cbranch_scc0 .LBB180_338
; %bb.296:                              ;   in Loop: Header=BB180_6 Depth=1
	v_cvt_f32_u32_e32 v2, s33
	s_sub_u32 s9, 0, s33
	s_subb_u32 s22, 0, 0
	v_fmac_f32_e64 v2, 0x4f800000, 0
	v_rcp_f32_e32 v2, v2
	v_mul_f32_e32 v2, 0x5f7ffffc, v2
	v_mul_f32_e32 v4, 0x2f800000, v2
	v_trunc_f32_e32 v4, v4
	v_fmac_f32_e32 v2, 0xcf800000, v4
	v_cvt_u32_f32_e32 v4, v4
	v_cvt_u32_f32_e32 v2, v2
	v_readfirstlane_b32 s6, v4
	v_readfirstlane_b32 s7, v2
	s_mul_i32 s23, s9, s6
	s_mul_hi_u32 s26, s9, s7
	s_mul_i32 s25, s22, s7
	s_add_i32 s23, s26, s23
	s_mul_i32 s44, s9, s7
	s_add_i32 s23, s23, s25
	s_mul_hi_u32 s26, s7, s44
	s_mul_i32 s50, s7, s23
	s_mul_hi_u32 s45, s6, s44
	s_mul_i32 s25, s6, s44
	s_mul_hi_u32 s44, s7, s23
	s_add_u32 s26, s26, s50
	s_addc_u32 s44, 0, s44
	s_mul_hi_u32 s51, s6, s23
	s_add_u32 s25, s26, s25
	s_mul_i32 s23, s6, s23
	s_addc_u32 s25, s44, s45
	s_addc_u32 s26, s51, 0
	s_add_u32 s23, s25, s23
	s_addc_u32 s25, 0, s26
	s_add_u32 s7, s7, s23
	s_cselect_b32 s23, -1, 0
	s_mul_hi_u32 s26, s9, s7
	s_cmp_lg_u32 s23, 0
	s_mul_i32 s23, s9, s7
	s_addc_u32 s6, s6, s25
	s_mul_i32 s22, s22, s7
	s_mul_i32 s9, s9, s6
	s_mul_hi_u32 s25, s7, s23
	s_add_i32 s9, s26, s9
	s_mul_hi_u32 s26, s6, s23
	s_add_i32 s9, s9, s22
	s_mul_i32 s22, s6, s23
	s_mul_i32 s45, s7, s9
	s_mul_hi_u32 s44, s7, s9
	s_add_u32 s25, s25, s45
	s_addc_u32 s44, 0, s44
	s_mul_hi_u32 s23, s6, s9
	s_add_u32 s22, s25, s22
	s_mul_i32 s9, s6, s9
	s_addc_u32 s22, s44, s26
	s_addc_u32 s23, s23, 0
	s_add_u32 s9, s22, s9
	s_addc_u32 s22, 0, s23
	s_add_u32 s7, s7, s9
	s_cselect_b32 s9, -1, 0
	s_mul_hi_u32 s23, s82, s7
	s_cmp_lg_u32 s9, 0
	s_mul_hi_u32 s9, s55, s7
	s_addc_u32 s6, s6, s22
	s_mul_i32 s7, s55, s7
	s_mul_i32 s25, s82, s6
	s_mul_hi_u32 s22, s82, s6
	s_add_u32 s23, s23, s25
	s_addc_u32 s22, 0, s22
	s_mul_hi_u32 s26, s55, s6
	s_add_u32 s7, s23, s7
	s_mul_i32 s6, s55, s6
	s_addc_u32 s7, s22, s9
	s_addc_u32 s9, s26, 0
	s_add_u32 s6, s7, s6
	s_addc_u32 s7, 0, s9
	s_mul_hi_u32 s9, s33, s6
	s_mul_i32 s7, s33, s7
	s_mul_i32 s6, s33, s6
	s_add_i32 s9, s9, s7
	s_sub_u32 s6, s82, s6
	s_cselect_b32 s7, -1, 0
	s_cmp_lg_u32 s7, 0
	s_subb_u32 s7, s55, s9
	s_sub_u32 s9, s6, s33
	s_cselect_b32 s22, -1, 0
	s_cmp_lg_u32 s22, 0
	s_subb_u32 s22, s7, 0
	;; [unrolled: 4-line block ×3, first 2 shown]
	s_cmp_ge_u32 s9, s33
	s_cselect_b32 s26, -1, 0
	s_cmp_eq_u32 s22, 0
	s_cselect_b32 s26, s26, -1
	s_cmp_lg_u32 s26, 0
	s_cselect_b32 s22, s25, s22
	s_cselect_b32 s9, s23, s9
	s_cmp_ge_u32 s6, s33
	s_cselect_b32 s23, -1, 0
	s_cmp_eq_u32 s7, 0
	s_cselect_b32 s23, s23, -1
	s_cmp_lg_u32 s23, 0
	s_cselect_b32 s7, s22, s7
	s_cselect_b32 s6, s9, s6
	s_cbranch_execnz .LBB180_298
.LBB180_297:                            ;   in Loop: Header=BB180_6 Depth=1
	v_cvt_f32_u32_e32 v2, s33
	s_sub_i32 s7, 0, s33
	v_rcp_iflag_f32_e32 v2, v2
	v_mul_f32_e32 v2, 0x4f7ffffe, v2
	v_cvt_u32_f32_e32 v2, v2
	v_readfirstlane_b32 s6, v2
	s_mul_i32 s7, s7, s6
	s_mul_hi_u32 s7, s6, s7
	s_add_i32 s6, s6, s7
	s_mul_hi_u32 s6, s82, s6
	s_mul_i32 s6, s6, s33
	s_sub_i32 s6, s82, s6
	s_sub_i32 s7, s6, s33
	s_cmp_ge_u32 s6, s33
	s_cselect_b32 s6, s7, s6
	s_sub_i32 s7, s6, s33
	s_cmp_ge_u32 s6, s33
	s_cselect_b32 s26, s7, s6
	s_mov_b64 s[6:7], s[26:27]
.LBB180_298:                            ;   in Loop: Header=BB180_6 Depth=1
	s_sub_u32 s22, s82, s6
	s_subb_u32 s23, s55, s7
	s_mov_b32 s7, exec_lo
                                        ; implicit-def: $vgpr6_vgpr7
	v_cmpx_gt_u64_e64 s[22:23], v[0:1]
	s_cbranch_execz .LBB180_308
; %bb.299:                              ;   in Loop: Header=BB180_6 Depth=1
	v_mov_b32_e32 v8, v16
	v_mov_b32_e32 v11, v1
	;; [unrolled: 1-line block ×4, first 2 shown]
	s_mov_b32 s25, 0
                                        ; implicit-def: $sgpr9
	s_branch .LBB180_303
.LBB180_300:                            ;   in Loop: Header=BB180_303 Depth=2
	s_or_b32 exec_lo, exec_lo, s6
	s_waitcnt lgkmcnt(0)
	s_barrier
	buffer_gl0_inv
	ds_read_b128 v[4:7], v19 offset:3072
	s_waitcnt lgkmcnt(0)
	s_barrier
	buffer_gl0_inv
	v_cmp_neq_f64_e32 vcc_lo, 0, v[4:5]
	s_cbranch_vccnz .LBB180_306
; %bb.301:                              ;   in Loop: Header=BB180_303 Depth=2
	v_add_co_u32 v10, vcc_lo, v10, s33
	v_add_co_ci_u32_e64 v11, null, 0, v11, vcc_lo
	v_add_co_u32 v8, s6, v8, s34
	v_add_co_ci_u32_e64 v9, null, s35, v9, s6
	v_cmp_le_u64_e32 vcc_lo, s[22:23], v[10:11]
	s_mov_b32 s6, 0
	s_orn2_b32 s26, vcc_lo, exec_lo
.LBB180_302:                            ;   in Loop: Header=BB180_303 Depth=2
	s_and_b32 s26, exec_lo, s26
	s_or_b32 s25, s26, s25
	s_andn2_b32 s9, s9, exec_lo
	s_and_b32 s6, s6, exec_lo
	s_or_b32 s9, s9, s6
	s_andn2_b32 exec_lo, exec_lo, s25
	s_cbranch_execz .LBB180_307
.LBB180_303:                            ;   Parent Loop BB180_6 Depth=1
                                        ; =>  This Inner Loop Header: Depth=2
	s_mov_b32 s6, exec_lo
	v_cmpx_gt_u64_e64 s[28:29], v[10:11]
	s_cbranch_execz .LBB180_300
; %bb.304:                              ;   in Loop: Header=BB180_303 Depth=2
	global_load_dwordx2 v[4:5], v[8:9], off
	s_waitcnt vmcnt(0)
	v_cmp_o_f64_e32 vcc_lo, v[4:5], v[4:5]
	v_ashrrev_i32_e32 v2, 31, v5
	v_or_b32_e32 v6, 0x80000000, v2
	v_xor_b32_e32 v2, v2, v4
	v_xor_b32_e32 v6, v6, v5
	v_cndmask_b32_e32 v6, -1, v6, vcc_lo
	v_cndmask_b32_e32 v2, -1, v2, vcc_lo
	v_and_b32_e32 v7, v6, v32
	v_and_b32_e32 v6, v2, v31
	v_cmp_eq_u64_e32 vcc_lo, v[6:7], v[27:28]
	s_and_b32 exec_lo, exec_lo, vcc_lo
	s_cbranch_execz .LBB180_300
; %bb.305:                              ;   in Loop: Header=BB180_303 Depth=2
	v_mov_b32_e32 v2, v19
	ds_write_b128 v19, v[2:5] offset:3072
	s_branch .LBB180_300
.LBB180_306:                            ;   in Loop: Header=BB180_303 Depth=2
	s_mov_b32 s26, -1
	s_mov_b32 s6, -1
                                        ; implicit-def: $vgpr10_vgpr11
                                        ; implicit-def: $vgpr8_vgpr9
	s_branch .LBB180_302
.LBB180_307:                            ;   in Loop: Header=BB180_6 Depth=1
	s_or_b32 exec_lo, exec_lo, s25
	s_andn2_b32 s6, s24, exec_lo
	s_and_b32 s9, s9, exec_lo
	s_or_b32 s24, s6, s9
.LBB180_308:                            ;   in Loop: Header=BB180_6 Depth=1
	s_or_b32 exec_lo, exec_lo, s7
	s_mov_b32 s9, 0
	s_mov_b32 s66, -1
.LBB180_309:                            ;   in Loop: Header=BB180_6 Depth=1
	s_orn2_b32 s6, s24, exec_lo
.LBB180_310:                            ;   in Loop: Header=BB180_6 Depth=1
	s_or_b32 exec_lo, exec_lo, s65
                                        ; implicit-def: $vgpr35_vgpr36
                                        ; implicit-def: $vgpr49
	s_and_saveexec_b32 s24, s6
	s_cbranch_execz .LBB180_474
; %bb.311:                              ;   in Loop: Header=BB180_6 Depth=1
	v_mov_b32_e32 v35, 1
	v_mov_b32_e32 v36, 0
	;; [unrolled: 1-line block ×3, first 2 shown]
	s_xor_b32 s22, s64, -1
	s_mov_b32 s7, 0
	s_and_saveexec_b32 s6, s22
	s_cbranch_execz .LBB180_320
; %bb.312:                              ;   in Loop: Header=BB180_6 Depth=1
	s_mov_b32 s7, exec_lo
	v_cmpx_ge_u64_e64 s[20:21], v[33:34]
	s_xor_b32 s7, exec_lo, s7
	s_cbranch_execz .LBB180_317
; %bb.313:                              ;   in Loop: Header=BB180_6 Depth=1
	ds_read_b64 v[4:5], v19 offset:5120
	v_or_b32_e32 v28, s13, v28
	v_or_b32_e32 v27, s12, v27
	;; [unrolled: 1-line block ×4, first 2 shown]
	s_waitcnt lgkmcnt(0)
	v_cmp_ne_u64_e32 vcc_lo, 0, v[4:5]
	s_cbranch_vccnz .LBB180_317
; %bb.314:                              ;   in Loop: Header=BB180_6 Depth=1
	s_and_saveexec_b32 s22, s3
; %bb.315:                              ;   in Loop: Header=BB180_6 Depth=1
	v_mov_b32_e32 v4, s20
	v_mov_b32_e32 v5, s21
	ds_write_b64 v19, v[4:5] offset:5128
; %bb.316:                              ;   in Loop: Header=BB180_6 Depth=1
	s_or_b32 exec_lo, exec_lo, s22
	s_waitcnt lgkmcnt(0)
	s_barrier
	buffer_gl0_inv
.LBB180_317:                            ;   in Loop: Header=BB180_6 Depth=1
	s_or_saveexec_b32 s7, s7
	v_mov_b32_e32 v49, 5
	s_mov_b32 s22, 0
	s_xor_b32 exec_lo, exec_lo, s7
; %bb.318:                              ;   in Loop: Header=BB180_6 Depth=1
	v_sub_co_u32 v33, vcc_lo, v33, s20
	v_subrev_co_ci_u32_e64 v34, null, s21, v34, vcc_lo
	v_mov_b32_e32 v49, 0
	s_mov_b32 s22, exec_lo
; %bb.319:                              ;   in Loop: Header=BB180_6 Depth=1
	s_or_b32 exec_lo, exec_lo, s7
	v_mov_b32_e32 v36, v34
	v_mov_b32_e32 v35, v33
	s_and_b32 s7, s22, exec_lo
.LBB180_320:                            ;   in Loop: Header=BB180_6 Depth=1
	s_or_b32 exec_lo, exec_lo, s6
	s_mov_b32 s6, -1
                                        ; implicit-def: $sgpr64
                                        ; implicit-def: $sgpr65
	s_and_saveexec_b32 s20, s7
	s_xor_b32 s25, exec_lo, s20
	s_cbranch_execz .LBB180_471
; %bb.321:                              ;   in Loop: Header=BB180_6 Depth=1
	v_cmp_eq_u64_e32 vcc_lo, 1, v[35:36]
	s_cmp_eq_u64 s[18:19], 1
                                        ; implicit-def: $sgpr65
                                        ; implicit-def: $sgpr64
	s_cselect_b32 s6, -1, 0
	s_and_b32 s67, s6, vcc_lo
	s_mov_b32 s6, -1
	s_and_saveexec_b32 s68, s67
	s_cbranch_execz .LBB180_357
; %bb.322:                              ;   in Loop: Header=BB180_6 Depth=1
	ds_read_b64 v[4:5], v19 offset:5120
	s_waitcnt lgkmcnt(0)
	s_barrier
	buffer_gl0_inv
	v_readfirstlane_b32 s6, v4
	v_readfirstlane_b32 s7, v5
	s_and_saveexec_b32 s20, s8
; %bb.323:                              ;   in Loop: Header=BB180_6 Depth=1
	v_mov_b32_e32 v18, v19
	ds_write_b64 v44, v[18:19]
; %bb.324:                              ;   in Loop: Header=BB180_6 Depth=1
	s_or_b32 exec_lo, exec_lo, s20
	v_and_b32_e32 v2, s15, v28
	v_and_b32_e32 v4, s14, v27
	s_lshl_b64 s[20:21], 2, s93
	v_or_b32_e32 v32, s13, v32
	v_or_b32_e32 v31, s12, v31
	;; [unrolled: 1-line block ×4, first 2 shown]
	s_mov_b32 s64, -1
	s_mov_b32 s65, 0
	s_cmp_eq_u64 s[6:7], 0
	s_mov_b32 s22, 0
	s_mov_b32 s23, -1
	s_waitcnt lgkmcnt(0)
	s_barrier
	buffer_gl0_inv
                                        ; implicit-def: $vgpr6_vgpr7
	s_cbranch_scc1 .LBB180_341
; %bb.325:                              ;   in Loop: Header=BB180_6 Depth=1
	s_add_u32 s50, s6, s80
	s_addc_u32 s21, s7, s81
	s_mov_b32 s20, s27
	s_cmp_lg_u64 s[20:21], 0
	s_cbranch_scc0 .LBB180_384
; %bb.326:                              ;   in Loop: Header=BB180_6 Depth=1
	v_cvt_f32_u32_e32 v2, s33
	s_sub_u32 s23, 0, s33
	s_subb_u32 s26, 0, 0
	v_fmac_f32_e64 v2, 0x4f800000, 0
	v_rcp_f32_e32 v2, v2
	v_mul_f32_e32 v2, 0x5f7ffffc, v2
	v_mul_f32_e32 v4, 0x2f800000, v2
	v_trunc_f32_e32 v4, v4
	v_fmac_f32_e32 v2, 0xcf800000, v4
	v_cvt_u32_f32_e32 v4, v4
	v_cvt_u32_f32_e32 v2, v2
	v_readfirstlane_b32 s20, v4
	v_readfirstlane_b32 s22, v2
	s_mul_i32 s44, s23, s20
	s_mul_hi_u32 s51, s23, s22
	s_mul_i32 s45, s26, s22
	s_add_i32 s44, s51, s44
	s_mul_i32 s54, s23, s22
	s_add_i32 s44, s44, s45
	s_mul_hi_u32 s51, s22, s54
	s_mul_i32 s70, s22, s44
	s_mul_hi_u32 s69, s20, s54
	s_mul_i32 s45, s20, s54
	s_mul_hi_u32 s54, s22, s44
	s_add_u32 s51, s51, s70
	s_addc_u32 s54, 0, s54
	s_mul_hi_u32 s71, s20, s44
	s_add_u32 s45, s51, s45
	s_mul_i32 s44, s20, s44
	s_addc_u32 s45, s54, s69
	s_addc_u32 s51, s71, 0
	s_add_u32 s44, s45, s44
	s_addc_u32 s45, 0, s51
	s_add_u32 s22, s22, s44
	s_cselect_b32 s44, -1, 0
	s_mul_hi_u32 s51, s23, s22
	s_cmp_lg_u32 s44, 0
	s_mul_i32 s44, s23, s22
	s_addc_u32 s20, s20, s45
	s_mul_i32 s26, s26, s22
	s_mul_i32 s23, s23, s20
	s_mul_hi_u32 s45, s22, s44
	s_add_i32 s23, s51, s23
	s_mul_hi_u32 s51, s20, s44
	s_add_i32 s23, s23, s26
	s_mul_i32 s26, s20, s44
	s_mul_i32 s69, s22, s23
	s_mul_hi_u32 s54, s22, s23
	s_add_u32 s45, s45, s69
	s_addc_u32 s54, 0, s54
	s_mul_hi_u32 s44, s20, s23
	s_add_u32 s26, s45, s26
	s_mul_i32 s23, s20, s23
	s_addc_u32 s26, s54, s51
	s_addc_u32 s44, s44, 0
	s_add_u32 s23, s26, s23
	s_addc_u32 s26, 0, s44
	s_add_u32 s22, s22, s23
	s_cselect_b32 s23, -1, 0
	s_mul_hi_u32 s44, s50, s22
	s_cmp_lg_u32 s23, 0
	s_mul_hi_u32 s23, s21, s22
	s_addc_u32 s20, s20, s26
	s_mul_i32 s22, s21, s22
	s_mul_i32 s45, s50, s20
	s_mul_hi_u32 s26, s50, s20
	s_add_u32 s44, s44, s45
	s_addc_u32 s26, 0, s26
	s_mul_hi_u32 s51, s21, s20
	s_add_u32 s22, s44, s22
	s_mul_i32 s20, s21, s20
	s_addc_u32 s22, s26, s23
	s_addc_u32 s23, s51, 0
	s_add_u32 s20, s22, s20
	s_addc_u32 s22, 0, s23
	s_mul_hi_u32 s23, s33, s20
	s_mul_i32 s22, s33, s22
	s_mul_i32 s20, s33, s20
	s_add_i32 s23, s23, s22
	s_sub_u32 s20, s50, s20
	s_cselect_b32 s22, -1, 0
	s_cmp_lg_u32 s22, 0
	s_subb_u32 s22, s21, s23
	s_sub_u32 s23, s20, s33
	s_cselect_b32 s26, -1, 0
	s_cmp_lg_u32 s26, 0
	s_subb_u32 s26, s22, 0
	;; [unrolled: 4-line block ×3, first 2 shown]
	s_cmp_ge_u32 s23, s33
	s_cselect_b32 s51, -1, 0
	s_cmp_eq_u32 s26, 0
	s_cselect_b32 s51, s51, -1
	s_cmp_lg_u32 s51, 0
	s_cselect_b32 s26, s45, s26
	s_cselect_b32 s44, s44, s23
	s_cmp_ge_u32 s20, s33
	s_cselect_b32 s23, -1, 0
	s_cmp_eq_u32 s22, 0
	s_cselect_b32 s23, s23, -1
	s_cmp_lg_u32 s23, 0
	s_cselect_b32 s23, s26, s22
	s_cselect_b32 s22, s44, s20
	s_cbranch_execnz .LBB180_328
.LBB180_327:                            ;   in Loop: Header=BB180_6 Depth=1
	v_cvt_f32_u32_e32 v2, s33
	s_sub_i32 s22, 0, s33
	v_rcp_iflag_f32_e32 v2, v2
	v_mul_f32_e32 v2, 0x4f7ffffe, v2
	v_cvt_u32_f32_e32 v2, v2
	v_readfirstlane_b32 s20, v2
	s_mul_i32 s22, s22, s20
	s_mul_hi_u32 s22, s20, s22
	s_add_i32 s20, s20, s22
	s_mul_hi_u32 s20, s50, s20
	s_mul_i32 s20, s20, s33
	s_sub_i32 s20, s50, s20
	s_sub_i32 s22, s20, s33
	s_cmp_ge_u32 s20, s33
	s_cselect_b32 s20, s22, s20
	s_sub_i32 s22, s20, s33
	s_cmp_ge_u32 s20, s33
	s_cselect_b32 s26, s22, s20
	s_mov_b64 s[22:23], s[26:27]
.LBB180_328:                            ;   in Loop: Header=BB180_6 Depth=1
	s_sub_u32 s20, s50, s22
	s_subb_u32 s21, s21, s23
	s_mov_b32 s23, 0
	s_mov_b32 s22, 0
	s_mov_b32 s26, exec_lo
                                        ; implicit-def: $vgpr6_vgpr7
	v_cmpx_gt_u64_e64 s[20:21], v[0:1]
	s_cbranch_execz .LBB180_340
; %bb.329:                              ;   in Loop: Header=BB180_6 Depth=1
	v_mov_b32_e32 v9, v1
	v_mov_b32_e32 v10, v43
	v_mov_b32_e32 v8, v0
                                        ; implicit-def: $sgpr50
	s_branch .LBB180_333
.LBB180_330:                            ;   in Loop: Header=BB180_333 Depth=2
	s_or_b32 exec_lo, exec_lo, s51
	s_waitcnt lgkmcnt(0)
	s_barrier
	buffer_gl0_inv
	ds_read_b128 v[4:7], v19 offset:3072
	s_waitcnt lgkmcnt(0)
	s_barrier
	buffer_gl0_inv
	v_cmp_neq_f64_e32 vcc_lo, 0, v[4:5]
	s_cbranch_vccnz .LBB180_336
; %bb.331:                              ;   in Loop: Header=BB180_333 Depth=2
	v_add_co_u32 v8, vcc_lo, v8, s33
	v_add_co_ci_u32_e64 v9, null, 0, v9, vcc_lo
	v_add_nc_u32_e32 v10, s86, v10
	s_mov_b32 s44, 0
	v_cmp_le_u64_e32 vcc_lo, s[20:21], v[8:9]
	s_orn2_b32 s45, vcc_lo, exec_lo
.LBB180_332:                            ;   in Loop: Header=BB180_333 Depth=2
	s_and_b32 s45, exec_lo, s45
	s_or_b32 s22, s45, s22
	s_andn2_b32 s45, s50, exec_lo
	s_and_b32 s44, s44, exec_lo
	s_or_b32 s50, s45, s44
	s_andn2_b32 exec_lo, exec_lo, s22
	s_cbranch_execz .LBB180_339
.LBB180_333:                            ;   Parent Loop BB180_6 Depth=1
                                        ; =>  This Inner Loop Header: Depth=2
	s_mov_b32 s51, exec_lo
	v_cmpx_gt_u64_e64 s[6:7], v[8:9]
	s_cbranch_execz .LBB180_330
; %bb.334:                              ;   in Loop: Header=BB180_333 Depth=2
	ds_read_b64 v[4:5], v10
	s_waitcnt lgkmcnt(0)
	v_cmp_o_f64_e32 vcc_lo, v[4:5], v[4:5]
	v_ashrrev_i32_e32 v2, 31, v5
	v_or_b32_e32 v6, 0x80000000, v2
	v_xor_b32_e32 v2, v2, v4
	v_xor_b32_e32 v6, v6, v5
	v_cndmask_b32_e32 v6, -1, v6, vcc_lo
	v_cndmask_b32_e32 v2, -1, v2, vcc_lo
	v_and_b32_e32 v7, v6, v32
	v_and_b32_e32 v6, v2, v31
	v_cmp_eq_u64_e32 vcc_lo, v[6:7], v[27:28]
	s_and_b32 exec_lo, exec_lo, vcc_lo
	s_cbranch_execz .LBB180_330
; %bb.335:                              ;   in Loop: Header=BB180_333 Depth=2
	v_mov_b32_e32 v2, v19
	ds_write_b128 v19, v[2:5] offset:3072
	s_branch .LBB180_330
.LBB180_336:                            ;   in Loop: Header=BB180_333 Depth=2
	s_mov_b32 s45, -1
	s_mov_b32 s44, -1
                                        ; implicit-def: $vgpr8_vgpr9
                                        ; implicit-def: $vgpr10
	s_branch .LBB180_332
.LBB180_337:                            ;   in Loop: Header=BB180_6 Depth=1
                                        ; implicit-def: $sgpr24_sgpr25
	s_branch .LBB180_281
.LBB180_338:                            ;   in Loop: Header=BB180_6 Depth=1
                                        ; implicit-def: $sgpr6_sgpr7
	s_branch .LBB180_297
.LBB180_339:                            ;   in Loop: Header=BB180_6 Depth=1
	s_or_b32 exec_lo, exec_lo, s22
	s_and_b32 s22, s50, exec_lo
.LBB180_340:                            ;   in Loop: Header=BB180_6 Depth=1
	s_or_b32 exec_lo, exec_lo, s26
.LBB180_341:                            ;   in Loop: Header=BB180_6 Depth=1
	s_and_b32 vcc_lo, exec_lo, s23
	s_cbranch_vccz .LBB180_356
; %bb.342:                              ;   in Loop: Header=BB180_6 Depth=1
	s_mov_b32 s54, s27
	s_cmp_lg_u64 s[54:55], 0
	s_cbranch_scc0 .LBB180_385
; %bb.343:                              ;   in Loop: Header=BB180_6 Depth=1
	v_cvt_f32_u32_e32 v2, s33
	s_sub_u32 s20, 0, s33
	s_subb_u32 s21, 0, 0
	v_fmac_f32_e64 v2, 0x4f800000, 0
	v_rcp_f32_e32 v2, v2
	v_mul_f32_e32 v2, 0x5f7ffffc, v2
	v_mul_f32_e32 v4, 0x2f800000, v2
	v_trunc_f32_e32 v4, v4
	v_fmac_f32_e32 v2, 0xcf800000, v4
	v_cvt_u32_f32_e32 v4, v4
	v_cvt_u32_f32_e32 v2, v2
	v_readfirstlane_b32 s6, v4
	v_readfirstlane_b32 s7, v2
	s_mul_i32 s23, s20, s6
	s_mul_hi_u32 s44, s20, s7
	s_mul_i32 s26, s21, s7
	s_add_i32 s23, s44, s23
	s_mul_i32 s45, s20, s7
	s_add_i32 s23, s23, s26
	s_mul_hi_u32 s44, s7, s45
	s_mul_i32 s51, s7, s23
	s_mul_hi_u32 s50, s6, s45
	s_mul_i32 s26, s6, s45
	s_mul_hi_u32 s45, s7, s23
	s_add_u32 s44, s44, s51
	s_addc_u32 s45, 0, s45
	s_mul_hi_u32 s54, s6, s23
	s_add_u32 s26, s44, s26
	s_mul_i32 s23, s6, s23
	s_addc_u32 s26, s45, s50
	s_addc_u32 s44, s54, 0
	s_add_u32 s23, s26, s23
	s_addc_u32 s26, 0, s44
	s_add_u32 s7, s7, s23
	s_cselect_b32 s23, -1, 0
	s_mul_hi_u32 s44, s20, s7
	s_cmp_lg_u32 s23, 0
	s_mul_i32 s23, s20, s7
	s_addc_u32 s6, s6, s26
	s_mul_i32 s21, s21, s7
	s_mul_i32 s20, s20, s6
	s_mul_hi_u32 s26, s7, s23
	s_add_i32 s20, s44, s20
	s_mul_hi_u32 s44, s6, s23
	s_add_i32 s20, s20, s21
	s_mul_i32 s21, s6, s23
	s_mul_i32 s50, s7, s20
	s_mul_hi_u32 s45, s7, s20
	s_add_u32 s26, s26, s50
	s_addc_u32 s45, 0, s45
	s_mul_hi_u32 s23, s6, s20
	s_add_u32 s21, s26, s21
	s_mul_i32 s20, s6, s20
	s_addc_u32 s21, s45, s44
	s_addc_u32 s23, s23, 0
	s_add_u32 s20, s21, s20
	s_addc_u32 s21, 0, s23
	s_add_u32 s7, s7, s20
	s_cselect_b32 s20, -1, 0
	s_mul_hi_u32 s23, s82, s7
	s_cmp_lg_u32 s20, 0
	s_mul_hi_u32 s20, s55, s7
	s_addc_u32 s6, s6, s21
	s_mul_i32 s7, s55, s7
	s_mul_i32 s26, s82, s6
	s_mul_hi_u32 s21, s82, s6
	s_add_u32 s23, s23, s26
	s_addc_u32 s21, 0, s21
	s_mul_hi_u32 s44, s55, s6
	s_add_u32 s7, s23, s7
	s_mul_i32 s6, s55, s6
	s_addc_u32 s7, s21, s20
	s_addc_u32 s20, s44, 0
	s_add_u32 s6, s7, s6
	s_addc_u32 s7, 0, s20
	s_mul_hi_u32 s20, s33, s6
	s_mul_i32 s7, s33, s7
	s_mul_i32 s6, s33, s6
	s_add_i32 s20, s20, s7
	s_sub_u32 s6, s82, s6
	s_cselect_b32 s7, -1, 0
	s_cmp_lg_u32 s7, 0
	s_subb_u32 s7, s55, s20
	s_sub_u32 s20, s6, s33
	s_cselect_b32 s21, -1, 0
	s_cmp_lg_u32 s21, 0
	s_subb_u32 s21, s7, 0
	;; [unrolled: 4-line block ×3, first 2 shown]
	s_cmp_ge_u32 s20, s33
	s_cselect_b32 s44, -1, 0
	s_cmp_eq_u32 s21, 0
	s_cselect_b32 s44, s44, -1
	s_cmp_lg_u32 s44, 0
	s_cselect_b32 s21, s26, s21
	s_cselect_b32 s20, s23, s20
	s_cmp_ge_u32 s6, s33
	s_cselect_b32 s23, -1, 0
	s_cmp_eq_u32 s7, 0
	s_cselect_b32 s23, s23, -1
	s_cmp_lg_u32 s23, 0
	s_cselect_b32 s7, s21, s7
	s_cselect_b32 s6, s20, s6
	s_cbranch_execnz .LBB180_345
.LBB180_344:                            ;   in Loop: Header=BB180_6 Depth=1
	v_cvt_f32_u32_e32 v2, s33
	s_sub_i32 s7, 0, s33
	v_rcp_iflag_f32_e32 v2, v2
	v_mul_f32_e32 v2, 0x4f7ffffe, v2
	v_cvt_u32_f32_e32 v2, v2
	v_readfirstlane_b32 s6, v2
	s_mul_i32 s7, s7, s6
	s_mul_hi_u32 s7, s6, s7
	s_add_i32 s6, s6, s7
	s_mul_hi_u32 s6, s82, s6
	s_mul_i32 s6, s6, s33
	s_sub_i32 s6, s82, s6
	s_sub_i32 s7, s6, s33
	s_cmp_ge_u32 s6, s33
	s_cselect_b32 s6, s7, s6
	s_sub_i32 s7, s6, s33
	s_cmp_ge_u32 s6, s33
	s_cselect_b32 s26, s7, s6
	s_mov_b64 s[6:7], s[26:27]
.LBB180_345:                            ;   in Loop: Header=BB180_6 Depth=1
	s_sub_u32 s20, s82, s6
	s_subb_u32 s21, s55, s7
	s_mov_b32 s7, exec_lo
                                        ; implicit-def: $vgpr6_vgpr7
	v_cmpx_gt_u64_e64 s[20:21], v[0:1]
	s_cbranch_execz .LBB180_355
; %bb.346:                              ;   in Loop: Header=BB180_6 Depth=1
	v_mov_b32_e32 v8, v16
	v_mov_b32_e32 v11, v1
	;; [unrolled: 1-line block ×4, first 2 shown]
	s_mov_b32 s23, 0
                                        ; implicit-def: $sgpr26
	s_branch .LBB180_350
.LBB180_347:                            ;   in Loop: Header=BB180_350 Depth=2
	s_or_b32 exec_lo, exec_lo, s6
	s_waitcnt lgkmcnt(0)
	s_barrier
	buffer_gl0_inv
	ds_read_b128 v[4:7], v19 offset:3072
	s_waitcnt lgkmcnt(0)
	s_barrier
	buffer_gl0_inv
	v_cmp_eq_f64_e32 vcc_lo, 0, v[4:5]
	s_cbranch_vccz .LBB180_353
; %bb.348:                              ;   in Loop: Header=BB180_350 Depth=2
	v_add_co_u32 v10, vcc_lo, v10, s33
	v_add_co_ci_u32_e64 v11, null, 0, v11, vcc_lo
	v_add_co_u32 v8, s6, v8, s34
	v_add_co_ci_u32_e64 v9, null, s35, v9, s6
	v_cmp_le_u64_e32 vcc_lo, s[20:21], v[10:11]
	s_mov_b32 s6, 0
	s_orn2_b32 s44, vcc_lo, exec_lo
.LBB180_349:                            ;   in Loop: Header=BB180_350 Depth=2
	s_and_b32 s44, exec_lo, s44
	s_or_b32 s23, s44, s23
	s_andn2_b32 s26, s26, exec_lo
	s_and_b32 s6, s6, exec_lo
	s_or_b32 s26, s26, s6
	s_andn2_b32 exec_lo, exec_lo, s23
	s_cbranch_execz .LBB180_354
.LBB180_350:                            ;   Parent Loop BB180_6 Depth=1
                                        ; =>  This Inner Loop Header: Depth=2
	s_mov_b32 s6, exec_lo
	v_cmpx_gt_u64_e64 s[28:29], v[10:11]
	s_cbranch_execz .LBB180_347
; %bb.351:                              ;   in Loop: Header=BB180_350 Depth=2
	global_load_dwordx2 v[4:5], v[8:9], off
	s_waitcnt vmcnt(0)
	v_cmp_o_f64_e32 vcc_lo, v[4:5], v[4:5]
	v_ashrrev_i32_e32 v2, 31, v5
	v_or_b32_e32 v6, 0x80000000, v2
	v_xor_b32_e32 v2, v2, v4
	v_xor_b32_e32 v6, v6, v5
	v_cndmask_b32_e32 v6, -1, v6, vcc_lo
	v_cndmask_b32_e32 v2, -1, v2, vcc_lo
	v_and_b32_e32 v7, v6, v32
	v_and_b32_e32 v6, v2, v31
	v_cmp_eq_u64_e32 vcc_lo, v[6:7], v[27:28]
	s_and_b32 exec_lo, exec_lo, vcc_lo
	s_cbranch_execz .LBB180_347
; %bb.352:                              ;   in Loop: Header=BB180_350 Depth=2
	v_mov_b32_e32 v2, v19
	ds_write_b128 v19, v[2:5] offset:3072
	s_branch .LBB180_347
.LBB180_353:                            ;   in Loop: Header=BB180_350 Depth=2
	s_mov_b32 s44, -1
	s_mov_b32 s6, -1
                                        ; implicit-def: $vgpr10_vgpr11
                                        ; implicit-def: $vgpr8_vgpr9
	s_branch .LBB180_349
.LBB180_354:                            ;   in Loop: Header=BB180_6 Depth=1
	s_or_b32 exec_lo, exec_lo, s23
	s_andn2_b32 s6, s22, exec_lo
	s_and_b32 s20, s26, exec_lo
	s_or_b32 s22, s6, s20
.LBB180_355:                            ;   in Loop: Header=BB180_6 Depth=1
	s_or_b32 exec_lo, exec_lo, s7
	s_mov_b32 s64, 0
	s_mov_b32 s65, -1
.LBB180_356:                            ;   in Loop: Header=BB180_6 Depth=1
	s_orn2_b32 s6, s22, exec_lo
.LBB180_357:                            ;   in Loop: Header=BB180_6 Depth=1
	s_or_b32 exec_lo, exec_lo, s68
	s_mov_b32 s7, 0
	s_and_saveexec_b32 s22, s6
	s_cbranch_execz .LBB180_470
; %bb.358:                              ;   in Loop: Header=BB180_6 Depth=1
	v_mov_b32_e32 v8, 1
	v_mov_b32_e32 v9, 0
	;; [unrolled: 1-line block ×3, first 2 shown]
	s_xor_b32 s20, s67, -1
	s_and_saveexec_b32 s6, s20
	s_cbranch_execz .LBB180_367
; %bb.359:                              ;   in Loop: Header=BB180_6 Depth=1
	s_mov_b32 s7, exec_lo
	v_cmpx_ge_u64_e64 s[18:19], v[35:36]
	s_xor_b32 s7, exec_lo, s7
	s_cbranch_execz .LBB180_364
; %bb.360:                              ;   in Loop: Header=BB180_6 Depth=1
	ds_read_b64 v[4:5], v19 offset:5120
	v_and_b32_e32 v2, s15, v28
	v_and_b32_e32 v8, s14, v27
	s_lshl_b64 s[20:21], 2, s93
	v_or_b32_e32 v32, s13, v32
	v_or_b32_e32 v31, s12, v31
	;; [unrolled: 1-line block ×4, first 2 shown]
	s_waitcnt lgkmcnt(0)
	v_cmp_ne_u64_e32 vcc_lo, 0, v[4:5]
	s_cbranch_vccnz .LBB180_364
; %bb.361:                              ;   in Loop: Header=BB180_6 Depth=1
	s_and_saveexec_b32 s20, s3
; %bb.362:                              ;   in Loop: Header=BB180_6 Depth=1
	v_mov_b32_e32 v4, s18
	v_mov_b32_e32 v5, s19
	ds_write_b64 v19, v[4:5] offset:5128
; %bb.363:                              ;   in Loop: Header=BB180_6 Depth=1
	s_or_b32 exec_lo, exec_lo, s20
	s_waitcnt lgkmcnt(0)
	s_barrier
	buffer_gl0_inv
.LBB180_364:                            ;   in Loop: Header=BB180_6 Depth=1
	s_or_saveexec_b32 s7, s7
	v_mov_b32_e32 v49, 5
	s_mov_b32 s20, 0
	s_xor_b32 exec_lo, exec_lo, s7
; %bb.365:                              ;   in Loop: Header=BB180_6 Depth=1
	v_sub_co_u32 v35, vcc_lo, v35, s18
	v_subrev_co_ci_u32_e64 v36, null, s19, v36, vcc_lo
	v_mov_b32_e32 v49, 0
	s_mov_b32 s20, exec_lo
; %bb.366:                              ;   in Loop: Header=BB180_6 Depth=1
	s_or_b32 exec_lo, exec_lo, s7
	v_mov_b32_e32 v8, v35
	v_mov_b32_e32 v9, v36
	s_and_b32 s7, s20, exec_lo
.LBB180_367:                            ;   in Loop: Header=BB180_6 Depth=1
	s_or_b32 exec_lo, exec_lo, s6
	s_mov_b32 s6, -1
                                        ; implicit-def: $sgpr67
                                        ; implicit-def: $sgpr68
	s_and_saveexec_b32 s23, s7
	s_cbranch_execz .LBB180_469
; %bb.368:                              ;   in Loop: Header=BB180_6 Depth=1
	v_cmp_eq_u64_e32 vcc_lo, 1, v[8:9]
	s_cmp_eq_u64 s[16:17], 1
                                        ; implicit-def: $sgpr68
                                        ; implicit-def: $sgpr67
	s_cselect_b32 s6, -1, 0
	s_and_b32 s69, s6, vcc_lo
	s_mov_b32 s6, -1
	s_and_saveexec_b32 s70, s69
	s_cbranch_execz .LBB180_404
; %bb.369:                              ;   in Loop: Header=BB180_6 Depth=1
	ds_read_b64 v[4:5], v19 offset:5120
	s_waitcnt lgkmcnt(0)
	s_barrier
	buffer_gl0_inv
	v_readfirstlane_b32 s6, v4
	v_readfirstlane_b32 s7, v5
	s_and_saveexec_b32 s18, s8
; %bb.370:                              ;   in Loop: Header=BB180_6 Depth=1
	v_mov_b32_e32 v18, v19
	ds_write_b64 v44, v[18:19]
; %bb.371:                              ;   in Loop: Header=BB180_6 Depth=1
	s_or_b32 exec_lo, exec_lo, s18
	v_and_b32_e32 v2, s15, v28
	v_and_b32_e32 v4, s14, v27
	s_lshl_b64 s[18:19], 1, s93
	v_or_b32_e32 v32, s13, v32
	v_or_b32_e32 v31, s12, v31
	;; [unrolled: 1-line block ×4, first 2 shown]
	s_mov_b32 s67, -1
	s_mov_b32 s68, 0
	s_cmp_eq_u64 s[6:7], 0
	s_mov_b32 s20, 0
	s_mov_b32 s21, -1
	s_waitcnt lgkmcnt(0)
	s_barrier
	buffer_gl0_inv
                                        ; implicit-def: $vgpr6_vgpr7
	s_cbranch_scc1 .LBB180_388
; %bb.372:                              ;   in Loop: Header=BB180_6 Depth=1
	s_add_u32 s50, s6, s80
	s_addc_u32 s19, s7, s81
	s_mov_b32 s18, s27
	s_cmp_lg_u64 s[18:19], 0
	s_cbranch_scc0 .LBB180_421
; %bb.373:                              ;   in Loop: Header=BB180_6 Depth=1
	v_cvt_f32_u32_e32 v2, s33
	s_sub_u32 s21, 0, s33
	s_subb_u32 s26, 0, 0
	v_fmac_f32_e64 v2, 0x4f800000, 0
	v_rcp_f32_e32 v2, v2
	v_mul_f32_e32 v2, 0x5f7ffffc, v2
	v_mul_f32_e32 v4, 0x2f800000, v2
	v_trunc_f32_e32 v4, v4
	v_fmac_f32_e32 v2, 0xcf800000, v4
	v_cvt_u32_f32_e32 v4, v4
	v_cvt_u32_f32_e32 v2, v2
	v_readfirstlane_b32 s18, v4
	v_readfirstlane_b32 s20, v2
	s_mul_i32 s44, s21, s18
	s_mul_hi_u32 s51, s21, s20
	s_mul_i32 s45, s26, s20
	s_add_i32 s44, s51, s44
	s_mul_i32 s54, s21, s20
	s_add_i32 s44, s44, s45
	s_mul_hi_u32 s51, s20, s54
	s_mul_i32 s72, s20, s44
	s_mul_hi_u32 s71, s18, s54
	s_mul_i32 s45, s18, s54
	s_mul_hi_u32 s54, s20, s44
	s_add_u32 s51, s51, s72
	s_addc_u32 s54, 0, s54
	s_mul_hi_u32 s73, s18, s44
	s_add_u32 s45, s51, s45
	s_mul_i32 s44, s18, s44
	s_addc_u32 s45, s54, s71
	s_addc_u32 s51, s73, 0
	s_add_u32 s44, s45, s44
	s_addc_u32 s45, 0, s51
	s_add_u32 s20, s20, s44
	s_cselect_b32 s44, -1, 0
	s_mul_hi_u32 s51, s21, s20
	s_cmp_lg_u32 s44, 0
	s_mul_i32 s44, s21, s20
	s_addc_u32 s18, s18, s45
	s_mul_i32 s26, s26, s20
	s_mul_i32 s21, s21, s18
	s_mul_hi_u32 s45, s20, s44
	s_add_i32 s21, s51, s21
	s_mul_hi_u32 s51, s18, s44
	s_add_i32 s21, s21, s26
	s_mul_i32 s26, s18, s44
	s_mul_i32 s71, s20, s21
	s_mul_hi_u32 s54, s20, s21
	s_add_u32 s45, s45, s71
	s_addc_u32 s54, 0, s54
	s_mul_hi_u32 s44, s18, s21
	s_add_u32 s26, s45, s26
	s_mul_i32 s21, s18, s21
	s_addc_u32 s26, s54, s51
	s_addc_u32 s44, s44, 0
	s_add_u32 s21, s26, s21
	s_addc_u32 s26, 0, s44
	s_add_u32 s20, s20, s21
	s_cselect_b32 s21, -1, 0
	s_mul_hi_u32 s44, s50, s20
	s_cmp_lg_u32 s21, 0
	s_mul_hi_u32 s21, s19, s20
	s_addc_u32 s18, s18, s26
	s_mul_i32 s20, s19, s20
	s_mul_i32 s45, s50, s18
	s_mul_hi_u32 s26, s50, s18
	s_add_u32 s44, s44, s45
	s_addc_u32 s26, 0, s26
	s_mul_hi_u32 s51, s19, s18
	s_add_u32 s20, s44, s20
	s_mul_i32 s18, s19, s18
	s_addc_u32 s20, s26, s21
	s_addc_u32 s21, s51, 0
	s_add_u32 s18, s20, s18
	s_addc_u32 s20, 0, s21
	s_mul_hi_u32 s21, s33, s18
	s_mul_i32 s20, s33, s20
	s_mul_i32 s18, s33, s18
	s_add_i32 s21, s21, s20
	s_sub_u32 s18, s50, s18
	s_cselect_b32 s20, -1, 0
	s_cmp_lg_u32 s20, 0
	s_subb_u32 s20, s19, s21
	s_sub_u32 s21, s18, s33
	s_cselect_b32 s26, -1, 0
	s_cmp_lg_u32 s26, 0
	s_subb_u32 s26, s20, 0
	;; [unrolled: 4-line block ×3, first 2 shown]
	s_cmp_ge_u32 s21, s33
	s_cselect_b32 s51, -1, 0
	s_cmp_eq_u32 s26, 0
	s_cselect_b32 s51, s51, -1
	s_cmp_lg_u32 s51, 0
	s_cselect_b32 s26, s45, s26
	s_cselect_b32 s44, s44, s21
	s_cmp_ge_u32 s18, s33
	s_cselect_b32 s21, -1, 0
	s_cmp_eq_u32 s20, 0
	s_cselect_b32 s21, s21, -1
	s_cmp_lg_u32 s21, 0
	s_cselect_b32 s21, s26, s20
	s_cselect_b32 s20, s44, s18
	s_cbranch_execnz .LBB180_375
.LBB180_374:                            ;   in Loop: Header=BB180_6 Depth=1
	v_cvt_f32_u32_e32 v2, s33
	s_sub_i32 s20, 0, s33
	v_rcp_iflag_f32_e32 v2, v2
	v_mul_f32_e32 v2, 0x4f7ffffe, v2
	v_cvt_u32_f32_e32 v2, v2
	v_readfirstlane_b32 s18, v2
	s_mul_i32 s20, s20, s18
	s_mul_hi_u32 s20, s18, s20
	s_add_i32 s18, s18, s20
	s_mul_hi_u32 s18, s50, s18
	s_mul_i32 s18, s18, s33
	s_sub_i32 s18, s50, s18
	s_sub_i32 s20, s18, s33
	s_cmp_ge_u32 s18, s33
	s_cselect_b32 s18, s20, s18
	s_sub_i32 s20, s18, s33
	s_cmp_ge_u32 s18, s33
	s_cselect_b32 s26, s20, s18
	s_mov_b64 s[20:21], s[26:27]
.LBB180_375:                            ;   in Loop: Header=BB180_6 Depth=1
	s_sub_u32 s18, s50, s20
	s_subb_u32 s19, s19, s21
	s_mov_b32 s21, 0
	s_mov_b32 s20, 0
	s_mov_b32 s26, exec_lo
                                        ; implicit-def: $vgpr6_vgpr7
	v_cmpx_gt_u64_e64 s[18:19], v[0:1]
	s_cbranch_execz .LBB180_387
; %bb.376:                              ;   in Loop: Header=BB180_6 Depth=1
	v_mov_b32_e32 v11, v1
	v_mov_b32_e32 v12, v43
	;; [unrolled: 1-line block ×3, first 2 shown]
                                        ; implicit-def: $sgpr50
	s_branch .LBB180_380
.LBB180_377:                            ;   in Loop: Header=BB180_380 Depth=2
	s_or_b32 exec_lo, exec_lo, s51
	s_waitcnt lgkmcnt(0)
	s_barrier
	buffer_gl0_inv
	ds_read_b128 v[4:7], v19 offset:3072
	s_waitcnt lgkmcnt(0)
	s_barrier
	buffer_gl0_inv
	v_cmp_neq_f64_e32 vcc_lo, 0, v[4:5]
	s_cbranch_vccnz .LBB180_383
; %bb.378:                              ;   in Loop: Header=BB180_380 Depth=2
	v_add_co_u32 v10, vcc_lo, v10, s33
	v_add_co_ci_u32_e64 v11, null, 0, v11, vcc_lo
	v_add_nc_u32_e32 v12, s86, v12
	s_mov_b32 s44, 0
	v_cmp_le_u64_e32 vcc_lo, s[18:19], v[10:11]
	s_orn2_b32 s45, vcc_lo, exec_lo
.LBB180_379:                            ;   in Loop: Header=BB180_380 Depth=2
	s_and_b32 s45, exec_lo, s45
	s_or_b32 s20, s45, s20
	s_andn2_b32 s45, s50, exec_lo
	s_and_b32 s44, s44, exec_lo
	s_or_b32 s50, s45, s44
	s_andn2_b32 exec_lo, exec_lo, s20
	s_cbranch_execz .LBB180_386
.LBB180_380:                            ;   Parent Loop BB180_6 Depth=1
                                        ; =>  This Inner Loop Header: Depth=2
	s_mov_b32 s51, exec_lo
	v_cmpx_gt_u64_e64 s[6:7], v[10:11]
	s_cbranch_execz .LBB180_377
; %bb.381:                              ;   in Loop: Header=BB180_380 Depth=2
	ds_read_b64 v[4:5], v12
	s_waitcnt lgkmcnt(0)
	v_cmp_o_f64_e32 vcc_lo, v[4:5], v[4:5]
	v_ashrrev_i32_e32 v2, 31, v5
	v_or_b32_e32 v6, 0x80000000, v2
	v_xor_b32_e32 v2, v2, v4
	v_xor_b32_e32 v6, v6, v5
	v_cndmask_b32_e32 v6, -1, v6, vcc_lo
	v_cndmask_b32_e32 v2, -1, v2, vcc_lo
	v_and_b32_e32 v7, v6, v32
	v_and_b32_e32 v6, v2, v31
	v_cmp_eq_u64_e32 vcc_lo, v[6:7], v[27:28]
	s_and_b32 exec_lo, exec_lo, vcc_lo
	s_cbranch_execz .LBB180_377
; %bb.382:                              ;   in Loop: Header=BB180_380 Depth=2
	v_mov_b32_e32 v2, v19
	ds_write_b128 v19, v[2:5] offset:3072
	s_branch .LBB180_377
.LBB180_383:                            ;   in Loop: Header=BB180_380 Depth=2
	s_mov_b32 s45, -1
	s_mov_b32 s44, -1
                                        ; implicit-def: $vgpr10_vgpr11
                                        ; implicit-def: $vgpr12
	s_branch .LBB180_379
.LBB180_384:                            ;   in Loop: Header=BB180_6 Depth=1
                                        ; implicit-def: $sgpr22_sgpr23
	s_branch .LBB180_327
.LBB180_385:                            ;   in Loop: Header=BB180_6 Depth=1
                                        ; implicit-def: $sgpr6_sgpr7
	s_branch .LBB180_344
.LBB180_386:                            ;   in Loop: Header=BB180_6 Depth=1
	s_or_b32 exec_lo, exec_lo, s20
	s_and_b32 s20, s50, exec_lo
.LBB180_387:                            ;   in Loop: Header=BB180_6 Depth=1
	s_or_b32 exec_lo, exec_lo, s26
.LBB180_388:                            ;   in Loop: Header=BB180_6 Depth=1
	s_and_b32 vcc_lo, exec_lo, s21
	s_cbranch_vccz .LBB180_403
; %bb.389:                              ;   in Loop: Header=BB180_6 Depth=1
	s_mov_b32 s54, s27
	s_cmp_lg_u64 s[54:55], 0
	s_cbranch_scc0 .LBB180_422
; %bb.390:                              ;   in Loop: Header=BB180_6 Depth=1
	v_cvt_f32_u32_e32 v2, s33
	s_sub_u32 s18, 0, s33
	s_subb_u32 s19, 0, 0
	v_fmac_f32_e64 v2, 0x4f800000, 0
	v_rcp_f32_e32 v2, v2
	v_mul_f32_e32 v2, 0x5f7ffffc, v2
	v_mul_f32_e32 v4, 0x2f800000, v2
	v_trunc_f32_e32 v4, v4
	v_fmac_f32_e32 v2, 0xcf800000, v4
	v_cvt_u32_f32_e32 v4, v4
	v_cvt_u32_f32_e32 v2, v2
	v_readfirstlane_b32 s6, v4
	v_readfirstlane_b32 s7, v2
	s_mul_i32 s21, s18, s6
	s_mul_hi_u32 s44, s18, s7
	s_mul_i32 s26, s19, s7
	s_add_i32 s21, s44, s21
	s_mul_i32 s45, s18, s7
	s_add_i32 s21, s21, s26
	s_mul_hi_u32 s44, s7, s45
	s_mul_i32 s51, s7, s21
	s_mul_hi_u32 s50, s6, s45
	s_mul_i32 s26, s6, s45
	s_mul_hi_u32 s45, s7, s21
	s_add_u32 s44, s44, s51
	s_addc_u32 s45, 0, s45
	s_mul_hi_u32 s54, s6, s21
	s_add_u32 s26, s44, s26
	s_mul_i32 s21, s6, s21
	s_addc_u32 s26, s45, s50
	s_addc_u32 s44, s54, 0
	s_add_u32 s21, s26, s21
	s_addc_u32 s26, 0, s44
	s_add_u32 s7, s7, s21
	s_cselect_b32 s21, -1, 0
	s_mul_hi_u32 s44, s18, s7
	s_cmp_lg_u32 s21, 0
	s_mul_i32 s21, s18, s7
	s_addc_u32 s6, s6, s26
	s_mul_i32 s19, s19, s7
	s_mul_i32 s18, s18, s6
	s_mul_hi_u32 s26, s7, s21
	s_add_i32 s18, s44, s18
	s_mul_hi_u32 s44, s6, s21
	s_add_i32 s18, s18, s19
	s_mul_i32 s19, s6, s21
	s_mul_i32 s50, s7, s18
	s_mul_hi_u32 s45, s7, s18
	s_add_u32 s26, s26, s50
	s_addc_u32 s45, 0, s45
	s_mul_hi_u32 s21, s6, s18
	s_add_u32 s19, s26, s19
	s_mul_i32 s18, s6, s18
	s_addc_u32 s19, s45, s44
	s_addc_u32 s21, s21, 0
	s_add_u32 s18, s19, s18
	s_addc_u32 s19, 0, s21
	s_add_u32 s7, s7, s18
	s_cselect_b32 s18, -1, 0
	s_mul_hi_u32 s21, s82, s7
	s_cmp_lg_u32 s18, 0
	s_mul_hi_u32 s18, s55, s7
	s_addc_u32 s6, s6, s19
	s_mul_i32 s7, s55, s7
	s_mul_i32 s26, s82, s6
	s_mul_hi_u32 s19, s82, s6
	s_add_u32 s21, s21, s26
	s_addc_u32 s19, 0, s19
	s_mul_hi_u32 s44, s55, s6
	s_add_u32 s7, s21, s7
	s_mul_i32 s6, s55, s6
	s_addc_u32 s7, s19, s18
	s_addc_u32 s18, s44, 0
	s_add_u32 s6, s7, s6
	s_addc_u32 s7, 0, s18
	s_mul_hi_u32 s18, s33, s6
	s_mul_i32 s7, s33, s7
	s_mul_i32 s6, s33, s6
	s_add_i32 s18, s18, s7
	s_sub_u32 s6, s82, s6
	s_cselect_b32 s7, -1, 0
	s_cmp_lg_u32 s7, 0
	s_subb_u32 s7, s55, s18
	s_sub_u32 s18, s6, s33
	s_cselect_b32 s19, -1, 0
	s_cmp_lg_u32 s19, 0
	s_subb_u32 s19, s7, 0
	;; [unrolled: 4-line block ×3, first 2 shown]
	s_cmp_ge_u32 s18, s33
	s_cselect_b32 s44, -1, 0
	s_cmp_eq_u32 s19, 0
	s_cselect_b32 s44, s44, -1
	s_cmp_lg_u32 s44, 0
	s_cselect_b32 s19, s26, s19
	s_cselect_b32 s18, s21, s18
	s_cmp_ge_u32 s6, s33
	s_cselect_b32 s21, -1, 0
	s_cmp_eq_u32 s7, 0
	s_cselect_b32 s21, s21, -1
	s_cmp_lg_u32 s21, 0
	s_cselect_b32 s7, s19, s7
	s_cselect_b32 s6, s18, s6
	s_cbranch_execnz .LBB180_392
.LBB180_391:                            ;   in Loop: Header=BB180_6 Depth=1
	v_cvt_f32_u32_e32 v2, s33
	s_sub_i32 s7, 0, s33
	v_rcp_iflag_f32_e32 v2, v2
	v_mul_f32_e32 v2, 0x4f7ffffe, v2
	v_cvt_u32_f32_e32 v2, v2
	v_readfirstlane_b32 s6, v2
	s_mul_i32 s7, s7, s6
	s_mul_hi_u32 s7, s6, s7
	s_add_i32 s6, s6, s7
	s_mul_hi_u32 s6, s82, s6
	s_mul_i32 s6, s6, s33
	s_sub_i32 s6, s82, s6
	s_sub_i32 s7, s6, s33
	s_cmp_ge_u32 s6, s33
	s_cselect_b32 s6, s7, s6
	s_sub_i32 s7, s6, s33
	s_cmp_ge_u32 s6, s33
	s_cselect_b32 s26, s7, s6
	s_mov_b64 s[6:7], s[26:27]
.LBB180_392:                            ;   in Loop: Header=BB180_6 Depth=1
	s_sub_u32 s18, s82, s6
	s_subb_u32 s19, s55, s7
	s_mov_b32 s7, exec_lo
                                        ; implicit-def: $vgpr6_vgpr7
	v_cmpx_gt_u64_e64 s[18:19], v[0:1]
	s_cbranch_execz .LBB180_402
; %bb.393:                              ;   in Loop: Header=BB180_6 Depth=1
	v_mov_b32_e32 v10, v16
	v_mov_b32_e32 v13, v1
	;; [unrolled: 1-line block ×4, first 2 shown]
	s_mov_b32 s21, 0
                                        ; implicit-def: $sgpr26
	s_branch .LBB180_397
.LBB180_394:                            ;   in Loop: Header=BB180_397 Depth=2
	s_or_b32 exec_lo, exec_lo, s6
	s_waitcnt lgkmcnt(0)
	s_barrier
	buffer_gl0_inv
	ds_read_b128 v[4:7], v19 offset:3072
	s_waitcnt lgkmcnt(0)
	s_barrier
	buffer_gl0_inv
	v_cmp_eq_f64_e32 vcc_lo, 0, v[4:5]
	s_cbranch_vccz .LBB180_400
; %bb.395:                              ;   in Loop: Header=BB180_397 Depth=2
	v_add_co_u32 v12, vcc_lo, v12, s33
	v_add_co_ci_u32_e64 v13, null, 0, v13, vcc_lo
	v_add_co_u32 v10, s6, v10, s34
	v_add_co_ci_u32_e64 v11, null, s35, v11, s6
	v_cmp_le_u64_e32 vcc_lo, s[18:19], v[12:13]
	s_mov_b32 s6, 0
	s_orn2_b32 s44, vcc_lo, exec_lo
.LBB180_396:                            ;   in Loop: Header=BB180_397 Depth=2
	s_and_b32 s44, exec_lo, s44
	s_or_b32 s21, s44, s21
	s_andn2_b32 s26, s26, exec_lo
	s_and_b32 s6, s6, exec_lo
	s_or_b32 s26, s26, s6
	s_andn2_b32 exec_lo, exec_lo, s21
	s_cbranch_execz .LBB180_401
.LBB180_397:                            ;   Parent Loop BB180_6 Depth=1
                                        ; =>  This Inner Loop Header: Depth=2
	s_mov_b32 s6, exec_lo
	v_cmpx_gt_u64_e64 s[28:29], v[12:13]
	s_cbranch_execz .LBB180_394
; %bb.398:                              ;   in Loop: Header=BB180_397 Depth=2
	global_load_dwordx2 v[4:5], v[10:11], off
	s_waitcnt vmcnt(0)
	v_cmp_o_f64_e32 vcc_lo, v[4:5], v[4:5]
	v_ashrrev_i32_e32 v2, 31, v5
	v_or_b32_e32 v6, 0x80000000, v2
	v_xor_b32_e32 v2, v2, v4
	v_xor_b32_e32 v6, v6, v5
	v_cndmask_b32_e32 v6, -1, v6, vcc_lo
	v_cndmask_b32_e32 v2, -1, v2, vcc_lo
	v_and_b32_e32 v7, v6, v32
	v_and_b32_e32 v6, v2, v31
	v_cmp_eq_u64_e32 vcc_lo, v[6:7], v[27:28]
	s_and_b32 exec_lo, exec_lo, vcc_lo
	s_cbranch_execz .LBB180_394
; %bb.399:                              ;   in Loop: Header=BB180_397 Depth=2
	v_mov_b32_e32 v2, v19
	ds_write_b128 v19, v[2:5] offset:3072
	s_branch .LBB180_394
.LBB180_400:                            ;   in Loop: Header=BB180_397 Depth=2
	s_mov_b32 s44, -1
	s_mov_b32 s6, -1
                                        ; implicit-def: $vgpr12_vgpr13
                                        ; implicit-def: $vgpr10_vgpr11
	s_branch .LBB180_396
.LBB180_401:                            ;   in Loop: Header=BB180_6 Depth=1
	s_or_b32 exec_lo, exec_lo, s21
	s_andn2_b32 s6, s20, exec_lo
	s_and_b32 s18, s26, exec_lo
	s_or_b32 s20, s6, s18
.LBB180_402:                            ;   in Loop: Header=BB180_6 Depth=1
	s_or_b32 exec_lo, exec_lo, s7
	s_mov_b32 s67, 0
	s_mov_b32 s68, -1
.LBB180_403:                            ;   in Loop: Header=BB180_6 Depth=1
	s_orn2_b32 s6, s20, exec_lo
.LBB180_404:                            ;   in Loop: Header=BB180_6 Depth=1
	s_or_b32 exec_lo, exec_lo, s70
	s_mov_b32 s7, 0
	s_and_saveexec_b32 s20, s6
	s_cbranch_execz .LBB180_468
; %bb.405:                              ;   in Loop: Header=BB180_6 Depth=1
	v_mov_b32_e32 v10, 1
	v_mov_b32_e32 v11, 0
	v_mov_b32_e32 v49, 1
	s_xor_b32 s18, s69, -1
	s_and_saveexec_b32 s6, s18
	s_cbranch_execz .LBB180_414
; %bb.406:                              ;   in Loop: Header=BB180_6 Depth=1
	s_mov_b32 s7, exec_lo
	v_cmpx_ge_u64_e64 s[16:17], v[8:9]
	s_xor_b32 s7, exec_lo, s7
	s_cbranch_execz .LBB180_411
; %bb.407:                              ;   in Loop: Header=BB180_6 Depth=1
	ds_read_b64 v[4:5], v19 offset:5120
	v_and_b32_e32 v2, s15, v28
	v_and_b32_e32 v10, s14, v27
	s_lshl_b64 s[18:19], 1, s93
	v_or_b32_e32 v32, s13, v32
	v_or_b32_e32 v31, s12, v31
	;; [unrolled: 1-line block ×4, first 2 shown]
	s_waitcnt lgkmcnt(0)
	v_cmp_ne_u64_e32 vcc_lo, 0, v[4:5]
	s_cbranch_vccnz .LBB180_411
; %bb.408:                              ;   in Loop: Header=BB180_6 Depth=1
	s_and_saveexec_b32 s18, s3
; %bb.409:                              ;   in Loop: Header=BB180_6 Depth=1
	v_mov_b32_e32 v4, s16
	v_mov_b32_e32 v5, s17
	ds_write_b64 v19, v[4:5] offset:5128
; %bb.410:                              ;   in Loop: Header=BB180_6 Depth=1
	s_or_b32 exec_lo, exec_lo, s18
	s_waitcnt lgkmcnt(0)
	s_barrier
	buffer_gl0_inv
.LBB180_411:                            ;   in Loop: Header=BB180_6 Depth=1
	s_or_saveexec_b32 s7, s7
	v_mov_b32_e32 v49, 5
	s_mov_b32 s18, 0
	s_xor_b32 exec_lo, exec_lo, s7
; %bb.412:                              ;   in Loop: Header=BB180_6 Depth=1
	v_sub_co_u32 v8, vcc_lo, v8, s16
	v_subrev_co_ci_u32_e64 v9, null, s17, v9, vcc_lo
	v_mov_b32_e32 v49, 0
	s_mov_b32 s18, exec_lo
; %bb.413:                              ;   in Loop: Header=BB180_6 Depth=1
	s_or_b32 exec_lo, exec_lo, s7
	v_mov_b32_e32 v11, v9
	v_mov_b32_e32 v10, v8
	s_and_b32 s7, s18, exec_lo
.LBB180_414:                            ;   in Loop: Header=BB180_6 Depth=1
	s_or_b32 exec_lo, exec_lo, s6
	s_mov_b32 s6, -1
                                        ; implicit-def: $sgpr51
                                        ; implicit-def: $sgpr50
	s_and_saveexec_b32 s21, s7
	s_cbranch_execz .LBB180_467
; %bb.415:                              ;   in Loop: Header=BB180_6 Depth=1
	v_cmp_eq_u64_e32 vcc_lo, 1, v[10:11]
	s_cmp_eq_u64 s[10:11], 1
	s_mov_b32 s7, -1
	s_cselect_b32 s6, -1, 0
                                        ; implicit-def: $sgpr51
                                        ; implicit-def: $sgpr50
	s_and_b32 s69, s6, vcc_lo
	s_and_saveexec_b32 s70, s69
	s_cbranch_execz .LBB180_455
; %bb.416:                              ;   in Loop: Header=BB180_6 Depth=1
	ds_read_b64 v[4:5], v19 offset:5120
	s_waitcnt lgkmcnt(0)
	s_barrier
	buffer_gl0_inv
	v_readfirstlane_b32 s6, v4
	v_readfirstlane_b32 s7, v5
	s_and_saveexec_b32 s16, s8
; %bb.417:                              ;   in Loop: Header=BB180_6 Depth=1
	v_mov_b32_e32 v18, v19
	ds_write_b64 v44, v[18:19]
; %bb.418:                              ;   in Loop: Header=BB180_6 Depth=1
	s_or_b32 exec_lo, exec_lo, s16
	v_and_b32_e32 v28, s15, v28
	v_and_b32_e32 v27, s14, v27
	v_or_b32_e32 v32, s13, v32
	v_or_b32_e32 v31, s12, v31
	s_mov_b32 s50, -1
	s_mov_b32 s51, 0
	s_cmp_eq_u64 s[6:7], 0
	s_mov_b32 s18, 0
	s_mov_b32 s19, -1
	s_waitcnt lgkmcnt(0)
	s_barrier
	buffer_gl0_inv
                                        ; implicit-def: $vgpr6_vgpr7
	s_cbranch_scc1 .LBB180_437
; %bb.419:                              ;   in Loop: Header=BB180_6 Depth=1
	s_add_u32 s54, s6, s80
	s_addc_u32 s17, s7, s81
	s_mov_b32 s16, s27
	s_cmp_lg_u64 s[16:17], 0
	s_cbranch_scc0 .LBB180_423
; %bb.420:                              ;   in Loop: Header=BB180_6 Depth=1
	v_cvt_f32_u32_e32 v2, s33
	s_sub_u32 s19, 0, s33
	s_subb_u32 s26, 0, 0
	v_fmac_f32_e64 v2, 0x4f800000, 0
	v_rcp_f32_e32 v2, v2
	v_mul_f32_e32 v2, 0x5f7ffffc, v2
	v_mul_f32_e32 v4, 0x2f800000, v2
	v_trunc_f32_e32 v4, v4
	v_fmac_f32_e32 v2, 0xcf800000, v4
	v_cvt_u32_f32_e32 v4, v4
	v_cvt_u32_f32_e32 v2, v2
	v_readfirstlane_b32 s16, v4
	v_readfirstlane_b32 s18, v2
	s_mul_i32 s44, s19, s16
	s_mul_hi_u32 s71, s19, s18
	s_mul_i32 s45, s26, s18
	s_add_i32 s44, s71, s44
	s_mul_i32 s72, s19, s18
	s_add_i32 s44, s44, s45
	s_mul_hi_u32 s71, s18, s72
	s_mul_i32 s74, s18, s44
	s_mul_hi_u32 s73, s16, s72
	s_mul_i32 s45, s16, s72
	s_mul_hi_u32 s72, s18, s44
	s_add_u32 s71, s71, s74
	s_addc_u32 s72, 0, s72
	s_mul_hi_u32 s75, s16, s44
	s_add_u32 s45, s71, s45
	s_mul_i32 s44, s16, s44
	s_addc_u32 s45, s72, s73
	s_addc_u32 s71, s75, 0
	s_add_u32 s44, s45, s44
	s_addc_u32 s45, 0, s71
	s_add_u32 s18, s18, s44
	s_cselect_b32 s44, -1, 0
	s_mul_hi_u32 s71, s19, s18
	s_cmp_lg_u32 s44, 0
	s_mul_i32 s44, s19, s18
	s_addc_u32 s16, s16, s45
	s_mul_i32 s26, s26, s18
	s_mul_i32 s19, s19, s16
	s_mul_hi_u32 s45, s18, s44
	s_add_i32 s19, s71, s19
	s_mul_hi_u32 s71, s16, s44
	s_add_i32 s19, s19, s26
	s_mul_i32 s26, s16, s44
	s_mul_i32 s73, s18, s19
	s_mul_hi_u32 s72, s18, s19
	s_add_u32 s45, s45, s73
	s_addc_u32 s72, 0, s72
	s_mul_hi_u32 s44, s16, s19
	s_add_u32 s26, s45, s26
	s_mul_i32 s19, s16, s19
	s_addc_u32 s26, s72, s71
	s_addc_u32 s44, s44, 0
	s_add_u32 s19, s26, s19
	s_addc_u32 s26, 0, s44
	s_add_u32 s18, s18, s19
	s_cselect_b32 s19, -1, 0
	s_mul_hi_u32 s44, s54, s18
	s_cmp_lg_u32 s19, 0
	s_mul_hi_u32 s19, s17, s18
	s_addc_u32 s16, s16, s26
	s_mul_i32 s18, s17, s18
	s_mul_i32 s45, s54, s16
	s_mul_hi_u32 s26, s54, s16
	s_add_u32 s44, s44, s45
	s_addc_u32 s26, 0, s26
	s_mul_hi_u32 s71, s17, s16
	s_add_u32 s18, s44, s18
	s_mul_i32 s16, s17, s16
	s_addc_u32 s18, s26, s19
	s_addc_u32 s19, s71, 0
	s_add_u32 s16, s18, s16
	s_addc_u32 s18, 0, s19
	s_mul_hi_u32 s19, s33, s16
	s_mul_i32 s18, s33, s18
	s_mul_i32 s16, s33, s16
	s_add_i32 s19, s19, s18
	s_sub_u32 s16, s54, s16
	s_cselect_b32 s18, -1, 0
	s_cmp_lg_u32 s18, 0
	s_subb_u32 s18, s17, s19
	s_sub_u32 s19, s16, s33
	s_cselect_b32 s26, -1, 0
	s_cmp_lg_u32 s26, 0
	s_subb_u32 s26, s18, 0
	;; [unrolled: 4-line block ×3, first 2 shown]
	s_cmp_ge_u32 s19, s33
	s_cselect_b32 s71, -1, 0
	s_cmp_eq_u32 s26, 0
	s_cselect_b32 s71, s71, -1
	s_cmp_lg_u32 s71, 0
	s_cselect_b32 s26, s45, s26
	s_cselect_b32 s44, s44, s19
	s_cmp_ge_u32 s16, s33
	s_cselect_b32 s19, -1, 0
	s_cmp_eq_u32 s18, 0
	s_cselect_b32 s19, s19, -1
	s_cmp_lg_u32 s19, 0
	s_cselect_b32 s19, s26, s18
	s_cselect_b32 s18, s44, s16
	s_mov_b32 s16, 0
	s_branch .LBB180_424
.LBB180_421:                            ;   in Loop: Header=BB180_6 Depth=1
                                        ; implicit-def: $sgpr20_sgpr21
	s_branch .LBB180_374
.LBB180_422:                            ;   in Loop: Header=BB180_6 Depth=1
                                        ; implicit-def: $sgpr6_sgpr7
	s_branch .LBB180_391
.LBB180_423:                            ;   in Loop: Header=BB180_6 Depth=1
	s_mov_b32 s16, -1
                                        ; implicit-def: $sgpr18_sgpr19
.LBB180_424:                            ;   in Loop: Header=BB180_6 Depth=1
	s_andn2_b32 vcc_lo, exec_lo, s16
	s_cbranch_vccnz .LBB180_426
; %bb.425:                              ;   in Loop: Header=BB180_6 Depth=1
	v_cvt_f32_u32_e32 v2, s33
	s_sub_i32 s18, 0, s33
	v_rcp_iflag_f32_e32 v2, v2
	v_mul_f32_e32 v2, 0x4f7ffffe, v2
	v_cvt_u32_f32_e32 v2, v2
	v_readfirstlane_b32 s16, v2
	s_mul_i32 s18, s18, s16
	s_mul_hi_u32 s18, s16, s18
	s_add_i32 s16, s16, s18
	s_mul_hi_u32 s16, s54, s16
	s_mul_i32 s16, s16, s33
	s_sub_i32 s16, s54, s16
	s_sub_i32 s18, s16, s33
	s_cmp_ge_u32 s16, s33
	s_cselect_b32 s16, s18, s16
	s_sub_i32 s18, s16, s33
	s_cmp_ge_u32 s16, s33
	s_cselect_b32 s26, s18, s16
	s_mov_b64 s[18:19], s[26:27]
.LBB180_426:                            ;   in Loop: Header=BB180_6 Depth=1
	s_sub_u32 s16, s54, s18
	s_subb_u32 s17, s17, s19
	s_mov_b32 s19, 0
	s_mov_b32 s18, 0
	s_mov_b32 s26, exec_lo
                                        ; implicit-def: $vgpr6_vgpr7
	v_cmpx_gt_u64_e64 s[16:17], v[0:1]
	s_cbranch_execz .LBB180_436
; %bb.427:                              ;   in Loop: Header=BB180_6 Depth=1
	v_mov_b32_e32 v9, v1
	v_mov_b32_e32 v12, v43
	;; [unrolled: 1-line block ×3, first 2 shown]
                                        ; implicit-def: $sgpr54
	s_branch .LBB180_431
.LBB180_428:                            ;   in Loop: Header=BB180_431 Depth=2
	s_or_b32 exec_lo, exec_lo, s71
	s_waitcnt lgkmcnt(0)
	s_barrier
	buffer_gl0_inv
	ds_read_b128 v[4:7], v19 offset:3072
	s_waitcnt lgkmcnt(0)
	s_barrier
	buffer_gl0_inv
	v_cmp_neq_f64_e32 vcc_lo, 0, v[4:5]
	s_cbranch_vccnz .LBB180_434
; %bb.429:                              ;   in Loop: Header=BB180_431 Depth=2
	v_add_co_u32 v8, vcc_lo, v8, s33
	v_add_co_ci_u32_e64 v9, null, 0, v9, vcc_lo
	v_add_nc_u32_e32 v12, s86, v12
	s_mov_b32 s44, 0
	v_cmp_le_u64_e32 vcc_lo, s[16:17], v[8:9]
	s_orn2_b32 s45, vcc_lo, exec_lo
.LBB180_430:                            ;   in Loop: Header=BB180_431 Depth=2
	s_and_b32 s45, exec_lo, s45
	s_or_b32 s18, s45, s18
	s_andn2_b32 s45, s54, exec_lo
	s_and_b32 s44, s44, exec_lo
	s_or_b32 s54, s45, s44
	s_andn2_b32 exec_lo, exec_lo, s18
	s_cbranch_execz .LBB180_435
.LBB180_431:                            ;   Parent Loop BB180_6 Depth=1
                                        ; =>  This Inner Loop Header: Depth=2
	s_mov_b32 s71, exec_lo
	v_cmpx_gt_u64_e64 s[6:7], v[8:9]
	s_cbranch_execz .LBB180_428
; %bb.432:                              ;   in Loop: Header=BB180_431 Depth=2
	ds_read_b64 v[4:5], v12
	s_waitcnt lgkmcnt(0)
	v_cmp_o_f64_e32 vcc_lo, v[4:5], v[4:5]
	v_ashrrev_i32_e32 v2, 31, v5
	v_or_b32_e32 v6, 0x80000000, v2
	v_xor_b32_e32 v2, v2, v4
	v_xor_b32_e32 v6, v6, v5
	v_cndmask_b32_e32 v6, -1, v6, vcc_lo
	v_cndmask_b32_e32 v2, -1, v2, vcc_lo
	v_and_b32_e32 v7, v6, v32
	v_and_b32_e32 v6, v2, v31
	v_cmp_eq_u64_e32 vcc_lo, v[6:7], v[27:28]
	s_and_b32 exec_lo, exec_lo, vcc_lo
	s_cbranch_execz .LBB180_428
; %bb.433:                              ;   in Loop: Header=BB180_431 Depth=2
	v_mov_b32_e32 v2, v19
	ds_write_b128 v19, v[2:5] offset:3072
	s_branch .LBB180_428
.LBB180_434:                            ;   in Loop: Header=BB180_431 Depth=2
	s_mov_b32 s45, -1
	s_mov_b32 s44, -1
                                        ; implicit-def: $vgpr8_vgpr9
                                        ; implicit-def: $vgpr12
	s_branch .LBB180_430
.LBB180_435:                            ;   in Loop: Header=BB180_6 Depth=1
	s_or_b32 exec_lo, exec_lo, s18
	s_and_b32 s18, s54, exec_lo
.LBB180_436:                            ;   in Loop: Header=BB180_6 Depth=1
	s_or_b32 exec_lo, exec_lo, s26
.LBB180_437:                            ;   in Loop: Header=BB180_6 Depth=1
	s_and_b32 vcc_lo, exec_lo, s19
	s_cbranch_vccz .LBB180_454
; %bb.438:                              ;   in Loop: Header=BB180_6 Depth=1
	s_mov_b32 s54, s27
	s_cmp_lg_u64 s[54:55], 0
	s_cbranch_scc0 .LBB180_440
; %bb.439:                              ;   in Loop: Header=BB180_6 Depth=1
	v_cvt_f32_u32_e32 v2, s33
	s_sub_u32 s16, 0, s33
	s_subb_u32 s17, 0, 0
	v_fmac_f32_e64 v2, 0x4f800000, 0
	v_rcp_f32_e32 v2, v2
	v_mul_f32_e32 v2, 0x5f7ffffc, v2
	v_mul_f32_e32 v4, 0x2f800000, v2
	v_trunc_f32_e32 v4, v4
	v_fmac_f32_e32 v2, 0xcf800000, v4
	v_cvt_u32_f32_e32 v4, v4
	v_cvt_u32_f32_e32 v2, v2
	v_readfirstlane_b32 s6, v4
	v_readfirstlane_b32 s7, v2
	s_mul_i32 s19, s16, s6
	s_mul_hi_u32 s44, s16, s7
	s_mul_i32 s26, s17, s7
	s_add_i32 s19, s44, s19
	s_mul_i32 s45, s16, s7
	s_add_i32 s19, s19, s26
	s_mul_hi_u32 s44, s7, s45
	s_mul_i32 s51, s7, s19
	s_mul_hi_u32 s50, s6, s45
	s_mul_i32 s26, s6, s45
	s_mul_hi_u32 s45, s7, s19
	s_add_u32 s44, s44, s51
	s_addc_u32 s45, 0, s45
	s_mul_hi_u32 s54, s6, s19
	s_add_u32 s26, s44, s26
	s_mul_i32 s19, s6, s19
	s_addc_u32 s26, s45, s50
	s_addc_u32 s44, s54, 0
	s_add_u32 s19, s26, s19
	s_addc_u32 s26, 0, s44
	s_add_u32 s7, s7, s19
	s_cselect_b32 s19, -1, 0
	s_mul_hi_u32 s44, s16, s7
	s_cmp_lg_u32 s19, 0
	s_mul_i32 s19, s16, s7
	s_addc_u32 s6, s6, s26
	s_mul_i32 s17, s17, s7
	s_mul_i32 s16, s16, s6
	s_mul_hi_u32 s26, s7, s19
	s_add_i32 s16, s44, s16
	s_mul_hi_u32 s44, s6, s19
	s_add_i32 s16, s16, s17
	s_mul_i32 s17, s6, s19
	s_mul_i32 s50, s7, s16
	s_mul_hi_u32 s45, s7, s16
	s_add_u32 s26, s26, s50
	s_addc_u32 s45, 0, s45
	s_mul_hi_u32 s19, s6, s16
	s_add_u32 s17, s26, s17
	s_mul_i32 s16, s6, s16
	s_addc_u32 s17, s45, s44
	s_addc_u32 s19, s19, 0
	s_add_u32 s16, s17, s16
	s_addc_u32 s17, 0, s19
	s_add_u32 s7, s7, s16
	s_cselect_b32 s16, -1, 0
	s_mul_hi_u32 s19, s82, s7
	s_cmp_lg_u32 s16, 0
	s_mul_hi_u32 s16, s55, s7
	s_addc_u32 s6, s6, s17
	s_mul_i32 s7, s55, s7
	s_mul_i32 s26, s82, s6
	s_mul_hi_u32 s17, s82, s6
	s_add_u32 s19, s19, s26
	s_addc_u32 s17, 0, s17
	s_mul_hi_u32 s44, s55, s6
	s_add_u32 s7, s19, s7
	s_mul_i32 s6, s55, s6
	s_addc_u32 s7, s17, s16
	s_addc_u32 s16, s44, 0
	s_add_u32 s6, s7, s6
	s_addc_u32 s7, 0, s16
	s_mul_hi_u32 s16, s33, s6
	s_mul_i32 s7, s33, s7
	s_mul_i32 s6, s33, s6
	s_add_i32 s16, s16, s7
	s_sub_u32 s6, s82, s6
	s_cselect_b32 s7, -1, 0
	s_cmp_lg_u32 s7, 0
	s_subb_u32 s7, s55, s16
	s_sub_u32 s16, s6, s33
	s_cselect_b32 s17, -1, 0
	s_cmp_lg_u32 s17, 0
	s_subb_u32 s17, s7, 0
	;; [unrolled: 4-line block ×3, first 2 shown]
	s_cmp_ge_u32 s16, s33
	s_cselect_b32 s44, -1, 0
	s_cmp_eq_u32 s17, 0
	s_cselect_b32 s44, s44, -1
	s_cmp_lg_u32 s44, 0
	s_cselect_b32 s17, s26, s17
	s_cselect_b32 s16, s19, s16
	s_cmp_ge_u32 s6, s33
	s_cselect_b32 s19, -1, 0
	s_cmp_eq_u32 s7, 0
	s_cselect_b32 s19, s19, -1
	s_cmp_lg_u32 s19, 0
	s_cselect_b32 s7, s17, s7
	s_cselect_b32 s6, s16, s6
	s_mov_b32 s16, 0
	s_branch .LBB180_441
.LBB180_440:                            ;   in Loop: Header=BB180_6 Depth=1
	s_mov_b32 s16, -1
                                        ; implicit-def: $sgpr6_sgpr7
.LBB180_441:                            ;   in Loop: Header=BB180_6 Depth=1
	s_andn2_b32 vcc_lo, exec_lo, s16
	s_cbranch_vccnz .LBB180_443
; %bb.442:                              ;   in Loop: Header=BB180_6 Depth=1
	v_cvt_f32_u32_e32 v2, s33
	s_sub_i32 s7, 0, s33
	v_rcp_iflag_f32_e32 v2, v2
	v_mul_f32_e32 v2, 0x4f7ffffe, v2
	v_cvt_u32_f32_e32 v2, v2
	v_readfirstlane_b32 s6, v2
	s_mul_i32 s7, s7, s6
	s_mul_hi_u32 s7, s6, s7
	s_add_i32 s6, s6, s7
	s_mul_hi_u32 s6, s82, s6
	s_mul_i32 s6, s6, s33
	s_sub_i32 s6, s82, s6
	s_sub_i32 s7, s6, s33
	s_cmp_ge_u32 s6, s33
	s_cselect_b32 s6, s7, s6
	s_sub_i32 s7, s6, s33
	s_cmp_ge_u32 s6, s33
	s_cselect_b32 s26, s7, s6
	s_mov_b64 s[6:7], s[26:27]
.LBB180_443:                            ;   in Loop: Header=BB180_6 Depth=1
	s_sub_u32 s16, s82, s6
	s_subb_u32 s17, s55, s7
	s_mov_b32 s7, exec_lo
                                        ; implicit-def: $vgpr6_vgpr7
	v_cmpx_gt_u64_e64 s[16:17], v[0:1]
	s_cbranch_execz .LBB180_453
; %bb.444:                              ;   in Loop: Header=BB180_6 Depth=1
	v_mov_b32_e32 v8, v16
	v_mov_b32_e32 v13, v1
	;; [unrolled: 1-line block ×4, first 2 shown]
	s_mov_b32 s19, 0
                                        ; implicit-def: $sgpr26
	s_branch .LBB180_448
.LBB180_445:                            ;   in Loop: Header=BB180_448 Depth=2
	s_or_b32 exec_lo, exec_lo, s6
	s_waitcnt lgkmcnt(0)
	s_barrier
	buffer_gl0_inv
	ds_read_b128 v[4:7], v19 offset:3072
	s_waitcnt lgkmcnt(0)
	s_barrier
	buffer_gl0_inv
	v_cmp_eq_f64_e32 vcc_lo, 0, v[4:5]
	s_cbranch_vccz .LBB180_451
; %bb.446:                              ;   in Loop: Header=BB180_448 Depth=2
	v_add_co_u32 v12, vcc_lo, v12, s33
	v_add_co_ci_u32_e64 v13, null, 0, v13, vcc_lo
	v_add_co_u32 v8, s6, v8, s34
	v_add_co_ci_u32_e64 v9, null, s35, v9, s6
	v_cmp_le_u64_e32 vcc_lo, s[16:17], v[12:13]
	s_mov_b32 s6, 0
	s_orn2_b32 s44, vcc_lo, exec_lo
.LBB180_447:                            ;   in Loop: Header=BB180_448 Depth=2
	s_and_b32 s44, exec_lo, s44
	s_or_b32 s19, s44, s19
	s_andn2_b32 s26, s26, exec_lo
	s_and_b32 s6, s6, exec_lo
	s_or_b32 s26, s26, s6
	s_andn2_b32 exec_lo, exec_lo, s19
	s_cbranch_execz .LBB180_452
.LBB180_448:                            ;   Parent Loop BB180_6 Depth=1
                                        ; =>  This Inner Loop Header: Depth=2
	s_mov_b32 s6, exec_lo
	v_cmpx_gt_u64_e64 s[28:29], v[12:13]
	s_cbranch_execz .LBB180_445
; %bb.449:                              ;   in Loop: Header=BB180_448 Depth=2
	global_load_dwordx2 v[4:5], v[8:9], off
	s_waitcnt vmcnt(0)
	v_cmp_o_f64_e32 vcc_lo, v[4:5], v[4:5]
	v_ashrrev_i32_e32 v2, 31, v5
	v_or_b32_e32 v6, 0x80000000, v2
	v_xor_b32_e32 v2, v2, v4
	v_xor_b32_e32 v6, v6, v5
	v_cndmask_b32_e32 v6, -1, v6, vcc_lo
	v_cndmask_b32_e32 v2, -1, v2, vcc_lo
	v_and_b32_e32 v7, v6, v32
	v_and_b32_e32 v6, v2, v31
	v_cmp_eq_u64_e32 vcc_lo, v[6:7], v[27:28]
	s_and_b32 exec_lo, exec_lo, vcc_lo
	s_cbranch_execz .LBB180_445
; %bb.450:                              ;   in Loop: Header=BB180_448 Depth=2
	v_mov_b32_e32 v2, v19
	ds_write_b128 v19, v[2:5] offset:3072
	s_branch .LBB180_445
.LBB180_451:                            ;   in Loop: Header=BB180_448 Depth=2
	s_mov_b32 s44, -1
	s_mov_b32 s6, -1
                                        ; implicit-def: $vgpr12_vgpr13
                                        ; implicit-def: $vgpr8_vgpr9
	s_branch .LBB180_447
.LBB180_452:                            ;   in Loop: Header=BB180_6 Depth=1
	s_or_b32 exec_lo, exec_lo, s19
	s_andn2_b32 s6, s18, exec_lo
	s_and_b32 s16, s26, exec_lo
	s_or_b32 s18, s6, s16
.LBB180_453:                            ;   in Loop: Header=BB180_6 Depth=1
	s_or_b32 exec_lo, exec_lo, s7
	s_mov_b32 s50, 0
	s_mov_b32 s51, -1
.LBB180_454:                            ;   in Loop: Header=BB180_6 Depth=1
	s_orn2_b32 s7, s18, exec_lo
.LBB180_455:                            ;   in Loop: Header=BB180_6 Depth=1
	s_or_b32 exec_lo, exec_lo, s70
	s_mov_b32 s16, 0
	s_and_saveexec_b32 s6, s7
	s_cbranch_execz .LBB180_466
; %bb.456:                              ;   in Loop: Header=BB180_6 Depth=1
	v_mov_b32_e32 v4, 1
	v_mov_b32_e32 v5, 0
	;; [unrolled: 1-line block ×3, first 2 shown]
	s_xor_b32 s16, s69, -1
	s_and_saveexec_b32 s7, s16
	s_cbranch_execz .LBB180_465
; %bb.457:                              ;   in Loop: Header=BB180_6 Depth=1
	s_mov_b32 s16, exec_lo
	v_cmpx_ge_u64_e64 s[10:11], v[10:11]
	s_xor_b32 s16, exec_lo, s16
	s_cbranch_execz .LBB180_462
; %bb.458:                              ;   in Loop: Header=BB180_6 Depth=1
	ds_read_b64 v[4:5], v19 offset:5120
	v_and_b32_e32 v28, s15, v28
	v_and_b32_e32 v27, s14, v27
	v_or_b32_e32 v32, s13, v32
	v_or_b32_e32 v31, s12, v31
	s_waitcnt lgkmcnt(0)
	v_cmp_ne_u64_e32 vcc_lo, 0, v[4:5]
	s_cbranch_vccnz .LBB180_462
; %bb.459:                              ;   in Loop: Header=BB180_6 Depth=1
	s_and_saveexec_b32 s12, s3
; %bb.460:                              ;   in Loop: Header=BB180_6 Depth=1
	v_mov_b32_e32 v4, s10
	v_mov_b32_e32 v5, s11
	ds_write_b64 v19, v[4:5] offset:5128
; %bb.461:                              ;   in Loop: Header=BB180_6 Depth=1
	s_or_b32 exec_lo, exec_lo, s12
	s_waitcnt lgkmcnt(0)
	s_barrier
	buffer_gl0_inv
.LBB180_462:                            ;   in Loop: Header=BB180_6 Depth=1
	s_andn2_saveexec_b32 s12, s16
; %bb.463:                              ;   in Loop: Header=BB180_6 Depth=1
	v_sub_co_u32 v10, vcc_lo, v10, s10
	v_subrev_co_ci_u32_e64 v11, null, s11, v11, vcc_lo
; %bb.464:                              ;   in Loop: Header=BB180_6 Depth=1
	s_or_b32 exec_lo, exec_lo, s12
	v_mov_b32_e32 v4, v10
	v_mov_b32_e32 v49, 5
	;; [unrolled: 1-line block ×3, first 2 shown]
.LBB180_465:                            ;   in Loop: Header=BB180_6 Depth=1
	s_or_b32 exec_lo, exec_lo, s7
	v_mov_b32_e32 v11, v5
	v_mov_b32_e32 v10, v4
	s_mov_b32 s16, exec_lo
.LBB180_466:                            ;   in Loop: Header=BB180_6 Depth=1
	s_or_b32 exec_lo, exec_lo, s6
	s_orn2_b32 s6, s16, exec_lo
.LBB180_467:                            ;   in Loop: Header=BB180_6 Depth=1
	s_or_b32 exec_lo, exec_lo, s21
	s_andn2_b32 s7, s68, exec_lo
	s_and_b32 s10, s51, exec_lo
	s_andn2_b32 s11, s67, exec_lo
	s_and_b32 s12, s50, exec_lo
	v_mov_b32_e32 v8, v10
	v_mov_b32_e32 v9, v11
	s_or_b32 s68, s7, s10
	s_or_b32 s67, s11, s12
	s_and_b32 s7, s6, exec_lo
.LBB180_468:                            ;   in Loop: Header=BB180_6 Depth=1
	s_or_b32 exec_lo, exec_lo, s20
	s_orn2_b32 s6, s7, exec_lo
.LBB180_469:                            ;   in Loop: Header=BB180_6 Depth=1
	s_or_b32 exec_lo, exec_lo, s23
	s_andn2_b32 s7, s65, exec_lo
	s_and_b32 s10, s68, exec_lo
	s_andn2_b32 s11, s64, exec_lo
	s_and_b32 s12, s67, exec_lo
	v_mov_b32_e32 v36, v9
	v_mov_b32_e32 v35, v8
	s_or_b32 s65, s7, s10
	s_or_b32 s64, s11, s12
	s_and_b32 s7, s6, exec_lo
.LBB180_470:                            ;   in Loop: Header=BB180_6 Depth=1
	s_or_b32 exec_lo, exec_lo, s22
	s_orn2_b32 s6, s7, exec_lo
.LBB180_471:                            ;   in Loop: Header=BB180_6 Depth=1
	s_or_b32 exec_lo, exec_lo, s25
	s_mov_b32 s7, s63
	s_mov_b32 s10, s62
	s_and_saveexec_b32 s11, s6
; %bb.472:                              ;   in Loop: Header=BB180_6 Depth=1
	v_cmp_ne_u32_e32 vcc_lo, 5, v49
	v_cmp_eq_u32_e64 s6, 5, v49
	s_andn2_b32 s7, s62, exec_lo
	s_andn2_b32 s12, s63, exec_lo
	s_and_b32 s10, vcc_lo, exec_lo
	s_and_b32 s6, s6, exec_lo
	s_or_b32 s10, s7, s10
	s_or_b32 s7, s12, s6
; %bb.473:                              ;   in Loop: Header=BB180_6 Depth=1
	s_or_b32 exec_lo, exec_lo, s11
	s_andn2_b32 s6, s66, exec_lo
	s_and_b32 s11, s65, exec_lo
	s_andn2_b32 s9, s9, exec_lo
	s_and_b32 s12, s64, exec_lo
	s_or_b32 s66, s6, s11
	s_andn2_b32 s6, s62, exec_lo
	s_and_b32 s10, s10, exec_lo
	s_andn2_b32 s11, s63, exec_lo
	s_and_b32 s7, s7, exec_lo
	s_or_b32 s9, s9, s12
	s_or_b32 s62, s6, s10
	;; [unrolled: 1-line block ×3, first 2 shown]
.LBB180_474:                            ;   in Loop: Header=BB180_6 Depth=1
	s_or_b32 exec_lo, exec_lo, s24
	s_mov_b32 s64, 0
	s_mov_b32 s65, 0
	s_and_saveexec_b32 s6, s63
.LBB180_475:                            ;   in Loop: Header=BB180_6 Depth=1
	v_mov_b32_e32 v49, 0
	s_or_b32 s62, s62, exec_lo
.LBB180_476:                            ;   in Loop: Header=BB180_6 Depth=1
	s_or_b32 exec_lo, exec_lo, s6
	s_andn2_b32 s6, s97, exec_lo
	s_and_b32 s10, s66, exec_lo
	s_andn2_b32 s11, s95, exec_lo
	s_and_b32 s9, s9, exec_lo
	v_mov_b32_e32 v33, v35
	v_mov_b32_e32 v34, v36
	s_or_b32 s97, s6, s10
	s_or_b32 s95, s11, s9
	s_andn2_b32 s6, s99, exec_lo
	s_and_b32 s9, s65, exec_lo
	s_andn2_b32 s10, s98, exec_lo
	s_and_b32 s11, s64, exec_lo
	s_mov_b32 s7, -1
	s_andn2_b32 s96, s96, exec_lo
	s_or_b32 s99, s6, s9
	s_or_b32 s98, s10, s11
	s_and_saveexec_b32 s6, s62
	s_xor_b32 s6, exec_lo, s6
	s_cbranch_execz .LBB180_5
; %bb.477:                              ;   in Loop: Header=BB180_6 Depth=1
	s_mov_b32 s9, -1
	s_mov_b32 s10, exec_lo
	v_cmpx_eq_u32_e32 0, v49
	s_cbranch_execz .LBB180_4
; %bb.478:                              ;   in Loop: Header=BB180_6 Depth=1
	s_xor_b32 s89, s89, 1
	s_add_i32 s11, s93, -2
	s_cmp_eq_u32 s93, 0
	s_mov_b32 s93, s11
	s_cselect_b32 s7, -1, 0
	s_xor_b32 s9, exec_lo, -1
	s_orn2_b32 s7, s7, exec_lo
	s_branch .LBB180_4
.LBB180_479:
	s_or_b32 exec_lo, exec_lo, s87
	s_xor_b32 s7, s94, -1
	s_xor_b32 s9, s91, -1
	;; [unrolled: 1-line block ×5, first 2 shown]
	s_mov_b32 s8, 0
	s_and_saveexec_b32 s12, s11
	s_xor_b32 s12, exec_lo, s12
	s_cbranch_execnz .LBB180_484
; %bb.480:
	s_andn2_saveexec_b32 s0, s12
	s_cbranch_execnz .LBB180_503
.LBB180_481:
	s_or_b32 exec_lo, exec_lo, s0
	s_and_saveexec_b32 s0, s8
.LBB180_482:
	; divergent unreachable
.LBB180_483:
	s_endpgm
.LBB180_484:
	s_and_saveexec_b32 s11, s10
	s_xor_b32 s13, exec_lo, s11
	s_cbranch_execz .LBB180_501
; %bb.485:
	s_and_saveexec_b32 s10, s9
	s_xor_b32 s14, exec_lo, s10
	s_cbranch_execz .LBB180_499
; %bb.486:
	s_and_saveexec_b32 s9, s7
	s_xor_b32 s15, exec_lo, s9
	s_cbranch_execz .LBB180_497
; %bb.487:
	s_and_saveexec_b32 s7, s6
	s_xor_b32 s6, exec_lo, s7
; %bb.488:
	v_lshrrev_b32_e32 v2, 31, v28
	v_add_co_u32 v2, s7, v2, -1
	v_add_co_ci_u32_e64 v3, null, 0, -1, s7
	v_xor_b32_e32 v6, v2, v27
	v_or_b32_e32 v3, 0x80000000, v3
	v_xor_b32_e32 v7, v3, v28
; %bb.489:
	s_or_b32 exec_lo, exec_lo, s6
	s_and_saveexec_b32 s6, s3
; %bb.490:
	v_mov_b32_e32 v2, 0
	v_mov_b32_e32 v3, v2
	ds_write_b64 v2, v[2:3] offset:5136
; %bb.491:
	s_or_b32 exec_lo, exec_lo, s6
	v_mov_b32_e32 v4, 0
	v_mov_b32_e32 v5, 0
	s_waitcnt lgkmcnt(0)
	s_barrier
	buffer_gl0_inv
	s_and_saveexec_b32 s3, s1
	s_cbranch_execz .LBB180_493
; %bb.492:
	global_load_dwordx2 v[4:5], v[16:17], off
.LBB180_493:
	s_or_b32 exec_lo, exec_lo, s3
	s_clause 0x1
	s_load_dwordx2 s[6:7], s[4:5], 0x298
	s_load_dwordx2 s[22:23], s[4:5], 0x440
	v_cmp_o_f64_e64 s3, v[6:7], v[6:7]
	v_ashrrev_i32_e32 v2, 31, v7
	s_add_u32 s10, s28, 31
	s_addc_u32 s11, s29, 0
	s_andn2_b32 s10, s10, 31
	s_mov_b32 s21, -1
	v_or_b32_e32 v3, 0x80000000, v2
	v_xor_b32_e32 v2, v2, v6
	v_cmp_gt_u64_e32 vcc_lo, s[10:11], v[0:1]
	v_xor_b32_e32 v3, v3, v7
	s_waitcnt lgkmcnt(0)
	s_mul_i32 s17, s7, s42
	s_mul_hi_u32 s19, s6, s42
	s_mul_i32 s16, s6, s42
	s_clause 0x1
	s_load_dwordx2 s[6:7], s[4:5], 0x368
	s_load_dwordx2 s[8:9], s[4:5], 0x510
	s_mul_i32 s20, s23, s42
	s_mul_hi_u32 s4, s22, s42
	s_mul_i32 s18, s22, s42
	v_readlane_b32 s22, v59, 2
	s_add_i32 s17, s19, s17
	v_readlane_b32 s23, v59, 3
	s_lshl_b64 s[16:17], s[16:17], 3
	s_add_i32 s19, s4, s20
	s_add_u32 s5, s22, s16
	v_cndmask_b32_e64 v3, -1, v3, s3
	s_addc_u32 s16, s23, s17
	v_readlane_b32 s22, v59, 0
	v_readlane_b32 s23, v59, 1
	s_lshl_b64 s[18:19], s[18:19], 3
	v_cndmask_b32_e64 v2, -1, v2, s3
	s_mov_b32 s3, 0
	s_add_u32 s17, s22, s18
	s_addc_u32 s18, s23, s19
	s_mov_b32 s19, 0
	s_and_saveexec_b32 s20, vcc_lo
	s_cbranch_execnz .LBB180_504
; %bb.494:
	s_or_b32 exec_lo, exec_lo, s20
	s_and_saveexec_b32 s2, s21
	s_cbranch_execnz .LBB180_521
.LBB180_495:
	s_or_b32 exec_lo, exec_lo, s2
	s_and_saveexec_b32 s0, s3
	s_xor_b32 s0, exec_lo, s0
	s_cbranch_execnz .LBB180_546
.LBB180_496:
	s_or_b32 exec_lo, exec_lo, s0
	s_waitcnt lgkmcnt(0)
	s_and_b32 s8, s19, exec_lo
.LBB180_497:
	s_andn2_saveexec_b32 s0, s15
	s_cbranch_execnz .LBB180_548
.LBB180_498:
	s_or_b32 exec_lo, exec_lo, s0
	s_and_b32 s8, s8, exec_lo
.LBB180_499:
	s_andn2_saveexec_b32 s0, s14
	s_cbranch_execnz .LBB180_547
.LBB180_500:
	s_or_b32 exec_lo, exec_lo, s0
	s_and_b32 s8, s8, exec_lo
.LBB180_501:
	s_andn2_saveexec_b32 s0, s13
	s_cbranch_execnz .LBB180_542
.LBB180_502:
	s_or_b32 exec_lo, exec_lo, s0
	s_and_b32 s8, s8, exec_lo
	s_andn2_saveexec_b32 s0, s12
	s_cbranch_execz .LBB180_481
.LBB180_503:
	s_or_b32 s8, s8, exec_lo
	s_trap 2
	s_or_b32 exec_lo, exec_lo, s0
	s_and_saveexec_b32 s0, s8
	s_cbranch_execnz .LBB180_482
	s_branch .LBB180_483
.LBB180_504:
	v_add_nc_u32_e32 v8, s33, v0
	s_add_u32 s3, s36, s40
	s_addc_u32 s4, s37, s41
	v_mov_b32_e32 v19, v1
	v_mov_b32_e32 v18, v0
	v_mad_u64_u32 v[6:7], null, s38, v8, 0
	s_mov_b32 s21, 0
                                        ; implicit-def: $sgpr22
                                        ; implicit-def: $vgpr14_vgpr15
	v_mad_u64_u32 v[7:8], null, s39, v8, v[7:8]
	v_lshlrev_b64 v[8:9], 3, v[6:7]
	v_mov_b32_e32 v7, 0
	v_add_co_u32 v8, s3, s3, v8
	v_add_co_ci_u32_e64 v9, null, s4, v9, s3
	s_branch .LBB180_506
.LBB180_505:                            ;   in Loop: Header=BB180_506 Depth=1
	s_or_b32 exec_lo, exec_lo, s23
	s_xor_b32 s3, s24, -1
	s_and_b32 s4, exec_lo, s4
	s_waitcnt vmcnt(0)
	v_mov_b32_e32 v4, v12
	v_mov_b32_e32 v19, v11
	;; [unrolled: 1-line block ×3, first 2 shown]
	s_or_b32 s21, s4, s21
	v_mov_b32_e32 v18, v10
	s_andn2_b32 s4, s22, exec_lo
	s_and_b32 s3, s3, exec_lo
	s_or_b32 s22, s4, s3
	s_andn2_b32 exec_lo, exec_lo, s21
	s_cbranch_execz .LBB180_520
.LBB180_506:                            ; =>This Inner Loop Header: Depth=1
	v_add_co_u32 v10, s3, v18, s33
	v_mov_b32_e32 v12, 0
	v_add_co_ci_u32_e64 v11, null, 0, v19, s3
	v_mov_b32_e32 v13, 0
	s_mov_b32 s4, exec_lo
	v_cmpx_gt_u64_e64 s[28:29], v[10:11]
	s_cbranch_execz .LBB180_508
; %bb.507:                              ;   in Loop: Header=BB180_506 Depth=1
	global_load_dwordx2 v[12:13], v[8:9], off
.LBB180_508:                            ;   in Loop: Header=BB180_506 Depth=1
	s_or_b32 exec_lo, exec_lo, s4
	s_mov_b32 s23, 0
	s_mov_b32 s4, exec_lo
	v_cmpx_gt_u64_e64 s[28:29], v[18:19]
	s_cbranch_execz .LBB180_510
; %bb.509:                              ;   in Loop: Header=BB180_506 Depth=1
	s_waitcnt vmcnt(0)
	v_cmp_o_f64_e64 s3, v[4:5], v[4:5]
	v_ashrrev_i32_e32 v6, 31, v5
	v_or_b32_e32 v20, 0x80000000, v6
	v_xor_b32_e32 v6, v6, v4
	v_xor_b32_e32 v20, v20, v5
	v_cndmask_b32_e64 v21, -1, v20, s3
	v_cndmask_b32_e64 v20, -1, v6, s3
	v_cmp_gt_u64_e64 s3, v[20:21], v[2:3]
	v_cndmask_b32_e64 v6, 0, 1, s3
	v_cmp_lt_u64_e64 s3, v[20:21], v[2:3]
	v_cndmask_b32_e64 v20, 0, 1, s3
	v_cndmask_b32_e64 v6, v20, v6, s2
	v_and_b32_e32 v6, 1, v6
	v_cmp_eq_u32_e64 s3, 1, v6
	s_and_b32 s23, s3, exec_lo
.LBB180_510:                            ;   in Loop: Header=BB180_506 Depth=1
	s_or_b32 exec_lo, exec_lo, s4
	v_cndmask_b32_e64 v6, 0, 1, s23
	v_cmp_ne_u32_e64 s3, 0, v6
	s_cmp_lg_u32 s3, 0
	s_cselect_b32 s4, -1, 0
	s_and_b32 s4, s0, s4
	s_and_saveexec_b32 s24, s4
	s_cbranch_execz .LBB180_514
; %bb.511:                              ;   in Loop: Header=BB180_506 Depth=1
	s_mov_b32 s27, exec_lo
	s_bcnt1_i32_b32 s25, s3
	v_mbcnt_lo_u32_b32 v20, s27, 0
	s_mov_b32 s26, exec_lo
                                        ; implicit-def: $vgpr14_vgpr15
	v_cmpx_eq_u32_e32 0, v20
	s_cbranch_execz .LBB180_513
; %bb.512:                              ;   in Loop: Header=BB180_506 Depth=1
	s_bcnt1_i32_b32 s4, s27
	s_mul_i32 s4, s25, s4
	v_mov_b32_e32 v6, s4
	s_waitcnt lgkmcnt(0)
	ds_add_rtn_u64 v[14:15], v7, v[6:7] offset:5136
.LBB180_513:                            ;   in Loop: Header=BB180_506 Depth=1
	s_or_b32 exec_lo, exec_lo, s26
	s_waitcnt lgkmcnt(0)
	v_readfirstlane_b32 s27, v15
	v_readfirstlane_b32 s26, v14
	v_mad_u64_u32 v[14:15], null, s25, v20, s[26:27]
.LBB180_514:                            ;   in Loop: Header=BB180_506 Depth=1
	s_or_b32 exec_lo, exec_lo, s24
	s_waitcnt lgkmcnt(0)
	ds_bpermute_b32 v14, v7, v14
	ds_bpermute_b32 v15, v7, v15
	s_mov_b32 s4, -1
	s_mov_b32 s25, -1
	s_and_saveexec_b32 s24, s23
	s_cbranch_execz .LBB180_518
; %bb.515:                              ;   in Loop: Header=BB180_506 Depth=1
	v_and_b32_e32 v6, s3, v41
	s_mov_b32 s23, 0
	s_mov_b32 s25, exec_lo
	v_bcnt_u32_b32 v6, v6, 0
	s_waitcnt lgkmcnt(0)
	v_add_co_u32 v20, s3, v14, v6
	v_add_co_ci_u32_e64 v21, null, 0, v15, s3
	v_cmpx_gt_u64_e64 s[30:31], v[20:21]
	s_cbranch_execz .LBB180_517
; %bb.516:                              ;   in Loop: Header=BB180_506 Depth=1
	v_mul_lo_u32 v6, v21, s6
	v_mul_lo_u32 v24, v20, s7
	v_mad_u64_u32 v[22:23], null, v20, s6, 0
	v_mul_lo_u32 v25, v21, s8
	v_mul_lo_u32 v26, v20, s9
	v_mad_u64_u32 v[20:21], null, v20, s8, 0
	s_mov_b32 s23, exec_lo
	v_add3_u32 v23, v23, v24, v6
	v_add3_u32 v21, v21, v26, v25
	v_lshlrev_b64 v[22:23], 3, v[22:23]
	v_lshlrev_b64 v[20:21], 3, v[20:21]
	v_add_co_u32 v22, s3, s5, v22
	v_add_co_ci_u32_e64 v23, null, s16, v23, s3
	v_add_co_u32 v20, s3, s17, v20
	v_add_co_ci_u32_e64 v21, null, s18, v21, s3
	s_waitcnt vmcnt(0)
	global_store_dwordx2 v[22:23], v[4:5], off
	global_store_dwordx2 v[20:21], v[18:19], off
.LBB180_517:                            ;   in Loop: Header=BB180_506 Depth=1
	s_or_b32 exec_lo, exec_lo, s25
	s_orn2_b32 s25, s23, exec_lo
.LBB180_518:                            ;   in Loop: Header=BB180_506 Depth=1
	s_or_b32 exec_lo, exec_lo, s24
	s_mov_b32 s24, -1
	s_and_saveexec_b32 s23, s25
	s_cbranch_execz .LBB180_505
; %bb.519:                              ;   in Loop: Header=BB180_506 Depth=1
	v_cmp_le_u64_e64 s3, s[10:11], v[10:11]
	v_add_co_u32 v8, s4, v8, s34
	v_add_co_ci_u32_e64 v9, null, s35, v9, s4
	s_xor_b32 s24, exec_lo, -1
	s_orn2_b32 s4, s3, exec_lo
	s_branch .LBB180_505
.LBB180_520:
	s_or_b32 exec_lo, exec_lo, s21
	s_mov_b32 s3, exec_lo
	s_orn2_b32 s21, s22, exec_lo
	s_or_b32 exec_lo, exec_lo, s20
	s_and_saveexec_b32 s2, s21
	s_cbranch_execz .LBB180_495
.LBB180_521:
	v_mov_b32_e32 v12, 0
	v_mov_b32_e32 v13, 0
	s_waitcnt vmcnt(0) lgkmcnt(0)
	s_waitcnt_vscnt null, 0x0
	s_barrier
	buffer_gl0_inv
	s_and_saveexec_b32 s4, s1
	s_cbranch_execz .LBB180_523
; %bb.522:
	global_load_dwordx2 v[12:13], v[16:17], off
.LBB180_523:
	s_or_b32 exec_lo, exec_lo, s4
	s_mov_b32 s1, 0
	s_and_saveexec_b32 s4, vcc_lo
	s_cbranch_execz .LBB180_545
; %bb.524:
	v_add_nc_u32_e32 v6, s33, v0
	s_add_u32 s1, s36, s40
	s_addc_u32 s19, s37, s41
	v_mov_b32_e32 v7, 0
                                        ; implicit-def: $sgpr20
                                        ; implicit-def: $vgpr14_vgpr15
	v_mad_u64_u32 v[4:5], null, s38, v6, 0
	v_mad_u64_u32 v[5:6], null, s39, v6, v[5:6]
	v_lshlrev_b64 v[4:5], 3, v[4:5]
	v_add_co_u32 v4, vcc_lo, s1, v4
	v_add_co_ci_u32_e64 v5, null, s19, v5, vcc_lo
	s_mov_b32 s19, 0
	s_branch .LBB180_527
.LBB180_525:                            ;   in Loop: Header=BB180_527 Depth=1
	s_or_b32 exec_lo, exec_lo, s22
	s_orn2_b32 s24, s23, exec_lo
	s_orn2_b32 s23, s1, exec_lo
.LBB180_526:                            ;   in Loop: Header=BB180_527 Depth=1
	s_or_b32 exec_lo, exec_lo, s21
	s_xor_b32 s1, s24, -1
	s_and_b32 s21, exec_lo, s23
	v_mov_b32_e32 v0, v8
	s_waitcnt vmcnt(0)
	v_mov_b32_e32 v13, v11
	v_mov_b32_e32 v1, v9
	s_or_b32 s19, s21, s19
	v_mov_b32_e32 v12, v10
	s_andn2_b32 s20, s20, exec_lo
	s_and_b32 s1, s1, exec_lo
	s_or_b32 s20, s20, s1
	s_andn2_b32 exec_lo, exec_lo, s19
	s_cbranch_execz .LBB180_543
.LBB180_527:                            ; =>This Inner Loop Header: Depth=1
	v_add_co_u32 v8, vcc_lo, v0, s33
	v_mov_b32_e32 v10, 0
	v_add_co_ci_u32_e64 v9, null, 0, v1, vcc_lo
	v_mov_b32_e32 v11, 0
	s_mov_b32 s1, exec_lo
	v_cmpx_gt_u64_e64 s[28:29], v[8:9]
	s_cbranch_execz .LBB180_529
; %bb.528:                              ;   in Loop: Header=BB180_527 Depth=1
	global_load_dwordx2 v[10:11], v[4:5], off
.LBB180_529:                            ;   in Loop: Header=BB180_527 Depth=1
	s_or_b32 exec_lo, exec_lo, s1
	s_mov_b32 s22, 0
	s_mov_b32 s1, exec_lo
	v_cmpx_gt_u64_e64 s[28:29], v[0:1]
	s_cbranch_execz .LBB180_531
; %bb.530:                              ;   in Loop: Header=BB180_527 Depth=1
	s_waitcnt vmcnt(0)
	v_cmp_o_f64_e32 vcc_lo, v[12:13], v[12:13]
	v_ashrrev_i32_e32 v6, 31, v13
	v_or_b32_e32 v16, 0x80000000, v6
	v_xor_b32_e32 v6, v6, v12
	v_xor_b32_e32 v16, v16, v13
	v_cndmask_b32_e32 v17, -1, v16, vcc_lo
	v_cndmask_b32_e32 v16, -1, v6, vcc_lo
	v_cmp_eq_u64_e32 vcc_lo, v[16:17], v[2:3]
	s_and_b32 s22, vcc_lo, exec_lo
.LBB180_531:                            ;   in Loop: Header=BB180_527 Depth=1
	s_or_b32 exec_lo, exec_lo, s1
	v_cndmask_b32_e64 v6, 0, 1, s22
	v_cmp_ne_u32_e32 vcc_lo, 0, v6
	s_cmp_lg_u32 vcc_lo, 0
	s_cselect_b32 s1, -1, 0
	s_and_b32 s1, s0, s1
	s_and_saveexec_b32 s21, s1
	s_cbranch_execz .LBB180_535
; %bb.532:                              ;   in Loop: Header=BB180_527 Depth=1
	s_mov_b32 s25, exec_lo
	s_bcnt1_i32_b32 s23, vcc_lo
	v_mbcnt_lo_u32_b32 v16, s25, 0
	s_mov_b32 s24, exec_lo
                                        ; implicit-def: $vgpr14_vgpr15
	v_cmpx_eq_u32_e32 0, v16
; %bb.533:                              ;   in Loop: Header=BB180_527 Depth=1
	s_bcnt1_i32_b32 s1, s25
	s_mul_i32 s1, s23, s1
	v_mov_b32_e32 v6, s1
	ds_add_rtn_u64 v[14:15], v7, v[6:7] offset:5136
; %bb.534:                              ;   in Loop: Header=BB180_527 Depth=1
	s_or_b32 exec_lo, exec_lo, s24
	s_waitcnt lgkmcnt(0)
	v_readfirstlane_b32 s25, v15
	v_readfirstlane_b32 s24, v14
	v_mad_u64_u32 v[14:15], null, s23, v16, s[24:25]
.LBB180_535:                            ;   in Loop: Header=BB180_527 Depth=1
	s_or_b32 exec_lo, exec_lo, s21
	ds_bpermute_b32 v14, v7, v14
	ds_bpermute_b32 v15, v7, v15
	s_cmp_eq_u32 vcc_lo, 0
	s_mov_b32 s23, -1
	s_cselect_b32 s21, -1, 0
	s_mov_b32 s24, -1
	s_waitcnt lgkmcnt(0)
	v_cmp_gt_u64_e64 s1, s[30:31], v[14:15]
	s_or_b32 s1, s21, s1
	s_and_saveexec_b32 s21, s1
	s_cbranch_execz .LBB180_526
; %bb.536:                              ;   in Loop: Header=BB180_527 Depth=1
	v_and_b32_e32 v6, vcc_lo, v41
	v_sub_co_u32 v16, vcc_lo, s30, v14
	v_sub_co_ci_u32_e64 v17, null, s31, v15, vcc_lo
	v_bcnt_u32_b32 v6, v6, 0
	s_mov_b32 s1, -1
	v_bcnt_u32_b32 v6, 0, v6
	v_cmp_gt_u64_e32 vcc_lo, v[16:17], v[6:7]
	s_and_b32 s25, s22, vcc_lo
	s_and_saveexec_b32 s22, s25
	s_cbranch_execz .LBB180_540
; %bb.537:                              ;   in Loop: Header=BB180_527 Depth=1
	v_add_co_u32 v16, vcc_lo, v14, v6
	v_add_co_ci_u32_e64 v17, null, 0, v15, vcc_lo
	s_mov_b32 s24, 0
	s_mov_b32 s23, exec_lo
	v_cmpx_gt_u64_e64 s[30:31], v[16:17]
	s_cbranch_execz .LBB180_539
; %bb.538:                              ;   in Loop: Header=BB180_527 Depth=1
	v_mul_lo_u32 v6, v17, s6
	v_mul_lo_u32 v20, v16, s7
	v_mad_u64_u32 v[18:19], null, v16, s6, 0
	v_mul_lo_u32 v21, v17, s8
	v_mul_lo_u32 v22, v16, s9
	v_mad_u64_u32 v[16:17], null, v16, s8, 0
	s_mov_b32 s24, exec_lo
	v_add3_u32 v19, v19, v20, v6
	v_add3_u32 v17, v17, v22, v21
	v_lshlrev_b64 v[18:19], 3, v[18:19]
	v_lshlrev_b64 v[16:17], 3, v[16:17]
	v_add_co_u32 v18, vcc_lo, s5, v18
	v_add_co_ci_u32_e64 v19, null, s16, v19, vcc_lo
	v_add_co_u32 v16, vcc_lo, s17, v16
	v_add_co_ci_u32_e64 v17, null, s18, v17, vcc_lo
	s_waitcnt vmcnt(0)
	global_store_dwordx2 v[18:19], v[12:13], off
	global_store_dwordx2 v[16:17], v[0:1], off
.LBB180_539:                            ;   in Loop: Header=BB180_527 Depth=1
	s_or_b32 exec_lo, exec_lo, s23
	s_xor_b32 s23, exec_lo, -1
	s_orn2_b32 s24, s24, exec_lo
.LBB180_540:                            ;   in Loop: Header=BB180_527 Depth=1
	s_or_b32 exec_lo, exec_lo, s22
	s_and_saveexec_b32 s22, s24
	s_cbranch_execz .LBB180_525
; %bb.541:                              ;   in Loop: Header=BB180_527 Depth=1
	v_cmp_le_u64_e32 vcc_lo, s[10:11], v[8:9]
	v_add_co_u32 v4, s1, v4, s34
	v_add_co_ci_u32_e64 v5, null, s35, v5, s1
	s_or_b32 s23, s23, exec_lo
	s_orn2_b32 s1, vcc_lo, exec_lo
	s_branch .LBB180_525
.LBB180_542:
	s_or_b32 s8, s8, exec_lo
	s_trap 2
	s_branch .LBB180_502
.LBB180_543:
	s_or_b32 exec_lo, exec_lo, s19
	s_mov_b32 s0, 0
	s_and_saveexec_b32 s1, s20
	s_xor_b32 s1, exec_lo, s1
	s_cbranch_execnz .LBB180_549
.LBB180_544:
	s_or_b32 exec_lo, exec_lo, s1
	s_and_b32 s1, s0, exec_lo
.LBB180_545:
	s_or_b32 exec_lo, exec_lo, s4
	s_and_b32 s19, s1, exec_lo
	s_andn2_b32 s3, s3, exec_lo
	s_or_b32 exec_lo, exec_lo, s2
	s_and_saveexec_b32 s0, s3
	s_xor_b32 s0, exec_lo, s0
	s_cbranch_execz .LBB180_496
.LBB180_546:
	s_or_b32 s19, s19, exec_lo
	s_trap 2
	s_branch .LBB180_496
.LBB180_547:
	s_or_b32 s8, s8, exec_lo
	s_trap 2
	s_branch .LBB180_500
.LBB180_548:
	s_or_b32 s8, s8, exec_lo
	s_trap 2
	s_branch .LBB180_498
.LBB180_549:
	s_mov_b32 s0, exec_lo
	s_trap 2
	s_branch .LBB180_544
	.section	.rodata,"a",@progbits
	.p2align	6, 0x0
	.amdhsa_kernel _ZN2at6native6sbtopk10gatherTopKIdmLi1ELb0EEEvNS_4cuda6detail10TensorInfoIKT_T0_EES8_S8_bS8_S8_NS5_IS6_S8_EES8_NS5_IlS8_EES8_PS6_
		.amdhsa_group_segment_fixed_size 5152
		.amdhsa_private_segment_fixed_size 0
		.amdhsa_kernarg_size 1568
		.amdhsa_user_sgpr_count 6
		.amdhsa_user_sgpr_private_segment_buffer 1
		.amdhsa_user_sgpr_dispatch_ptr 0
		.amdhsa_user_sgpr_queue_ptr 0
		.amdhsa_user_sgpr_kernarg_segment_ptr 1
		.amdhsa_user_sgpr_dispatch_id 0
		.amdhsa_user_sgpr_flat_scratch_init 0
		.amdhsa_user_sgpr_private_segment_size 0
		.amdhsa_wavefront_size32 1
		.amdhsa_uses_dynamic_stack 0
		.amdhsa_system_sgpr_private_segment_wavefront_offset 0
		.amdhsa_system_sgpr_workgroup_id_x 1
		.amdhsa_system_sgpr_workgroup_id_y 1
		.amdhsa_system_sgpr_workgroup_id_z 1
		.amdhsa_system_sgpr_workgroup_info 0
		.amdhsa_system_vgpr_workitem_id 0
		.amdhsa_next_free_vgpr 60
		.amdhsa_next_free_sgpr 105
		.amdhsa_reserve_vcc 1
		.amdhsa_reserve_flat_scratch 0
		.amdhsa_float_round_mode_32 0
		.amdhsa_float_round_mode_16_64 0
		.amdhsa_float_denorm_mode_32 3
		.amdhsa_float_denorm_mode_16_64 3
		.amdhsa_dx10_clamp 1
		.amdhsa_ieee_mode 1
		.amdhsa_fp16_overflow 0
		.amdhsa_workgroup_processor_mode 1
		.amdhsa_memory_ordered 1
		.amdhsa_forward_progress 1
		.amdhsa_shared_vgpr_count 0
		.amdhsa_exception_fp_ieee_invalid_op 0
		.amdhsa_exception_fp_denorm_src 0
		.amdhsa_exception_fp_ieee_div_zero 0
		.amdhsa_exception_fp_ieee_overflow 0
		.amdhsa_exception_fp_ieee_underflow 0
		.amdhsa_exception_fp_ieee_inexact 0
		.amdhsa_exception_int_div_zero 0
	.end_amdhsa_kernel
	.section	.text._ZN2at6native6sbtopk10gatherTopKIdmLi1ELb0EEEvNS_4cuda6detail10TensorInfoIKT_T0_EES8_S8_bS8_S8_NS5_IS6_S8_EES8_NS5_IlS8_EES8_PS6_,"axG",@progbits,_ZN2at6native6sbtopk10gatherTopKIdmLi1ELb0EEEvNS_4cuda6detail10TensorInfoIKT_T0_EES8_S8_bS8_S8_NS5_IS6_S8_EES8_NS5_IlS8_EES8_PS6_,comdat
.Lfunc_end180:
	.size	_ZN2at6native6sbtopk10gatherTopKIdmLi1ELb0EEEvNS_4cuda6detail10TensorInfoIKT_T0_EES8_S8_bS8_S8_NS5_IS6_S8_EES8_NS5_IlS8_EES8_PS6_, .Lfunc_end180-_ZN2at6native6sbtopk10gatherTopKIdmLi1ELb0EEEvNS_4cuda6detail10TensorInfoIKT_T0_EES8_S8_bS8_S8_NS5_IS6_S8_EES8_NS5_IlS8_EES8_PS6_
                                        ; -- End function
	.set _ZN2at6native6sbtopk10gatherTopKIdmLi1ELb0EEEvNS_4cuda6detail10TensorInfoIKT_T0_EES8_S8_bS8_S8_NS5_IS6_S8_EES8_NS5_IlS8_EES8_PS6_.num_vgpr, 60
	.set _ZN2at6native6sbtopk10gatherTopKIdmLi1ELb0EEEvNS_4cuda6detail10TensorInfoIKT_T0_EES8_S8_bS8_S8_NS5_IS6_S8_EES8_NS5_IlS8_EES8_PS6_.num_agpr, 0
	.set _ZN2at6native6sbtopk10gatherTopKIdmLi1ELb0EEEvNS_4cuda6detail10TensorInfoIKT_T0_EES8_S8_bS8_S8_NS5_IS6_S8_EES8_NS5_IlS8_EES8_PS6_.numbered_sgpr, 105
	.set _ZN2at6native6sbtopk10gatherTopKIdmLi1ELb0EEEvNS_4cuda6detail10TensorInfoIKT_T0_EES8_S8_bS8_S8_NS5_IS6_S8_EES8_NS5_IlS8_EES8_PS6_.num_named_barrier, 0
	.set _ZN2at6native6sbtopk10gatherTopKIdmLi1ELb0EEEvNS_4cuda6detail10TensorInfoIKT_T0_EES8_S8_bS8_S8_NS5_IS6_S8_EES8_NS5_IlS8_EES8_PS6_.private_seg_size, 0
	.set _ZN2at6native6sbtopk10gatherTopKIdmLi1ELb0EEEvNS_4cuda6detail10TensorInfoIKT_T0_EES8_S8_bS8_S8_NS5_IS6_S8_EES8_NS5_IlS8_EES8_PS6_.uses_vcc, 1
	.set _ZN2at6native6sbtopk10gatherTopKIdmLi1ELb0EEEvNS_4cuda6detail10TensorInfoIKT_T0_EES8_S8_bS8_S8_NS5_IS6_S8_EES8_NS5_IlS8_EES8_PS6_.uses_flat_scratch, 0
	.set _ZN2at6native6sbtopk10gatherTopKIdmLi1ELb0EEEvNS_4cuda6detail10TensorInfoIKT_T0_EES8_S8_bS8_S8_NS5_IS6_S8_EES8_NS5_IlS8_EES8_PS6_.has_dyn_sized_stack, 0
	.set _ZN2at6native6sbtopk10gatherTopKIdmLi1ELb0EEEvNS_4cuda6detail10TensorInfoIKT_T0_EES8_S8_bS8_S8_NS5_IS6_S8_EES8_NS5_IlS8_EES8_PS6_.has_recursion, 0
	.set _ZN2at6native6sbtopk10gatherTopKIdmLi1ELb0EEEvNS_4cuda6detail10TensorInfoIKT_T0_EES8_S8_bS8_S8_NS5_IS6_S8_EES8_NS5_IlS8_EES8_PS6_.has_indirect_call, 0
	.section	.AMDGPU.csdata,"",@progbits
; Kernel info:
; codeLenInByte = 25452
; TotalNumSgprs: 107
; NumVgprs: 60
; ScratchSize: 0
; MemoryBound: 0
; FloatMode: 240
; IeeeMode: 1
; LDSByteSize: 5152 bytes/workgroup (compile time only)
; SGPRBlocks: 0
; VGPRBlocks: 7
; NumSGPRsForWavesPerEU: 107
; NumVGPRsForWavesPerEU: 60
; Occupancy: 16
; WaveLimiterHint : 1
; COMPUTE_PGM_RSRC2:SCRATCH_EN: 0
; COMPUTE_PGM_RSRC2:USER_SGPR: 6
; COMPUTE_PGM_RSRC2:TRAP_HANDLER: 0
; COMPUTE_PGM_RSRC2:TGID_X_EN: 1
; COMPUTE_PGM_RSRC2:TGID_Y_EN: 1
; COMPUTE_PGM_RSRC2:TGID_Z_EN: 1
; COMPUTE_PGM_RSRC2:TIDIG_COMP_CNT: 0
	.section	.text._ZN2at6native6mbtopk23computeBlockDigitCountsIdmmLi2EEEvNS_4cuda6detail10TensorInfoIKT_T0_EEjPjjS8_iijT1_PSB_Ps,"axG",@progbits,_ZN2at6native6mbtopk23computeBlockDigitCountsIdmmLi2EEEvNS_4cuda6detail10TensorInfoIKT_T0_EEjPjjS8_iijT1_PSB_Ps,comdat
	.protected	_ZN2at6native6mbtopk23computeBlockDigitCountsIdmmLi2EEEvNS_4cuda6detail10TensorInfoIKT_T0_EEjPjjS8_iijT1_PSB_Ps ; -- Begin function _ZN2at6native6mbtopk23computeBlockDigitCountsIdmmLi2EEEvNS_4cuda6detail10TensorInfoIKT_T0_EEjPjjS8_iijT1_PSB_Ps
	.globl	_ZN2at6native6mbtopk23computeBlockDigitCountsIdmmLi2EEEvNS_4cuda6detail10TensorInfoIKT_T0_EEjPjjS8_iijT1_PSB_Ps
	.p2align	8
	.type	_ZN2at6native6mbtopk23computeBlockDigitCountsIdmmLi2EEEvNS_4cuda6detail10TensorInfoIKT_T0_EEjPjjS8_iijT1_PSB_Ps,@function
_ZN2at6native6mbtopk23computeBlockDigitCountsIdmmLi2EEEvNS_4cuda6detail10TensorInfoIKT_T0_EEjPjjS8_iijT1_PSB_Ps: ; @_ZN2at6native6mbtopk23computeBlockDigitCountsIdmmLi2EEEvNS_4cuda6detail10TensorInfoIKT_T0_EEjPjjS8_iijT1_PSB_Ps
; %bb.0:
	s_clause 0x2
	s_load_dwordx4 s[0:3], s[4:5], 0x1c0
	s_load_dword s9, s[4:5], 0x1b0
	s_load_dwordx2 s[10:11], s[4:5], 0x1e8
	s_mov_b32 s13, 0
	s_waitcnt lgkmcnt(0)
	v_cvt_f32_u32_e32 v1, s2
	s_mul_i32 s8, s11, s8
	s_sub_i32 s11, 0, s2
	s_add_i32 s7, s8, s7
	v_rcp_iflag_f32_e32 v1, v1
	s_mul_i32 s18, s7, s10
	s_add_i32 s18, s18, s6
	v_mul_f32_e32 v1, 0x4f7ffffe, v1
	v_cvt_u32_f32_e32 v1, v1
	v_readfirstlane_b32 s3, v1
	s_mul_i32 s11, s11, s3
	s_mul_hi_u32 s7, s3, s11
	s_add_i32 s3, s3, s7
	s_mul_hi_u32 s3, s18, s3
	s_mul_i32 s6, s3, s2
	s_add_i32 s7, s3, 1
	s_sub_i32 s6, s18, s6
	s_sub_i32 s8, s6, s2
	s_cmp_ge_u32 s6, s2
	s_cselect_b32 s3, s7, s3
	s_cselect_b32 s6, s8, s6
	s_add_i32 s7, s3, 1
	s_cmp_ge_u32 s6, s2
	s_cselect_b32 s12, s7, s3
	s_cmp_ge_u32 s12, s9
	s_cbranch_scc1 .LBB181_23
; %bb.1:
	s_clause 0x2
	s_load_dwordx2 s[14:15], s[4:5], 0x10
	s_load_dwordx4 s[8:11], s[4:5], 0x1d0
	s_load_dwordx2 s[6:7], s[4:5], 0x1e0
	s_lshl_b64 s[16:17], s[12:13], 3
	s_waitcnt lgkmcnt(0)
	v_cmp_lt_u64_e64 s3, s[12:13], s[14:15]
	s_add_u32 s16, s10, s16
	s_addc_u32 s17, s11, s17
	s_mov_b64 s[10:11], 0
	s_and_b32 vcc_lo, exec_lo, s3
	s_cbranch_vccnz .LBB181_3
; %bb.2:
	v_cvt_f32_u32_e32 v1, s14
	s_sub_i32 s10, 0, s14
	v_rcp_iflag_f32_e32 v1, v1
	v_mul_f32_e32 v1, 0x4f7ffffe, v1
	v_cvt_u32_f32_e32 v1, v1
	v_readfirstlane_b32 s3, v1
	s_mul_i32 s10, s10, s3
	s_mul_hi_u32 s10, s3, s10
	s_add_i32 s3, s3, s10
	s_mul_hi_u32 s3, s12, s3
	s_mul_i32 s10, s3, s14
	s_add_i32 s11, s3, 1
	s_sub_i32 s10, s12, s10
	s_sub_i32 s13, s10, s14
	s_cmp_ge_u32 s10, s14
	s_cselect_b32 s3, s11, s3
	s_cselect_b32 s10, s13, s10
	s_add_i32 s11, s3, 1
	s_cmp_ge_u32 s10, s14
	s_cselect_b32 s10, s11, s3
.LBB181_3:
	v_cmp_gt_u32_e32 vcc_lo, 0x100, v0
	v_lshlrev_b32_e32 v3, 2, v0
	s_and_saveexec_b32 s3, vcc_lo
; %bb.4:
	v_mov_b32_e32 v1, 0
	ds_write_b32 v3, v1
; %bb.5:
	s_or_b32 exec_lo, exec_lo, s3
	s_load_dword s11, s[4:5], 0x1a0
	s_mul_i32 s3, s12, s2
	s_waitcnt lgkmcnt(0)
	s_sub_i32 s3, s18, s3
	s_barrier
	s_mul_i32 s13, s1, s3
	s_add_i32 s3, s3, 1
	s_lshl_b32 s13, s13, 8
	buffer_gl0_inv
	s_sub_i32 s19, s11, s13
	s_add_u32 s20, s19, 0xff
	s_addc_u32 s21, 0, 0
	s_mov_b32 s19, 0
	s_lshr_b64 s[20:21], s[20:21], 8
	s_cmp_lt_u32 s3, s2
	s_cselect_b32 s1, s1, s20
	s_cmp_lt_i32 s1, 1
	s_cbranch_scc1 .LBB181_21
; %bb.6:
	s_clause 0x1
	s_load_dwordx4 s[20:23], s[4:5], 0xd0
	s_load_dwordx2 s[24:25], s[4:5], 0x0
	s_load_dwordx2 s[2:3], s[16:17], 0x0
	;; [unrolled: 1-line block ×3, first 2 shown]
	s_mul_i32 s15, s10, s15
	s_mul_hi_u32 s16, s10, s14
	s_mul_i32 s14, s10, s14
	s_add_i32 s16, s16, s15
	s_sub_u32 s12, s12, s14
	s_subb_u32 s14, 0, s16
	v_add_nc_u32_e32 v4, s13, v0
	s_waitcnt lgkmcnt(0)
	s_mul_i32 s15, s12, s23
	s_mul_hi_u32 s23, s12, s22
	s_mul_i32 s26, s14, s22
	s_mul_i32 s14, s12, s22
	;; [unrolled: 1-line block ×3, first 2 shown]
	s_mul_hi_u32 s17, s10, s20
	s_mul_i32 s16, s10, s20
	s_add_i32 s17, s17, s12
	s_add_i32 s10, s23, s15
	s_lshl_b64 s[16:17], s[16:17], 3
	s_add_i32 s15, s10, s26
	s_add_u32 s10, s24, s16
	s_addc_u32 s16, s25, s17
	s_lshl_b64 s[14:15], s[14:15], 3
	s_add_u32 s12, s10, s14
	s_addc_u32 s13, s16, s15
	s_and_b32 s10, s0, 0xff
	s_cmp_eq_u32 s1, 1
	s_cbranch_scc1 .LBB181_16
; %bb.7:
	v_mov_b32_e32 v5, 1
	v_mov_b32_e32 v6, 2
	;; [unrolled: 1-line block ×3, first 2 shown]
	s_and_b32 s14, s1, 0x7ffffffe
	s_mov_b32 s15, 0
	s_branch .LBB181_9
.LBB181_8:                              ;   in Loop: Header=BB181_9 Depth=1
	s_or_b32 exec_lo, exec_lo, s16
	v_add_nc_u32_e32 v7, 0x200, v7
	s_add_i32 s15, s15, 2
	s_cmp_eq_u32 s14, s15
	s_cbranch_scc1 .LBB181_15
.LBB181_9:                              ; =>This Inner Loop Header: Depth=1
	s_mov_b32 s16, exec_lo
	v_cmpx_gt_u32_e64 s11, v7
	s_cbranch_execz .LBB181_12
; %bb.10:                               ;   in Loop: Header=BB181_9 Depth=1
	v_mad_u64_u32 v[1:2], null, s4, v7, 0
	v_mad_u64_u32 v[8:9], null, s5, v7, v[2:3]
	v_mov_b32_e32 v2, v8
	v_lshlrev_b64 v[1:2], 3, v[1:2]
	v_add_co_u32 v1, s0, s12, v1
	v_add_co_ci_u32_e64 v2, null, s13, v2, s0
	global_load_dwordx2 v[1:2], v[1:2], off
	s_waitcnt vmcnt(0)
	v_cmp_o_f64_e64 s0, v[1:2], v[1:2]
	v_ashrrev_i32_e32 v8, 31, v2
	v_or_b32_e32 v9, 0x80000000, v8
	v_xor_b32_e32 v1, v8, v1
	v_xor_b32_e32 v9, v9, v2
	v_cndmask_b32_e64 v2, -1, v9, s0
	v_cndmask_b32_e64 v1, -1, v1, s0
	v_xor_b32_e32 v8, s3, v2
	v_xor_b32_e32 v10, s2, v1
	v_and_b32_e32 v9, s9, v8
	v_and_b32_e32 v8, s8, v10
	v_cmp_eq_u64_e64 s0, 0, v[8:9]
	s_and_b32 exec_lo, exec_lo, s0
; %bb.11:                               ;   in Loop: Header=BB181_9 Depth=1
	v_lshrrev_b64 v[1:2], s10, v[1:2]
	v_lshlrev_b32_sdwa v1, v6, v1 dst_sel:DWORD dst_unused:UNUSED_PAD src0_sel:DWORD src1_sel:BYTE_0
	ds_add_u32 v1, v5
.LBB181_12:                             ;   in Loop: Header=BB181_9 Depth=1
	s_or_b32 exec_lo, exec_lo, s16
	v_add_nc_u32_e32 v1, 0x100, v7
	s_mov_b32 s16, exec_lo
	v_cmpx_gt_u32_e64 s11, v1
	s_cbranch_execz .LBB181_8
; %bb.13:                               ;   in Loop: Header=BB181_9 Depth=1
	v_mad_u64_u32 v[8:9], null, s4, v1, 0
	v_mov_b32_e32 v2, v9
	v_mad_u64_u32 v[1:2], null, s5, v1, v[2:3]
	v_mov_b32_e32 v9, v1
	v_lshlrev_b64 v[1:2], 3, v[8:9]
	v_add_co_u32 v1, s0, s12, v1
	v_add_co_ci_u32_e64 v2, null, s13, v2, s0
	global_load_dwordx2 v[1:2], v[1:2], off
	s_waitcnt vmcnt(0)
	v_cmp_o_f64_e64 s0, v[1:2], v[1:2]
	v_ashrrev_i32_e32 v8, 31, v2
	v_or_b32_e32 v9, 0x80000000, v8
	v_xor_b32_e32 v1, v8, v1
	v_xor_b32_e32 v9, v9, v2
	v_cndmask_b32_e64 v2, -1, v9, s0
	v_cndmask_b32_e64 v1, -1, v1, s0
	v_xor_b32_e32 v8, s3, v2
	v_xor_b32_e32 v10, s2, v1
	v_and_b32_e32 v9, s9, v8
	v_and_b32_e32 v8, s8, v10
	v_cmp_eq_u64_e64 s0, 0, v[8:9]
	s_and_b32 exec_lo, exec_lo, s0
	s_cbranch_execz .LBB181_8
; %bb.14:                               ;   in Loop: Header=BB181_9 Depth=1
	v_lshrrev_b64 v[1:2], s10, v[1:2]
	v_lshlrev_b32_sdwa v1, v6, v1 dst_sel:DWORD dst_unused:UNUSED_PAD src0_sel:DWORD src1_sel:BYTE_0
	ds_add_u32 v1, v5
	s_branch .LBB181_8
.LBB181_15:
	s_lshl_b32 s19, s14, 8
.LBB181_16:
	s_bitcmp0_b32 s1, 0
	s_cbranch_scc1 .LBB181_21
; %bb.17:
	v_add_nc_u32_e32 v1, s19, v4
	s_mov_b32 s1, exec_lo
	v_cmpx_gt_u32_e64 s11, v1
	s_cbranch_execz .LBB181_20
; %bb.18:
	v_mad_u64_u32 v[4:5], null, s4, v1, 0
	v_mov_b32_e32 v2, v5
	v_mad_u64_u32 v[1:2], null, s5, v1, v[2:3]
	v_mov_b32_e32 v5, v1
	v_lshlrev_b64 v[1:2], 3, v[4:5]
	v_add_co_u32 v1, s0, s12, v1
	v_add_co_ci_u32_e64 v2, null, s13, v2, s0
	global_load_dwordx2 v[1:2], v[1:2], off
	s_waitcnt vmcnt(0)
	v_cmp_o_f64_e64 s0, v[1:2], v[1:2]
	v_ashrrev_i32_e32 v4, 31, v2
	v_or_b32_e32 v5, 0x80000000, v4
	v_xor_b32_e32 v1, v4, v1
	v_xor_b32_e32 v5, v5, v2
	v_cndmask_b32_e64 v2, -1, v5, s0
	v_cndmask_b32_e64 v1, -1, v1, s0
	v_xor_b32_e32 v4, s3, v2
	v_xor_b32_e32 v6, s2, v1
	v_and_b32_e32 v5, s9, v4
	v_and_b32_e32 v4, s8, v6
	v_cmp_eq_u64_e64 s0, 0, v[4:5]
	s_and_b32 exec_lo, exec_lo, s0
	s_cbranch_execz .LBB181_20
; %bb.19:
	v_lshrrev_b64 v[1:2], s10, v[1:2]
	v_mov_b32_e32 v2, 2
	v_lshlrev_b32_sdwa v1, v2, v1 dst_sel:DWORD dst_unused:UNUSED_PAD src0_sel:DWORD src1_sel:BYTE_0
	v_mov_b32_e32 v2, 1
	ds_add_u32 v1, v2
.LBB181_20:
	s_or_b32 exec_lo, exec_lo, s1
.LBB181_21:
	s_waitcnt lgkmcnt(0)
	s_barrier
	buffer_gl0_inv
	s_and_saveexec_b32 s0, vcc_lo
	s_cbranch_execz .LBB181_23
; %bb.22:
	ds_read_b32 v2, v3
	v_lshl_or_b32 v0, s18, 8, v0
	v_mov_b32_e32 v1, 0
	v_lshlrev_b64 v[0:1], 1, v[0:1]
	v_add_co_u32 v0, vcc_lo, s6, v0
	v_add_co_ci_u32_e64 v1, null, s7, v1, vcc_lo
	s_waitcnt lgkmcnt(0)
	global_store_short v[0:1], v2, off
.LBB181_23:
	s_endpgm
	.section	.rodata,"a",@progbits
	.p2align	6, 0x0
	.amdhsa_kernel _ZN2at6native6mbtopk23computeBlockDigitCountsIdmmLi2EEEvNS_4cuda6detail10TensorInfoIKT_T0_EEjPjjS8_iijT1_PSB_Ps
		.amdhsa_group_segment_fixed_size 1024
		.amdhsa_private_segment_fixed_size 0
		.amdhsa_kernarg_size 744
		.amdhsa_user_sgpr_count 6
		.amdhsa_user_sgpr_private_segment_buffer 1
		.amdhsa_user_sgpr_dispatch_ptr 0
		.amdhsa_user_sgpr_queue_ptr 0
		.amdhsa_user_sgpr_kernarg_segment_ptr 1
		.amdhsa_user_sgpr_dispatch_id 0
		.amdhsa_user_sgpr_flat_scratch_init 0
		.amdhsa_user_sgpr_private_segment_size 0
		.amdhsa_wavefront_size32 1
		.amdhsa_uses_dynamic_stack 0
		.amdhsa_system_sgpr_private_segment_wavefront_offset 0
		.amdhsa_system_sgpr_workgroup_id_x 1
		.amdhsa_system_sgpr_workgroup_id_y 1
		.amdhsa_system_sgpr_workgroup_id_z 1
		.amdhsa_system_sgpr_workgroup_info 0
		.amdhsa_system_vgpr_workitem_id 0
		.amdhsa_next_free_vgpr 11
		.amdhsa_next_free_sgpr 27
		.amdhsa_reserve_vcc 1
		.amdhsa_reserve_flat_scratch 0
		.amdhsa_float_round_mode_32 0
		.amdhsa_float_round_mode_16_64 0
		.amdhsa_float_denorm_mode_32 3
		.amdhsa_float_denorm_mode_16_64 3
		.amdhsa_dx10_clamp 1
		.amdhsa_ieee_mode 1
		.amdhsa_fp16_overflow 0
		.amdhsa_workgroup_processor_mode 1
		.amdhsa_memory_ordered 1
		.amdhsa_forward_progress 1
		.amdhsa_shared_vgpr_count 0
		.amdhsa_exception_fp_ieee_invalid_op 0
		.amdhsa_exception_fp_denorm_src 0
		.amdhsa_exception_fp_ieee_div_zero 0
		.amdhsa_exception_fp_ieee_overflow 0
		.amdhsa_exception_fp_ieee_underflow 0
		.amdhsa_exception_fp_ieee_inexact 0
		.amdhsa_exception_int_div_zero 0
	.end_amdhsa_kernel
	.section	.text._ZN2at6native6mbtopk23computeBlockDigitCountsIdmmLi2EEEvNS_4cuda6detail10TensorInfoIKT_T0_EEjPjjS8_iijT1_PSB_Ps,"axG",@progbits,_ZN2at6native6mbtopk23computeBlockDigitCountsIdmmLi2EEEvNS_4cuda6detail10TensorInfoIKT_T0_EEjPjjS8_iijT1_PSB_Ps,comdat
.Lfunc_end181:
	.size	_ZN2at6native6mbtopk23computeBlockDigitCountsIdmmLi2EEEvNS_4cuda6detail10TensorInfoIKT_T0_EEjPjjS8_iijT1_PSB_Ps, .Lfunc_end181-_ZN2at6native6mbtopk23computeBlockDigitCountsIdmmLi2EEEvNS_4cuda6detail10TensorInfoIKT_T0_EEjPjjS8_iijT1_PSB_Ps
                                        ; -- End function
	.set _ZN2at6native6mbtopk23computeBlockDigitCountsIdmmLi2EEEvNS_4cuda6detail10TensorInfoIKT_T0_EEjPjjS8_iijT1_PSB_Ps.num_vgpr, 11
	.set _ZN2at6native6mbtopk23computeBlockDigitCountsIdmmLi2EEEvNS_4cuda6detail10TensorInfoIKT_T0_EEjPjjS8_iijT1_PSB_Ps.num_agpr, 0
	.set _ZN2at6native6mbtopk23computeBlockDigitCountsIdmmLi2EEEvNS_4cuda6detail10TensorInfoIKT_T0_EEjPjjS8_iijT1_PSB_Ps.numbered_sgpr, 27
	.set _ZN2at6native6mbtopk23computeBlockDigitCountsIdmmLi2EEEvNS_4cuda6detail10TensorInfoIKT_T0_EEjPjjS8_iijT1_PSB_Ps.num_named_barrier, 0
	.set _ZN2at6native6mbtopk23computeBlockDigitCountsIdmmLi2EEEvNS_4cuda6detail10TensorInfoIKT_T0_EEjPjjS8_iijT1_PSB_Ps.private_seg_size, 0
	.set _ZN2at6native6mbtopk23computeBlockDigitCountsIdmmLi2EEEvNS_4cuda6detail10TensorInfoIKT_T0_EEjPjjS8_iijT1_PSB_Ps.uses_vcc, 1
	.set _ZN2at6native6mbtopk23computeBlockDigitCountsIdmmLi2EEEvNS_4cuda6detail10TensorInfoIKT_T0_EEjPjjS8_iijT1_PSB_Ps.uses_flat_scratch, 0
	.set _ZN2at6native6mbtopk23computeBlockDigitCountsIdmmLi2EEEvNS_4cuda6detail10TensorInfoIKT_T0_EEjPjjS8_iijT1_PSB_Ps.has_dyn_sized_stack, 0
	.set _ZN2at6native6mbtopk23computeBlockDigitCountsIdmmLi2EEEvNS_4cuda6detail10TensorInfoIKT_T0_EEjPjjS8_iijT1_PSB_Ps.has_recursion, 0
	.set _ZN2at6native6mbtopk23computeBlockDigitCountsIdmmLi2EEEvNS_4cuda6detail10TensorInfoIKT_T0_EEjPjjS8_iijT1_PSB_Ps.has_indirect_call, 0
	.section	.AMDGPU.csdata,"",@progbits
; Kernel info:
; codeLenInByte = 1256
; TotalNumSgprs: 29
; NumVgprs: 11
; ScratchSize: 0
; MemoryBound: 0
; FloatMode: 240
; IeeeMode: 1
; LDSByteSize: 1024 bytes/workgroup (compile time only)
; SGPRBlocks: 0
; VGPRBlocks: 1
; NumSGPRsForWavesPerEU: 29
; NumVGPRsForWavesPerEU: 11
; Occupancy: 16
; WaveLimiterHint : 1
; COMPUTE_PGM_RSRC2:SCRATCH_EN: 0
; COMPUTE_PGM_RSRC2:USER_SGPR: 6
; COMPUTE_PGM_RSRC2:TRAP_HANDLER: 0
; COMPUTE_PGM_RSRC2:TGID_X_EN: 1
; COMPUTE_PGM_RSRC2:TGID_Y_EN: 1
; COMPUTE_PGM_RSRC2:TGID_Z_EN: 1
; COMPUTE_PGM_RSRC2:TIDIG_COMP_CNT: 0
	.section	.text._ZN2at6native6mbtopk10gatherTopKIdmLi2EEEvNS_4cuda6detail10TensorInfoIKT_T0_EES8_S8_bjS8_NS5_IS6_S8_EES8_NS5_IlS8_EES8_jjPS6_PjSD_j,"axG",@progbits,_ZN2at6native6mbtopk10gatherTopKIdmLi2EEEvNS_4cuda6detail10TensorInfoIKT_T0_EES8_S8_bjS8_NS5_IS6_S8_EES8_NS5_IlS8_EES8_jjPS6_PjSD_j,comdat
	.protected	_ZN2at6native6mbtopk10gatherTopKIdmLi2EEEvNS_4cuda6detail10TensorInfoIKT_T0_EES8_S8_bjS8_NS5_IS6_S8_EES8_NS5_IlS8_EES8_jjPS6_PjSD_j ; -- Begin function _ZN2at6native6mbtopk10gatherTopKIdmLi2EEEvNS_4cuda6detail10TensorInfoIKT_T0_EES8_S8_bjS8_NS5_IS6_S8_EES8_NS5_IlS8_EES8_jjPS6_PjSD_j
	.globl	_ZN2at6native6mbtopk10gatherTopKIdmLi2EEEvNS_4cuda6detail10TensorInfoIKT_T0_EES8_S8_bjS8_NS5_IS6_S8_EES8_NS5_IlS8_EES8_jjPS6_PjSD_j
	.p2align	8
	.type	_ZN2at6native6mbtopk10gatherTopKIdmLi2EEEvNS_4cuda6detail10TensorInfoIKT_T0_EES8_S8_bjS8_NS5_IS6_S8_EES8_NS5_IlS8_EES8_jjPS6_PjSD_j,@function
_ZN2at6native6mbtopk10gatherTopKIdmLi2EEEvNS_4cuda6detail10TensorInfoIKT_T0_EES8_S8_bjS8_NS5_IS6_S8_EES8_NS5_IlS8_EES8_jjPS6_PjSD_j: ; @_ZN2at6native6mbtopk10gatherTopKIdmLi2EEEvNS_4cuda6detail10TensorInfoIKT_T0_EES8_S8_bjS8_NS5_IS6_S8_EES8_NS5_IlS8_EES8_jjPS6_PjSD_j
; %bb.0:
	s_clause 0x1
	s_load_dwordx2 s[0:1], s[4:5], 0x538
	s_load_dword s2, s[4:5], 0x530
	s_waitcnt lgkmcnt(0)
	s_mul_i32 s1, s1, s8
	s_add_i32 s1, s1, s7
	s_mul_i32 s0, s1, s0
	s_add_i32 s0, s0, s6
	s_cmp_ge_u32 s0, s2
	s_cbranch_scc1 .LBB182_48
; %bb.1:
	s_clause 0x3
	s_load_dwordx2 s[6:7], s[4:5], 0x510
	s_load_dwordx2 s[38:39], s[4:5], 0x1d0
	s_load_dwordx4 s[8:11], s[4:5], 0x1a0
	s_load_dwordx2 s[36:37], s[4:5], 0x10
	s_mov_b32 s35, 0
	s_waitcnt lgkmcnt(0)
	v_cvt_f32_u32_e32 v1, s7
	s_sub_i32 s2, 0, s7
	s_lshl_b32 s33, s6, 8
	v_rcp_iflag_f32_e32 v1, v1
	v_mul_f32_e32 v1, 0x4f7ffffe, v1
	v_cvt_u32_f32_e32 v1, v1
	v_readfirstlane_b32 s1, v1
	s_mul_i32 s2, s2, s1
	s_mul_hi_u32 s2, s1, s2
	s_add_i32 s1, s1, s2
	s_mul_hi_u32 s1, s0, s1
	s_mul_i32 s2, s1, s7
	s_add_i32 s3, s1, 1
	s_sub_i32 s2, s0, s2
	s_sub_i32 s12, s2, s7
	s_cmp_ge_u32 s2, s7
	s_cselect_b32 s1, s3, s1
	s_cselect_b32 s2, s12, s2
	s_add_i32 s3, s1, 1
	s_cmp_ge_u32 s2, s7
	s_cselect_b32 s34, s3, s1
	s_mul_i32 s16, s34, s7
	s_sub_i32 s52, s0, s16
	s_add_i32 s0, s52, 1
	s_cmp_lt_u32 s0, s7
	s_cbranch_scc1 .LBB182_3
; %bb.2:
	s_mul_i32 s0, s52, s33
	s_sub_u32 s0, s8, s0
	s_subb_u32 s1, s9, 0
	s_add_u32 s0, s0, 0xff
	s_addc_u32 s1, s1, 0
	s_ashr_i32 s2, s1, 31
	s_lshr_b32 s2, s2, 24
	s_add_u32 s0, s0, s2
	s_addc_u32 s1, s1, 0
	s_lshr_b64 s[0:1], s[0:1], 8
	s_mov_b32 s6, s0
.LBB182_3:
	s_load_dwordx2 s[40:41], s[4:5], 0x378
	v_cmp_lt_u64_e64 s0, s[34:35], s[36:37]
	s_mov_b64 s[42:43], 0
	s_mov_b64 s[44:45], 0
	s_and_b32 vcc_lo, exec_lo, s0
	s_cbranch_vccz .LBB182_20
; %bb.4:
	v_cmp_lt_u64_e64 s0, s[34:35], s[38:39]
	s_and_b32 vcc_lo, exec_lo, s0
	s_cbranch_vccz .LBB182_21
.LBB182_5:
	s_waitcnt lgkmcnt(0)
	v_cmp_lt_u64_e64 s0, s[34:35], s[40:41]
	s_mov_b64 s[46:47], 0
	s_and_b32 vcc_lo, exec_lo, s0
	s_cbranch_vccnz .LBB182_7
.LBB182_6:
	v_cvt_f32_u32_e32 v1, s40
	s_sub_i32 s1, 0, s40
	v_rcp_iflag_f32_e32 v1, v1
	v_mul_f32_e32 v1, 0x4f7ffffe, v1
	v_cvt_u32_f32_e32 v1, v1
	v_readfirstlane_b32 s0, v1
	s_mul_i32 s1, s1, s0
	s_mul_hi_u32 s1, s0, s1
	s_add_i32 s0, s0, s1
	s_mul_hi_u32 s0, s34, s0
	s_mul_i32 s1, s0, s40
	s_add_i32 s2, s0, 1
	s_sub_i32 s1, s34, s1
	s_sub_i32 s3, s1, s40
	s_cmp_ge_u32 s1, s40
	s_cselect_b32 s0, s2, s0
	s_cselect_b32 s1, s3, s1
	s_add_i32 s2, s0, 1
	s_cmp_ge_u32 s1, s40
	s_cselect_b32 s46, s2, s0
.LBB182_7:
	s_load_dwordx4 s[0:3], s[4:5], 0x518
	s_lshl_b64 s[12:13], s[34:35], 3
	s_mov_b32 s17, 0
	s_waitcnt lgkmcnt(0)
	s_add_u32 s0, s0, s12
	s_addc_u32 s1, s1, s13
	s_load_dwordx2 s[50:51], s[4:5], 0x0
	s_load_dwordx2 s[48:49], s[0:1], 0x0
	v_cmp_ne_u32_e64 s0, 0, v0
	v_cmp_eq_u32_e64 s1, 0, v0
	s_and_saveexec_b32 s24, s1
	s_cbranch_execz .LBB182_25
; %bb.8:
	s_load_dwordx2 s[18:19], s[4:5], 0x528
	s_lshl_b64 s[20:21], s[16:17], 2
	s_mov_b32 s16, 0
	s_add_u32 s12, s2, s20
	s_addc_u32 s13, s3, s21
	s_mov_b32 s25, 0
	s_waitcnt lgkmcnt(0)
	s_add_u32 s14, s18, s20
	s_addc_u32 s15, s19, s21
	s_cmp_lt_u32 s7, 4
	s_cbranch_scc1 .LBB182_22
; %bb.9:
	s_mov_b32 s26, 0
.LBB182_10:                             ; =>This Inner Loop Header: Depth=1
	s_add_u32 s12, s2, s20
	s_addc_u32 s13, s3, s21
	s_add_u32 s22, s18, s20
	s_load_dwordx4 s[12:15], s[12:13], 0x0
	s_addc_u32 s23, s19, s21
	s_cmp_ge_u32 s26, s52
	s_cbranch_scc0 .LBB182_17
; %bb.11:                               ;   in Loop: Header=BB182_10 Depth=1
	s_add_i32 s27, s26, 1
	s_cmp_ge_u32 s27, s52
	s_cbranch_scc0 .LBB182_18
.LBB182_12:                             ;   in Loop: Header=BB182_10 Depth=1
	s_add_i32 s27, s27, 1
	s_cmp_ge_u32 s27, s52
	s_cbranch_scc0 .LBB182_19
.LBB182_13:                             ;   in Loop: Header=BB182_10 Depth=1
	s_add_i32 s27, s27, 1
	s_cmp_ge_u32 s27, s52
	s_cbranch_scc1 .LBB182_15
.LBB182_14:                             ;   in Loop: Header=BB182_10 Depth=1
	s_load_dword s22, s[22:23], 0xc
	s_waitcnt lgkmcnt(0)
	s_add_i32 s17, s17, s15
	s_add_i32 s16, s22, s16
.LBB182_15:                             ;   in Loop: Header=BB182_10 Depth=1
	s_waitcnt lgkmcnt(0)
	s_add_i32 s12, s12, s25
	s_add_i32 s12, s12, s13
	;; [unrolled: 1-line block ×4, first 2 shown]
	s_add_u32 s2, s2, 16
	s_addc_u32 s3, s3, 0
	s_add_u32 s18, s18, 16
	s_addc_u32 s19, s19, 0
	s_add_i32 s23, s27, 4
	s_add_u32 s14, s18, s20
	s_addc_u32 s15, s19, s21
	s_add_u32 s12, s2, s20
	s_addc_u32 s13, s3, s21
	s_add_i32 s22, s27, 1
	s_cmp_ge_u32 s23, s7
	s_cbranch_scc1 .LBB182_23
; %bb.16:                               ;   in Loop: Header=BB182_10 Depth=1
	s_mov_b32 s26, s22
	s_branch .LBB182_10
.LBB182_17:                             ;   in Loop: Header=BB182_10 Depth=1
	s_load_dword s27, s[22:23], 0x0
	s_waitcnt lgkmcnt(0)
	s_add_i32 s17, s12, s17
	s_add_i32 s16, s27, s16
	;; [unrolled: 1-line block ×3, first 2 shown]
	s_cmp_ge_u32 s27, s52
	s_cbranch_scc1 .LBB182_12
.LBB182_18:                             ;   in Loop: Header=BB182_10 Depth=1
	s_load_dword s28, s[22:23], 0x4
	s_waitcnt lgkmcnt(0)
	s_add_i32 s17, s17, s13
	s_add_i32 s16, s28, s16
	;; [unrolled: 1-line block ×3, first 2 shown]
	s_cmp_ge_u32 s27, s52
	s_cbranch_scc1 .LBB182_13
.LBB182_19:                             ;   in Loop: Header=BB182_10 Depth=1
	s_load_dword s28, s[22:23], 0x8
	s_waitcnt lgkmcnt(0)
	s_add_i32 s17, s17, s14
	s_add_i32 s16, s28, s16
	s_add_i32 s27, s27, 1
	s_cmp_ge_u32 s27, s52
	s_cbranch_scc0 .LBB182_14
	s_branch .LBB182_15
.LBB182_20:
	v_cvt_f32_u32_e32 v1, s36
	s_sub_i32 s1, 0, s36
	v_rcp_iflag_f32_e32 v1, v1
	v_mul_f32_e32 v1, 0x4f7ffffe, v1
	v_cvt_u32_f32_e32 v1, v1
	v_readfirstlane_b32 s0, v1
	s_mul_i32 s1, s1, s0
	s_mul_hi_u32 s1, s0, s1
	s_add_i32 s0, s0, s1
	s_mul_hi_u32 s0, s34, s0
	s_mul_i32 s1, s0, s36
	s_add_i32 s2, s0, 1
	s_sub_i32 s1, s34, s1
	s_sub_i32 s3, s1, s36
	s_cmp_ge_u32 s1, s36
	s_cselect_b32 s0, s2, s0
	s_cselect_b32 s1, s3, s1
	s_add_i32 s2, s0, 1
	s_cmp_ge_u32 s1, s36
	s_cselect_b32 s44, s2, s0
	v_cmp_lt_u64_e64 s0, s[34:35], s[38:39]
	s_and_b32 vcc_lo, exec_lo, s0
	s_cbranch_vccnz .LBB182_5
.LBB182_21:
	v_cvt_f32_u32_e32 v1, s38
	s_sub_i32 s1, 0, s38
	v_rcp_iflag_f32_e32 v1, v1
	v_mul_f32_e32 v1, 0x4f7ffffe, v1
	v_cvt_u32_f32_e32 v1, v1
	v_readfirstlane_b32 s0, v1
	s_mul_i32 s1, s1, s0
	s_mul_hi_u32 s1, s0, s1
	s_add_i32 s0, s0, s1
	s_mul_hi_u32 s0, s34, s0
	s_mul_i32 s1, s0, s38
	s_add_i32 s2, s0, 1
	s_sub_i32 s1, s34, s1
	s_sub_i32 s3, s1, s38
	s_cmp_ge_u32 s1, s38
	s_cselect_b32 s0, s2, s0
	s_cselect_b32 s1, s3, s1
	s_add_i32 s2, s0, 1
	s_cmp_ge_u32 s1, s38
	s_cselect_b32 s42, s2, s0
	s_waitcnt lgkmcnt(0)
	v_cmp_lt_u64_e64 s0, s[34:35], s[40:41]
	s_mov_b64 s[46:47], 0
	s_and_b32 vcc_lo, exec_lo, s0
	s_cbranch_vccz .LBB182_6
	s_branch .LBB182_7
.LBB182_22:
	s_mov_b32 s2, 0
	s_cmp_ge_u32 s2, s7
	s_cbranch_scc0 .LBB182_46
	s_branch .LBB182_24
.LBB182_23:
	s_add_i32 s2, s26, 4
	s_cmp_ge_u32 s2, s7
	s_cbranch_scc0 .LBB182_46
.LBB182_24:
	v_mov_b32_e32 v1, s16
	v_mov_b32_e32 v2, s25
	;; [unrolled: 1-line block ×4, first 2 shown]
	ds_write_b96 v4, v[1:3] offset:1056
.LBB182_25:
	s_or_b32 exec_lo, exec_lo, s24
	s_clause 0x4
	s_load_dwordx4 s[12:15], s[4:5], 0x1b8
	s_load_dwordx4 s[28:31], s[4:5], 0xd0
	;; [unrolled: 1-line block ×5, first 2 shown]
	s_cmp_eq_u32 s6, 0
	s_waitcnt lgkmcnt(0)
	s_barrier
	buffer_gl0_inv
	s_cbranch_scc1 .LBB182_48
; %bb.26:
	s_mul_i32 s2, s42, s39
	s_mul_hi_u32 s3, s42, s38
	s_mul_i32 s7, s42, s38
	s_add_i32 s3, s3, s2
	s_sub_u32 s2, s34, s7
	s_subb_u32 s3, 0, s3
	s_mul_i32 s7, s2, s27
	s_mul_hi_u32 s27, s2, s26
	s_mul_i32 s3, s3, s26
	s_add_i32 s7, s27, s7
	s_mul_i32 s25, s42, s25
	s_mul_hi_u32 s27, s42, s24
	s_add_i32 s3, s7, s3
	s_add_i32 s25, s27, s25
	s_mul_i32 s7, s44, s37
	s_mul_hi_u32 s27, s44, s36
	s_mul_i32 s35, s44, s36
	s_add_i32 s27, s27, s7
	s_sub_u32 s7, s34, s35
	s_mul_i32 s2, s2, s26
	s_mul_i32 s26, s7, s31
	s_mul_hi_u32 s31, s7, s30
	s_subb_u32 s27, 0, s27
	s_add_i32 s26, s31, s26
	s_mul_i32 s27, s27, s30
	s_mul_i32 s29, s44, s29
	s_mul_hi_u32 s31, s44, s28
	s_add_i32 s27, s26, s27
	s_add_i32 s29, s31, s29
	s_mul_i32 s26, s46, s41
	s_mul_hi_u32 s31, s46, s40
	s_mul_i32 s35, s46, s40
	s_add_i32 s31, s31, s26
	s_sub_u32 s34, s34, s35
	s_mul_i32 s26, s7, s30
	s_mul_i32 s7, s34, s23
	s_mul_hi_u32 s23, s34, s22
	s_subb_u32 s30, 0, s31
	s_add_i32 s7, s23, s7
	s_mul_i32 s30, s30, s22
	s_mul_i32 s28, s44, s28
	s_add_i32 s31, s7, s30
	s_mul_i32 s7, s46, s21
	s_mul_hi_u32 s21, s46, s20
	s_lshl_b64 s[28:29], s[28:29], 3
	s_add_i32 s35, s21, s7
	v_cmp_o_f64_e64 s23, s[48:49], s[48:49]
	s_add_u32 s7, s50, s28
	s_addc_u32 s21, s51, s29
	s_lshl_b64 s[26:27], s[26:27], 3
	s_mul_i32 s24, s42, s24
	s_add_u32 s7, s7, s26
	v_mov_b32_e32 v5, 0
	s_addc_u32 s21, s21, s27
	s_lshl_b64 s[24:25], s[24:25], 3
	s_mul_i32 s30, s34, s22
	s_add_u32 s14, s14, s24
	s_addc_u32 s15, s15, s25
	s_lshl_b64 s[2:3], s[2:3], 3
	s_mul_i32 s34, s46, s20
	ds_read_b96 v[1:3], v5 offset:1056
	s_add_u32 s20, s14, s2
	s_addc_u32 s22, s15, s3
	s_lshl_b64 s[2:3], s[34:35], 3
	v_add_nc_u32_e32 v4, -1, v0
	s_add_u32 s14, s18, s2
	s_addc_u32 s15, s19, s3
	s_lshl_b64 s[2:3], s[30:31], 3
	v_lshrrev_b32_e32 v6, 3, v0
	s_add_u32 s18, s14, s2
	s_addc_u32 s19, s15, s3
	s_ashr_i32 s2, s49, 31
	v_lshrrev_b32_e32 v7, 3, v4
	s_or_b32 s3, s2, 0x80000000
	v_and_b32_e32 v8, 0xfc, v0
	s_xor_b64 s[2:3], s[2:3], s[48:49]
	s_and_b32 s14, s23, exec_lo
	s_cselect_b32 s15, s3, -1
	s_clause 0x1
	s_load_dword s3, s[4:5], 0x1b0
	s_load_dwordx2 s[4:5], s[4:5], 0x508
	s_waitcnt lgkmcnt(0)
	v_add_nc_u32_e32 v1, v1, v2
	v_and_b32_e32 v2, 28, v6
	v_and_b32_e32 v12, 0x1ffffffc, v7
	v_lshlrev_b32_e32 v9, 5, v0
	v_mbcnt_lo_u32_b32 v10, -1, 0
	v_mad_u64_u32 v[6:7], null, s52, s33, v[0:1]
	s_cselect_b32 s14, s2, -1
	v_lshl_add_u32 v11, v0, 2, v2
	v_cmp_gt_u32_e64 s2, 32, v0
	v_lshl_add_u32 v0, v4, 2, v12
	v_add_nc_u32_e32 v12, v8, v9
	v_and_b32_e32 v13, 15, v10
	v_bfe_i32 v14, v10, 4, 1
	v_add_nc_u32_e32 v15, -1, v10
	v_mov_b32_e32 v4, v6
                                        ; implicit-def: $vgpr6_vgpr7
	s_bitcmp1_b32 s3, 0
	s_cselect_b32 s3, -1, 0
	s_branch .LBB182_29
.LBB182_27:                             ;   in Loop: Header=BB182_29 Depth=1
	s_or_b32 exec_lo, exec_lo, s23
	v_add_nc_u32_e32 v1, v2, v1
.LBB182_28:                             ;   in Loop: Header=BB182_29 Depth=1
	v_add_nc_u32_e32 v3, v16, v3
	v_add_nc_u32_e32 v4, 0x100, v4
	s_add_i32 s6, s6, -1
	s_cmp_lg_u32 s6, 0
	s_cbranch_scc0 .LBB182_48
.LBB182_29:                             ; =>This Inner Loop Header: Depth=1
	v_mov_b32_e32 v2, v5
	v_mov_b32_e32 v8, v5
	s_mov_b32 s23, exec_lo
	v_cmpx_gt_u64_e64 s[8:9], v[4:5]
	s_cbranch_execz .LBB182_31
; %bb.30:                               ;   in Loop: Header=BB182_29 Depth=1
	v_mad_u64_u32 v[6:7], null, s12, v4, 0
	v_mov_b32_e32 v2, v7
	v_mad_u64_u32 v[7:8], null, s13, v4, v[2:3]
	v_lshlrev_b64 v[6:7], 3, v[6:7]
	v_add_co_u32 v6, vcc_lo, s7, v6
	v_add_co_ci_u32_e64 v7, null, s21, v7, vcc_lo
	global_load_dwordx2 v[6:7], v[6:7], off
	s_waitcnt vmcnt(0)
	v_cmp_o_f64_e32 vcc_lo, v[6:7], v[6:7]
	v_ashrrev_i32_e32 v2, 31, v7
	v_or_b32_e32 v8, 0x80000000, v2
	v_xor_b32_e32 v2, v2, v6
	v_xor_b32_e32 v8, v8, v7
	v_cndmask_b32_e32 v9, -1, v8, vcc_lo
	v_cndmask_b32_e32 v8, -1, v2, vcc_lo
	v_cmp_lt_u64_e32 vcc_lo, s[14:15], v[8:9]
	v_cndmask_b32_e64 v2, 0, 1, vcc_lo
	v_cmp_gt_u64_e32 vcc_lo, s[14:15], v[8:9]
	v_cndmask_b32_e64 v16, 0, 1, vcc_lo
	v_cmp_eq_u64_e32 vcc_lo, s[14:15], v[8:9]
	v_cndmask_b32_e64 v2, v16, v2, s3
	v_cndmask_b32_e64 v8, 0, 1, vcc_lo
	v_and_b32_e32 v2, 1, v2
.LBB182_31:                             ;   in Loop: Header=BB182_29 Depth=1
	s_or_b32 exec_lo, exec_lo, s23
	ds_write_b32 v11, v2
	s_waitcnt lgkmcnt(0)
	s_barrier
	buffer_gl0_inv
	s_and_saveexec_b32 s23, s2
	s_cbranch_execz .LBB182_33
; %bb.32:                               ;   in Loop: Header=BB182_29 Depth=1
	ds_read2_b32 v[16:17], v12 offset1:1
	ds_read2_b32 v[18:19], v12 offset0:2 offset1:3
	ds_read2_b32 v[20:21], v12 offset0:4 offset1:5
	;; [unrolled: 1-line block ×3, first 2 shown]
	v_cmp_ne_u32_e32 vcc_lo, 0, v13
	; wave barrier
	s_waitcnt lgkmcnt(3)
	v_add_nc_u32_e32 v9, v17, v16
	s_waitcnt lgkmcnt(2)
	v_add3_u32 v9, v9, v18, v19
	s_waitcnt lgkmcnt(1)
	v_add3_u32 v9, v9, v20, v21
	;; [unrolled: 2-line block ×3, first 2 shown]
	v_mov_b32_dpp v17, v9 row_shr:1 row_mask:0xf bank_mask:0xf
	v_cndmask_b32_e32 v17, 0, v17, vcc_lo
	v_cmp_lt_u32_e32 vcc_lo, 1, v13
	v_add_nc_u32_e32 v9, v17, v9
	v_mov_b32_dpp v17, v9 row_shr:2 row_mask:0xf bank_mask:0xf
	v_cndmask_b32_e32 v17, 0, v17, vcc_lo
	v_cmp_lt_u32_e32 vcc_lo, 3, v13
	v_add_nc_u32_e32 v9, v9, v17
	;; [unrolled: 4-line block ×3, first 2 shown]
	v_mov_b32_dpp v17, v9 row_shr:8 row_mask:0xf bank_mask:0xf
	v_cndmask_b32_e32 v17, 0, v17, vcc_lo
	v_cmp_gt_i32_e32 vcc_lo, 0, v15
	v_add_nc_u32_e32 v9, v9, v17
	v_cndmask_b32_e32 v18, v15, v10, vcc_lo
	ds_swizzle_b32 v17, v9 offset:swizzle(BROADCAST,32,15)
	v_lshlrev_b32_e32 v18, 2, v18
	s_waitcnt lgkmcnt(0)
	v_and_b32_e32 v17, v14, v17
	v_add_nc_u32_e32 v9, v9, v17
	ds_bpermute_b32 v9, v18, v9
	s_waitcnt lgkmcnt(0)
	v_add_nc_u32_e32 v9, v9, v16
	v_cndmask_b32_e64 v9, v9, v2, s1
	ds_write_b32 v12, v9
	; wave barrier
	ds_read2_b32 v[16:17], v12 offset0:1 offset1:2
	ds_read2_b32 v[18:19], v12 offset0:3 offset1:4
	;; [unrolled: 1-line block ×3, first 2 shown]
	ds_read_b32 v22, v12 offset:28
	s_waitcnt lgkmcnt(3)
	v_add_nc_u32_e32 v9, v16, v9
	v_add_nc_u32_e32 v16, v17, v9
	s_waitcnt lgkmcnt(2)
	v_add_nc_u32_e32 v17, v18, v16
	v_add_nc_u32_e32 v18, v19, v17
	;; [unrolled: 3-line block ×3, first 2 shown]
	s_waitcnt lgkmcnt(0)
	v_add_nc_u32_e32 v21, v22, v20
	ds_write2_b32 v12, v9, v16 offset0:1 offset1:2
	ds_write2_b32 v12, v17, v18 offset0:3 offset1:4
	;; [unrolled: 1-line block ×3, first 2 shown]
	ds_write_b32 v12, v21 offset:28
.LBB182_33:                             ;   in Loop: Header=BB182_29 Depth=1
	s_or_b32 exec_lo, exec_lo, s23
	v_mov_b32_e32 v9, 0
	s_waitcnt lgkmcnt(0)
	s_barrier
	buffer_gl0_inv
	s_and_saveexec_b32 s23, s0
; %bb.34:                               ;   in Loop: Header=BB182_29 Depth=1
	ds_read_b32 v9, v0
; %bb.35:                               ;   in Loop: Header=BB182_29 Depth=1
	s_or_b32 exec_lo, exec_lo, s23
	ds_read_b32 v16, v5 offset:1048
	s_mov_b32 s23, exec_lo
	s_waitcnt lgkmcnt(0)
	s_barrier
	buffer_gl0_inv
	v_cmpx_ne_u32_e32 0, v2
	s_cbranch_execz .LBB182_37
; %bb.36:                               ;   in Loop: Header=BB182_29 Depth=1
	v_add_nc_u32_e32 v22, v9, v3
	v_mad_u64_u32 v[17:18], null, s16, v22, 0
	v_mad_u64_u32 v[19:20], null, s4, v22, 0
	v_mov_b32_e32 v2, v18
	v_mov_b32_e32 v9, v20
	v_mad_u64_u32 v[20:21], null, s17, v22, v[2:3]
	v_mad_u64_u32 v[21:22], null, s5, v22, v[9:10]
	v_mov_b32_e32 v18, v20
	v_mov_b32_e32 v20, v21
	v_lshlrev_b64 v[17:18], 3, v[17:18]
	v_lshlrev_b64 v[19:20], 3, v[19:20]
	v_add_co_u32 v17, vcc_lo, s20, v17
	v_add_co_ci_u32_e64 v18, null, s22, v18, vcc_lo
	v_add_co_u32 v19, vcc_lo, s18, v19
	v_add_co_ci_u32_e64 v20, null, s19, v20, vcc_lo
	global_store_dwordx2 v[17:18], v[6:7], off
	global_store_dwordx2 v[19:20], v[4:5], off
.LBB182_37:                             ;   in Loop: Header=BB182_29 Depth=1
	s_or_b32 exec_lo, exec_lo, s23
	v_mov_b32_e32 v2, v5
	v_cmp_le_u64_e32 vcc_lo, s[10:11], v[1:2]
	s_cbranch_vccnz .LBB182_28
; %bb.38:                               ;   in Loop: Header=BB182_29 Depth=1
	ds_write_b32 v11, v8
	s_waitcnt lgkmcnt(0)
	s_waitcnt_vscnt null, 0x0
	s_barrier
	buffer_gl0_inv
	s_and_saveexec_b32 s23, s2
	s_cbranch_execz .LBB182_40
; %bb.39:                               ;   in Loop: Header=BB182_29 Depth=1
	ds_read2_b32 v[17:18], v12 offset1:1
	ds_read2_b32 v[19:20], v12 offset0:2 offset1:3
	ds_read2_b32 v[21:22], v12 offset0:4 offset1:5
	;; [unrolled: 1-line block ×3, first 2 shown]
	v_cmp_ne_u32_e32 vcc_lo, 0, v13
	; wave barrier
	s_waitcnt lgkmcnt(3)
	v_add_nc_u32_e32 v2, v18, v17
	s_waitcnt lgkmcnt(2)
	v_add3_u32 v2, v2, v19, v20
	s_waitcnt lgkmcnt(1)
	v_add3_u32 v2, v2, v21, v22
	;; [unrolled: 2-line block ×3, first 2 shown]
	v_mov_b32_dpp v9, v2 row_shr:1 row_mask:0xf bank_mask:0xf
	v_cndmask_b32_e32 v9, 0, v9, vcc_lo
	v_cmp_lt_u32_e32 vcc_lo, 1, v13
	v_add_nc_u32_e32 v2, v9, v2
	v_mov_b32_dpp v9, v2 row_shr:2 row_mask:0xf bank_mask:0xf
	v_cndmask_b32_e32 v9, 0, v9, vcc_lo
	v_cmp_lt_u32_e32 vcc_lo, 3, v13
	v_add_nc_u32_e32 v2, v2, v9
	;; [unrolled: 4-line block ×3, first 2 shown]
	v_mov_b32_dpp v9, v2 row_shr:8 row_mask:0xf bank_mask:0xf
	v_cndmask_b32_e32 v9, 0, v9, vcc_lo
	v_cmp_gt_i32_e32 vcc_lo, 0, v15
	v_add_nc_u32_e32 v2, v2, v9
	v_cndmask_b32_e32 v18, v15, v10, vcc_lo
	ds_swizzle_b32 v9, v2 offset:swizzle(BROADCAST,32,15)
	v_lshlrev_b32_e32 v18, 2, v18
	s_waitcnt lgkmcnt(0)
	v_and_b32_e32 v9, v14, v9
	v_add_nc_u32_e32 v2, v2, v9
	ds_bpermute_b32 v2, v18, v2
	s_waitcnt lgkmcnt(0)
	v_add_nc_u32_e32 v2, v2, v17
	v_cndmask_b32_e64 v2, v2, v8, s1
	ds_write_b32 v12, v2
	; wave barrier
	ds_read2_b32 v[17:18], v12 offset0:1 offset1:2
	ds_read2_b32 v[19:20], v12 offset0:3 offset1:4
	;; [unrolled: 1-line block ×3, first 2 shown]
	ds_read_b32 v9, v12 offset:28
	s_waitcnt lgkmcnt(3)
	v_add_nc_u32_e32 v2, v17, v2
	v_add_nc_u32_e32 v17, v18, v2
	s_waitcnt lgkmcnt(2)
	v_add_nc_u32_e32 v18, v19, v17
	v_add_nc_u32_e32 v19, v20, v18
	;; [unrolled: 3-line block ×3, first 2 shown]
	s_waitcnt lgkmcnt(0)
	v_add_nc_u32_e32 v9, v9, v21
	ds_write2_b32 v12, v2, v17 offset0:1 offset1:2
	ds_write2_b32 v12, v18, v19 offset0:3 offset1:4
	;; [unrolled: 1-line block ×3, first 2 shown]
	ds_write_b32 v12, v9 offset:28
.LBB182_40:                             ;   in Loop: Header=BB182_29 Depth=1
	s_or_b32 exec_lo, exec_lo, s23
	v_mov_b32_e32 v9, 0
	s_waitcnt lgkmcnt(0)
	s_barrier
	buffer_gl0_inv
	s_and_saveexec_b32 s23, s0
; %bb.41:                               ;   in Loop: Header=BB182_29 Depth=1
	ds_read_b32 v9, v0
; %bb.42:                               ;   in Loop: Header=BB182_29 Depth=1
	s_or_b32 exec_lo, exec_lo, s23
	ds_read_b32 v2, v5 offset:1048
	s_mov_b32 s23, exec_lo
	s_waitcnt lgkmcnt(0)
	s_barrier
	buffer_gl0_inv
	v_cmpx_ne_u32_e32 0, v8
	s_cbranch_execz .LBB182_27
; %bb.43:                               ;   in Loop: Header=BB182_29 Depth=1
	v_add_nc_u32_e32 v8, v9, v1
	v_mov_b32_e32 v9, v5
	v_cmp_gt_u64_e32 vcc_lo, s[10:11], v[8:9]
	s_and_b32 exec_lo, exec_lo, vcc_lo
	s_cbranch_execz .LBB182_27
; %bb.44:                               ;   in Loop: Header=BB182_29 Depth=1
	v_mad_u64_u32 v[17:18], null, s16, v8, 0
	v_mad_u64_u32 v[19:20], null, s4, v8, 0
	v_mov_b32_e32 v9, v18
	v_mov_b32_e32 v18, v20
	v_mad_u64_u32 v[20:21], null, s17, v8, v[9:10]
	v_mad_u64_u32 v[8:9], null, s5, v8, v[18:19]
	v_mov_b32_e32 v18, v20
	v_mov_b32_e32 v20, v8
	v_lshlrev_b64 v[8:9], 3, v[17:18]
	v_lshlrev_b64 v[17:18], 3, v[19:20]
	v_add_co_u32 v8, vcc_lo, s20, v8
	v_add_co_ci_u32_e64 v9, null, s22, v9, vcc_lo
	v_add_co_u32 v17, vcc_lo, s18, v17
	v_add_co_ci_u32_e64 v18, null, s19, v18, vcc_lo
	global_store_dwordx2 v[8:9], v[6:7], off
	global_store_dwordx2 v[17:18], v[4:5], off
	s_branch .LBB182_27
	.p2align	6
.LBB182_45:                             ;   in Loop: Header=BB182_46 Depth=1
	s_add_u32 s12, s12, 4
	s_addc_u32 s13, s13, 0
	s_waitcnt lgkmcnt(0)
	s_add_i32 s25, s3, s25
	s_add_u32 s14, s14, 4
	s_addc_u32 s15, s15, 0
	s_add_i32 s2, s2, 1
	s_cmp_lt_u32 s2, s7
	s_cbranch_scc0 .LBB182_24
.LBB182_46:                             ; =>This Inner Loop Header: Depth=1
	s_load_dword s3, s[12:13], 0x0
	s_cmp_ge_u32 s2, s52
	s_cbranch_scc1 .LBB182_45
; %bb.47:                               ;   in Loop: Header=BB182_46 Depth=1
	s_load_dword s18, s[14:15], 0x0
	s_waitcnt lgkmcnt(0)
	s_add_i32 s17, s3, s17
	s_add_i32 s16, s18, s16
	s_branch .LBB182_45
.LBB182_48:
	s_endpgm
	.section	.rodata,"a",@progbits
	.p2align	6, 0x0
	.amdhsa_kernel _ZN2at6native6mbtopk10gatherTopKIdmLi2EEEvNS_4cuda6detail10TensorInfoIKT_T0_EES8_S8_bjS8_NS5_IS6_S8_EES8_NS5_IlS8_EES8_jjPS6_PjSD_j
		.amdhsa_group_segment_fixed_size 1068
		.amdhsa_private_segment_fixed_size 0
		.amdhsa_kernarg_size 1592
		.amdhsa_user_sgpr_count 6
		.amdhsa_user_sgpr_private_segment_buffer 1
		.amdhsa_user_sgpr_dispatch_ptr 0
		.amdhsa_user_sgpr_queue_ptr 0
		.amdhsa_user_sgpr_kernarg_segment_ptr 1
		.amdhsa_user_sgpr_dispatch_id 0
		.amdhsa_user_sgpr_flat_scratch_init 0
		.amdhsa_user_sgpr_private_segment_size 0
		.amdhsa_wavefront_size32 1
		.amdhsa_uses_dynamic_stack 0
		.amdhsa_system_sgpr_private_segment_wavefront_offset 0
		.amdhsa_system_sgpr_workgroup_id_x 1
		.amdhsa_system_sgpr_workgroup_id_y 1
		.amdhsa_system_sgpr_workgroup_id_z 1
		.amdhsa_system_sgpr_workgroup_info 0
		.amdhsa_system_vgpr_workitem_id 0
		.amdhsa_next_free_vgpr 25
		.amdhsa_next_free_sgpr 53
		.amdhsa_reserve_vcc 1
		.amdhsa_reserve_flat_scratch 0
		.amdhsa_float_round_mode_32 0
		.amdhsa_float_round_mode_16_64 0
		.amdhsa_float_denorm_mode_32 3
		.amdhsa_float_denorm_mode_16_64 3
		.amdhsa_dx10_clamp 1
		.amdhsa_ieee_mode 1
		.amdhsa_fp16_overflow 0
		.amdhsa_workgroup_processor_mode 1
		.amdhsa_memory_ordered 1
		.amdhsa_forward_progress 1
		.amdhsa_shared_vgpr_count 0
		.amdhsa_exception_fp_ieee_invalid_op 0
		.amdhsa_exception_fp_denorm_src 0
		.amdhsa_exception_fp_ieee_div_zero 0
		.amdhsa_exception_fp_ieee_overflow 0
		.amdhsa_exception_fp_ieee_underflow 0
		.amdhsa_exception_fp_ieee_inexact 0
		.amdhsa_exception_int_div_zero 0
	.end_amdhsa_kernel
	.section	.text._ZN2at6native6mbtopk10gatherTopKIdmLi2EEEvNS_4cuda6detail10TensorInfoIKT_T0_EES8_S8_bjS8_NS5_IS6_S8_EES8_NS5_IlS8_EES8_jjPS6_PjSD_j,"axG",@progbits,_ZN2at6native6mbtopk10gatherTopKIdmLi2EEEvNS_4cuda6detail10TensorInfoIKT_T0_EES8_S8_bjS8_NS5_IS6_S8_EES8_NS5_IlS8_EES8_jjPS6_PjSD_j,comdat
.Lfunc_end182:
	.size	_ZN2at6native6mbtopk10gatherTopKIdmLi2EEEvNS_4cuda6detail10TensorInfoIKT_T0_EES8_S8_bjS8_NS5_IS6_S8_EES8_NS5_IlS8_EES8_jjPS6_PjSD_j, .Lfunc_end182-_ZN2at6native6mbtopk10gatherTopKIdmLi2EEEvNS_4cuda6detail10TensorInfoIKT_T0_EES8_S8_bjS8_NS5_IS6_S8_EES8_NS5_IlS8_EES8_jjPS6_PjSD_j
                                        ; -- End function
	.set _ZN2at6native6mbtopk10gatherTopKIdmLi2EEEvNS_4cuda6detail10TensorInfoIKT_T0_EES8_S8_bjS8_NS5_IS6_S8_EES8_NS5_IlS8_EES8_jjPS6_PjSD_j.num_vgpr, 25
	.set _ZN2at6native6mbtopk10gatherTopKIdmLi2EEEvNS_4cuda6detail10TensorInfoIKT_T0_EES8_S8_bjS8_NS5_IS6_S8_EES8_NS5_IlS8_EES8_jjPS6_PjSD_j.num_agpr, 0
	.set _ZN2at6native6mbtopk10gatherTopKIdmLi2EEEvNS_4cuda6detail10TensorInfoIKT_T0_EES8_S8_bjS8_NS5_IS6_S8_EES8_NS5_IlS8_EES8_jjPS6_PjSD_j.numbered_sgpr, 53
	.set _ZN2at6native6mbtopk10gatherTopKIdmLi2EEEvNS_4cuda6detail10TensorInfoIKT_T0_EES8_S8_bjS8_NS5_IS6_S8_EES8_NS5_IlS8_EES8_jjPS6_PjSD_j.num_named_barrier, 0
	.set _ZN2at6native6mbtopk10gatherTopKIdmLi2EEEvNS_4cuda6detail10TensorInfoIKT_T0_EES8_S8_bjS8_NS5_IS6_S8_EES8_NS5_IlS8_EES8_jjPS6_PjSD_j.private_seg_size, 0
	.set _ZN2at6native6mbtopk10gatherTopKIdmLi2EEEvNS_4cuda6detail10TensorInfoIKT_T0_EES8_S8_bjS8_NS5_IS6_S8_EES8_NS5_IlS8_EES8_jjPS6_PjSD_j.uses_vcc, 1
	.set _ZN2at6native6mbtopk10gatherTopKIdmLi2EEEvNS_4cuda6detail10TensorInfoIKT_T0_EES8_S8_bjS8_NS5_IS6_S8_EES8_NS5_IlS8_EES8_jjPS6_PjSD_j.uses_flat_scratch, 0
	.set _ZN2at6native6mbtopk10gatherTopKIdmLi2EEEvNS_4cuda6detail10TensorInfoIKT_T0_EES8_S8_bjS8_NS5_IS6_S8_EES8_NS5_IlS8_EES8_jjPS6_PjSD_j.has_dyn_sized_stack, 0
	.set _ZN2at6native6mbtopk10gatherTopKIdmLi2EEEvNS_4cuda6detail10TensorInfoIKT_T0_EES8_S8_bjS8_NS5_IS6_S8_EES8_NS5_IlS8_EES8_jjPS6_PjSD_j.has_recursion, 0
	.set _ZN2at6native6mbtopk10gatherTopKIdmLi2EEEvNS_4cuda6detail10TensorInfoIKT_T0_EES8_S8_bjS8_NS5_IS6_S8_EES8_NS5_IlS8_EES8_jjPS6_PjSD_j.has_indirect_call, 0
	.section	.AMDGPU.csdata,"",@progbits
; Kernel info:
; codeLenInByte = 3024
; TotalNumSgprs: 55
; NumVgprs: 25
; ScratchSize: 0
; MemoryBound: 0
; FloatMode: 240
; IeeeMode: 1
; LDSByteSize: 1068 bytes/workgroup (compile time only)
; SGPRBlocks: 0
; VGPRBlocks: 3
; NumSGPRsForWavesPerEU: 55
; NumVGPRsForWavesPerEU: 25
; Occupancy: 16
; WaveLimiterHint : 1
; COMPUTE_PGM_RSRC2:SCRATCH_EN: 0
; COMPUTE_PGM_RSRC2:USER_SGPR: 6
; COMPUTE_PGM_RSRC2:TRAP_HANDLER: 0
; COMPUTE_PGM_RSRC2:TGID_X_EN: 1
; COMPUTE_PGM_RSRC2:TGID_Y_EN: 1
; COMPUTE_PGM_RSRC2:TGID_Z_EN: 1
; COMPUTE_PGM_RSRC2:TIDIG_COMP_CNT: 0
	.section	.text._ZN2at6native6sbtopk10gatherTopKIdmLi2ELb0EEEvNS_4cuda6detail10TensorInfoIKT_T0_EES8_S8_bS8_S8_NS5_IS6_S8_EES8_NS5_IlS8_EES8_PS6_,"axG",@progbits,_ZN2at6native6sbtopk10gatherTopKIdmLi2ELb0EEEvNS_4cuda6detail10TensorInfoIKT_T0_EES8_S8_bS8_S8_NS5_IS6_S8_EES8_NS5_IlS8_EES8_PS6_,comdat
	.protected	_ZN2at6native6sbtopk10gatherTopKIdmLi2ELb0EEEvNS_4cuda6detail10TensorInfoIKT_T0_EES8_S8_bS8_S8_NS5_IS6_S8_EES8_NS5_IlS8_EES8_PS6_ ; -- Begin function _ZN2at6native6sbtopk10gatherTopKIdmLi2ELb0EEEvNS_4cuda6detail10TensorInfoIKT_T0_EES8_S8_bS8_S8_NS5_IS6_S8_EES8_NS5_IlS8_EES8_PS6_
	.globl	_ZN2at6native6sbtopk10gatherTopKIdmLi2ELb0EEEvNS_4cuda6detail10TensorInfoIKT_T0_EES8_S8_bS8_S8_NS5_IS6_S8_EES8_NS5_IlS8_EES8_PS6_
	.p2align	8
	.type	_ZN2at6native6sbtopk10gatherTopKIdmLi2ELb0EEEvNS_4cuda6detail10TensorInfoIKT_T0_EES8_S8_bS8_S8_NS5_IS6_S8_EES8_NS5_IlS8_EES8_PS6_,@function
_ZN2at6native6sbtopk10gatherTopKIdmLi2ELb0EEEvNS_4cuda6detail10TensorInfoIKT_T0_EES8_S8_bS8_S8_NS5_IS6_S8_EES8_NS5_IlS8_EES8_PS6_: ; @_ZN2at6native6sbtopk10gatherTopKIdmLi2ELb0EEEvNS_4cuda6detail10TensorInfoIKT_T0_EES8_S8_bS8_S8_NS5_IS6_S8_EES8_NS5_IlS8_EES8_PS6_
; %bb.0:
	s_clause 0x1
	s_load_dwordx2 s[14:15], s[4:5], 0x520
	s_load_dwordx4 s[28:31], s[4:5], 0x1b8
	s_add_u32 s12, s4, 0x520
	s_addc_u32 s13, s5, 0
	s_mov_b32 s35, 0
	s_waitcnt lgkmcnt(0)
	s_mul_i32 s0, s15, s8
	s_add_i32 s0, s0, s7
	s_mul_i32 s0, s0, s14
	s_add_i32 s34, s0, s6
	v_cmp_le_u64_e64 s0, s[28:29], s[34:35]
	s_and_b32 vcc_lo, exec_lo, s0
	s_cbranch_vccnz .LBB183_489
; %bb.1:
	s_clause 0x2
	s_load_dwordx2 s[16:17], s[4:5], 0x10
	s_load_dwordx2 s[28:29], s[4:5], 0x380
	;; [unrolled: 1-line block ×3, first 2 shown]
	s_mov_b64 s[48:49], 0
	s_waitcnt lgkmcnt(0)
	v_cmp_lt_u64_e64 s0, s[34:35], s[16:17]
	s_and_b32 vcc_lo, exec_lo, s0
	s_mov_b64 s[0:1], 0
	s_cbranch_vccnz .LBB183_3
; %bb.2:
	v_cvt_f32_u32_e32 v1, s16
	s_sub_i32 s1, 0, s16
	v_rcp_iflag_f32_e32 v1, v1
	v_mul_f32_e32 v1, 0x4f7ffffe, v1
	v_cvt_u32_f32_e32 v1, v1
	v_readfirstlane_b32 s0, v1
	s_mul_i32 s1, s1, s0
	s_mul_hi_u32 s1, s0, s1
	s_add_i32 s0, s0, s1
	s_mul_hi_u32 s0, s34, s0
	s_mul_i32 s1, s0, s16
	s_add_i32 s2, s0, 1
	s_sub_i32 s1, s34, s1
	s_sub_i32 s3, s1, s16
	s_cmp_ge_u32 s1, s16
	s_cselect_b32 s0, s2, s0
	s_cselect_b32 s1, s3, s1
	s_add_i32 s2, s0, 1
	s_cmp_ge_u32 s1, s16
	s_cselect_b32 s0, s2, s0
.LBB183_3:
	v_cmp_lt_u64_e64 s1, s[34:35], s[50:51]
	s_and_b32 vcc_lo, exec_lo, s1
	s_cbranch_vccnz .LBB183_5
; %bb.4:
	v_cvt_f32_u32_e32 v1, s50
	s_sub_i32 s2, 0, s50
	v_rcp_iflag_f32_e32 v1, v1
	v_mul_f32_e32 v1, 0x4f7ffffe, v1
	v_cvt_u32_f32_e32 v1, v1
	v_readfirstlane_b32 s1, v1
	s_mul_i32 s2, s2, s1
	s_mul_hi_u32 s2, s1, s2
	s_add_i32 s1, s1, s2
	s_mul_hi_u32 s1, s34, s1
	s_mul_i32 s2, s1, s50
	s_add_i32 s3, s1, 1
	s_sub_i32 s2, s34, s2
	s_sub_i32 s7, s2, s50
	s_cmp_ge_u32 s2, s50
	s_cselect_b32 s1, s3, s1
	s_cselect_b32 s2, s7, s2
	s_add_i32 s3, s1, 1
	s_cmp_ge_u32 s2, s50
	s_cselect_b32 s48, s3, s1
.LBB183_5:
	s_load_dwordx2 s[18:19], s[4:5], 0x0
	v_cmp_lt_u64_e64 s1, s[34:35], s[28:29]
	s_mov_b64 s[52:53], 0
	s_and_b32 vcc_lo, exec_lo, s1
	s_cbranch_vccnz .LBB183_7
; %bb.6:
	v_cvt_f32_u32_e32 v1, s28
	s_sub_i32 s2, 0, s28
	v_rcp_iflag_f32_e32 v1, v1
	v_mul_f32_e32 v1, 0x4f7ffffe, v1
	v_cvt_u32_f32_e32 v1, v1
	v_readfirstlane_b32 s1, v1
	s_mul_i32 s2, s2, s1
	s_mul_hi_u32 s2, s1, s2
	s_add_i32 s1, s1, s2
	s_mul_hi_u32 s1, s34, s1
	s_mul_i32 s2, s1, s28
	s_add_i32 s3, s1, 1
	s_sub_i32 s2, s34, s2
	s_sub_i32 s7, s2, s28
	s_cmp_ge_u32 s2, s28
	s_cselect_b32 s1, s3, s1
	s_cselect_b32 s2, s7, s2
	s_add_i32 s3, s1, 1
	s_cmp_ge_u32 s2, s28
	s_cselect_b32 s52, s3, s1
.LBB183_7:
	s_clause 0x2
	s_load_dwordx2 s[2:3], s[4:5], 0x370
	; meta instruction
	s_load_dwordx4 s[8:11], s[4:5], 0xd0
	s_load_dwordx4 s[36:39], s[4:5], 0x1a0
	s_mov_b32 s27, 0
	s_waitcnt lgkmcnt(0)
	v_writelane_b32 v51, s2, 0
	v_writelane_b32 v51, s3, 1
	s_load_dwordx2 s[2:3], s[4:5], 0x1c8
	s_waitcnt lgkmcnt(0)
	v_writelane_b32 v51, s2, 2
	v_writelane_b32 v51, s3, 3
	v_cmp_eq_u32_e64 s3, 0, v0
	s_and_saveexec_b32 s1, s3
	s_cbranch_execz .LBB183_9
; %bb.8:
	v_mov_b32_e32 v1, 0
	v_mov_b32_e32 v3, s36
	;; [unrolled: 1-line block ×4, first 2 shown]
	ds_write_b32 v1, v1 offset:5144
	ds_write_b128 v1, v[1:4] offset:5120
.LBB183_9:
	s_or_b32 exec_lo, exec_lo, s1
	s_mul_i32 s1, s0, s17
	s_mul_hi_u32 s2, s0, s16
	s_mul_i32 s7, s0, s16
	s_add_i32 s2, s2, s1
	s_sub_u32 s7, s34, s7
	s_subb_u32 s2, 0, s2
	s_mul_i32 s1, s7, s11
	s_mul_hi_u32 s11, s7, s10
	s_mul_i32 s2, s2, s10
	s_add_i32 s11, s11, s1
	s_mul_i32 s1, s0, s9
	s_mul_hi_u32 s9, s0, s8
	s_mul_i32 s0, s0, s8
	s_add_i32 s1, s9, s1
	s_add_i32 s9, s11, s2
	s_lshl_b64 s[0:1], s[0:1], 3
	s_mul_i32 s8, s7, s10
	s_add_u32 s2, s18, s0
	s_addc_u32 s7, s19, s1
	s_lshl_b64 s[0:1], s[8:9], 3
	s_clause 0x1
	s_load_dwordx4 s[40:43], s[4:5], 0x440
	s_load_dword s15, s[4:5], 0x1b0
	s_add_u32 s33, s2, s0
	s_addc_u32 s35, s7, s1
	s_waitcnt lgkmcnt(0)
	s_barrier
	buffer_gl0_inv
	s_load_dword s7, s[12:13], 0xc
	v_mad_u64_u32 v[2:3], null, s30, v0, 0
	v_mbcnt_lo_u32_b32 v33, -1, 0
	v_cmp_gt_u32_e32 vcc_lo, 32, v0
	v_mov_b32_e32 v19, 0
	v_lshlrev_b32_e32 v34, 3, v0
	v_cmp_lt_u64_e64 s77, 0x180, s[36:37]
	v_cmp_gt_i32_e64 s1, 4, v33
	v_mov_b32_e32 v1, v3
	v_mov_b32_e32 v22, 0
	;; [unrolled: 1-line block ×5, first 2 shown]
	s_bitcmp1_b32 s15, 0
	v_mad_u64_u32 v[3:4], null, s31, v0, v[1:2]
	s_cselect_b32 s2, -1, 0
	s_and_b32 s76, vcc_lo, s1
	s_xor_b32 s53, s2, -1
	s_waitcnt lgkmcnt(0)
	s_and_b32 s49, s7, 0xffff
	s_bfe_u32 s7, s7, 0xb0005
	s_bfe_u32 s9, s49, 0x80008
	v_lshlrev_b64 v[2:3], 3, v[2:3]
	s_lshl_b32 s78, s9, 3
	s_cmp_gt_u32 s49, 31
	v_mov_b32_e32 v1, v19
	s_cselect_b32 s79, -1, 0
	s_add_u32 s80, s49, -1
	s_addc_u32 s81, 0, -1
	s_add_u32 s82, s80, s36
	s_addc_u32 s59, s81, s37
	s_cmp_lt_u32 s6, s14
	v_add_co_u32 v16, vcc_lo, s33, v2
	s_cselect_b32 s6, 12, 18
	v_add_co_ci_u32_e64 v17, null, s35, v3, vcc_lo
	s_add_u32 s60, s12, s6
	v_lshlrev_b64 v[2:3], v33, -1
	s_addc_u32 s61, s13, 0
	s_add_i32 s7, s7, -1
	s_bfe_u32 s83, s49, 0x30005
	s_and_b32 s6, s7, 0xffff
	v_cmp_gt_u64_e64 s1, s[36:37], v[0:1]
	s_cmp_gt_u32 s6, 6
	s_movk_i32 s6, 0x3e0
	v_cmp_eq_u32_e64 s0, 0, v33
	v_lshlrev_b32_e32 v20, 2, v0
	v_mov_b32_e32 v21, v19
	v_cmp_gt_u32_e64 s8, 2, v0
	v_add_nc_u32_e32 v35, 0xc00, v34
	v_not_b32_e32 v32, v2
	v_and_or_b32 v36, v0, s6, 0xc00
	v_lshlrev_b32_e32 v37, 5, v0
	v_lshl_or_b32 v38, v33, 3, 0xc00
	v_mov_b32_e32 v23, 0
	v_mov_b32_e32 v7, 0
	v_mov_b32_e32 v27, s39
	v_mov_b32_e32 v25, 0
	v_mov_b32_e32 v3, 0x3ff00000
	s_cselect_b32 s84, -1, 0
	s_cmp_lg_u32 s83, 0
	s_mov_b32 s93, 62
	s_cselect_b32 s85, -1, 0
	s_lshl_b32 s86, s49, 3
	s_mov_b32 s87, 0
	s_mov_b32 s89, 0
                                        ; implicit-def: $sgpr88
                                        ; implicit-def: $sgpr92
                                        ; implicit-def: $sgpr91
                                        ; implicit-def: $sgpr94
                                        ; implicit-def: $sgpr90
                                        ; implicit-def: $sgpr98
                                        ; implicit-def: $sgpr99
                                        ; implicit-def: $sgpr95
                                        ; implicit-def: $sgpr97
                                        ; implicit-def: $sgpr96
	s_branch .LBB183_12
.LBB183_10:                             ;   in Loop: Header=BB183_12 Depth=1
	s_or_b32 exec_lo, exec_lo, s10
	v_mov_b32_e32 v26, v28
	v_mov_b32_e32 v27, v29
	s_andn2_b32 s10, s96, exec_lo
	s_and_b32 s9, s9, exec_lo
	s_andn2_b32 s97, s97, exec_lo
	s_or_b32 s96, s10, s9
	s_andn2_b32 s95, s95, exec_lo
	s_andn2_b32 s99, s99, exec_lo
	s_andn2_b32 s98, s98, exec_lo
	s_orn2_b32 s7, s7, exec_lo
.LBB183_11:                             ;   in Loop: Header=BB183_12 Depth=1
	s_or_b32 exec_lo, exec_lo, s6
	s_and_b32 s6, exec_lo, s7
	s_or_b32 s87, s6, s87
	s_andn2_b32 s6, s90, exec_lo
	s_and_b32 s7, s96, exec_lo
	s_andn2_b32 s9, s94, exec_lo
	s_or_b32 s90, s6, s7
	s_and_b32 s6, s97, exec_lo
	s_andn2_b32 s7, s91, exec_lo
	s_and_b32 s10, s95, exec_lo
	s_or_b32 s94, s9, s6
	s_or_b32 s91, s7, s10
	s_andn2_b32 s6, s92, exec_lo
	s_and_b32 s7, s99, exec_lo
	s_andn2_b32 s9, s88, exec_lo
	s_and_b32 s10, s98, exec_lo
	s_or_b32 s92, s6, s7
	s_or_b32 s88, s9, s10
	s_andn2_b32 exec_lo, exec_lo, s87
	s_cbranch_execz .LBB183_485
.LBB183_12:                             ; =>This Loop Header: Depth=1
                                        ;     Child Loop BB183_18 Depth 2
                                        ;     Child Loop BB183_31 Depth 2
	;; [unrolled: 1-line block ×24, first 2 shown]
	ds_read_b128 v[8:11], v19 offset:5120
	s_waitcnt lgkmcnt(0)
	v_readfirstlane_b32 s63, v9
	v_readfirstlane_b32 s62, v8
	s_cmp_lg_u64 s[62:63], 0
	s_cbranch_scc1 .LBB183_39
; %bb.13:                               ;   in Loop: Header=BB183_12 Depth=1
	s_and_b32 vcc_lo, exec_lo, s77
	s_cbranch_vccz .LBB183_26
; %bb.14:                               ;   in Loop: Header=BB183_12 Depth=1
	v_cmp_gt_u64_e32 vcc_lo, 0x181, v[10:11]
	s_mov_b32 s9, 0
	s_mov_b32 s6, 0
	s_cbranch_vccz .LBB183_27
; %bb.15:                               ;   in Loop: Header=BB183_12 Depth=1
	s_and_saveexec_b32 s10, s1
	s_cbranch_execz .LBB183_94
; %bb.16:                               ;   in Loop: Header=BB183_12 Depth=1
	global_load_ushort v2, v19, s[60:61]
	global_load_dwordx2 v[4:5], v[16:17], off
	v_mov_b32_e32 v9, v1
	v_mov_b32_e32 v8, v0
	s_mov_b32 s11, 0
	s_waitcnt vmcnt(1)
	v_and_b32_e32 v2, 0xffff, v2
	s_branch .LBB183_18
.LBB183_17:                             ;   in Loop: Header=BB183_18 Depth=2
	s_or_b32 exec_lo, exec_lo, s7
	v_mov_b32_e32 v4, v10
	v_mov_b32_e32 v5, v11
	s_andn2_b32 exec_lo, exec_lo, s11
	s_cbranch_execz .LBB183_94
.LBB183_18:                             ;   Parent Loop BB183_12 Depth=1
                                        ; =>  This Inner Loop Header: Depth=2
	v_add_co_u32 v8, vcc_lo, v8, v2
	v_mov_b32_e32 v10, 0
	v_add_co_ci_u32_e64 v9, null, 0, v9, vcc_lo
	v_mov_b32_e32 v11, 0
	s_mov_b32 s7, exec_lo
	v_cmp_le_u64_e32 vcc_lo, s[36:37], v[8:9]
	v_cmpx_gt_u64_e64 s[36:37], v[8:9]
	s_cbranch_execz .LBB183_20
; %bb.19:                               ;   in Loop: Header=BB183_18 Depth=2
	s_waitcnt lgkmcnt(0)
	v_mul_lo_u32 v12, v9, s30
	v_mul_lo_u32 v13, v8, s31
	v_mad_u64_u32 v[10:11], null, v8, s30, 0
	v_add3_u32 v11, v11, v13, v12
	v_lshlrev_b64 v[10:11], 3, v[10:11]
	v_add_co_u32 v10, s6, s33, v10
	v_add_co_ci_u32_e64 v11, null, s35, v11, s6
	global_load_dwordx2 v[10:11], v[10:11], off
.LBB183_20:                             ;   in Loop: Header=BB183_18 Depth=2
	s_or_b32 exec_lo, exec_lo, s7
	s_waitcnt vmcnt(0)
	v_cmp_o_f64_e64 s6, v[4:5], v[4:5]
	s_waitcnt lgkmcnt(0)
	v_ashrrev_i32_e32 v12, 31, v5
	v_or_b32_e32 v13, 0x80000000, v12
	v_xor_b32_e32 v12, v12, v4
	v_xor_b32_e32 v13, v13, v5
	v_cndmask_b32_e64 v13, -1, v13, s6
	v_cndmask_b32_e64 v12, -1, v12, s6
	v_and_b32_e32 v13, v13, v25
	v_and_b32_e32 v12, v12, v24
	v_cmp_eq_u64_e64 s6, v[12:13], v[22:23]
	v_mov_b32_e32 v12, 0
	s_cmp_lg_u32 s6, 0
	s_cselect_b32 s7, -1, 0
	s_and_b32 s7, s0, s7
	s_and_saveexec_b32 s12, s7
	s_cbranch_execz .LBB183_24
; %bb.21:                               ;   in Loop: Header=BB183_18 Depth=2
	s_mov_b32 s15, exec_lo
	s_bcnt1_i32_b32 s13, s6
	v_mbcnt_lo_u32_b32 v12, s15, 0
	s_mov_b32 s14, exec_lo
                                        ; implicit-def: $vgpr13
	v_cmpx_eq_u32_e32 0, v12
; %bb.22:                               ;   in Loop: Header=BB183_18 Depth=2
	s_bcnt1_i32_b32 s7, s15
	s_mul_i32 s7, s13, s7
	v_mov_b32_e32 v13, s7
	ds_add_rtn_u32 v13, v19, v13 offset:5144
; %bb.23:                               ;   in Loop: Header=BB183_18 Depth=2
	s_or_b32 exec_lo, exec_lo, s14
	s_waitcnt lgkmcnt(0)
	v_readfirstlane_b32 s7, v13
	v_mad_u32_u24 v12, s13, v12, s7
.LBB183_24:                             ;   in Loop: Header=BB183_18 Depth=2
	s_or_b32 exec_lo, exec_lo, s12
	ds_bpermute_b32 v12, v19, v12
	s_and_b32 s7, exec_lo, vcc_lo
	s_or_b32 s11, s7, s11
	s_and_saveexec_b32 s7, s6
	s_cbranch_execz .LBB183_17
; %bb.25:                               ;   in Loop: Header=BB183_18 Depth=2
	v_and_b32_e32 v13, s6, v32
	v_bcnt_u32_b32 v13, v13, 0
	v_lshlrev_b32_e32 v13, 3, v13
	s_waitcnt lgkmcnt(0)
	v_lshl_add_u32 v12, v12, 3, v13
	ds_write_b64 v12, v[4:5]
	s_branch .LBB183_17
.LBB183_26:                             ;   in Loop: Header=BB183_12 Depth=1
	s_mov_b32 s9, -1
	s_mov_b32 s6, 0
.LBB183_27:                             ;   in Loop: Header=BB183_12 Depth=1
	s_and_b32 vcc_lo, exec_lo, s9
	s_cbranch_vccz .LBB183_37
.LBB183_28:                             ;   in Loop: Header=BB183_12 Depth=1
	s_and_saveexec_b32 s6, s1
	s_cbranch_execz .LBB183_34
; %bb.29:                               ;   in Loop: Header=BB183_12 Depth=1
	global_load_ushort v2, v19, s[60:61]
	global_load_dwordx2 v[4:5], v[16:17], off
	v_mov_b32_e32 v8, v0
	s_mov_b32 s7, exec_lo
	s_waitcnt vmcnt(1)
	v_and_b32_e32 v2, 0xffff, v2
	v_add_nc_u32_e32 v18, v2, v0
	v_cmpx_gt_u64_e64 s[36:37], v[18:19]
	s_cbranch_execz .LBB183_33
; %bb.30:                               ;   in Loop: Header=BB183_12 Depth=1
	v_mov_b32_e32 v10, v18
	v_mov_b32_e32 v9, v1
	v_mov_b32_e32 v11, v19
	v_mov_b32_e32 v8, v0
	s_mov_b32 s9, 0
	s_inst_prefetch 0x1
	.p2align	6
.LBB183_31:                             ;   Parent Loop BB183_12 Depth=1
                                        ; =>  This Inner Loop Header: Depth=2
	v_mov_b32_e32 v15, v11
	v_mov_b32_e32 v14, v10
	v_lshlrev_b32_e32 v8, 3, v8
	v_mul_lo_u32 v11, v15, s30
	v_mul_lo_u32 v12, v14, s31
	v_mad_u64_u32 v[9:10], null, v14, s30, 0
	s_waitcnt vmcnt(0)
	ds_write_b64 v8, v[4:5]
	v_add3_u32 v10, v10, v12, v11
	v_lshlrev_b64 v[9:10], 3, v[9:10]
	v_add_co_u32 v9, vcc_lo, s33, v9
	v_add_co_ci_u32_e64 v10, null, s35, v10, vcc_lo
	global_load_dwordx2 v[12:13], v[9:10], off
	v_add_co_u32 v10, vcc_lo, v14, v2
	v_add_co_ci_u32_e64 v11, null, 0, v15, vcc_lo
	v_mov_b32_e32 v8, v14
	v_mov_b32_e32 v9, v15
	v_cmp_le_u64_e32 vcc_lo, s[36:37], v[10:11]
	s_or_b32 s9, vcc_lo, s9
	s_waitcnt vmcnt(0)
	v_mov_b32_e32 v4, v12
	v_mov_b32_e32 v5, v13
	s_andn2_b32 exec_lo, exec_lo, s9
	s_cbranch_execnz .LBB183_31
; %bb.32:                               ;   in Loop: Header=BB183_12 Depth=1
	s_inst_prefetch 0x2
	s_or_b32 exec_lo, exec_lo, s9
	v_mov_b32_e32 v4, v12
	v_sub_nc_u32_e32 v8, v10, v2
	v_mov_b32_e32 v5, v13
.LBB183_33:                             ;   in Loop: Header=BB183_12 Depth=1
	s_or_b32 exec_lo, exec_lo, s7
	v_lshlrev_b32_e32 v2, 3, v8
	s_waitcnt vmcnt(0)
	ds_write_b64 v2, v[4:5]
.LBB183_34:                             ;   in Loop: Header=BB183_12 Depth=1
	s_or_b32 exec_lo, exec_lo, s6
	s_waitcnt lgkmcnt(0)
	s_barrier
	buffer_gl0_inv
	s_and_saveexec_b32 s6, s3
; %bb.35:                               ;   in Loop: Header=BB183_12 Depth=1
	v_mov_b32_e32 v4, s36
	v_mov_b32_e32 v5, s37
	ds_write_b64 v19, v[4:5] offset:5120
; %bb.36:                               ;   in Loop: Header=BB183_12 Depth=1
	s_or_b32 exec_lo, exec_lo, s6
	s_mov_b32 s6, -1
	s_waitcnt lgkmcnt(0)
	s_barrier
.LBB183_37:                             ;   in Loop: Header=BB183_12 Depth=1
	s_and_b32 vcc_lo, exec_lo, s6
	s_mov_b64 s[62:63], 0
	s_cbranch_vccz .LBB183_39
; %bb.38:                               ;   in Loop: Header=BB183_12 Depth=1
	buffer_gl0_inv
	ds_read_b64 v[4:5], v19 offset:5120
	s_waitcnt lgkmcnt(0)
	v_readfirstlane_b32 s62, v4
.LBB183_39:                             ;   in Loop: Header=BB183_12 Depth=1
	s_cmp_lt_i32 s62, 1
	s_mov_b32 s6, -1
                                        ; implicit-def: $vgpr8_vgpr9
                                        ; implicit-def: $vgpr12_vgpr13
	s_cbranch_scc1 .LBB183_49
; %bb.40:                               ;   in Loop: Header=BB183_12 Depth=1
	s_and_b32 vcc_lo, exec_lo, s6
	s_cbranch_vccnz .LBB183_63
.LBB183_41:                             ;   in Loop: Header=BB183_12 Depth=1
	s_lshl_b32 s6, s89, 7
	s_and_saveexec_b32 s7, s0
	s_cbranch_execz .LBB183_43
.LBB183_42:                             ;   in Loop: Header=BB183_12 Depth=1
	v_lshl_add_u32 v2, s6, 3, v36
	ds_write_b128 v2, v[8:11]
	ds_write_b128 v2, v[12:15] offset:16
.LBB183_43:                             ;   in Loop: Header=BB183_12 Depth=1
	s_or_b32 exec_lo, exec_lo, s7
	s_waitcnt lgkmcnt(0)
	s_barrier
	buffer_gl0_inv
	s_and_saveexec_b32 s7, s76
	s_cbranch_execz .LBB183_77
; %bb.44:                               ;   in Loop: Header=BB183_12 Depth=1
	v_mov_b32_e32 v4, 0
	v_mov_b32_e32 v5, 0
	s_andn2_b32 vcc_lo, exec_lo, s79
	s_cbranch_vccnz .LBB183_76
; %bb.45:                               ;   in Loop: Header=BB183_12 Depth=1
	v_mov_b32_e32 v4, 0
	v_mov_b32_e32 v5, 0
	s_andn2_b32 vcc_lo, exec_lo, s84
	s_cbranch_vccnz .LBB183_73
; %bb.46:                               ;   in Loop: Header=BB183_12 Depth=1
	v_lshl_add_u32 v2, s89, 10, v38
	s_mov_b32 s9, 0
	s_inst_prefetch 0x1
	.p2align	6
.LBB183_47:                             ;   Parent Loop BB183_12 Depth=1
                                        ; =>  This Inner Loop Header: Depth=2
	ds_read2_b64 v[8:11], v2 offset1:4
	ds_read2_b64 v[12:15], v2 offset0:8 offset1:12
	ds_read2_b64 v[28:31], v2 offset0:16 offset1:20
	s_add_i32 s9, s9, 8
	s_cmp_eq_u32 s78, s9
	s_waitcnt lgkmcnt(2)
	v_add_co_u32 v4, vcc_lo, v8, v4
	v_add_co_ci_u32_e64 v5, null, v9, v5, vcc_lo
	v_add_co_u32 v4, vcc_lo, v10, v4
	v_add_co_ci_u32_e64 v5, null, v11, v5, vcc_lo
	ds_read2_b64 v[8:11], v2 offset0:24 offset1:28
	s_waitcnt lgkmcnt(2)
	v_add_co_u32 v4, vcc_lo, v12, v4
	v_add_co_ci_u32_e64 v5, null, v13, v5, vcc_lo
	v_add_nc_u32_e32 v2, 0x100, v2
	v_add_co_u32 v4, vcc_lo, v14, v4
	v_add_co_ci_u32_e64 v5, null, v15, v5, vcc_lo
	s_waitcnt lgkmcnt(1)
	v_add_co_u32 v4, vcc_lo, v28, v4
	v_add_co_ci_u32_e64 v5, null, v29, v5, vcc_lo
	v_add_co_u32 v4, vcc_lo, v30, v4
	v_add_co_ci_u32_e64 v5, null, v31, v5, vcc_lo
	s_waitcnt lgkmcnt(0)
	v_add_co_u32 v4, vcc_lo, v8, v4
	v_add_co_ci_u32_e64 v5, null, v9, v5, vcc_lo
	v_add_co_u32 v4, vcc_lo, v10, v4
	v_add_co_ci_u32_e64 v5, null, v11, v5, vcc_lo
	s_cbranch_scc0 .LBB183_47
; %bb.48:                               ;   in Loop: Header=BB183_12 Depth=1
	s_inst_prefetch 0x2
	s_mov_b32 s9, s78
	s_andn2_b32 vcc_lo, exec_lo, s85
	s_cbranch_vccz .LBB183_74
	s_branch .LBB183_76
.LBB183_49:                             ;   in Loop: Header=BB183_12 Depth=1
	global_load_ushort v2, v19, s[60:61]
	s_mov_b32 s7, s37
	s_waitcnt vmcnt(0)
	v_readfirstlane_b32 s6, v2
	s_and_b32 s9, 0xffff, s6
	s_mov_b32 s6, s27
	s_lshl_b32 s58, s9, 2
	s_cmp_lg_u64 s[6:7], 0
	s_cbranch_scc0 .LBB183_72
; %bb.50:                               ;   in Loop: Header=BB183_12 Depth=1
	v_cvt_f32_u32_e32 v4, s58
	s_sub_u32 s9, 0, s58
	s_subb_u32 s10, 0, 0
	v_fmac_f32_e64 v4, 0x4f800000, 0
	v_rcp_f32_e32 v4, v4
	v_mul_f32_e32 v4, 0x5f7ffffc, v4
	v_mul_f32_e32 v5, 0x2f800000, v4
	v_trunc_f32_e32 v5, v5
	v_fmac_f32_e32 v4, 0xcf800000, v5
	v_cvt_u32_f32_e32 v5, v5
	v_cvt_u32_f32_e32 v4, v4
	v_readfirstlane_b32 s6, v5
	v_readfirstlane_b32 s7, v4
	s_mul_i32 s11, s9, s6
	s_mul_hi_u32 s13, s9, s7
	s_mul_i32 s12, s10, s7
	s_add_i32 s11, s13, s11
	s_mul_i32 s14, s9, s7
	s_add_i32 s11, s11, s12
	s_mul_hi_u32 s13, s7, s14
	s_mul_i32 s16, s7, s11
	s_mul_hi_u32 s15, s6, s14
	s_mul_i32 s12, s6, s14
	s_mul_hi_u32 s14, s7, s11
	s_add_u32 s13, s13, s16
	s_addc_u32 s14, 0, s14
	s_mul_hi_u32 s17, s6, s11
	s_add_u32 s12, s13, s12
	s_mul_i32 s11, s6, s11
	s_addc_u32 s12, s14, s15
	s_addc_u32 s13, s17, 0
	s_add_u32 s11, s12, s11
	s_addc_u32 s12, 0, s13
	s_add_u32 s7, s7, s11
	s_cselect_b32 s11, -1, 0
	s_mul_hi_u32 s13, s9, s7
	s_cmp_lg_u32 s11, 0
	s_mul_i32 s11, s9, s7
	s_addc_u32 s6, s6, s12
	s_mul_i32 s10, s10, s7
	s_mul_i32 s9, s9, s6
	s_mul_hi_u32 s12, s7, s11
	s_add_i32 s9, s13, s9
	s_mul_hi_u32 s13, s6, s11
	s_add_i32 s9, s9, s10
	s_mul_i32 s10, s6, s11
	s_mul_i32 s15, s7, s9
	s_mul_hi_u32 s14, s7, s9
	s_add_u32 s12, s12, s15
	s_addc_u32 s14, 0, s14
	s_mul_hi_u32 s11, s6, s9
	s_add_u32 s10, s12, s10
	s_mul_i32 s9, s6, s9
	s_addc_u32 s10, s14, s13
	s_addc_u32 s11, s11, 0
	s_add_u32 s9, s10, s9
	s_addc_u32 s10, 0, s11
	s_add_u32 s7, s7, s9
	s_cselect_b32 s9, -1, 0
	s_mul_hi_u32 s11, s36, s7
	s_cmp_lg_u32 s9, 0
	s_mul_hi_u32 s9, s37, s7
	s_addc_u32 s6, s6, s10
	s_mul_i32 s7, s37, s7
	s_mul_i32 s12, s36, s6
	s_mul_hi_u32 s10, s36, s6
	s_add_u32 s11, s11, s12
	s_addc_u32 s10, 0, s10
	s_mul_hi_u32 s13, s37, s6
	s_add_u32 s7, s11, s7
	s_mul_i32 s6, s37, s6
	s_addc_u32 s7, s10, s9
	s_addc_u32 s9, s13, 0
	s_add_u32 s6, s7, s6
	s_addc_u32 s7, 0, s9
	s_mul_hi_u32 s9, s58, s6
	s_mul_i32 s7, s58, s7
	s_mul_i32 s6, s58, s6
	s_add_i32 s9, s9, s7
	s_sub_u32 s6, s36, s6
	s_cselect_b32 s7, -1, 0
	s_cmp_lg_u32 s7, 0
	s_subb_u32 s7, s37, s9
	s_sub_u32 s9, s6, s58
	s_cselect_b32 s10, -1, 0
	s_cmp_lg_u32 s10, 0
	s_subb_u32 s10, s7, 0
	;; [unrolled: 4-line block ×3, first 2 shown]
	s_cmp_ge_u32 s9, s58
	s_cselect_b32 s13, -1, 0
	s_cmp_eq_u32 s10, 0
	s_cselect_b32 s13, s13, -1
	s_cmp_lg_u32 s13, 0
	s_cselect_b32 s10, s12, s10
	s_cselect_b32 s9, s11, s9
	s_cmp_ge_u32 s6, s58
	s_cselect_b32 s11, -1, 0
	s_cmp_eq_u32 s7, 0
	s_cselect_b32 s11, s11, -1
	s_cmp_lg_u32 s11, 0
	s_cselect_b32 s7, s10, s7
	s_cselect_b32 s6, s9, s6
	s_cbranch_execnz .LBB183_52
.LBB183_51:                             ;   in Loop: Header=BB183_12 Depth=1
	v_cvt_f32_u32_e32 v4, s58
	s_sub_i32 s7, 0, s58
	v_rcp_iflag_f32_e32 v4, v4
	v_mul_f32_e32 v4, 0x4f7ffffe, v4
	v_cvt_u32_f32_e32 v4, v4
	v_readfirstlane_b32 s6, v4
	s_mul_i32 s7, s7, s6
	s_mul_hi_u32 s7, s6, s7
	s_add_i32 s6, s6, s7
	s_mul_hi_u32 s6, s36, s6
	s_mul_i32 s6, s6, s58
	s_sub_i32 s6, s36, s6
	s_sub_i32 s7, s6, s58
	s_cmp_ge_u32 s6, s58
	s_cselect_b32 s6, s7, s6
	s_sub_i32 s7, s6, s58
	s_cmp_ge_u32 s6, s58
	s_cselect_b32 s26, s7, s6
	s_mov_b64 s[6:7], s[26:27]
.LBB183_52:                             ;   in Loop: Header=BB183_12 Depth=1
	v_mov_b32_e32 v8, 0
	v_mov_b32_e32 v10, 0
	;; [unrolled: 1-line block ×8, first 2 shown]
	s_sub_u32 s64, s36, s6
	s_subb_u32 s65, s37, s7
	s_mov_b32 s44, exec_lo
	v_cmpx_gt_u64_e64 s[64:65], v[20:21]
	s_cbranch_execz .LBB183_56
; %bb.53:                               ;   in Loop: Header=BB183_12 Depth=1
	v_mov_b32_e32 v4, v20
	v_mov_b32_e32 v5, v21
	s_mov_b64 s[66:67], 0
	s_mov_b32 s45, 0
	s_mov_b64 s[68:69], 0
	s_mov_b64 s[70:71], 0
	;; [unrolled: 1-line block ×3, first 2 shown]
.LBB183_54:                             ;   Parent Loop BB183_12 Depth=1
                                        ; =>  This Inner Loop Header: Depth=2
	v_mul_lo_u32 v10, v5, s30
	v_mul_lo_u32 v11, v4, s31
	v_mad_u64_u32 v[8:9], null, v4, s30, 0
	s_lshl_b64 s[6:7], s[30:31], 3
	v_mov_b32_e32 v29, v19
	v_mov_b32_e32 v31, v19
	;; [unrolled: 1-line block ×3, first 2 shown]
	v_add3_u32 v9, v9, v11, v10
	v_lshlrev_b64 v[8:9], 3, v[8:9]
	v_add_co_u32 v8, vcc_lo, s33, v8
	v_add_co_ci_u32_e64 v9, null, s35, v9, vcc_lo
	v_add_co_u32 v10, vcc_lo, v8, s6
	v_add_co_ci_u32_e64 v11, null, s7, v9, vcc_lo
	global_load_dwordx2 v[8:9], v[8:9], off
	v_add_co_u32 v12, vcc_lo, v10, s6
	v_add_co_ci_u32_e64 v13, null, s7, v11, vcc_lo
	s_clause 0x1
	global_load_dwordx2 v[10:11], v[10:11], off
	global_load_dwordx2 v[14:15], v[12:13], off
	v_add_co_u32 v12, vcc_lo, v12, s6
	v_add_co_ci_u32_e64 v13, null, s7, v13, vcc_lo
	v_add_co_u32 v4, vcc_lo, v4, s58
	v_add_co_ci_u32_e64 v5, null, 0, v5, vcc_lo
	global_load_dwordx2 v[12:13], v[12:13], off
	v_cmp_le_u64_e32 vcc_lo, s[64:65], v[4:5]
	s_waitcnt vmcnt(3)
	v_cmp_o_f64_e64 s6, v[8:9], v[8:9]
	v_ashrrev_i32_e32 v18, 31, v9
	v_or_b32_e32 v28, 0x80000000, v18
	s_waitcnt vmcnt(1)
	v_cmp_o_f64_e64 s9, v[14:15], v[14:15]
	v_cmp_o_f64_e64 s7, v[10:11], v[10:11]
	v_ashrrev_i32_e32 v39, 31, v15
	v_ashrrev_i32_e32 v30, 31, v11
	v_xor_b32_e32 v28, v28, v9
	v_xor_b32_e32 v18, v18, v8
	v_or_b32_e32 v8, 0x80000000, v39
	v_or_b32_e32 v41, 0x80000000, v30
	s_waitcnt vmcnt(0)
	v_cmp_o_f64_e64 s10, v[12:13], v[12:13]
	v_xor_b32_e32 v30, v30, v10
	v_xor_b32_e32 v39, v39, v14
	;; [unrolled: 1-line block ×4, first 2 shown]
	v_cndmask_b32_e64 v9, -1, v28, s6
	v_ashrrev_i32_e32 v28, 31, v13
	v_and_b32_e32 v14, v9, v25
	v_or_b32_e32 v10, 0x80000000, v28
	v_cndmask_b32_e64 v42, -1, v8, s9
	v_cndmask_b32_e64 v8, -1, v18, s6
	;; [unrolled: 1-line block ×3, first 2 shown]
	v_xor_b32_e32 v28, v28, v12
	v_xor_b32_e32 v10, v10, v13
	v_cndmask_b32_e64 v41, -1, v39, s9
	v_and_b32_e32 v13, v8, v24
	v_lshrrev_b64 v[8:9], s93, v[8:9]
	v_and_b32_e32 v44, v11, v25
	v_cndmask_b32_e64 v12, -1, v10, s10
	v_cndmask_b32_e64 v10, -1, v30, s7
	v_and_b32_e32 v15, v42, v25
	v_cmp_eq_u64_e64 s6, v[13:14], v[22:23]
	v_and_b32_e32 v18, 3, v8
	v_and_b32_e32 v14, v41, v24
	v_and_b32_e32 v43, v10, v24
	v_lshrrev_b64 v[9:10], s93, v[10:11]
	v_cndmask_b32_e64 v11, -1, v28, s10
	v_lshrrev_b64 v[41:42], s93, v[41:42]
	v_cmp_eq_u64_e64 s9, 0, v[18:19]
	v_cmp_eq_u64_e64 s7, v[43:44], v[22:23]
	v_and_b32_e32 v45, v12, v25
	v_and_b32_e32 v28, 3, v9
	v_lshrrev_b64 v[8:9], s93, v[11:12]
	v_and_b32_e32 v30, 3, v41
	v_and_b32_e32 v44, v11, v24
	v_cmp_eq_u64_e64 s13, v[14:15], v[22:23]
	v_cmp_eq_u64_e64 s14, 0, v[28:29]
	s_and_b32 s9, s6, s9
	v_and_b32_e32 v39, 3, v8
	v_cmp_eq_u64_e64 s18, 0, v[30:31]
	v_cndmask_b32_e64 v9, 0, 1, s9
	v_cmp_eq_u64_e64 s9, v[44:45], v[22:23]
	s_and_b32 s14, s7, s14
	v_cmp_eq_u64_e64 s10, 1, v[18:19]
	v_cndmask_b32_e64 v8, 0, 1, s14
	v_cmp_eq_u64_e64 s14, 0, v[39:40]
	s_and_b32 s18, s13, s18
	v_cmp_ne_u32_e64 s22, 0, v9
	v_cmp_eq_u64_e64 s15, 1, v[28:29]
	v_cmp_ne_u32_e64 s26, 0, v8
	v_cndmask_b32_e64 v8, 0, 1, s18
	s_and_b32 s14, s9, s14
	s_bcnt1_i32_b32 s18, s22
	v_cndmask_b32_e64 v9, 0, 1, s14
	s_bcnt1_i32_b32 s22, s26
	v_cmp_ne_u32_e64 s14, 0, v8
	s_add_i32 s22, s22, s18
	v_cmp_eq_u64_e64 s19, 1, v[30:31]
	v_cmp_ne_u32_e64 s18, 0, v9
	v_cmp_eq_u64_e64 s23, 1, v[39:40]
	s_bcnt1_i32_b32 s14, s14
	v_cmp_eq_u64_e64 s11, 2, v[18:19]
	s_add_i32 s14, s22, s14
	s_bcnt1_i32_b32 s18, s18
	v_cmp_eq_u64_e64 s16, 2, v[28:29]
	s_add_i32 s14, s14, s18
	v_cmp_eq_u64_e64 s20, 2, v[30:31]
	s_add_u32 s72, s72, s14
	s_addc_u32 s73, s73, 0
	s_and_b32 s10, s6, s10
	v_cmp_eq_u64_e64 s24, 2, v[39:40]
	v_cndmask_b32_e64 v8, 0, 1, s10
	s_and_b32 s10, s7, s15
	v_cmp_eq_u64_e64 s12, 3, v[18:19]
	v_cndmask_b32_e64 v9, 0, 1, s10
	;; [unrolled: 3-line block ×3, first 2 shown]
	s_and_b32 s10, s9, s23
	v_cmp_ne_u32_e64 s14, 0, v9
	v_cndmask_b32_e64 v11, 0, 1, s10
	v_cmp_ne_u32_e64 s10, 0, v8
	v_cmp_ne_u32_e64 s15, 0, v10
	v_cmp_eq_u64_e64 s21, 3, v[30:31]
	s_bcnt1_i32_b32 s14, s14
	v_cmp_ne_u32_e64 s18, 0, v11
	s_bcnt1_i32_b32 s10, s10
	s_bcnt1_i32_b32 s15, s15
	s_add_i32 s10, s14, s10
	v_cmp_eq_u64_e64 s25, 3, v[39:40]
	s_bcnt1_i32_b32 s18, s18
	s_add_i32 s10, s10, s15
	s_add_i32 s10, s10, s18
	s_add_u32 s70, s70, s10
	s_addc_u32 s71, s71, 0
	s_and_b32 s10, s6, s11
	v_cndmask_b32_e64 v8, 0, 1, s10
	s_and_b32 s10, s7, s16
	v_cndmask_b32_e64 v9, 0, 1, s10
	;; [unrolled: 2-line block ×3, first 2 shown]
	s_and_b32 s10, s9, s24
	v_cmp_ne_u32_e64 s11, 0, v9
	v_cndmask_b32_e64 v11, 0, 1, s10
	v_cmp_ne_u32_e64 s10, 0, v8
	v_cmp_ne_u32_e64 s14, 0, v10
	s_bcnt1_i32_b32 s11, s11
	v_cmp_ne_u32_e64 s15, 0, v11
	s_bcnt1_i32_b32 s10, s10
	s_bcnt1_i32_b32 s14, s14
	s_add_i32 s10, s11, s10
	s_bcnt1_i32_b32 s15, s15
	s_add_i32 s10, s10, s14
	s_add_i32 s10, s10, s15
	s_add_u32 s68, s68, s10
	s_addc_u32 s69, s69, 0
	s_and_b32 s6, s6, s12
	v_mov_b32_e32 v12, s68
	v_cndmask_b32_e64 v8, 0, 1, s6
	s_and_b32 s6, s7, s17
	v_mov_b32_e32 v13, s69
	v_cndmask_b32_e64 v9, 0, 1, s6
	s_and_b32 s6, s13, s21
	v_cndmask_b32_e64 v10, 0, 1, s6
	s_and_b32 s6, s9, s25
	v_cmp_ne_u32_e64 s7, 0, v9
	v_cndmask_b32_e64 v11, 0, 1, s6
	v_cmp_ne_u32_e64 s6, 0, v8
	v_cmp_ne_u32_e64 s9, 0, v10
	v_mov_b32_e32 v8, s72
	s_bcnt1_i32_b32 s7, s7
	v_cmp_ne_u32_e64 s10, 0, v11
	s_bcnt1_i32_b32 s6, s6
	s_bcnt1_i32_b32 s9, s9
	s_add_i32 s6, s7, s6
	v_mov_b32_e32 v10, s70
	s_bcnt1_i32_b32 s7, s10
	s_add_i32 s6, s6, s9
	v_mov_b32_e32 v9, s73
	s_add_i32 s6, s6, s7
	v_mov_b32_e32 v11, s71
	s_add_u32 s66, s66, s6
	s_addc_u32 s67, s67, 0
	v_mov_b32_e32 v14, s66
	v_mov_b32_e32 v15, s67
	s_or_b32 s45, vcc_lo, s45
	s_andn2_b32 exec_lo, exec_lo, s45
	s_cbranch_execnz .LBB183_54
; %bb.55:                               ;   in Loop: Header=BB183_12 Depth=1
	s_or_b32 exec_lo, exec_lo, s45
.LBB183_56:                             ;   in Loop: Header=BB183_12 Depth=1
	s_or_b32 exec_lo, exec_lo, s44
	v_add_co_u32 v4, s6, s64, v0
	v_and_b32_e32 v2, 0xffff, v2
	v_add_co_ci_u32_e64 v5, null, s65, 0, s6
	s_mov_b32 s11, exec_lo
	v_cmpx_gt_u64_e64 s[36:37], v[4:5]
	s_cbranch_execz .LBB183_62
; %bb.57:                               ;   in Loop: Header=BB183_12 Depth=1
	v_mul_lo_u32 v18, v5, s30
	v_mul_lo_u32 v30, v4, s31
	v_mad_u64_u32 v[28:29], null, v4, s30, 0
	s_mov_b32 s12, 0
	v_add3_u32 v29, v29, v30, v18
	v_lshlrev_b64 v[28:29], 3, v[28:29]
	v_add_co_u32 v28, vcc_lo, s33, v28
	v_add_co_ci_u32_e64 v29, null, s35, v29, vcc_lo
	global_load_dwordx2 v[30:31], v[28:29], off
	s_branch .LBB183_59
.LBB183_58:                             ;   in Loop: Header=BB183_59 Depth=2
	s_or_b32 exec_lo, exec_lo, s7
	s_waitcnt vmcnt(0)
	v_cmp_o_f64_e64 s6, v[30:31], v[30:31]
	v_ashrrev_i32_e32 v18, 31, v31
	s_and_b32 s9, exec_lo, vcc_lo
	s_or_b32 s12, s9, s12
	v_or_b32_e32 v39, 0x80000000, v18
	v_xor_b32_e32 v18, v18, v30
	v_xor_b32_e32 v39, v39, v31
	v_cndmask_b32_e64 v31, -1, v39, s6
	v_cndmask_b32_e64 v30, -1, v18, s6
	v_lshrrev_b64 v[39:40], s93, v[30:31]
	v_and_b32_e32 v31, v31, v25
	v_and_b32_e32 v30, v30, v24
	;; [unrolled: 1-line block ×3, first 2 shown]
	v_cmp_eq_u64_e64 s6, v[30:31], v[22:23]
	v_cmp_eq_u64_e64 s7, 0, v[18:19]
	v_cmp_eq_u64_e32 vcc_lo, 1, v[18:19]
	v_cmp_eq_u64_e64 s9, 2, v[18:19]
	v_cmp_eq_u64_e64 s10, 3, v[18:19]
	s_and_b32 s7, s6, s7
	v_cndmask_b32_e64 v18, 0, 1, s7
	s_and_b32 s7, s6, vcc_lo
	v_cndmask_b32_e64 v30, 0, 1, s7
	s_and_b32 s7, s6, s9
	s_and_b32 s6, s6, s10
	v_cndmask_b32_e64 v31, 0, 1, s7
	v_cmp_ne_u32_e32 vcc_lo, 0, v18
	v_cndmask_b32_e64 v39, 0, 1, s6
	v_cmp_ne_u32_e64 s6, 0, v30
	v_cmp_ne_u32_e64 s7, 0, v31
	s_bcnt1_i32_b32 s10, vcc_lo
	v_cmp_ne_u32_e64 s9, 0, v39
	s_bcnt1_i32_b32 s6, s6
	v_add_co_u32 v8, vcc_lo, v8, s10
	s_bcnt1_i32_b32 s7, s7
	v_add_co_ci_u32_e64 v9, null, 0, v9, vcc_lo
	v_add_co_u32 v10, vcc_lo, v10, s6
	s_bcnt1_i32_b32 s9, s9
	v_add_co_ci_u32_e64 v11, null, 0, v11, vcc_lo
	v_add_co_u32 v12, vcc_lo, v12, s7
	v_add_co_ci_u32_e64 v13, null, 0, v13, vcc_lo
	v_add_co_u32 v14, vcc_lo, v14, s9
	v_mov_b32_e32 v31, v29
	v_add_co_ci_u32_e64 v15, null, 0, v15, vcc_lo
	v_mov_b32_e32 v30, v28
	s_andn2_b32 exec_lo, exec_lo, s12
	s_cbranch_execz .LBB183_61
.LBB183_59:                             ;   Parent Loop BB183_12 Depth=1
                                        ; =>  This Inner Loop Header: Depth=2
	v_add_co_u32 v4, vcc_lo, v4, v2
	v_mov_b32_e32 v28, 0
	v_add_co_ci_u32_e64 v5, null, 0, v5, vcc_lo
	v_mov_b32_e32 v29, 0
	s_mov_b32 s7, exec_lo
	v_cmp_le_u64_e32 vcc_lo, s[36:37], v[4:5]
	v_cmpx_gt_u64_e64 s[36:37], v[4:5]
	s_cbranch_execz .LBB183_58
; %bb.60:                               ;   in Loop: Header=BB183_59 Depth=2
	v_mul_lo_u32 v18, v5, s30
	v_mul_lo_u32 v39, v4, s31
	v_mad_u64_u32 v[28:29], null, v4, s30, 0
	v_add3_u32 v29, v29, v39, v18
	v_lshlrev_b64 v[28:29], 3, v[28:29]
	v_add_co_u32 v28, s6, s33, v28
	v_add_co_ci_u32_e64 v29, null, s35, v29, s6
	global_load_dwordx2 v[28:29], v[28:29], off
	s_branch .LBB183_58
.LBB183_61:                             ;   in Loop: Header=BB183_12 Depth=1
	s_or_b32 exec_lo, exec_lo, s12
.LBB183_62:                             ;   in Loop: Header=BB183_12 Depth=1
	s_or_b32 exec_lo, exec_lo, s11
	s_branch .LBB183_41
.LBB183_63:                             ;   in Loop: Header=BB183_12 Depth=1
	global_load_ushort v2, v19, s[60:61]
	v_mov_b32_e32 v8, 0
	v_mov_b32_e32 v10, 0
	;; [unrolled: 1-line block ×8, first 2 shown]
	s_mov_b32 s46, exec_lo
	s_waitcnt vmcnt(0)
	v_readfirstlane_b32 s6, v2
	s_and_b32 s44, 0xffff, s6
	s_lshl_b32 s45, s44, 2
	v_cvt_f32_u32_e32 v4, s45
	s_sub_i32 s7, 0, s45
	v_rcp_iflag_f32_e32 v4, v4
	v_mul_f32_e32 v4, 0x4f7ffffe, v4
	v_cvt_u32_f32_e32 v4, v4
	v_readfirstlane_b32 s6, v4
	s_mul_i32 s7, s7, s6
	s_mul_hi_u32 s7, s6, s7
	s_add_i32 s6, s6, s7
	s_mul_hi_u32 s6, s62, s6
	s_mul_i32 s7, s6, s45
	s_add_i32 s9, s6, 1
	s_sub_i32 s7, s62, s7
	s_sub_i32 s10, s7, s45
	s_cmp_ge_u32 s7, s45
	s_cselect_b32 s6, s9, s6
	s_cselect_b32 s7, s10, s7
	s_add_i32 s9, s6, 1
	s_cmp_ge_u32 s7, s45
	s_cselect_b32 s6, s9, s6
	s_mul_hi_u32 s65, s44, s6
	s_mul_i32 s64, s44, s6
	s_lshl_b64 s[66:67], s[64:65], 2
	v_cmpx_gt_u64_e64 s[66:67], v[20:21]
	s_cbranch_execz .LBB183_67
; %bb.64:                               ;   in Loop: Header=BB183_12 Depth=1
	v_mov_b32_e32 v4, v20
	v_mov_b32_e32 v28, v37
	;; [unrolled: 1-line block ×3, first 2 shown]
	s_lshl_b32 s47, s44, 5
	s_mov_b64 s[68:69], 0
	s_mov_b32 s58, 0
	s_mov_b64 s[70:71], 0
	s_mov_b64 s[72:73], 0
	;; [unrolled: 1-line block ×3, first 2 shown]
.LBB183_65:                             ;   Parent Loop BB183_12 Depth=1
                                        ; =>  This Inner Loop Header: Depth=2
	ds_read_b128 v[8:11], v28
	ds_read_b128 v[12:15], v28 offset:16
	v_mov_b32_e32 v30, v19
	v_mov_b32_e32 v40, v19
	;; [unrolled: 1-line block ×3, first 2 shown]
	v_add_co_u32 v4, vcc_lo, v4, s45
	v_add_co_ci_u32_e64 v5, null, 0, v5, vcc_lo
	v_add_nc_u32_e32 v28, s47, v28
	v_cmp_le_u64_e32 vcc_lo, s[66:67], v[4:5]
	s_waitcnt lgkmcnt(1)
	v_cmp_o_f64_e64 s6, v[8:9], v[8:9]
	v_cmp_o_f64_e64 s7, v[10:11], v[10:11]
	s_waitcnt lgkmcnt(0)
	v_cmp_o_f64_e64 s9, v[12:13], v[12:13]
	v_cmp_o_f64_e64 s10, v[14:15], v[14:15]
	v_ashrrev_i32_e32 v18, 31, v9
	v_ashrrev_i32_e32 v29, 31, v11
	v_ashrrev_i32_e32 v31, 31, v13
	v_ashrrev_i32_e32 v39, 31, v15
	v_or_b32_e32 v41, 0x80000000, v18
	v_or_b32_e32 v43, 0x80000000, v29
	;; [unrolled: 1-line block ×4, first 2 shown]
	v_xor_b32_e32 v18, v18, v8
	v_xor_b32_e32 v41, v41, v9
	;; [unrolled: 1-line block ×8, first 2 shown]
	v_cndmask_b32_e64 v9, -1, v41, s6
	v_cndmask_b32_e64 v11, -1, v8, s7
	;; [unrolled: 1-line block ×7, first 2 shown]
	v_and_b32_e32 v44, v9, v25
	v_and_b32_e32 v43, v8, v24
	v_lshrrev_b64 v[8:9], s93, v[8:9]
	v_cndmask_b32_e64 v14, -1, v39, s10
	v_and_b32_e32 v45, v10, v24
	v_lshrrev_b64 v[9:10], s93, v[10:11]
	v_and_b32_e32 v46, v11, v25
	v_lshrrev_b64 v[10:11], s93, v[12:13]
	;; [unrolled: 2-line block ×3, first 2 shown]
	v_and_b32_e32 v18, 3, v8
	v_and_b32_e32 v29, 3, v9
	;; [unrolled: 1-line block ×4, first 2 shown]
	v_cmp_eq_u64_e64 s6, v[43:44], v[22:23]
	v_cmp_eq_u64_e64 s11, 0, v[18:19]
	v_and_b32_e32 v50, v15, v25
	v_and_b32_e32 v49, v14, v24
	;; [unrolled: 1-line block ×3, first 2 shown]
	v_cmp_eq_u64_e64 s7, v[45:46], v[22:23]
	v_cmp_eq_u64_e64 s12, 0, v[29:30]
	;; [unrolled: 1-line block ×6, first 2 shown]
	s_and_b32 s11, s6, s11
	v_cmp_eq_u64_e64 s15, 1, v[18:19]
	v_cndmask_b32_e64 v8, 0, 1, s11
	s_and_b32 s11, s7, s12
	v_cmp_eq_u64_e64 s16, 1, v[29:30]
	v_cndmask_b32_e64 v9, 0, 1, s11
	;; [unrolled: 3-line block ×3, first 2 shown]
	s_and_b32 s11, s10, s14
	v_cmp_ne_u32_e64 s12, 0, v9
	v_cndmask_b32_e64 v11, 0, 1, s11
	v_cmp_ne_u32_e64 s11, 0, v8
	v_cmp_ne_u32_e64 s13, 0, v10
	v_cmp_eq_u64_e64 s18, 1, v[41:42]
	s_bcnt1_i32_b32 s12, s12
	v_cmp_ne_u32_e64 s14, 0, v11
	s_bcnt1_i32_b32 s11, s11
	s_bcnt1_i32_b32 s13, s13
	s_add_i32 s11, s12, s11
	v_cmp_eq_u64_e64 s19, 2, v[18:19]
	s_bcnt1_i32_b32 s14, s14
	s_add_i32 s11, s11, s13
	v_cmp_eq_u64_e64 s20, 2, v[29:30]
	s_add_i32 s11, s11, s14
	v_cmp_eq_u64_e64 s21, 2, v[39:40]
	s_add_u32 s74, s74, s11
	s_addc_u32 s75, s75, 0
	s_and_b32 s11, s6, s15
	v_cmp_eq_u64_e64 s22, 2, v[41:42]
	v_cndmask_b32_e64 v8, 0, 1, s11
	s_and_b32 s11, s7, s16
	v_cmp_eq_u64_e64 s23, 3, v[18:19]
	v_cndmask_b32_e64 v9, 0, 1, s11
	;; [unrolled: 3-line block ×3, first 2 shown]
	s_and_b32 s11, s10, s18
	v_cmp_ne_u32_e64 s12, 0, v9
	v_cndmask_b32_e64 v11, 0, 1, s11
	v_cmp_ne_u32_e64 s11, 0, v8
	v_cmp_ne_u32_e64 s13, 0, v10
	v_cmp_eq_u64_e64 s25, 3, v[39:40]
	s_bcnt1_i32_b32 s12, s12
	v_cmp_ne_u32_e64 s14, 0, v11
	s_bcnt1_i32_b32 s11, s11
	s_bcnt1_i32_b32 s13, s13
	s_add_i32 s11, s12, s11
	v_cmp_eq_u64_e64 s26, 3, v[41:42]
	s_bcnt1_i32_b32 s14, s14
	s_add_i32 s11, s11, s13
	s_add_i32 s11, s11, s14
	s_add_u32 s72, s72, s11
	s_addc_u32 s73, s73, 0
	s_and_b32 s11, s6, s19
	v_cndmask_b32_e64 v8, 0, 1, s11
	s_and_b32 s11, s7, s20
	v_cndmask_b32_e64 v9, 0, 1, s11
	;; [unrolled: 2-line block ×3, first 2 shown]
	s_and_b32 s11, s10, s22
	v_cmp_ne_u32_e64 s12, 0, v9
	v_cndmask_b32_e64 v11, 0, 1, s11
	v_cmp_ne_u32_e64 s11, 0, v8
	v_cmp_ne_u32_e64 s13, 0, v10
	s_bcnt1_i32_b32 s12, s12
	v_cmp_ne_u32_e64 s14, 0, v11
	s_bcnt1_i32_b32 s11, s11
	s_bcnt1_i32_b32 s13, s13
	s_add_i32 s11, s12, s11
	s_bcnt1_i32_b32 s14, s14
	s_add_i32 s11, s11, s13
	s_add_i32 s11, s11, s14
	s_add_u32 s70, s70, s11
	s_addc_u32 s71, s71, 0
	s_and_b32 s6, s6, s23
	v_mov_b32_e32 v12, s70
	v_cndmask_b32_e64 v8, 0, 1, s6
	s_and_b32 s6, s7, s24
	v_mov_b32_e32 v13, s71
	v_cndmask_b32_e64 v9, 0, 1, s6
	s_and_b32 s6, s9, s25
	v_cndmask_b32_e64 v10, 0, 1, s6
	s_and_b32 s6, s10, s26
	v_cmp_ne_u32_e64 s7, 0, v9
	v_cndmask_b32_e64 v11, 0, 1, s6
	v_cmp_ne_u32_e64 s6, 0, v8
	v_cmp_ne_u32_e64 s9, 0, v10
	v_mov_b32_e32 v8, s74
	s_bcnt1_i32_b32 s7, s7
	v_cmp_ne_u32_e64 s10, 0, v11
	s_bcnt1_i32_b32 s6, s6
	s_bcnt1_i32_b32 s9, s9
	s_add_i32 s6, s7, s6
	v_mov_b32_e32 v10, s72
	s_bcnt1_i32_b32 s7, s10
	s_add_i32 s6, s6, s9
	v_mov_b32_e32 v9, s75
	s_add_i32 s6, s6, s7
	v_mov_b32_e32 v11, s73
	s_add_u32 s68, s68, s6
	s_addc_u32 s69, s69, 0
	v_mov_b32_e32 v14, s68
	v_mov_b32_e32 v15, s69
	s_or_b32 s58, vcc_lo, s58
	s_andn2_b32 exec_lo, exec_lo, s58
	s_cbranch_execnz .LBB183_65
; %bb.66:                               ;   in Loop: Header=BB183_12 Depth=1
	s_or_b32 exec_lo, exec_lo, s58
.LBB183_67:                             ;   in Loop: Header=BB183_12 Depth=1
	s_or_b32 exec_lo, exec_lo, s46
	v_add_co_u32 v4, s6, s66, v0
	v_and_b32_e32 v2, 0xffff, v2
	v_add_co_ci_u32_e64 v5, null, s67, 0, s6
	s_and_b32 s26, s62, 0x7fffffff
	s_mov_b32 s12, exec_lo
	v_cmpx_gt_u64_e64 s[26:27], v[4:5]
	s_cbranch_execz .LBB183_71
; %bb.68:                               ;   in Loop: Header=BB183_12 Depth=1
	v_lshl_add_u32 v28, s64, 5, v34
	s_lshl_b32 s14, s44, 3
	s_mov_b32 s13, 0
.LBB183_69:                             ;   Parent Loop BB183_12 Depth=1
                                        ; =>  This Inner Loop Header: Depth=2
	ds_read_b64 v[29:30], v28
	v_add_co_u32 v4, vcc_lo, v4, v2
	v_add_co_ci_u32_e64 v5, null, 0, v5, vcc_lo
	v_add_nc_u32_e32 v28, s14, v28
	v_cmp_le_u64_e32 vcc_lo, s[26:27], v[4:5]
	s_waitcnt lgkmcnt(0)
	v_cmp_o_f64_e64 s6, v[29:30], v[29:30]
	v_ashrrev_i32_e32 v18, 31, v30
	v_or_b32_e32 v31, 0x80000000, v18
	v_xor_b32_e32 v18, v18, v29
	v_xor_b32_e32 v31, v31, v30
	v_cndmask_b32_e64 v30, -1, v31, s6
	v_cndmask_b32_e64 v29, -1, v18, s6
	v_and_b32_e32 v40, v30, v25
	v_and_b32_e32 v39, v29, v24
	v_lshrrev_b64 v[29:30], s93, v[29:30]
	v_cmp_eq_u64_e64 s6, v[39:40], v[22:23]
	v_and_b32_e32 v18, 3, v29
	v_cmp_eq_u64_e64 s7, 0, v[18:19]
	v_cmp_eq_u64_e64 s9, 1, v[18:19]
	v_cmp_eq_u64_e64 s10, 2, v[18:19]
	v_cmp_eq_u64_e64 s11, 3, v[18:19]
	s_and_b32 s7, s6, s7
	v_cndmask_b32_e64 v18, 0, 1, s7
	s_and_b32 s7, s6, s9
	v_cndmask_b32_e64 v29, 0, 1, s7
	s_and_b32 s7, s6, s10
	s_and_b32 s6, s6, s11
	v_cndmask_b32_e64 v30, 0, 1, s7
	v_cndmask_b32_e64 v31, 0, 1, s6
	v_cmp_ne_u32_e64 s6, 0, v18
	v_cmp_ne_u32_e64 s7, 0, v29
	;; [unrolled: 1-line block ×4, first 2 shown]
	s_bcnt1_i32_b32 s6, s6
	s_bcnt1_i32_b32 s7, s7
	v_add_co_u32 v8, s6, v8, s6
	s_bcnt1_i32_b32 s9, s9
	v_add_co_ci_u32_e64 v9, null, 0, v9, s6
	v_add_co_u32 v10, s6, v10, s7
	s_bcnt1_i32_b32 s10, s10
	v_add_co_ci_u32_e64 v11, null, 0, v11, s6
	v_add_co_u32 v12, s6, v12, s9
	v_add_co_ci_u32_e64 v13, null, 0, v13, s6
	v_add_co_u32 v14, s6, v14, s10
	v_add_co_ci_u32_e64 v15, null, 0, v15, s6
	s_or_b32 s13, vcc_lo, s13
	s_andn2_b32 exec_lo, exec_lo, s13
	s_cbranch_execnz .LBB183_69
; %bb.70:                               ;   in Loop: Header=BB183_12 Depth=1
	s_or_b32 exec_lo, exec_lo, s13
.LBB183_71:                             ;   in Loop: Header=BB183_12 Depth=1
	s_or_b32 exec_lo, exec_lo, s12
	s_lshl_b32 s6, s89, 7
	s_and_saveexec_b32 s7, s0
	s_cbranch_execnz .LBB183_42
	s_branch .LBB183_43
.LBB183_72:                             ;   in Loop: Header=BB183_12 Depth=1
                                        ; implicit-def: $sgpr6_sgpr7
	s_branch .LBB183_51
.LBB183_73:                             ;   in Loop: Header=BB183_12 Depth=1
	s_mov_b32 s9, 0
	s_andn2_b32 vcc_lo, exec_lo, s85
	s_cbranch_vccnz .LBB183_76
.LBB183_74:                             ;   in Loop: Header=BB183_12 Depth=1
	s_lshl_b32 s10, s89, 10
	s_lshl_b32 s9, s9, 5
	v_add3_u32 v2, s10, s9, v38
	s_mov_b32 s9, s83
.LBB183_75:                             ;   Parent Loop BB183_12 Depth=1
                                        ; =>  This Inner Loop Header: Depth=2
	ds_read_b64 v[8:9], v2
	v_add_nc_u32_e32 v2, 32, v2
	s_add_i32 s9, s9, -1
	s_cmp_lg_u32 s9, 0
	s_waitcnt lgkmcnt(0)
	v_add_co_u32 v4, vcc_lo, v8, v4
	v_add_co_ci_u32_e64 v5, null, v9, v5, vcc_lo
	s_cbranch_scc1 .LBB183_75
.LBB183_76:                             ;   in Loop: Header=BB183_12 Depth=1
	v_add_lshl_u32 v2, s6, v33, 3
	ds_write_b64 v2, v[4:5] offset:3072
.LBB183_77:                             ;   in Loop: Header=BB183_12 Depth=1
	s_or_b32 exec_lo, exec_lo, s7
	s_lshl_b32 s6, s6, 3
	s_waitcnt lgkmcnt(0)
	v_mov_b32_e32 v2, s6
	s_barrier
	buffer_gl0_inv
	v_cmp_eq_u64_e64 s7, 1, v[26:27]
	s_lshl_b64 s[12:13], 3, s93
	ds_read_b128 v[8:11], v2 offset:3072
	ds_read_b128 v[12:15], v2 offset:3088
	s_mov_b32 s66, -1
	s_not_b64 s[14:15], s[12:13]
	s_mov_b32 s9, 0
	s_andn2_b32 vcc_lo, exec_lo, s53
	s_mov_b32 s63, 0
	s_mov_b32 s62, 0
                                        ; implicit-def: $sgpr64
                                        ; implicit-def: $sgpr65
                                        ; implicit-def: $vgpr28_vgpr29
                                        ; implicit-def: $vgpr39
	s_waitcnt lgkmcnt(1)
	v_readfirstlane_b32 s11, v9
	v_readfirstlane_b32 s10, v8
	;; [unrolled: 1-line block ×4, first 2 shown]
	s_waitcnt lgkmcnt(0)
	v_readfirstlane_b32 s19, v13
	v_readfirstlane_b32 s18, v12
	;; [unrolled: 1-line block ×4, first 2 shown]
                                        ; implicit-def: $vgpr14_vgpr15
                                        ; implicit-def: $vgpr12_vgpr13
                                        ; implicit-def: $vgpr10_vgpr11
	s_cbranch_vccnz .LBB183_280
; %bb.78:                               ;   in Loop: Header=BB183_12 Depth=1
	s_cmp_eq_u64 s[10:11], 1
	v_mov_b32_e32 v14, v22
	v_mov_b32_e32 v12, v24
	;; [unrolled: 1-line block ×6, first 2 shown]
	s_cselect_b32 s6, -1, 0
	s_mov_b32 s22, -1
	s_and_b32 s6, s6, s7
                                        ; implicit-def: $sgpr65
                                        ; implicit-def: $sgpr64
	s_and_saveexec_b32 s66, s6
	s_cbranch_execz .LBB183_115
; %bb.79:                               ;   in Loop: Header=BB183_12 Depth=1
	ds_read_b64 v[4:5], v19 offset:5120
	s_waitcnt lgkmcnt(0)
	s_barrier
	buffer_gl0_inv
	v_readfirstlane_b32 s22, v4
	v_readfirstlane_b32 s23, v5
	s_and_saveexec_b32 s24, s8
; %bb.80:                               ;   in Loop: Header=BB183_12 Depth=1
	v_mov_b32_e32 v18, v19
	ds_write_b64 v35, v[18:19]
; %bb.81:                               ;   in Loop: Header=BB183_12 Depth=1
	s_or_b32 exec_lo, exec_lo, s24
	v_and_b32_e32 v15, s15, v23
	v_and_b32_e32 v14, s14, v22
	v_or_b32_e32 v13, s13, v25
	v_or_b32_e32 v12, s12, v24
	s_mov_b32 s64, -1
	s_mov_b32 s65, 0
	s_cmp_eq_u64 s[22:23], 0
	s_mov_b32 s44, 0
	s_mov_b32 s26, -1
	s_waitcnt lgkmcnt(0)
	s_barrier
	buffer_gl0_inv
                                        ; implicit-def: $vgpr10_vgpr11
	s_cbranch_scc1 .LBB183_99
; %bb.82:                               ;   in Loop: Header=BB183_12 Depth=1
	s_add_u32 s44, s22, s80
	s_addc_u32 s25, s23, s81
	s_mov_b32 s24, s27
	s_cmp_lg_u64 s[24:25], 0
	s_cbranch_scc0 .LBB183_142
; %bb.83:                               ;   in Loop: Header=BB183_12 Depth=1
	v_cvt_f32_u32_e32 v2, s49
	s_sub_u32 s45, 0, s49
	s_subb_u32 s46, 0, 0
	v_fmac_f32_e64 v2, 0x4f800000, 0
	v_rcp_f32_e32 v2, v2
	v_mul_f32_e32 v2, 0x5f7ffffc, v2
	v_mul_f32_e32 v4, 0x2f800000, v2
	v_trunc_f32_e32 v4, v4
	v_fmac_f32_e32 v2, 0xcf800000, v4
	v_cvt_u32_f32_e32 v4, v4
	v_cvt_u32_f32_e32 v2, v2
	v_readfirstlane_b32 s24, v4
	v_readfirstlane_b32 s26, v2
	s_mul_i32 s47, s45, s24
	s_mul_hi_u32 s55, s45, s26
	s_mul_i32 s54, s46, s26
	s_add_i32 s47, s55, s47
	s_mul_i32 s56, s45, s26
	s_add_i32 s47, s47, s54
	s_mul_hi_u32 s55, s26, s56
	s_mul_i32 s58, s26, s47
	s_mul_hi_u32 s57, s24, s56
	s_mul_i32 s54, s24, s56
	s_mul_hi_u32 s56, s26, s47
	s_add_u32 s55, s55, s58
	s_addc_u32 s56, 0, s56
	s_mul_hi_u32 s62, s24, s47
	s_add_u32 s54, s55, s54
	s_mul_i32 s47, s24, s47
	s_addc_u32 s54, s56, s57
	s_addc_u32 s55, s62, 0
	s_add_u32 s47, s54, s47
	s_addc_u32 s54, 0, s55
	s_add_u32 s26, s26, s47
	s_cselect_b32 s47, -1, 0
	s_mul_hi_u32 s55, s45, s26
	s_cmp_lg_u32 s47, 0
	s_mul_i32 s47, s45, s26
	s_addc_u32 s24, s24, s54
	s_mul_i32 s46, s46, s26
	s_mul_i32 s45, s45, s24
	s_mul_hi_u32 s54, s26, s47
	s_add_i32 s45, s55, s45
	s_mul_hi_u32 s55, s24, s47
	s_add_i32 s45, s45, s46
	s_mul_i32 s46, s24, s47
	s_mul_i32 s57, s26, s45
	s_mul_hi_u32 s56, s26, s45
	s_add_u32 s54, s54, s57
	s_addc_u32 s56, 0, s56
	s_mul_hi_u32 s47, s24, s45
	s_add_u32 s46, s54, s46
	s_mul_i32 s45, s24, s45
	s_addc_u32 s46, s56, s55
	s_addc_u32 s47, s47, 0
	s_add_u32 s45, s46, s45
	s_addc_u32 s46, 0, s47
	s_add_u32 s26, s26, s45
	s_cselect_b32 s45, -1, 0
	s_mul_hi_u32 s47, s44, s26
	s_cmp_lg_u32 s45, 0
	s_mul_hi_u32 s45, s25, s26
	s_addc_u32 s24, s24, s46
	s_mul_i32 s26, s25, s26
	s_mul_i32 s54, s44, s24
	s_mul_hi_u32 s46, s44, s24
	s_add_u32 s47, s47, s54
	s_addc_u32 s46, 0, s46
	s_mul_hi_u32 s55, s25, s24
	s_add_u32 s26, s47, s26
	s_mul_i32 s24, s25, s24
	s_addc_u32 s26, s46, s45
	s_addc_u32 s45, s55, 0
	s_add_u32 s24, s26, s24
	s_addc_u32 s26, 0, s45
	s_mul_hi_u32 s45, s49, s24
	s_mul_i32 s26, s49, s26
	s_mul_i32 s24, s49, s24
	s_add_i32 s45, s45, s26
	s_sub_u32 s24, s44, s24
	s_cselect_b32 s26, -1, 0
	s_cmp_lg_u32 s26, 0
	s_subb_u32 s26, s25, s45
	s_sub_u32 s45, s24, s49
	s_cselect_b32 s46, -1, 0
	s_cmp_lg_u32 s46, 0
	s_subb_u32 s46, s26, 0
	;; [unrolled: 4-line block ×3, first 2 shown]
	s_cmp_ge_u32 s45, s49
	s_cselect_b32 s55, -1, 0
	s_cmp_eq_u32 s46, 0
	s_cselect_b32 s55, s55, -1
	s_cmp_lg_u32 s55, 0
	s_cselect_b32 s46, s54, s46
	s_cselect_b32 s45, s47, s45
	s_cmp_ge_u32 s24, s49
	s_cselect_b32 s47, -1, 0
	s_cmp_eq_u32 s26, 0
	s_cselect_b32 s47, s47, -1
	s_cmp_lg_u32 s47, 0
	s_cselect_b32 s63, s46, s26
	s_cselect_b32 s62, s45, s24
	s_cbranch_execnz .LBB183_85
.LBB183_84:                             ;   in Loop: Header=BB183_12 Depth=1
	v_cvt_f32_u32_e32 v2, s49
	s_sub_i32 s26, 0, s49
	v_rcp_iflag_f32_e32 v2, v2
	v_mul_f32_e32 v2, 0x4f7ffffe, v2
	v_cvt_u32_f32_e32 v2, v2
	v_readfirstlane_b32 s24, v2
	s_mul_i32 s26, s26, s24
	s_mul_hi_u32 s26, s24, s26
	s_add_i32 s24, s24, s26
	s_mul_hi_u32 s24, s44, s24
	s_mul_i32 s24, s24, s49
	s_sub_i32 s24, s44, s24
	s_sub_i32 s26, s24, s49
	s_cmp_ge_u32 s24, s49
	s_cselect_b32 s24, s26, s24
	s_sub_i32 s26, s24, s49
	s_cmp_ge_u32 s24, s49
	s_cselect_b32 s26, s26, s24
	s_mov_b64 s[62:63], s[26:27]
.LBB183_85:                             ;   in Loop: Header=BB183_12 Depth=1
	s_sub_u32 s24, s44, s62
	s_subb_u32 s25, s25, s63
	s_mov_b32 s26, 0
	s_mov_b32 s44, 0
	s_mov_b32 s45, exec_lo
                                        ; implicit-def: $vgpr10_vgpr11
	v_cmpx_gt_u64_e64 s[24:25], v[0:1]
	s_cbranch_execz .LBB183_98
; %bb.86:                               ;   in Loop: Header=BB183_12 Depth=1
	v_mov_b32_e32 v29, v1
	v_mov_b32_e32 v18, v34
	;; [unrolled: 1-line block ×3, first 2 shown]
                                        ; implicit-def: $sgpr46
	s_branch .LBB183_90
.LBB183_87:                             ;   in Loop: Header=BB183_90 Depth=2
	s_or_b32 exec_lo, exec_lo, s47
	s_waitcnt lgkmcnt(0)
	s_barrier
	buffer_gl0_inv
	ds_read_b128 v[8:11], v19 offset:3072
	s_waitcnt lgkmcnt(0)
	s_barrier
	buffer_gl0_inv
	v_cmp_neq_f64_e32 vcc_lo, 0, v[8:9]
	s_cbranch_vccnz .LBB183_93
; %bb.88:                               ;   in Loop: Header=BB183_90 Depth=2
	v_add_co_u32 v28, vcc_lo, v28, s49
	v_add_co_ci_u32_e64 v29, null, 0, v29, vcc_lo
	v_add_nc_u32_e32 v18, s86, v18
	s_mov_b32 s47, 0
	v_cmp_le_u64_e32 vcc_lo, s[24:25], v[28:29]
	s_orn2_b32 s58, vcc_lo, exec_lo
.LBB183_89:                             ;   in Loop: Header=BB183_90 Depth=2
	s_and_b32 s54, exec_lo, s58
	s_or_b32 s44, s54, s44
	s_andn2_b32 s46, s46, exec_lo
	s_and_b32 s47, s47, exec_lo
	s_or_b32 s46, s46, s47
	s_andn2_b32 exec_lo, exec_lo, s44
	s_cbranch_execz .LBB183_97
.LBB183_90:                             ;   Parent Loop BB183_12 Depth=1
                                        ; =>  This Inner Loop Header: Depth=2
	s_mov_b32 s47, exec_lo
	v_cmpx_gt_u64_e64 s[22:23], v[28:29]
	s_cbranch_execz .LBB183_87
; %bb.91:                               ;   in Loop: Header=BB183_90 Depth=2
	ds_read_b64 v[4:5], v18
	s_waitcnt lgkmcnt(0)
	v_cmp_o_f64_e32 vcc_lo, v[4:5], v[4:5]
	v_ashrrev_i32_e32 v2, 31, v5
	v_or_b32_e32 v8, 0x80000000, v2
	v_xor_b32_e32 v2, v2, v4
	v_xor_b32_e32 v8, v8, v5
	v_cndmask_b32_e32 v8, -1, v8, vcc_lo
	v_cndmask_b32_e32 v2, -1, v2, vcc_lo
	v_and_b32_e32 v9, v8, v13
	v_and_b32_e32 v8, v2, v12
	v_cmp_eq_u64_e32 vcc_lo, v[8:9], v[14:15]
	s_and_b32 exec_lo, exec_lo, vcc_lo
	s_cbranch_execz .LBB183_87
; %bb.92:                               ;   in Loop: Header=BB183_90 Depth=2
	v_mov_b32_e32 v2, v19
	ds_write_b128 v19, v[2:5] offset:3072
	s_branch .LBB183_87
.LBB183_93:                             ;   in Loop: Header=BB183_90 Depth=2
	s_mov_b32 s58, -1
	s_mov_b32 s47, -1
                                        ; implicit-def: $vgpr28_vgpr29
                                        ; implicit-def: $vgpr18
	s_branch .LBB183_89
.LBB183_94:                             ;   in Loop: Header=BB183_12 Depth=1
	s_or_b32 exec_lo, exec_lo, s10
	s_waitcnt lgkmcnt(0)
	s_barrier
	buffer_gl0_inv
	s_and_saveexec_b32 s6, s3
	s_cbranch_execz .LBB183_96
; %bb.95:                               ;   in Loop: Header=BB183_12 Depth=1
	ds_read_b32 v4, v19 offset:5144
	s_waitcnt lgkmcnt(0)
	v_ashrrev_i32_e32 v5, 31, v4
	ds_write_b64 v19, v[4:5] offset:5120
.LBB183_96:                             ;   in Loop: Header=BB183_12 Depth=1
	s_or_b32 exec_lo, exec_lo, s6
	s_waitcnt lgkmcnt(0)
	s_mov_b32 s6, -1
	s_barrier
	s_and_b32 vcc_lo, exec_lo, s9
	s_cbranch_vccnz .LBB183_28
	s_branch .LBB183_37
.LBB183_97:                             ;   in Loop: Header=BB183_12 Depth=1
	s_or_b32 exec_lo, exec_lo, s44
	s_and_b32 s44, s46, exec_lo
.LBB183_98:                             ;   in Loop: Header=BB183_12 Depth=1
	s_or_b32 exec_lo, exec_lo, s45
.LBB183_99:                             ;   in Loop: Header=BB183_12 Depth=1
	s_and_b32 vcc_lo, exec_lo, s26
	s_cbranch_vccz .LBB183_114
; %bb.100:                              ;   in Loop: Header=BB183_12 Depth=1
	s_mov_b32 s58, s27
	s_cmp_lg_u64 s[58:59], 0
	s_cbranch_scc0 .LBB183_143
; %bb.101:                              ;   in Loop: Header=BB183_12 Depth=1
	v_cvt_f32_u32_e32 v2, s49
	s_sub_u32 s24, 0, s49
	s_subb_u32 s25, 0, 0
	v_fmac_f32_e64 v2, 0x4f800000, 0
	v_rcp_f32_e32 v2, v2
	v_mul_f32_e32 v2, 0x5f7ffffc, v2
	v_mul_f32_e32 v4, 0x2f800000, v2
	v_trunc_f32_e32 v4, v4
	v_fmac_f32_e32 v2, 0xcf800000, v4
	v_cvt_u32_f32_e32 v4, v4
	v_cvt_u32_f32_e32 v2, v2
	v_readfirstlane_b32 s22, v4
	v_readfirstlane_b32 s23, v2
	s_mul_i32 s26, s24, s22
	s_mul_hi_u32 s46, s24, s23
	s_mul_i32 s45, s25, s23
	s_add_i32 s26, s46, s26
	s_mul_i32 s47, s24, s23
	s_add_i32 s26, s26, s45
	s_mul_hi_u32 s46, s23, s47
	s_mul_i32 s55, s23, s26
	s_mul_hi_u32 s54, s22, s47
	s_mul_i32 s45, s22, s47
	s_mul_hi_u32 s47, s23, s26
	s_add_u32 s46, s46, s55
	s_addc_u32 s47, 0, s47
	s_mul_hi_u32 s56, s22, s26
	s_add_u32 s45, s46, s45
	s_mul_i32 s26, s22, s26
	s_addc_u32 s45, s47, s54
	s_addc_u32 s46, s56, 0
	s_add_u32 s26, s45, s26
	s_addc_u32 s45, 0, s46
	s_add_u32 s23, s23, s26
	s_cselect_b32 s26, -1, 0
	s_mul_hi_u32 s46, s24, s23
	s_cmp_lg_u32 s26, 0
	s_mul_i32 s26, s24, s23
	s_addc_u32 s22, s22, s45
	s_mul_i32 s25, s25, s23
	s_mul_i32 s24, s24, s22
	s_mul_hi_u32 s45, s23, s26
	s_add_i32 s24, s46, s24
	s_mul_hi_u32 s46, s22, s26
	s_add_i32 s24, s24, s25
	s_mul_i32 s25, s22, s26
	s_mul_i32 s54, s23, s24
	s_mul_hi_u32 s47, s23, s24
	s_add_u32 s45, s45, s54
	s_addc_u32 s47, 0, s47
	s_mul_hi_u32 s26, s22, s24
	s_add_u32 s25, s45, s25
	s_mul_i32 s24, s22, s24
	s_addc_u32 s25, s47, s46
	s_addc_u32 s26, s26, 0
	s_add_u32 s24, s25, s24
	s_addc_u32 s25, 0, s26
	s_add_u32 s23, s23, s24
	s_cselect_b32 s24, -1, 0
	s_mul_hi_u32 s26, s82, s23
	s_cmp_lg_u32 s24, 0
	s_mul_hi_u32 s24, s59, s23
	s_addc_u32 s22, s22, s25
	s_mul_i32 s23, s59, s23
	s_mul_i32 s45, s82, s22
	s_mul_hi_u32 s25, s82, s22
	s_add_u32 s26, s26, s45
	s_addc_u32 s25, 0, s25
	s_mul_hi_u32 s46, s59, s22
	s_add_u32 s23, s26, s23
	s_mul_i32 s22, s59, s22
	s_addc_u32 s23, s25, s24
	s_addc_u32 s24, s46, 0
	s_add_u32 s22, s23, s22
	s_addc_u32 s23, 0, s24
	s_mul_hi_u32 s24, s49, s22
	s_mul_i32 s23, s49, s23
	s_mul_i32 s22, s49, s22
	s_add_i32 s24, s24, s23
	s_sub_u32 s22, s82, s22
	s_cselect_b32 s23, -1, 0
	s_cmp_lg_u32 s23, 0
	s_subb_u32 s23, s59, s24
	s_sub_u32 s24, s22, s49
	s_cselect_b32 s25, -1, 0
	s_cmp_lg_u32 s25, 0
	s_subb_u32 s25, s23, 0
	s_sub_u32 s26, s24, s49
	s_cselect_b32 s45, -1, 0
	s_cmp_lg_u32 s45, 0
	s_subb_u32 s45, s25, 0
	s_cmp_ge_u32 s24, s49
	s_cselect_b32 s46, -1, 0
	s_cmp_eq_u32 s25, 0
	s_cselect_b32 s46, s46, -1
	s_cmp_lg_u32 s46, 0
	s_cselect_b32 s25, s45, s25
	s_cselect_b32 s24, s26, s24
	s_cmp_ge_u32 s22, s49
	s_cselect_b32 s26, -1, 0
	s_cmp_eq_u32 s23, 0
	s_cselect_b32 s26, s26, -1
	s_cmp_lg_u32 s26, 0
	s_cselect_b32 s23, s25, s23
	s_cselect_b32 s22, s24, s22
	s_cbranch_execnz .LBB183_103
.LBB183_102:                            ;   in Loop: Header=BB183_12 Depth=1
	v_cvt_f32_u32_e32 v2, s49
	s_sub_i32 s23, 0, s49
	v_rcp_iflag_f32_e32 v2, v2
	v_mul_f32_e32 v2, 0x4f7ffffe, v2
	v_cvt_u32_f32_e32 v2, v2
	v_readfirstlane_b32 s22, v2
	s_mul_i32 s23, s23, s22
	s_mul_hi_u32 s23, s22, s23
	s_add_i32 s22, s22, s23
	s_mul_hi_u32 s22, s82, s22
	s_mul_i32 s22, s22, s49
	s_sub_i32 s22, s82, s22
	s_sub_i32 s23, s22, s49
	s_cmp_ge_u32 s22, s49
	s_cselect_b32 s22, s23, s22
	s_sub_i32 s23, s22, s49
	s_cmp_ge_u32 s22, s49
	s_cselect_b32 s26, s23, s22
	s_mov_b64 s[22:23], s[26:27]
.LBB183_103:                            ;   in Loop: Header=BB183_12 Depth=1
	s_sub_u32 s22, s82, s22
	s_subb_u32 s23, s59, s23
	s_mov_b32 s24, exec_lo
                                        ; implicit-def: $vgpr10_vgpr11
	v_cmpx_gt_u64_e64 s[22:23], v[0:1]
	s_cbranch_execz .LBB183_113
; %bb.104:                              ;   in Loop: Header=BB183_12 Depth=1
	v_mov_b32_e32 v29, v1
	v_mov_b32_e32 v28, v0
	s_mov_b32 s26, 0
                                        ; implicit-def: $sgpr25
	s_branch .LBB183_108
.LBB183_105:                            ;   in Loop: Header=BB183_108 Depth=2
	s_or_b32 exec_lo, exec_lo, s45
	s_waitcnt lgkmcnt(0)
	s_barrier
	buffer_gl0_inv
	ds_read_b128 v[8:11], v19 offset:3072
	s_waitcnt lgkmcnt(0)
	s_barrier
	buffer_gl0_inv
	v_cmp_neq_f64_e32 vcc_lo, 0, v[8:9]
	s_cbranch_vccnz .LBB183_111
; %bb.106:                              ;   in Loop: Header=BB183_108 Depth=2
	v_add_co_u32 v28, vcc_lo, v28, s49
	v_add_co_ci_u32_e64 v29, null, 0, v29, vcc_lo
	s_mov_b32 s45, 0
	v_cmp_le_u64_e32 vcc_lo, s[22:23], v[28:29]
	s_orn2_b32 s46, vcc_lo, exec_lo
.LBB183_107:                            ;   in Loop: Header=BB183_108 Depth=2
	s_and_b32 s46, exec_lo, s46
	s_or_b32 s26, s46, s26
	s_andn2_b32 s25, s25, exec_lo
	s_and_b32 s45, s45, exec_lo
	s_or_b32 s25, s25, s45
	s_andn2_b32 exec_lo, exec_lo, s26
	s_cbranch_execz .LBB183_112
.LBB183_108:                            ;   Parent Loop BB183_12 Depth=1
                                        ; =>  This Inner Loop Header: Depth=2
	s_mov_b32 s45, exec_lo
	v_cmpx_gt_u64_e64 s[36:37], v[28:29]
	s_cbranch_execz .LBB183_105
; %bb.109:                              ;   in Loop: Header=BB183_108 Depth=2
	v_mul_lo_u32 v2, v29, s30
	v_mul_lo_u32 v8, v28, s31
	v_mad_u64_u32 v[4:5], null, v28, s30, 0
	v_add3_u32 v5, v5, v8, v2
	v_lshlrev_b64 v[4:5], 3, v[4:5]
	v_add_co_u32 v4, vcc_lo, s33, v4
	v_add_co_ci_u32_e64 v5, null, s35, v5, vcc_lo
	global_load_dwordx2 v[4:5], v[4:5], off
	s_waitcnt vmcnt(0)
	v_cmp_o_f64_e32 vcc_lo, v[4:5], v[4:5]
	v_ashrrev_i32_e32 v2, 31, v5
	v_or_b32_e32 v8, 0x80000000, v2
	v_xor_b32_e32 v2, v2, v4
	v_xor_b32_e32 v8, v8, v5
	v_cndmask_b32_e32 v8, -1, v8, vcc_lo
	v_cndmask_b32_e32 v2, -1, v2, vcc_lo
	v_and_b32_e32 v9, v8, v13
	v_and_b32_e32 v8, v2, v12
	v_cmp_eq_u64_e32 vcc_lo, v[8:9], v[14:15]
	s_and_b32 exec_lo, exec_lo, vcc_lo
	s_cbranch_execz .LBB183_105
; %bb.110:                              ;   in Loop: Header=BB183_108 Depth=2
	v_mov_b32_e32 v2, v19
	ds_write_b128 v19, v[2:5] offset:3072
	s_branch .LBB183_105
.LBB183_111:                            ;   in Loop: Header=BB183_108 Depth=2
	s_mov_b32 s46, -1
	s_mov_b32 s45, -1
                                        ; implicit-def: $vgpr28_vgpr29
	s_branch .LBB183_107
.LBB183_112:                            ;   in Loop: Header=BB183_12 Depth=1
	s_or_b32 exec_lo, exec_lo, s26
	s_andn2_b32 s22, s44, exec_lo
	s_and_b32 s23, s25, exec_lo
	s_or_b32 s44, s22, s23
.LBB183_113:                            ;   in Loop: Header=BB183_12 Depth=1
	s_or_b32 exec_lo, exec_lo, s24
	s_mov_b32 s64, 0
	s_mov_b32 s65, -1
.LBB183_114:                            ;   in Loop: Header=BB183_12 Depth=1
	s_orn2_b32 s22, s44, exec_lo
.LBB183_115:                            ;   in Loop: Header=BB183_12 Depth=1
	s_or_b32 exec_lo, exec_lo, s66
	s_mov_b32 s66, 0
	s_mov_b32 s63, 0
	;; [unrolled: 1-line block ×3, first 2 shown]
                                        ; implicit-def: $vgpr28_vgpr29
                                        ; implicit-def: $vgpr39
	s_and_saveexec_b32 s67, s22
	s_cbranch_execz .LBB183_279
; %bb.116:                              ;   in Loop: Header=BB183_12 Depth=1
	v_mov_b32_e32 v28, 1
	v_mov_b32_e32 v29, 0
	;; [unrolled: 1-line block ×3, first 2 shown]
	s_xor_b32 s22, s6, -1
	s_mov_b32 s23, 0
	s_and_saveexec_b32 s6, s22
	s_cbranch_execz .LBB183_125
; %bb.117:                              ;   in Loop: Header=BB183_12 Depth=1
	s_mov_b32 s22, exec_lo
	v_cmpx_ge_u64_e64 s[10:11], v[26:27]
	s_xor_b32 s22, exec_lo, s22
	s_cbranch_execz .LBB183_122
; %bb.118:                              ;   in Loop: Header=BB183_12 Depth=1
	ds_read_b64 v[4:5], v19 offset:5120
	v_and_b32_e32 v15, s15, v15
	v_and_b32_e32 v14, s14, v14
	v_or_b32_e32 v13, s13, v13
	v_or_b32_e32 v12, s12, v12
	s_waitcnt lgkmcnt(0)
	v_cmp_ne_u64_e32 vcc_lo, 0, v[4:5]
	s_cbranch_vccnz .LBB183_122
; %bb.119:                              ;   in Loop: Header=BB183_12 Depth=1
	s_and_saveexec_b32 s23, s3
; %bb.120:                              ;   in Loop: Header=BB183_12 Depth=1
	v_mov_b32_e32 v4, s10
	v_mov_b32_e32 v5, s11
	ds_write_b64 v19, v[4:5] offset:5128
; %bb.121:                              ;   in Loop: Header=BB183_12 Depth=1
	s_or_b32 exec_lo, exec_lo, s23
	s_waitcnt lgkmcnt(0)
	s_barrier
	buffer_gl0_inv
.LBB183_122:                            ;   in Loop: Header=BB183_12 Depth=1
	s_or_saveexec_b32 s22, s22
	v_mov_b32_e32 v29, v27
	v_mov_b32_e32 v39, 8
	;; [unrolled: 1-line block ×3, first 2 shown]
	s_mov_b32 s23, 0
	s_xor_b32 exec_lo, exec_lo, s22
; %bb.123:                              ;   in Loop: Header=BB183_12 Depth=1
	v_sub_co_u32 v28, vcc_lo, v26, s10
	v_subrev_co_ci_u32_e64 v29, null, s11, v27, vcc_lo
	v_mov_b32_e32 v39, 0
	s_mov_b32 s23, exec_lo
; %bb.124:                              ;   in Loop: Header=BB183_12 Depth=1
	s_or_b32 exec_lo, exec_lo, s22
	s_and_b32 s23, s23, exec_lo
.LBB183_125:                            ;   in Loop: Header=BB183_12 Depth=1
	s_or_b32 exec_lo, exec_lo, s6
	s_mov_b32 s22, -1
                                        ; implicit-def: $sgpr68
                                        ; implicit-def: $sgpr69
	s_and_saveexec_b32 s6, s23
	s_xor_b32 s6, exec_lo, s6
	s_cbranch_execz .LBB183_276
; %bb.126:                              ;   in Loop: Header=BB183_12 Depth=1
	v_cmp_eq_u64_e32 vcc_lo, 1, v[28:29]
	s_cmp_eq_u64 s[16:17], 1
                                        ; implicit-def: $sgpr69
                                        ; implicit-def: $sgpr68
	s_cselect_b32 s22, -1, 0
	s_and_b32 s71, s22, vcc_lo
	s_mov_b32 s22, -1
	s_and_saveexec_b32 s70, s71
	s_cbranch_execz .LBB183_162
; %bb.127:                              ;   in Loop: Header=BB183_12 Depth=1
	ds_read_b64 v[4:5], v19 offset:5120
	s_waitcnt lgkmcnt(0)
	s_barrier
	buffer_gl0_inv
	v_readfirstlane_b32 s22, v4
	v_readfirstlane_b32 s23, v5
	s_and_saveexec_b32 s24, s8
; %bb.128:                              ;   in Loop: Header=BB183_12 Depth=1
	v_mov_b32_e32 v18, v19
	ds_write_b64 v35, v[18:19]
; %bb.129:                              ;   in Loop: Header=BB183_12 Depth=1
	s_or_b32 exec_lo, exec_lo, s24
	v_and_b32_e32 v2, s15, v15
	v_and_b32_e32 v4, s14, v14
	s_lshl_b64 s[24:25], 1, s93
	v_or_b32_e32 v13, s13, v13
	v_or_b32_e32 v12, s12, v12
	;; [unrolled: 1-line block ×4, first 2 shown]
	s_mov_b32 s68, -1
	s_mov_b32 s69, 0
	s_cmp_eq_u64 s[22:23], 0
	s_mov_b32 s44, 0
	s_mov_b32 s26, -1
	s_waitcnt lgkmcnt(0)
	s_barrier
	buffer_gl0_inv
                                        ; implicit-def: $vgpr10_vgpr11
	s_cbranch_scc1 .LBB183_146
; %bb.130:                              ;   in Loop: Header=BB183_12 Depth=1
	s_add_u32 s44, s22, s80
	s_addc_u32 s25, s23, s81
	s_mov_b32 s24, s27
	s_cmp_lg_u64 s[24:25], 0
	s_cbranch_scc0 .LBB183_189
; %bb.131:                              ;   in Loop: Header=BB183_12 Depth=1
	v_cvt_f32_u32_e32 v2, s49
	s_sub_u32 s45, 0, s49
	s_subb_u32 s46, 0, 0
	v_fmac_f32_e64 v2, 0x4f800000, 0
	v_rcp_f32_e32 v2, v2
	v_mul_f32_e32 v2, 0x5f7ffffc, v2
	v_mul_f32_e32 v4, 0x2f800000, v2
	v_trunc_f32_e32 v4, v4
	v_fmac_f32_e32 v2, 0xcf800000, v4
	v_cvt_u32_f32_e32 v4, v4
	v_cvt_u32_f32_e32 v2, v2
	v_readfirstlane_b32 s24, v4
	v_readfirstlane_b32 s26, v2
	s_mul_i32 s47, s45, s24
	s_mul_hi_u32 s62, s45, s26
	s_mul_i32 s58, s46, s26
	s_add_i32 s47, s62, s47
	s_mul_i32 s63, s45, s26
	s_add_i32 s47, s47, s58
	s_mul_hi_u32 s62, s26, s63
	s_mul_i32 s73, s26, s47
	s_mul_hi_u32 s72, s24, s63
	s_mul_i32 s58, s24, s63
	s_mul_hi_u32 s63, s26, s47
	s_add_u32 s62, s62, s73
	s_addc_u32 s63, 0, s63
	s_mul_hi_u32 s74, s24, s47
	s_add_u32 s58, s62, s58
	s_mul_i32 s47, s24, s47
	s_addc_u32 s58, s63, s72
	s_addc_u32 s62, s74, 0
	s_add_u32 s47, s58, s47
	s_addc_u32 s58, 0, s62
	s_add_u32 s26, s26, s47
	s_cselect_b32 s47, -1, 0
	s_mul_hi_u32 s62, s45, s26
	s_cmp_lg_u32 s47, 0
	s_mul_i32 s47, s45, s26
	s_addc_u32 s24, s24, s58
	s_mul_i32 s46, s46, s26
	s_mul_i32 s45, s45, s24
	s_mul_hi_u32 s58, s26, s47
	s_add_i32 s45, s62, s45
	s_mul_hi_u32 s62, s24, s47
	s_add_i32 s45, s45, s46
	s_mul_i32 s46, s24, s47
	s_mul_i32 s72, s26, s45
	s_mul_hi_u32 s63, s26, s45
	s_add_u32 s58, s58, s72
	s_addc_u32 s63, 0, s63
	s_mul_hi_u32 s47, s24, s45
	s_add_u32 s46, s58, s46
	s_mul_i32 s45, s24, s45
	s_addc_u32 s46, s63, s62
	s_addc_u32 s47, s47, 0
	s_add_u32 s45, s46, s45
	s_addc_u32 s46, 0, s47
	s_add_u32 s26, s26, s45
	s_cselect_b32 s45, -1, 0
	s_mul_hi_u32 s47, s44, s26
	s_cmp_lg_u32 s45, 0
	s_mul_hi_u32 s45, s25, s26
	s_addc_u32 s24, s24, s46
	s_mul_i32 s26, s25, s26
	s_mul_i32 s58, s44, s24
	s_mul_hi_u32 s46, s44, s24
	s_add_u32 s47, s47, s58
	s_addc_u32 s46, 0, s46
	s_mul_hi_u32 s62, s25, s24
	s_add_u32 s26, s47, s26
	s_mul_i32 s24, s25, s24
	s_addc_u32 s26, s46, s45
	s_addc_u32 s45, s62, 0
	s_add_u32 s24, s26, s24
	s_addc_u32 s26, 0, s45
	s_mul_hi_u32 s45, s49, s24
	s_mul_i32 s26, s49, s26
	s_mul_i32 s24, s49, s24
	s_add_i32 s45, s45, s26
	s_sub_u32 s24, s44, s24
	s_cselect_b32 s26, -1, 0
	s_cmp_lg_u32 s26, 0
	s_subb_u32 s26, s25, s45
	s_sub_u32 s45, s24, s49
	s_cselect_b32 s46, -1, 0
	s_cmp_lg_u32 s46, 0
	s_subb_u32 s46, s26, 0
	;; [unrolled: 4-line block ×3, first 2 shown]
	s_cmp_ge_u32 s45, s49
	s_cselect_b32 s62, -1, 0
	s_cmp_eq_u32 s46, 0
	s_cselect_b32 s62, s62, -1
	s_cmp_lg_u32 s62, 0
	s_cselect_b32 s46, s58, s46
	s_cselect_b32 s45, s47, s45
	s_cmp_ge_u32 s24, s49
	s_cselect_b32 s47, -1, 0
	s_cmp_eq_u32 s26, 0
	s_cselect_b32 s47, s47, -1
	s_cmp_lg_u32 s47, 0
	s_cselect_b32 s63, s46, s26
	s_cselect_b32 s62, s45, s24
	s_cbranch_execnz .LBB183_133
.LBB183_132:                            ;   in Loop: Header=BB183_12 Depth=1
	v_cvt_f32_u32_e32 v2, s49
	s_sub_i32 s26, 0, s49
	v_rcp_iflag_f32_e32 v2, v2
	v_mul_f32_e32 v2, 0x4f7ffffe, v2
	v_cvt_u32_f32_e32 v2, v2
	v_readfirstlane_b32 s24, v2
	s_mul_i32 s26, s26, s24
	s_mul_hi_u32 s26, s24, s26
	s_add_i32 s24, s24, s26
	s_mul_hi_u32 s24, s44, s24
	s_mul_i32 s24, s24, s49
	s_sub_i32 s24, s44, s24
	s_sub_i32 s26, s24, s49
	s_cmp_ge_u32 s24, s49
	s_cselect_b32 s24, s26, s24
	s_sub_i32 s26, s24, s49
	s_cmp_ge_u32 s24, s49
	s_cselect_b32 s26, s26, s24
	s_mov_b64 s[62:63], s[26:27]
.LBB183_133:                            ;   in Loop: Header=BB183_12 Depth=1
	s_sub_u32 s24, s44, s62
	s_subb_u32 s25, s25, s63
	s_mov_b32 s26, 0
	s_mov_b32 s44, 0
	s_mov_b32 s45, exec_lo
                                        ; implicit-def: $vgpr10_vgpr11
	v_cmpx_gt_u64_e64 s[24:25], v[0:1]
	s_cbranch_execz .LBB183_145
; %bb.134:                              ;   in Loop: Header=BB183_12 Depth=1
	v_mov_b32_e32 v31, v1
	v_mov_b32_e32 v18, v34
	;; [unrolled: 1-line block ×3, first 2 shown]
                                        ; implicit-def: $sgpr46
	s_branch .LBB183_138
.LBB183_135:                            ;   in Loop: Header=BB183_138 Depth=2
	s_or_b32 exec_lo, exec_lo, s47
	s_waitcnt lgkmcnt(0)
	s_barrier
	buffer_gl0_inv
	ds_read_b128 v[8:11], v19 offset:3072
	s_waitcnt lgkmcnt(0)
	s_barrier
	buffer_gl0_inv
	v_cmp_neq_f64_e32 vcc_lo, 0, v[8:9]
	s_cbranch_vccnz .LBB183_141
; %bb.136:                              ;   in Loop: Header=BB183_138 Depth=2
	v_add_co_u32 v30, vcc_lo, v30, s49
	v_add_co_ci_u32_e64 v31, null, 0, v31, vcc_lo
	v_add_nc_u32_e32 v18, s86, v18
	s_mov_b32 s47, 0
	v_cmp_le_u64_e32 vcc_lo, s[24:25], v[30:31]
	s_orn2_b32 s58, vcc_lo, exec_lo
.LBB183_137:                            ;   in Loop: Header=BB183_138 Depth=2
	s_and_b32 s54, exec_lo, s58
	s_or_b32 s44, s54, s44
	s_andn2_b32 s46, s46, exec_lo
	s_and_b32 s47, s47, exec_lo
	s_or_b32 s46, s46, s47
	s_andn2_b32 exec_lo, exec_lo, s44
	s_cbranch_execz .LBB183_144
.LBB183_138:                            ;   Parent Loop BB183_12 Depth=1
                                        ; =>  This Inner Loop Header: Depth=2
	s_mov_b32 s47, exec_lo
	v_cmpx_gt_u64_e64 s[22:23], v[30:31]
	s_cbranch_execz .LBB183_135
; %bb.139:                              ;   in Loop: Header=BB183_138 Depth=2
	ds_read_b64 v[4:5], v18
	s_waitcnt lgkmcnt(0)
	v_cmp_o_f64_e32 vcc_lo, v[4:5], v[4:5]
	v_ashrrev_i32_e32 v2, 31, v5
	v_or_b32_e32 v8, 0x80000000, v2
	v_xor_b32_e32 v2, v2, v4
	v_xor_b32_e32 v8, v8, v5
	v_cndmask_b32_e32 v8, -1, v8, vcc_lo
	v_cndmask_b32_e32 v2, -1, v2, vcc_lo
	v_and_b32_e32 v9, v8, v13
	v_and_b32_e32 v8, v2, v12
	v_cmp_eq_u64_e32 vcc_lo, v[8:9], v[14:15]
	s_and_b32 exec_lo, exec_lo, vcc_lo
	s_cbranch_execz .LBB183_135
; %bb.140:                              ;   in Loop: Header=BB183_138 Depth=2
	v_mov_b32_e32 v2, v19
	ds_write_b128 v19, v[2:5] offset:3072
	s_branch .LBB183_135
.LBB183_141:                            ;   in Loop: Header=BB183_138 Depth=2
	s_mov_b32 s58, -1
	s_mov_b32 s47, -1
                                        ; implicit-def: $vgpr30_vgpr31
                                        ; implicit-def: $vgpr18
	s_branch .LBB183_137
.LBB183_142:                            ;   in Loop: Header=BB183_12 Depth=1
                                        ; implicit-def: $sgpr62_sgpr63
	s_branch .LBB183_84
.LBB183_143:                            ;   in Loop: Header=BB183_12 Depth=1
                                        ; implicit-def: $sgpr22_sgpr23
	s_branch .LBB183_102
.LBB183_144:                            ;   in Loop: Header=BB183_12 Depth=1
	s_or_b32 exec_lo, exec_lo, s44
	s_and_b32 s44, s46, exec_lo
.LBB183_145:                            ;   in Loop: Header=BB183_12 Depth=1
	s_or_b32 exec_lo, exec_lo, s45
.LBB183_146:                            ;   in Loop: Header=BB183_12 Depth=1
	s_and_b32 vcc_lo, exec_lo, s26
	s_cbranch_vccz .LBB183_161
; %bb.147:                              ;   in Loop: Header=BB183_12 Depth=1
	s_mov_b32 s58, s27
	s_cmp_lg_u64 s[58:59], 0
	s_cbranch_scc0 .LBB183_190
; %bb.148:                              ;   in Loop: Header=BB183_12 Depth=1
	v_cvt_f32_u32_e32 v2, s49
	s_sub_u32 s24, 0, s49
	s_subb_u32 s25, 0, 0
	v_fmac_f32_e64 v2, 0x4f800000, 0
	v_rcp_f32_e32 v2, v2
	v_mul_f32_e32 v2, 0x5f7ffffc, v2
	v_mul_f32_e32 v4, 0x2f800000, v2
	v_trunc_f32_e32 v4, v4
	v_fmac_f32_e32 v2, 0xcf800000, v4
	v_cvt_u32_f32_e32 v4, v4
	v_cvt_u32_f32_e32 v2, v2
	v_readfirstlane_b32 s22, v4
	v_readfirstlane_b32 s23, v2
	s_mul_i32 s26, s24, s22
	s_mul_hi_u32 s46, s24, s23
	s_mul_i32 s45, s25, s23
	s_add_i32 s26, s46, s26
	s_mul_i32 s47, s24, s23
	s_add_i32 s26, s26, s45
	s_mul_hi_u32 s46, s23, s47
	s_mul_i32 s62, s23, s26
	s_mul_hi_u32 s58, s22, s47
	s_mul_i32 s45, s22, s47
	s_mul_hi_u32 s47, s23, s26
	s_add_u32 s46, s46, s62
	s_addc_u32 s47, 0, s47
	s_mul_hi_u32 s63, s22, s26
	s_add_u32 s45, s46, s45
	s_mul_i32 s26, s22, s26
	s_addc_u32 s45, s47, s58
	s_addc_u32 s46, s63, 0
	s_add_u32 s26, s45, s26
	s_addc_u32 s45, 0, s46
	s_add_u32 s23, s23, s26
	s_cselect_b32 s26, -1, 0
	s_mul_hi_u32 s46, s24, s23
	s_cmp_lg_u32 s26, 0
	s_mul_i32 s26, s24, s23
	s_addc_u32 s22, s22, s45
	s_mul_i32 s25, s25, s23
	s_mul_i32 s24, s24, s22
	s_mul_hi_u32 s45, s23, s26
	s_add_i32 s24, s46, s24
	s_mul_hi_u32 s46, s22, s26
	s_add_i32 s24, s24, s25
	s_mul_i32 s25, s22, s26
	s_mul_i32 s58, s23, s24
	s_mul_hi_u32 s47, s23, s24
	s_add_u32 s45, s45, s58
	s_addc_u32 s47, 0, s47
	s_mul_hi_u32 s26, s22, s24
	s_add_u32 s25, s45, s25
	s_mul_i32 s24, s22, s24
	s_addc_u32 s25, s47, s46
	s_addc_u32 s26, s26, 0
	s_add_u32 s24, s25, s24
	s_addc_u32 s25, 0, s26
	s_add_u32 s23, s23, s24
	s_cselect_b32 s24, -1, 0
	s_mul_hi_u32 s26, s82, s23
	s_cmp_lg_u32 s24, 0
	s_mul_hi_u32 s24, s59, s23
	s_addc_u32 s22, s22, s25
	s_mul_i32 s23, s59, s23
	s_mul_i32 s45, s82, s22
	s_mul_hi_u32 s25, s82, s22
	s_add_u32 s26, s26, s45
	s_addc_u32 s25, 0, s25
	s_mul_hi_u32 s46, s59, s22
	s_add_u32 s23, s26, s23
	s_mul_i32 s22, s59, s22
	s_addc_u32 s23, s25, s24
	s_addc_u32 s24, s46, 0
	s_add_u32 s22, s23, s22
	s_addc_u32 s23, 0, s24
	s_mul_hi_u32 s24, s49, s22
	s_mul_i32 s23, s49, s23
	s_mul_i32 s22, s49, s22
	s_add_i32 s24, s24, s23
	s_sub_u32 s22, s82, s22
	s_cselect_b32 s23, -1, 0
	s_cmp_lg_u32 s23, 0
	s_subb_u32 s23, s59, s24
	s_sub_u32 s24, s22, s49
	s_cselect_b32 s25, -1, 0
	s_cmp_lg_u32 s25, 0
	s_subb_u32 s25, s23, 0
	s_sub_u32 s26, s24, s49
	s_cselect_b32 s45, -1, 0
	s_cmp_lg_u32 s45, 0
	s_subb_u32 s45, s25, 0
	s_cmp_ge_u32 s24, s49
	s_cselect_b32 s46, -1, 0
	s_cmp_eq_u32 s25, 0
	s_cselect_b32 s46, s46, -1
	s_cmp_lg_u32 s46, 0
	s_cselect_b32 s25, s45, s25
	s_cselect_b32 s24, s26, s24
	s_cmp_ge_u32 s22, s49
	s_cselect_b32 s26, -1, 0
	s_cmp_eq_u32 s23, 0
	s_cselect_b32 s26, s26, -1
	s_cmp_lg_u32 s26, 0
	s_cselect_b32 s23, s25, s23
	s_cselect_b32 s22, s24, s22
	s_cbranch_execnz .LBB183_150
.LBB183_149:                            ;   in Loop: Header=BB183_12 Depth=1
	v_cvt_f32_u32_e32 v2, s49
	s_sub_i32 s23, 0, s49
	v_rcp_iflag_f32_e32 v2, v2
	v_mul_f32_e32 v2, 0x4f7ffffe, v2
	v_cvt_u32_f32_e32 v2, v2
	v_readfirstlane_b32 s22, v2
	s_mul_i32 s23, s23, s22
	s_mul_hi_u32 s23, s22, s23
	s_add_i32 s22, s22, s23
	s_mul_hi_u32 s22, s82, s22
	s_mul_i32 s22, s22, s49
	s_sub_i32 s22, s82, s22
	s_sub_i32 s23, s22, s49
	s_cmp_ge_u32 s22, s49
	s_cselect_b32 s22, s23, s22
	s_sub_i32 s23, s22, s49
	s_cmp_ge_u32 s22, s49
	s_cselect_b32 s26, s23, s22
	s_mov_b64 s[22:23], s[26:27]
.LBB183_150:                            ;   in Loop: Header=BB183_12 Depth=1
	s_sub_u32 s22, s82, s22
	s_subb_u32 s23, s59, s23
	s_mov_b32 s24, exec_lo
                                        ; implicit-def: $vgpr10_vgpr11
	v_cmpx_gt_u64_e64 s[22:23], v[0:1]
	s_cbranch_execz .LBB183_160
; %bb.151:                              ;   in Loop: Header=BB183_12 Depth=1
	v_mov_b32_e32 v31, v1
	v_mov_b32_e32 v30, v0
	s_mov_b32 s25, 0
                                        ; implicit-def: $sgpr26
	s_branch .LBB183_155
.LBB183_152:                            ;   in Loop: Header=BB183_155 Depth=2
	s_or_b32 exec_lo, exec_lo, s45
	s_waitcnt lgkmcnt(0)
	s_barrier
	buffer_gl0_inv
	ds_read_b128 v[8:11], v19 offset:3072
	s_waitcnt lgkmcnt(0)
	s_barrier
	buffer_gl0_inv
	v_cmp_eq_f64_e32 vcc_lo, 0, v[8:9]
	s_cbranch_vccz .LBB183_158
; %bb.153:                              ;   in Loop: Header=BB183_155 Depth=2
	v_add_co_u32 v30, vcc_lo, v30, s49
	v_add_co_ci_u32_e64 v31, null, 0, v31, vcc_lo
	s_mov_b32 s45, 0
	v_cmp_le_u64_e32 vcc_lo, s[22:23], v[30:31]
	s_orn2_b32 s46, vcc_lo, exec_lo
.LBB183_154:                            ;   in Loop: Header=BB183_155 Depth=2
	s_and_b32 s46, exec_lo, s46
	s_or_b32 s25, s46, s25
	s_andn2_b32 s26, s26, exec_lo
	s_and_b32 s45, s45, exec_lo
	s_or_b32 s26, s26, s45
	s_andn2_b32 exec_lo, exec_lo, s25
	s_cbranch_execz .LBB183_159
.LBB183_155:                            ;   Parent Loop BB183_12 Depth=1
                                        ; =>  This Inner Loop Header: Depth=2
	s_mov_b32 s45, exec_lo
	v_cmpx_gt_u64_e64 s[36:37], v[30:31]
	s_cbranch_execz .LBB183_152
; %bb.156:                              ;   in Loop: Header=BB183_155 Depth=2
	v_mul_lo_u32 v2, v31, s30
	v_mul_lo_u32 v8, v30, s31
	v_mad_u64_u32 v[4:5], null, v30, s30, 0
	v_add3_u32 v5, v5, v8, v2
	v_lshlrev_b64 v[4:5], 3, v[4:5]
	v_add_co_u32 v4, vcc_lo, s33, v4
	v_add_co_ci_u32_e64 v5, null, s35, v5, vcc_lo
	global_load_dwordx2 v[4:5], v[4:5], off
	s_waitcnt vmcnt(0)
	v_cmp_o_f64_e32 vcc_lo, v[4:5], v[4:5]
	v_ashrrev_i32_e32 v2, 31, v5
	v_or_b32_e32 v8, 0x80000000, v2
	v_xor_b32_e32 v2, v2, v4
	v_xor_b32_e32 v8, v8, v5
	v_cndmask_b32_e32 v8, -1, v8, vcc_lo
	v_cndmask_b32_e32 v2, -1, v2, vcc_lo
	v_and_b32_e32 v9, v8, v13
	v_and_b32_e32 v8, v2, v12
	v_cmp_eq_u64_e32 vcc_lo, v[8:9], v[14:15]
	s_and_b32 exec_lo, exec_lo, vcc_lo
	s_cbranch_execz .LBB183_152
; %bb.157:                              ;   in Loop: Header=BB183_155 Depth=2
	v_mov_b32_e32 v2, v19
	ds_write_b128 v19, v[2:5] offset:3072
	s_branch .LBB183_152
.LBB183_158:                            ;   in Loop: Header=BB183_155 Depth=2
	s_mov_b32 s46, -1
	s_mov_b32 s45, -1
                                        ; implicit-def: $vgpr30_vgpr31
	s_branch .LBB183_154
.LBB183_159:                            ;   in Loop: Header=BB183_12 Depth=1
	s_or_b32 exec_lo, exec_lo, s25
	s_andn2_b32 s22, s44, exec_lo
	s_and_b32 s23, s26, exec_lo
	s_or_b32 s44, s22, s23
.LBB183_160:                            ;   in Loop: Header=BB183_12 Depth=1
	s_or_b32 exec_lo, exec_lo, s24
	s_mov_b32 s68, 0
	s_mov_b32 s69, -1
.LBB183_161:                            ;   in Loop: Header=BB183_12 Depth=1
	s_orn2_b32 s22, s44, exec_lo
.LBB183_162:                            ;   in Loop: Header=BB183_12 Depth=1
	s_or_b32 exec_lo, exec_lo, s70
	s_mov_b32 s23, 0
	s_and_saveexec_b32 s70, s22
	s_cbranch_execz .LBB183_275
; %bb.163:                              ;   in Loop: Header=BB183_12 Depth=1
	v_mov_b32_e32 v30, 1
	v_mov_b32_e32 v31, 0
	;; [unrolled: 1-line block ×3, first 2 shown]
	s_xor_b32 s24, s71, -1
	s_and_saveexec_b32 s22, s24
	s_cbranch_execz .LBB183_172
; %bb.164:                              ;   in Loop: Header=BB183_12 Depth=1
	s_mov_b32 s23, exec_lo
	v_cmpx_ge_u64_e64 s[16:17], v[28:29]
	s_xor_b32 s23, exec_lo, s23
	s_cbranch_execz .LBB183_169
; %bb.165:                              ;   in Loop: Header=BB183_12 Depth=1
	ds_read_b64 v[4:5], v19 offset:5120
	v_and_b32_e32 v2, s15, v15
	v_and_b32_e32 v8, s14, v14
	s_lshl_b64 s[24:25], 1, s93
	v_or_b32_e32 v13, s13, v13
	v_or_b32_e32 v12, s12, v12
	;; [unrolled: 1-line block ×4, first 2 shown]
	s_waitcnt lgkmcnt(0)
	v_cmp_ne_u64_e32 vcc_lo, 0, v[4:5]
	s_cbranch_vccnz .LBB183_169
; %bb.166:                              ;   in Loop: Header=BB183_12 Depth=1
	s_and_saveexec_b32 s24, s3
; %bb.167:                              ;   in Loop: Header=BB183_12 Depth=1
	v_mov_b32_e32 v4, s16
	v_mov_b32_e32 v5, s17
	ds_write_b64 v19, v[4:5] offset:5128
; %bb.168:                              ;   in Loop: Header=BB183_12 Depth=1
	s_or_b32 exec_lo, exec_lo, s24
	s_waitcnt lgkmcnt(0)
	s_barrier
	buffer_gl0_inv
.LBB183_169:                            ;   in Loop: Header=BB183_12 Depth=1
	s_or_saveexec_b32 s23, s23
	v_mov_b32_e32 v39, 8
	s_mov_b32 s24, 0
	s_xor_b32 exec_lo, exec_lo, s23
; %bb.170:                              ;   in Loop: Header=BB183_12 Depth=1
	v_sub_co_u32 v28, vcc_lo, v28, s16
	v_subrev_co_ci_u32_e64 v29, null, s17, v29, vcc_lo
	v_mov_b32_e32 v39, 0
	s_mov_b32 s24, exec_lo
; %bb.171:                              ;   in Loop: Header=BB183_12 Depth=1
	s_or_b32 exec_lo, exec_lo, s23
	v_mov_b32_e32 v31, v29
	v_mov_b32_e32 v30, v28
	s_and_b32 s23, s24, exec_lo
.LBB183_172:                            ;   in Loop: Header=BB183_12 Depth=1
	s_or_b32 exec_lo, exec_lo, s22
	s_mov_b32 s22, -1
                                        ; implicit-def: $sgpr72
                                        ; implicit-def: $sgpr73
	s_and_saveexec_b32 s71, s23
	s_cbranch_execz .LBB183_274
; %bb.173:                              ;   in Loop: Header=BB183_12 Depth=1
	v_cmp_eq_u64_e32 vcc_lo, 1, v[30:31]
	s_cmp_eq_u64 s[18:19], 1
                                        ; implicit-def: $sgpr73
                                        ; implicit-def: $sgpr72
	s_cselect_b32 s22, -1, 0
	s_and_b32 s75, s22, vcc_lo
	s_mov_b32 s22, -1
	s_and_saveexec_b32 s74, s75
	s_cbranch_execz .LBB183_209
; %bb.174:                              ;   in Loop: Header=BB183_12 Depth=1
	ds_read_b64 v[4:5], v19 offset:5120
	s_waitcnt lgkmcnt(0)
	s_barrier
	buffer_gl0_inv
	v_readfirstlane_b32 s22, v4
	v_readfirstlane_b32 s23, v5
	s_and_saveexec_b32 s24, s8
; %bb.175:                              ;   in Loop: Header=BB183_12 Depth=1
	v_mov_b32_e32 v18, v19
	ds_write_b64 v35, v[18:19]
; %bb.176:                              ;   in Loop: Header=BB183_12 Depth=1
	s_or_b32 exec_lo, exec_lo, s24
	v_and_b32_e32 v2, s15, v15
	v_and_b32_e32 v4, s14, v14
	s_lshl_b64 s[24:25], 2, s93
	v_or_b32_e32 v13, s13, v13
	v_or_b32_e32 v12, s12, v12
	;; [unrolled: 1-line block ×4, first 2 shown]
	s_mov_b32 s72, -1
	s_mov_b32 s73, 0
	s_cmp_eq_u64 s[22:23], 0
	s_mov_b32 s44, 0
	s_mov_b32 s26, -1
	s_waitcnt lgkmcnt(0)
	s_barrier
	buffer_gl0_inv
                                        ; implicit-def: $vgpr10_vgpr11
	s_cbranch_scc1 .LBB183_193
; %bb.177:                              ;   in Loop: Header=BB183_12 Depth=1
	s_add_u32 s44, s22, s80
	s_addc_u32 s25, s23, s81
	s_mov_b32 s24, s27
	s_cmp_lg_u64 s[24:25], 0
	s_cbranch_scc0 .LBB183_226
; %bb.178:                              ;   in Loop: Header=BB183_12 Depth=1
	v_cvt_f32_u32_e32 v2, s49
	s_sub_u32 s45, 0, s49
	s_subb_u32 s46, 0, 0
	v_fmac_f32_e64 v2, 0x4f800000, 0
	v_rcp_f32_e32 v2, v2
	v_mul_f32_e32 v2, 0x5f7ffffc, v2
	v_mul_f32_e32 v4, 0x2f800000, v2
	v_trunc_f32_e32 v4, v4
	v_fmac_f32_e32 v2, 0xcf800000, v4
	v_cvt_u32_f32_e32 v4, v4
	v_cvt_u32_f32_e32 v2, v2
	v_readfirstlane_b32 s24, v4
	v_readfirstlane_b32 s26, v2
	s_mul_i32 s47, s45, s24
	s_mul_hi_u32 s62, s45, s26
	s_mul_i32 s58, s46, s26
	s_add_i32 s47, s62, s47
	s_mul_i32 s63, s45, s26
	s_add_i32 s47, s47, s58
	s_mul_hi_u32 s62, s26, s63
	s_mul_i32 vcc_lo, s26, s47
	s_mul_hi_u32 s104, s24, s63
	s_mul_i32 s58, s24, s63
	s_mul_hi_u32 s63, s26, s47
	s_add_u32 s62, s62, vcc_lo
	s_addc_u32 s63, 0, s63
	s_mul_hi_u32 vcc_hi, s24, s47
	s_add_u32 s58, s62, s58
	s_mul_i32 s47, s24, s47
	s_addc_u32 s58, s63, s104
	s_addc_u32 s62, vcc_hi, 0
	s_add_u32 s47, s58, s47
	s_addc_u32 s58, 0, s62
	s_add_u32 s26, s26, s47
	s_cselect_b32 s47, -1, 0
	s_mul_hi_u32 s62, s45, s26
	s_cmp_lg_u32 s47, 0
	s_mul_i32 s47, s45, s26
	s_addc_u32 s24, s24, s58
	s_mul_i32 s46, s46, s26
	s_mul_i32 s45, s45, s24
	s_mul_hi_u32 s58, s26, s47
	s_add_i32 s45, s62, s45
	s_mul_hi_u32 s62, s24, s47
	s_add_i32 s45, s45, s46
	s_mul_i32 s46, s24, s47
	s_mul_i32 s104, s26, s45
	s_mul_hi_u32 s63, s26, s45
	s_add_u32 s58, s58, s104
	s_addc_u32 s63, 0, s63
	s_mul_hi_u32 s47, s24, s45
	s_add_u32 s46, s58, s46
	s_mul_i32 s45, s24, s45
	s_addc_u32 s46, s63, s62
	s_addc_u32 s47, s47, 0
	s_add_u32 s45, s46, s45
	s_addc_u32 s46, 0, s47
	s_add_u32 s26, s26, s45
	s_cselect_b32 s45, -1, 0
	s_mul_hi_u32 s47, s44, s26
	s_cmp_lg_u32 s45, 0
	s_mul_hi_u32 s45, s25, s26
	s_addc_u32 s24, s24, s46
	s_mul_i32 s26, s25, s26
	s_mul_i32 s58, s44, s24
	s_mul_hi_u32 s46, s44, s24
	s_add_u32 s47, s47, s58
	s_addc_u32 s46, 0, s46
	s_mul_hi_u32 s62, s25, s24
	s_add_u32 s26, s47, s26
	s_mul_i32 s24, s25, s24
	s_addc_u32 s26, s46, s45
	s_addc_u32 s45, s62, 0
	s_add_u32 s24, s26, s24
	s_addc_u32 s26, 0, s45
	s_mul_hi_u32 s45, s49, s24
	s_mul_i32 s26, s49, s26
	s_mul_i32 s24, s49, s24
	s_add_i32 s45, s45, s26
	s_sub_u32 s24, s44, s24
	s_cselect_b32 s26, -1, 0
	s_cmp_lg_u32 s26, 0
	s_subb_u32 s26, s25, s45
	s_sub_u32 s45, s24, s49
	s_cselect_b32 s46, -1, 0
	s_cmp_lg_u32 s46, 0
	s_subb_u32 s46, s26, 0
	;; [unrolled: 4-line block ×3, first 2 shown]
	s_cmp_ge_u32 s45, s49
	s_cselect_b32 s62, -1, 0
	s_cmp_eq_u32 s46, 0
	s_cselect_b32 s62, s62, -1
	s_cmp_lg_u32 s62, 0
	s_cselect_b32 s46, s58, s46
	s_cselect_b32 s45, s47, s45
	s_cmp_ge_u32 s24, s49
	s_cselect_b32 s47, -1, 0
	s_cmp_eq_u32 s26, 0
	s_cselect_b32 s47, s47, -1
	s_cmp_lg_u32 s47, 0
	s_cselect_b32 s63, s46, s26
	s_cselect_b32 s62, s45, s24
	s_cbranch_execnz .LBB183_180
.LBB183_179:                            ;   in Loop: Header=BB183_12 Depth=1
	v_cvt_f32_u32_e32 v2, s49
	s_sub_i32 s26, 0, s49
	v_rcp_iflag_f32_e32 v2, v2
	v_mul_f32_e32 v2, 0x4f7ffffe, v2
	v_cvt_u32_f32_e32 v2, v2
	v_readfirstlane_b32 s24, v2
	s_mul_i32 s26, s26, s24
	s_mul_hi_u32 s26, s24, s26
	s_add_i32 s24, s24, s26
	s_mul_hi_u32 s24, s44, s24
	s_mul_i32 s24, s24, s49
	s_sub_i32 s24, s44, s24
	s_sub_i32 s26, s24, s49
	s_cmp_ge_u32 s24, s49
	s_cselect_b32 s24, s26, s24
	s_sub_i32 s26, s24, s49
	s_cmp_ge_u32 s24, s49
	s_cselect_b32 s26, s26, s24
	s_mov_b64 s[62:63], s[26:27]
.LBB183_180:                            ;   in Loop: Header=BB183_12 Depth=1
	s_sub_u32 s24, s44, s62
	s_subb_u32 s25, s25, s63
	s_mov_b32 s26, 0
	s_mov_b32 s44, 0
	s_mov_b32 s45, exec_lo
                                        ; implicit-def: $vgpr10_vgpr11
	v_cmpx_gt_u64_e64 s[24:25], v[0:1]
	s_cbranch_execz .LBB183_192
; %bb.181:                              ;   in Loop: Header=BB183_12 Depth=1
	v_mov_b32_e32 v29, v1
	v_mov_b32_e32 v18, v34
	;; [unrolled: 1-line block ×3, first 2 shown]
                                        ; implicit-def: $sgpr46
	s_branch .LBB183_185
.LBB183_182:                            ;   in Loop: Header=BB183_185 Depth=2
	s_or_b32 exec_lo, exec_lo, s47
	s_waitcnt lgkmcnt(0)
	s_barrier
	buffer_gl0_inv
	ds_read_b128 v[8:11], v19 offset:3072
	s_waitcnt lgkmcnt(0)
	s_barrier
	buffer_gl0_inv
	v_cmp_neq_f64_e32 vcc_lo, 0, v[8:9]
	s_cbranch_vccnz .LBB183_188
; %bb.183:                              ;   in Loop: Header=BB183_185 Depth=2
	v_add_co_u32 v28, vcc_lo, v28, s49
	v_add_co_ci_u32_e64 v29, null, 0, v29, vcc_lo
	v_add_nc_u32_e32 v18, s86, v18
	s_mov_b32 s47, 0
	v_cmp_le_u64_e32 vcc_lo, s[24:25], v[28:29]
	s_orn2_b32 s58, vcc_lo, exec_lo
.LBB183_184:                            ;   in Loop: Header=BB183_185 Depth=2
	s_and_b32 s54, exec_lo, s58
	s_or_b32 s44, s54, s44
	s_andn2_b32 s46, s46, exec_lo
	s_and_b32 s47, s47, exec_lo
	s_or_b32 s46, s46, s47
	s_andn2_b32 exec_lo, exec_lo, s44
	s_cbranch_execz .LBB183_191
.LBB183_185:                            ;   Parent Loop BB183_12 Depth=1
                                        ; =>  This Inner Loop Header: Depth=2
	s_mov_b32 s47, exec_lo
	v_cmpx_gt_u64_e64 s[22:23], v[28:29]
	s_cbranch_execz .LBB183_182
; %bb.186:                              ;   in Loop: Header=BB183_185 Depth=2
	ds_read_b64 v[4:5], v18
	s_waitcnt lgkmcnt(0)
	v_cmp_o_f64_e32 vcc_lo, v[4:5], v[4:5]
	v_ashrrev_i32_e32 v2, 31, v5
	v_or_b32_e32 v8, 0x80000000, v2
	v_xor_b32_e32 v2, v2, v4
	v_xor_b32_e32 v8, v8, v5
	v_cndmask_b32_e32 v8, -1, v8, vcc_lo
	v_cndmask_b32_e32 v2, -1, v2, vcc_lo
	v_and_b32_e32 v9, v8, v13
	v_and_b32_e32 v8, v2, v12
	v_cmp_eq_u64_e32 vcc_lo, v[8:9], v[14:15]
	s_and_b32 exec_lo, exec_lo, vcc_lo
	s_cbranch_execz .LBB183_182
; %bb.187:                              ;   in Loop: Header=BB183_185 Depth=2
	v_mov_b32_e32 v2, v19
	ds_write_b128 v19, v[2:5] offset:3072
	s_branch .LBB183_182
.LBB183_188:                            ;   in Loop: Header=BB183_185 Depth=2
	s_mov_b32 s58, -1
	s_mov_b32 s47, -1
                                        ; implicit-def: $vgpr28_vgpr29
                                        ; implicit-def: $vgpr18
	s_branch .LBB183_184
.LBB183_189:                            ;   in Loop: Header=BB183_12 Depth=1
                                        ; implicit-def: $sgpr62_sgpr63
	s_branch .LBB183_132
.LBB183_190:                            ;   in Loop: Header=BB183_12 Depth=1
                                        ; implicit-def: $sgpr22_sgpr23
	s_branch .LBB183_149
.LBB183_191:                            ;   in Loop: Header=BB183_12 Depth=1
	s_or_b32 exec_lo, exec_lo, s44
	s_and_b32 s44, s46, exec_lo
.LBB183_192:                            ;   in Loop: Header=BB183_12 Depth=1
	s_or_b32 exec_lo, exec_lo, s45
.LBB183_193:                            ;   in Loop: Header=BB183_12 Depth=1
	s_and_b32 vcc_lo, exec_lo, s26
	s_cbranch_vccz .LBB183_208
; %bb.194:                              ;   in Loop: Header=BB183_12 Depth=1
	s_mov_b32 s58, s27
	s_cmp_lg_u64 s[58:59], 0
	s_cbranch_scc0 .LBB183_227
; %bb.195:                              ;   in Loop: Header=BB183_12 Depth=1
	v_cvt_f32_u32_e32 v2, s49
	s_sub_u32 s24, 0, s49
	s_subb_u32 s25, 0, 0
	v_fmac_f32_e64 v2, 0x4f800000, 0
	v_rcp_f32_e32 v2, v2
	v_mul_f32_e32 v2, 0x5f7ffffc, v2
	v_mul_f32_e32 v4, 0x2f800000, v2
	v_trunc_f32_e32 v4, v4
	v_fmac_f32_e32 v2, 0xcf800000, v4
	v_cvt_u32_f32_e32 v4, v4
	v_cvt_u32_f32_e32 v2, v2
	v_readfirstlane_b32 s22, v4
	v_readfirstlane_b32 s23, v2
	s_mul_i32 s26, s24, s22
	s_mul_hi_u32 s46, s24, s23
	s_mul_i32 s45, s25, s23
	s_add_i32 s26, s46, s26
	s_mul_i32 s47, s24, s23
	s_add_i32 s26, s26, s45
	s_mul_hi_u32 s46, s23, s47
	s_mul_i32 s62, s23, s26
	s_mul_hi_u32 s58, s22, s47
	s_mul_i32 s45, s22, s47
	s_mul_hi_u32 s47, s23, s26
	s_add_u32 s46, s46, s62
	s_addc_u32 s47, 0, s47
	s_mul_hi_u32 s63, s22, s26
	s_add_u32 s45, s46, s45
	s_mul_i32 s26, s22, s26
	s_addc_u32 s45, s47, s58
	s_addc_u32 s46, s63, 0
	s_add_u32 s26, s45, s26
	s_addc_u32 s45, 0, s46
	s_add_u32 s23, s23, s26
	s_cselect_b32 s26, -1, 0
	s_mul_hi_u32 s46, s24, s23
	s_cmp_lg_u32 s26, 0
	s_mul_i32 s26, s24, s23
	s_addc_u32 s22, s22, s45
	s_mul_i32 s25, s25, s23
	s_mul_i32 s24, s24, s22
	s_mul_hi_u32 s45, s23, s26
	s_add_i32 s24, s46, s24
	s_mul_hi_u32 s46, s22, s26
	s_add_i32 s24, s24, s25
	s_mul_i32 s25, s22, s26
	s_mul_i32 s58, s23, s24
	s_mul_hi_u32 s47, s23, s24
	s_add_u32 s45, s45, s58
	s_addc_u32 s47, 0, s47
	s_mul_hi_u32 s26, s22, s24
	s_add_u32 s25, s45, s25
	s_mul_i32 s24, s22, s24
	s_addc_u32 s25, s47, s46
	s_addc_u32 s26, s26, 0
	s_add_u32 s24, s25, s24
	s_addc_u32 s25, 0, s26
	s_add_u32 s23, s23, s24
	s_cselect_b32 s24, -1, 0
	s_mul_hi_u32 s26, s82, s23
	s_cmp_lg_u32 s24, 0
	s_mul_hi_u32 s24, s59, s23
	s_addc_u32 s22, s22, s25
	s_mul_i32 s23, s59, s23
	s_mul_i32 s45, s82, s22
	s_mul_hi_u32 s25, s82, s22
	s_add_u32 s26, s26, s45
	s_addc_u32 s25, 0, s25
	s_mul_hi_u32 s46, s59, s22
	s_add_u32 s23, s26, s23
	s_mul_i32 s22, s59, s22
	s_addc_u32 s23, s25, s24
	s_addc_u32 s24, s46, 0
	s_add_u32 s22, s23, s22
	s_addc_u32 s23, 0, s24
	s_mul_hi_u32 s24, s49, s22
	s_mul_i32 s23, s49, s23
	s_mul_i32 s22, s49, s22
	s_add_i32 s24, s24, s23
	s_sub_u32 s22, s82, s22
	s_cselect_b32 s23, -1, 0
	s_cmp_lg_u32 s23, 0
	s_subb_u32 s23, s59, s24
	s_sub_u32 s24, s22, s49
	s_cselect_b32 s25, -1, 0
	s_cmp_lg_u32 s25, 0
	s_subb_u32 s25, s23, 0
	;; [unrolled: 4-line block ×3, first 2 shown]
	s_cmp_ge_u32 s24, s49
	s_cselect_b32 s46, -1, 0
	s_cmp_eq_u32 s25, 0
	s_cselect_b32 s46, s46, -1
	s_cmp_lg_u32 s46, 0
	s_cselect_b32 s25, s45, s25
	s_cselect_b32 s24, s26, s24
	s_cmp_ge_u32 s22, s49
	s_cselect_b32 s26, -1, 0
	s_cmp_eq_u32 s23, 0
	s_cselect_b32 s26, s26, -1
	s_cmp_lg_u32 s26, 0
	s_cselect_b32 s23, s25, s23
	s_cselect_b32 s22, s24, s22
	s_cbranch_execnz .LBB183_197
.LBB183_196:                            ;   in Loop: Header=BB183_12 Depth=1
	v_cvt_f32_u32_e32 v2, s49
	s_sub_i32 s23, 0, s49
	v_rcp_iflag_f32_e32 v2, v2
	v_mul_f32_e32 v2, 0x4f7ffffe, v2
	v_cvt_u32_f32_e32 v2, v2
	v_readfirstlane_b32 s22, v2
	s_mul_i32 s23, s23, s22
	s_mul_hi_u32 s23, s22, s23
	s_add_i32 s22, s22, s23
	s_mul_hi_u32 s22, s82, s22
	s_mul_i32 s22, s22, s49
	s_sub_i32 s22, s82, s22
	s_sub_i32 s23, s22, s49
	s_cmp_ge_u32 s22, s49
	s_cselect_b32 s22, s23, s22
	s_sub_i32 s23, s22, s49
	s_cmp_ge_u32 s22, s49
	s_cselect_b32 s26, s23, s22
	s_mov_b64 s[22:23], s[26:27]
.LBB183_197:                            ;   in Loop: Header=BB183_12 Depth=1
	s_sub_u32 s22, s82, s22
	s_subb_u32 s23, s59, s23
	s_mov_b32 s24, exec_lo
                                        ; implicit-def: $vgpr10_vgpr11
	v_cmpx_gt_u64_e64 s[22:23], v[0:1]
	s_cbranch_execz .LBB183_207
; %bb.198:                              ;   in Loop: Header=BB183_12 Depth=1
	v_mov_b32_e32 v29, v1
	v_mov_b32_e32 v28, v0
	s_mov_b32 s25, 0
                                        ; implicit-def: $sgpr26
	s_branch .LBB183_202
.LBB183_199:                            ;   in Loop: Header=BB183_202 Depth=2
	s_or_b32 exec_lo, exec_lo, s45
	s_waitcnt lgkmcnt(0)
	s_barrier
	buffer_gl0_inv
	ds_read_b128 v[8:11], v19 offset:3072
	s_waitcnt lgkmcnt(0)
	s_barrier
	buffer_gl0_inv
	v_cmp_eq_f64_e32 vcc_lo, 0, v[8:9]
	s_cbranch_vccz .LBB183_205
; %bb.200:                              ;   in Loop: Header=BB183_202 Depth=2
	v_add_co_u32 v28, vcc_lo, v28, s49
	v_add_co_ci_u32_e64 v29, null, 0, v29, vcc_lo
	s_mov_b32 s45, 0
	v_cmp_le_u64_e32 vcc_lo, s[22:23], v[28:29]
	s_orn2_b32 s46, vcc_lo, exec_lo
.LBB183_201:                            ;   in Loop: Header=BB183_202 Depth=2
	s_and_b32 s46, exec_lo, s46
	s_or_b32 s25, s46, s25
	s_andn2_b32 s26, s26, exec_lo
	s_and_b32 s45, s45, exec_lo
	s_or_b32 s26, s26, s45
	s_andn2_b32 exec_lo, exec_lo, s25
	s_cbranch_execz .LBB183_206
.LBB183_202:                            ;   Parent Loop BB183_12 Depth=1
                                        ; =>  This Inner Loop Header: Depth=2
	s_mov_b32 s45, exec_lo
	v_cmpx_gt_u64_e64 s[36:37], v[28:29]
	s_cbranch_execz .LBB183_199
; %bb.203:                              ;   in Loop: Header=BB183_202 Depth=2
	v_mul_lo_u32 v2, v29, s30
	v_mul_lo_u32 v8, v28, s31
	v_mad_u64_u32 v[4:5], null, v28, s30, 0
	v_add3_u32 v5, v5, v8, v2
	v_lshlrev_b64 v[4:5], 3, v[4:5]
	v_add_co_u32 v4, vcc_lo, s33, v4
	v_add_co_ci_u32_e64 v5, null, s35, v5, vcc_lo
	global_load_dwordx2 v[4:5], v[4:5], off
	s_waitcnt vmcnt(0)
	v_cmp_o_f64_e32 vcc_lo, v[4:5], v[4:5]
	v_ashrrev_i32_e32 v2, 31, v5
	v_or_b32_e32 v8, 0x80000000, v2
	v_xor_b32_e32 v2, v2, v4
	v_xor_b32_e32 v8, v8, v5
	v_cndmask_b32_e32 v8, -1, v8, vcc_lo
	v_cndmask_b32_e32 v2, -1, v2, vcc_lo
	v_and_b32_e32 v9, v8, v13
	v_and_b32_e32 v8, v2, v12
	v_cmp_eq_u64_e32 vcc_lo, v[8:9], v[14:15]
	s_and_b32 exec_lo, exec_lo, vcc_lo
	s_cbranch_execz .LBB183_199
; %bb.204:                              ;   in Loop: Header=BB183_202 Depth=2
	v_mov_b32_e32 v2, v19
	ds_write_b128 v19, v[2:5] offset:3072
	s_branch .LBB183_199
.LBB183_205:                            ;   in Loop: Header=BB183_202 Depth=2
	s_mov_b32 s46, -1
	s_mov_b32 s45, -1
                                        ; implicit-def: $vgpr28_vgpr29
	s_branch .LBB183_201
.LBB183_206:                            ;   in Loop: Header=BB183_12 Depth=1
	s_or_b32 exec_lo, exec_lo, s25
	s_andn2_b32 s22, s44, exec_lo
	s_and_b32 s23, s26, exec_lo
	s_or_b32 s44, s22, s23
.LBB183_207:                            ;   in Loop: Header=BB183_12 Depth=1
	s_or_b32 exec_lo, exec_lo, s24
	s_mov_b32 s72, 0
	s_mov_b32 s73, -1
.LBB183_208:                            ;   in Loop: Header=BB183_12 Depth=1
	s_orn2_b32 s22, s44, exec_lo
.LBB183_209:                            ;   in Loop: Header=BB183_12 Depth=1
	s_or_b32 exec_lo, exec_lo, s74
	s_mov_b32 s23, 0
	s_and_saveexec_b32 s74, s22
	s_cbranch_execz .LBB183_273
; %bb.210:                              ;   in Loop: Header=BB183_12 Depth=1
	v_mov_b32_e32 v28, 1
	v_mov_b32_e32 v29, 0
	;; [unrolled: 1-line block ×3, first 2 shown]
	s_xor_b32 s24, s75, -1
	s_and_saveexec_b32 s22, s24
	s_cbranch_execz .LBB183_219
; %bb.211:                              ;   in Loop: Header=BB183_12 Depth=1
	s_mov_b32 s23, exec_lo
	v_cmpx_ge_u64_e64 s[18:19], v[30:31]
	s_xor_b32 s23, exec_lo, s23
	s_cbranch_execz .LBB183_216
; %bb.212:                              ;   in Loop: Header=BB183_12 Depth=1
	ds_read_b64 v[4:5], v19 offset:5120
	v_and_b32_e32 v2, s15, v15
	v_and_b32_e32 v8, s14, v14
	s_lshl_b64 s[24:25], 2, s93
	v_or_b32_e32 v13, s13, v13
	v_or_b32_e32 v12, s12, v12
	;; [unrolled: 1-line block ×4, first 2 shown]
	s_waitcnt lgkmcnt(0)
	v_cmp_ne_u64_e32 vcc_lo, 0, v[4:5]
	s_cbranch_vccnz .LBB183_216
; %bb.213:                              ;   in Loop: Header=BB183_12 Depth=1
	s_and_saveexec_b32 s24, s3
; %bb.214:                              ;   in Loop: Header=BB183_12 Depth=1
	v_mov_b32_e32 v4, s18
	v_mov_b32_e32 v5, s19
	ds_write_b64 v19, v[4:5] offset:5128
; %bb.215:                              ;   in Loop: Header=BB183_12 Depth=1
	s_or_b32 exec_lo, exec_lo, s24
	s_waitcnt lgkmcnt(0)
	s_barrier
	buffer_gl0_inv
.LBB183_216:                            ;   in Loop: Header=BB183_12 Depth=1
	s_or_saveexec_b32 s23, s23
	v_mov_b32_e32 v39, 8
	s_mov_b32 s24, 0
	s_xor_b32 exec_lo, exec_lo, s23
; %bb.217:                              ;   in Loop: Header=BB183_12 Depth=1
	v_sub_co_u32 v30, vcc_lo, v30, s18
	v_subrev_co_ci_u32_e64 v31, null, s19, v31, vcc_lo
	v_mov_b32_e32 v39, 0
	s_mov_b32 s24, exec_lo
; %bb.218:                              ;   in Loop: Header=BB183_12 Depth=1
	s_or_b32 exec_lo, exec_lo, s23
	v_mov_b32_e32 v28, v30
	v_mov_b32_e32 v29, v31
	s_and_b32 s23, s24, exec_lo
.LBB183_219:                            ;   in Loop: Header=BB183_12 Depth=1
	s_or_b32 exec_lo, exec_lo, s22
	s_mov_b32 s22, -1
                                        ; implicit-def: $sgpr44
                                        ; implicit-def: $sgpr58
	s_and_saveexec_b32 s75, s23
	s_cbranch_execz .LBB183_272
; %bb.220:                              ;   in Loop: Header=BB183_12 Depth=1
	v_cmp_eq_u64_e32 vcc_lo, 1, v[28:29]
	s_cmp_eq_u64 s[20:21], 1
	s_mov_b32 s23, -1
	s_cselect_b32 s22, -1, 0
                                        ; implicit-def: $sgpr44
                                        ; implicit-def: $sgpr58
	s_and_b32 s104, s22, vcc_lo
	s_and_saveexec_b32 vcc_hi, s104
	s_cbranch_execz .LBB183_260
; %bb.221:                              ;   in Loop: Header=BB183_12 Depth=1
	ds_read_b64 v[4:5], v19 offset:5120
	s_waitcnt lgkmcnt(0)
	s_barrier
	buffer_gl0_inv
	v_readfirstlane_b32 s22, v4
	v_readfirstlane_b32 s23, v5
	s_and_saveexec_b32 s24, s8
; %bb.222:                              ;   in Loop: Header=BB183_12 Depth=1
	v_mov_b32_e32 v18, v19
	ds_write_b64 v35, v[18:19]
; %bb.223:                              ;   in Loop: Header=BB183_12 Depth=1
	s_or_b32 exec_lo, exec_lo, s24
	v_or_b32_e32 v15, s13, v15
	v_or_b32_e32 v14, s12, v14
	;; [unrolled: 1-line block ×4, first 2 shown]
	s_mov_b32 s58, -1
	s_mov_b32 s44, 0
	s_cmp_eq_u64 s[22:23], 0
	s_mov_b32 s45, 0
	s_mov_b32 s26, -1
	s_waitcnt lgkmcnt(0)
	s_barrier
	buffer_gl0_inv
                                        ; implicit-def: $vgpr10_vgpr11
	s_cbranch_scc1 .LBB183_242
; %bb.224:                              ;   in Loop: Header=BB183_12 Depth=1
	s_add_u32 s45, s22, s80
	s_addc_u32 s25, s23, s81
	s_mov_b32 s24, s27
	s_cmp_lg_u64 s[24:25], 0
	s_cbranch_scc0 .LBB183_228
; %bb.225:                              ;   in Loop: Header=BB183_12 Depth=1
	v_cvt_f32_u32_e32 v2, s49
	s_sub_u32 s46, 0, s49
	s_subb_u32 s47, 0, 0
	v_fmac_f32_e64 v2, 0x4f800000, 0
	v_rcp_f32_e32 v2, v2
	v_mul_f32_e32 v2, 0x5f7ffffc, v2
	v_mul_f32_e32 v4, 0x2f800000, v2
	v_trunc_f32_e32 v4, v4
	v_fmac_f32_e32 v2, 0xcf800000, v4
	v_cvt_u32_f32_e32 v4, v4
	v_cvt_u32_f32_e32 v2, v2
	v_readfirstlane_b32 s24, v4
	v_readfirstlane_b32 s26, v2
	s_mul_i32 s62, s46, s24
	s_mul_hi_u32 vcc_lo, s46, s26
	s_mul_i32 s63, s47, s26
	s_add_i32 s55, vcc_lo, s62
	s_mul_i32 s54, s46, s26
	s_add_i32 s55, s55, s63
	s_mul_hi_u32 s62, s26, s54
	s_mul_i32 s56, s26, s55
	s_mul_hi_u32 s63, s26, s55
	s_mul_hi_u32 vcc_lo, s24, s54
	s_mul_i32 s54, s24, s54
	s_add_u32 s56, s62, s56
	s_addc_u32 s62, 0, s63
	s_mul_hi_u32 s57, s24, s55
	s_add_u32 s54, s56, s54
	s_mul_i32 s55, s24, s55
	s_addc_u32 s54, s62, vcc_lo
	s_addc_u32 s56, s57, 0
	s_add_u32 s54, s54, s55
	s_addc_u32 s55, 0, s56
	s_add_u32 s26, s26, s54
	s_cselect_b32 s54, -1, 0
	s_mul_hi_u32 s56, s46, s26
	s_cmp_lg_u32 s54, 0
	s_mul_i32 s54, s46, s26
	s_addc_u32 s24, s24, s55
	s_mul_i32 s47, s47, s26
	s_mul_i32 s46, s46, s24
	s_mul_hi_u32 s55, s26, s54
	s_add_i32 s46, s56, s46
	s_mul_hi_u32 s56, s24, s54
	s_add_i32 s46, s46, s47
	s_mul_i32 s47, s24, s54
	s_mul_i32 s62, s26, s46
	s_mul_hi_u32 s57, s26, s46
	s_add_u32 s55, s55, s62
	s_addc_u32 s57, 0, s57
	s_mul_hi_u32 s54, s24, s46
	s_add_u32 s47, s55, s47
	s_mul_i32 s46, s24, s46
	s_addc_u32 s47, s57, s56
	s_addc_u32 s54, s54, 0
	s_add_u32 s46, s47, s46
	s_addc_u32 s47, 0, s54
	s_add_u32 s26, s26, s46
	s_cselect_b32 s46, -1, 0
	s_mul_hi_u32 s54, s45, s26
	s_cmp_lg_u32 s46, 0
	s_mul_hi_u32 s46, s25, s26
	s_addc_u32 s24, s24, s47
	s_mul_i32 s26, s25, s26
	s_mul_i32 s55, s45, s24
	s_mul_hi_u32 s47, s45, s24
	s_add_u32 s54, s54, s55
	s_addc_u32 s47, 0, s47
	s_mul_hi_u32 s56, s25, s24
	s_add_u32 s26, s54, s26
	s_mul_i32 s24, s25, s24
	s_addc_u32 s26, s47, s46
	s_addc_u32 s46, s56, 0
	s_add_u32 s24, s26, s24
	s_addc_u32 s26, 0, s46
	s_mul_hi_u32 s46, s49, s24
	s_mul_i32 s26, s49, s26
	s_mul_i32 s24, s49, s24
	s_add_i32 s46, s46, s26
	s_sub_u32 s24, s45, s24
	s_cselect_b32 s26, -1, 0
	s_cmp_lg_u32 s26, 0
	s_subb_u32 s26, s25, s46
	s_sub_u32 s46, s24, s49
	s_cselect_b32 s47, -1, 0
	s_cmp_lg_u32 s47, 0
	s_subb_u32 s47, s26, 0
	;; [unrolled: 4-line block ×3, first 2 shown]
	s_cmp_ge_u32 s46, s49
	s_cselect_b32 s56, -1, 0
	s_cmp_eq_u32 s47, 0
	s_cselect_b32 s56, s56, -1
	s_cmp_lg_u32 s56, 0
	s_cselect_b32 s47, s55, s47
	s_cselect_b32 s46, s54, s46
	s_cmp_ge_u32 s24, s49
	s_cselect_b32 s54, -1, 0
	s_cmp_eq_u32 s26, 0
	s_cselect_b32 s54, s54, -1
	s_cmp_lg_u32 s54, 0
	s_cselect_b32 s63, s47, s26
	s_cselect_b32 s62, s46, s24
	s_mov_b32 s24, 0
	s_branch .LBB183_229
.LBB183_226:                            ;   in Loop: Header=BB183_12 Depth=1
                                        ; implicit-def: $sgpr62_sgpr63
	s_branch .LBB183_179
.LBB183_227:                            ;   in Loop: Header=BB183_12 Depth=1
                                        ; implicit-def: $sgpr22_sgpr23
	s_branch .LBB183_196
.LBB183_228:                            ;   in Loop: Header=BB183_12 Depth=1
	s_mov_b32 s24, -1
                                        ; implicit-def: $sgpr62_sgpr63
.LBB183_229:                            ;   in Loop: Header=BB183_12 Depth=1
	s_andn2_b32 vcc_lo, exec_lo, s24
	s_cbranch_vccnz .LBB183_231
; %bb.230:                              ;   in Loop: Header=BB183_12 Depth=1
	v_cvt_f32_u32_e32 v2, s49
	s_sub_i32 s26, 0, s49
	v_rcp_iflag_f32_e32 v2, v2
	v_mul_f32_e32 v2, 0x4f7ffffe, v2
	v_cvt_u32_f32_e32 v2, v2
	v_readfirstlane_b32 s24, v2
	s_mul_i32 s26, s26, s24
	s_mul_hi_u32 s26, s24, s26
	s_add_i32 s24, s24, s26
	s_mul_hi_u32 s24, s45, s24
	s_mul_i32 s24, s24, s49
	s_sub_i32 s24, s45, s24
	s_sub_i32 s26, s24, s49
	s_cmp_ge_u32 s24, s49
	s_cselect_b32 s24, s26, s24
	s_sub_i32 s26, s24, s49
	s_cmp_ge_u32 s24, s49
	s_cselect_b32 s26, s26, s24
	s_mov_b64 s[62:63], s[26:27]
.LBB183_231:                            ;   in Loop: Header=BB183_12 Depth=1
	s_sub_u32 s24, s45, s62
	s_subb_u32 s25, s25, s63
	s_mov_b32 s26, 0
	s_mov_b32 s45, 0
	s_mov_b32 s46, exec_lo
                                        ; implicit-def: $vgpr10_vgpr11
	v_cmpx_gt_u64_e64 s[24:25], v[0:1]
	s_cbranch_execz .LBB183_241
; %bb.232:                              ;   in Loop: Header=BB183_12 Depth=1
	v_mov_b32_e32 v31, v1
	v_mov_b32_e32 v18, v34
	;; [unrolled: 1-line block ×3, first 2 shown]
                                        ; implicit-def: $sgpr47
	s_branch .LBB183_236
.LBB183_233:                            ;   in Loop: Header=BB183_236 Depth=2
	s_or_b32 exec_lo, exec_lo, s62
	s_waitcnt lgkmcnt(0)
	s_barrier
	buffer_gl0_inv
	ds_read_b128 v[8:11], v19 offset:3072
	s_waitcnt lgkmcnt(0)
	s_barrier
	buffer_gl0_inv
	v_cmp_neq_f64_e32 vcc_lo, 0, v[8:9]
	s_cbranch_vccnz .LBB183_239
; %bb.234:                              ;   in Loop: Header=BB183_236 Depth=2
	v_add_co_u32 v30, vcc_lo, v30, s49
	v_add_co_ci_u32_e64 v31, null, 0, v31, vcc_lo
	v_add_nc_u32_e32 v18, s86, v18
	s_mov_b32 s62, 0
	v_cmp_le_u64_e32 vcc_lo, s[24:25], v[30:31]
	s_orn2_b32 s63, vcc_lo, exec_lo
.LBB183_235:                            ;   in Loop: Header=BB183_236 Depth=2
	s_and_b32 s54, exec_lo, s63
	s_or_b32 s45, s54, s45
	s_andn2_b32 s47, s47, exec_lo
	s_and_b32 s54, s62, exec_lo
	s_or_b32 s47, s47, s54
	s_andn2_b32 exec_lo, exec_lo, s45
	s_cbranch_execz .LBB183_240
.LBB183_236:                            ;   Parent Loop BB183_12 Depth=1
                                        ; =>  This Inner Loop Header: Depth=2
	s_mov_b32 s62, exec_lo
	v_cmpx_gt_u64_e64 s[22:23], v[30:31]
	s_cbranch_execz .LBB183_233
; %bb.237:                              ;   in Loop: Header=BB183_236 Depth=2
	ds_read_b64 v[4:5], v18
	s_waitcnt lgkmcnt(0)
	v_cmp_o_f64_e32 vcc_lo, v[4:5], v[4:5]
	v_ashrrev_i32_e32 v2, 31, v5
	v_or_b32_e32 v8, 0x80000000, v2
	v_xor_b32_e32 v2, v2, v4
	v_xor_b32_e32 v8, v8, v5
	v_cndmask_b32_e32 v8, -1, v8, vcc_lo
	v_cndmask_b32_e32 v2, -1, v2, vcc_lo
	v_and_b32_e32 v9, v8, v13
	v_and_b32_e32 v8, v2, v12
	v_cmp_eq_u64_e32 vcc_lo, v[8:9], v[14:15]
	s_and_b32 exec_lo, exec_lo, vcc_lo
	s_cbranch_execz .LBB183_233
; %bb.238:                              ;   in Loop: Header=BB183_236 Depth=2
	v_mov_b32_e32 v2, v19
	ds_write_b128 v19, v[2:5] offset:3072
	s_branch .LBB183_233
.LBB183_239:                            ;   in Loop: Header=BB183_236 Depth=2
	s_mov_b32 s63, -1
	s_mov_b32 s62, -1
                                        ; implicit-def: $vgpr30_vgpr31
                                        ; implicit-def: $vgpr18
	s_branch .LBB183_235
.LBB183_240:                            ;   in Loop: Header=BB183_12 Depth=1
	s_or_b32 exec_lo, exec_lo, s45
	s_and_b32 s45, s47, exec_lo
.LBB183_241:                            ;   in Loop: Header=BB183_12 Depth=1
	s_or_b32 exec_lo, exec_lo, s46
.LBB183_242:                            ;   in Loop: Header=BB183_12 Depth=1
	s_and_b32 vcc_lo, exec_lo, s26
	s_cbranch_vccz .LBB183_259
; %bb.243:                              ;   in Loop: Header=BB183_12 Depth=1
	s_mov_b32 s58, s27
	s_cmp_lg_u64 s[58:59], 0
	s_cbranch_scc0 .LBB183_245
; %bb.244:                              ;   in Loop: Header=BB183_12 Depth=1
	v_cvt_f32_u32_e32 v2, s49
	s_sub_u32 s24, 0, s49
	s_subb_u32 s25, 0, 0
	v_fmac_f32_e64 v2, 0x4f800000, 0
	v_rcp_f32_e32 v2, v2
	v_mul_f32_e32 v2, 0x5f7ffffc, v2
	v_mul_f32_e32 v4, 0x2f800000, v2
	v_trunc_f32_e32 v4, v4
	v_fmac_f32_e32 v2, 0xcf800000, v4
	v_cvt_u32_f32_e32 v4, v4
	v_cvt_u32_f32_e32 v2, v2
	v_readfirstlane_b32 s22, v4
	v_readfirstlane_b32 s23, v2
	s_mul_i32 s26, s24, s22
	s_mul_hi_u32 s46, s24, s23
	s_mul_i32 s44, s25, s23
	s_add_i32 s26, s46, s26
	s_mul_i32 s47, s24, s23
	s_add_i32 s26, s26, s44
	s_mul_hi_u32 s46, s23, s47
	s_mul_i32 s55, s23, s26
	s_mul_hi_u32 s54, s22, s47
	s_mul_i32 s44, s22, s47
	s_mul_hi_u32 s47, s23, s26
	s_add_u32 s46, s46, s55
	s_addc_u32 s47, 0, s47
	s_mul_hi_u32 s56, s22, s26
	s_add_u32 s44, s46, s44
	s_mul_i32 s26, s22, s26
	s_addc_u32 s44, s47, s54
	s_addc_u32 s46, s56, 0
	s_add_u32 s26, s44, s26
	s_addc_u32 s44, 0, s46
	s_add_u32 s23, s23, s26
	s_cselect_b32 s26, -1, 0
	s_mul_hi_u32 s46, s24, s23
	s_cmp_lg_u32 s26, 0
	s_mul_i32 s26, s24, s23
	s_addc_u32 s22, s22, s44
	s_mul_i32 s25, s25, s23
	s_mul_i32 s24, s24, s22
	s_mul_hi_u32 s44, s23, s26
	s_add_i32 s24, s46, s24
	s_mul_hi_u32 s46, s22, s26
	s_add_i32 s24, s24, s25
	s_mul_i32 s25, s22, s26
	s_mul_i32 s54, s23, s24
	s_mul_hi_u32 s47, s23, s24
	s_add_u32 s44, s44, s54
	s_addc_u32 s47, 0, s47
	s_mul_hi_u32 s26, s22, s24
	s_add_u32 s25, s44, s25
	s_mul_i32 s24, s22, s24
	s_addc_u32 s25, s47, s46
	s_addc_u32 s26, s26, 0
	s_add_u32 s24, s25, s24
	s_addc_u32 s25, 0, s26
	s_add_u32 s23, s23, s24
	s_cselect_b32 s24, -1, 0
	s_mul_hi_u32 s26, s82, s23
	s_cmp_lg_u32 s24, 0
	s_mul_hi_u32 s24, s59, s23
	s_addc_u32 s22, s22, s25
	s_mul_i32 s23, s59, s23
	s_mul_i32 s44, s82, s22
	s_mul_hi_u32 s25, s82, s22
	s_add_u32 s26, s26, s44
	s_addc_u32 s25, 0, s25
	s_mul_hi_u32 s46, s59, s22
	s_add_u32 s23, s26, s23
	s_mul_i32 s22, s59, s22
	s_addc_u32 s23, s25, s24
	s_addc_u32 s24, s46, 0
	s_add_u32 s22, s23, s22
	s_addc_u32 s23, 0, s24
	s_mul_hi_u32 s24, s49, s22
	s_mul_i32 s23, s49, s23
	s_mul_i32 s22, s49, s22
	s_add_i32 s24, s24, s23
	s_sub_u32 s22, s82, s22
	s_cselect_b32 s23, -1, 0
	s_cmp_lg_u32 s23, 0
	s_subb_u32 s23, s59, s24
	s_sub_u32 s24, s22, s49
	s_cselect_b32 s25, -1, 0
	s_cmp_lg_u32 s25, 0
	s_subb_u32 s25, s23, 0
	;; [unrolled: 4-line block ×3, first 2 shown]
	s_cmp_ge_u32 s24, s49
	s_cselect_b32 s46, -1, 0
	s_cmp_eq_u32 s25, 0
	s_cselect_b32 s46, s46, -1
	s_cmp_lg_u32 s46, 0
	s_cselect_b32 s25, s44, s25
	s_cselect_b32 s24, s26, s24
	s_cmp_ge_u32 s22, s49
	s_cselect_b32 s26, -1, 0
	s_cmp_eq_u32 s23, 0
	s_cselect_b32 s26, s26, -1
	s_cmp_lg_u32 s26, 0
	s_cselect_b32 s23, s25, s23
	s_cselect_b32 s22, s24, s22
	s_mov_b32 s24, 0
	s_branch .LBB183_246
.LBB183_245:                            ;   in Loop: Header=BB183_12 Depth=1
	s_mov_b32 s24, -1
                                        ; implicit-def: $sgpr22_sgpr23
.LBB183_246:                            ;   in Loop: Header=BB183_12 Depth=1
	s_andn2_b32 vcc_lo, exec_lo, s24
	s_cbranch_vccnz .LBB183_248
; %bb.247:                              ;   in Loop: Header=BB183_12 Depth=1
	v_cvt_f32_u32_e32 v2, s49
	s_sub_i32 s23, 0, s49
	v_rcp_iflag_f32_e32 v2, v2
	v_mul_f32_e32 v2, 0x4f7ffffe, v2
	v_cvt_u32_f32_e32 v2, v2
	v_readfirstlane_b32 s22, v2
	s_mul_i32 s23, s23, s22
	s_mul_hi_u32 s23, s22, s23
	s_add_i32 s22, s22, s23
	s_mul_hi_u32 s22, s82, s22
	s_mul_i32 s22, s22, s49
	s_sub_i32 s22, s82, s22
	s_sub_i32 s23, s22, s49
	s_cmp_ge_u32 s22, s49
	s_cselect_b32 s22, s23, s22
	s_sub_i32 s23, s22, s49
	s_cmp_ge_u32 s22, s49
	s_cselect_b32 s26, s23, s22
	s_mov_b64 s[22:23], s[26:27]
.LBB183_248:                            ;   in Loop: Header=BB183_12 Depth=1
	s_sub_u32 s22, s82, s22
	s_subb_u32 s23, s59, s23
	s_mov_b32 s24, exec_lo
                                        ; implicit-def: $vgpr10_vgpr11
	v_cmpx_gt_u64_e64 s[22:23], v[0:1]
	s_cbranch_execz .LBB183_258
; %bb.249:                              ;   in Loop: Header=BB183_12 Depth=1
	v_mov_b32_e32 v31, v1
	v_mov_b32_e32 v30, v0
	s_mov_b32 s25, 0
                                        ; implicit-def: $sgpr26
	s_branch .LBB183_253
.LBB183_250:                            ;   in Loop: Header=BB183_253 Depth=2
	s_or_b32 exec_lo, exec_lo, s44
	s_waitcnt lgkmcnt(0)
	s_barrier
	buffer_gl0_inv
	ds_read_b128 v[8:11], v19 offset:3072
	s_waitcnt lgkmcnt(0)
	s_barrier
	buffer_gl0_inv
	v_cmp_eq_f64_e32 vcc_lo, 0, v[8:9]
	s_cbranch_vccz .LBB183_256
; %bb.251:                              ;   in Loop: Header=BB183_253 Depth=2
	v_add_co_u32 v30, vcc_lo, v30, s49
	v_add_co_ci_u32_e64 v31, null, 0, v31, vcc_lo
	s_mov_b32 s44, 0
	v_cmp_le_u64_e32 vcc_lo, s[22:23], v[30:31]
	s_orn2_b32 s46, vcc_lo, exec_lo
.LBB183_252:                            ;   in Loop: Header=BB183_253 Depth=2
	s_and_b32 s46, exec_lo, s46
	s_or_b32 s25, s46, s25
	s_andn2_b32 s26, s26, exec_lo
	s_and_b32 s44, s44, exec_lo
	s_or_b32 s26, s26, s44
	s_andn2_b32 exec_lo, exec_lo, s25
	s_cbranch_execz .LBB183_257
.LBB183_253:                            ;   Parent Loop BB183_12 Depth=1
                                        ; =>  This Inner Loop Header: Depth=2
	s_mov_b32 s44, exec_lo
	v_cmpx_gt_u64_e64 s[36:37], v[30:31]
	s_cbranch_execz .LBB183_250
; %bb.254:                              ;   in Loop: Header=BB183_253 Depth=2
	v_mul_lo_u32 v2, v31, s30
	v_mul_lo_u32 v8, v30, s31
	v_mad_u64_u32 v[4:5], null, v30, s30, 0
	v_add3_u32 v5, v5, v8, v2
	v_lshlrev_b64 v[4:5], 3, v[4:5]
	v_add_co_u32 v4, vcc_lo, s33, v4
	v_add_co_ci_u32_e64 v5, null, s35, v5, vcc_lo
	global_load_dwordx2 v[4:5], v[4:5], off
	s_waitcnt vmcnt(0)
	v_cmp_o_f64_e32 vcc_lo, v[4:5], v[4:5]
	v_ashrrev_i32_e32 v2, 31, v5
	v_or_b32_e32 v8, 0x80000000, v2
	v_xor_b32_e32 v2, v2, v4
	v_xor_b32_e32 v8, v8, v5
	v_cndmask_b32_e32 v8, -1, v8, vcc_lo
	v_cndmask_b32_e32 v2, -1, v2, vcc_lo
	v_and_b32_e32 v9, v8, v13
	v_and_b32_e32 v8, v2, v12
	v_cmp_eq_u64_e32 vcc_lo, v[8:9], v[14:15]
	s_and_b32 exec_lo, exec_lo, vcc_lo
	s_cbranch_execz .LBB183_250
; %bb.255:                              ;   in Loop: Header=BB183_253 Depth=2
	v_mov_b32_e32 v2, v19
	ds_write_b128 v19, v[2:5] offset:3072
	s_branch .LBB183_250
.LBB183_256:                            ;   in Loop: Header=BB183_253 Depth=2
	s_mov_b32 s46, -1
	s_mov_b32 s44, -1
                                        ; implicit-def: $vgpr30_vgpr31
	s_branch .LBB183_252
.LBB183_257:                            ;   in Loop: Header=BB183_12 Depth=1
	s_or_b32 exec_lo, exec_lo, s25
	s_andn2_b32 s22, s45, exec_lo
	s_and_b32 s23, s26, exec_lo
	s_or_b32 s45, s22, s23
.LBB183_258:                            ;   in Loop: Header=BB183_12 Depth=1
	s_or_b32 exec_lo, exec_lo, s24
	s_mov_b32 s58, 0
	s_mov_b32 s44, -1
.LBB183_259:                            ;   in Loop: Header=BB183_12 Depth=1
	s_orn2_b32 s23, s45, exec_lo
.LBB183_260:                            ;   in Loop: Header=BB183_12 Depth=1
	s_or_b32 exec_lo, exec_lo, vcc_hi
	s_mov_b32 s24, 0
	s_and_saveexec_b32 s22, s23
	s_cbranch_execz .LBB183_271
; %bb.261:                              ;   in Loop: Header=BB183_12 Depth=1
	v_mov_b32_e32 v4, 1
	v_mov_b32_e32 v5, 0
	;; [unrolled: 1-line block ×3, first 2 shown]
	s_xor_b32 s24, s104, -1
	s_and_saveexec_b32 s23, s24
	s_cbranch_execz .LBB183_270
; %bb.262:                              ;   in Loop: Header=BB183_12 Depth=1
	s_mov_b32 s24, exec_lo
	v_cmpx_ge_u64_e64 s[20:21], v[28:29]
	s_xor_b32 s24, exec_lo, s24
	s_cbranch_execz .LBB183_267
; %bb.263:                              ;   in Loop: Header=BB183_12 Depth=1
	ds_read_b64 v[4:5], v19 offset:5120
	v_or_b32_e32 v15, s13, v15
	v_or_b32_e32 v14, s12, v14
	v_or_b32_e32 v13, s13, v13
	v_or_b32_e32 v12, s12, v12
	s_waitcnt lgkmcnt(0)
	v_cmp_ne_u64_e32 vcc_lo, 0, v[4:5]
	s_cbranch_vccnz .LBB183_267
; %bb.264:                              ;   in Loop: Header=BB183_12 Depth=1
	s_and_saveexec_b32 s25, s3
; %bb.265:                              ;   in Loop: Header=BB183_12 Depth=1
	v_mov_b32_e32 v4, s20
	v_mov_b32_e32 v5, s21
	ds_write_b64 v19, v[4:5] offset:5128
; %bb.266:                              ;   in Loop: Header=BB183_12 Depth=1
	s_or_b32 exec_lo, exec_lo, s25
	s_waitcnt lgkmcnt(0)
	s_barrier
	buffer_gl0_inv
.LBB183_267:                            ;   in Loop: Header=BB183_12 Depth=1
	s_andn2_saveexec_b32 s24, s24
; %bb.268:                              ;   in Loop: Header=BB183_12 Depth=1
	v_sub_co_u32 v28, vcc_lo, v28, s20
	v_subrev_co_ci_u32_e64 v29, null, s21, v29, vcc_lo
; %bb.269:                              ;   in Loop: Header=BB183_12 Depth=1
	s_or_b32 exec_lo, exec_lo, s24
	v_mov_b32_e32 v4, v28
	v_mov_b32_e32 v39, 8
	;; [unrolled: 1-line block ×3, first 2 shown]
.LBB183_270:                            ;   in Loop: Header=BB183_12 Depth=1
	s_or_b32 exec_lo, exec_lo, s23
	v_mov_b32_e32 v29, v5
	v_mov_b32_e32 v28, v4
	s_mov_b32 s24, exec_lo
.LBB183_271:                            ;   in Loop: Header=BB183_12 Depth=1
	s_or_b32 exec_lo, exec_lo, s22
	s_orn2_b32 s22, s24, exec_lo
.LBB183_272:                            ;   in Loop: Header=BB183_12 Depth=1
	s_or_b32 exec_lo, exec_lo, s75
	v_mov_b32_e32 v31, v29
	v_mov_b32_e32 v30, v28
	s_andn2_b32 s23, s73, exec_lo
	s_and_b32 s24, s44, exec_lo
	s_andn2_b32 s25, s72, exec_lo
	s_and_b32 s26, s58, exec_lo
	s_or_b32 s73, s23, s24
	s_or_b32 s72, s25, s26
	s_and_b32 s23, s22, exec_lo
.LBB183_273:                            ;   in Loop: Header=BB183_12 Depth=1
	s_or_b32 exec_lo, exec_lo, s74
	s_orn2_b32 s22, s23, exec_lo
.LBB183_274:                            ;   in Loop: Header=BB183_12 Depth=1
	s_or_b32 exec_lo, exec_lo, s71
	v_mov_b32_e32 v28, v30
	v_mov_b32_e32 v29, v31
	s_andn2_b32 s23, s69, exec_lo
	s_and_b32 s24, s73, exec_lo
	s_andn2_b32 s25, s68, exec_lo
	s_and_b32 s26, s72, exec_lo
	s_or_b32 s69, s23, s24
	s_or_b32 s68, s25, s26
	s_and_b32 s23, s22, exec_lo
.LBB183_275:                            ;   in Loop: Header=BB183_12 Depth=1
	s_or_b32 exec_lo, exec_lo, s70
	s_orn2_b32 s22, s23, exec_lo
.LBB183_276:                            ;   in Loop: Header=BB183_12 Depth=1
	s_or_b32 exec_lo, exec_lo, s6
	s_mov_b32 s6, 0
	s_mov_b32 s23, 0
	s_and_saveexec_b32 s24, s22
	s_xor_b32 s22, exec_lo, s24
; %bb.277:                              ;   in Loop: Header=BB183_12 Depth=1
	v_cmp_ne_u32_e32 vcc_lo, 8, v39
	v_cmp_eq_u32_e64 s6, 8, v39
	s_and_b32 s23, vcc_lo, exec_lo
	s_and_b32 s6, s6, exec_lo
; %bb.278:                              ;   in Loop: Header=BB183_12 Depth=1
	s_or_b32 exec_lo, exec_lo, s22
	s_andn2_b32 s22, s65, exec_lo
	s_and_b32 s24, s69, exec_lo
	s_andn2_b32 s25, s64, exec_lo
	s_and_b32 s26, s68, exec_lo
	s_or_b32 s65, s22, s24
	s_or_b32 s64, s25, s26
	s_and_b32 s62, s23, exec_lo
	s_and_b32 s63, s6, exec_lo
.LBB183_279:                            ;   in Loop: Header=BB183_12 Depth=1
	s_or_b32 exec_lo, exec_lo, s67
.LBB183_280:                            ;   in Loop: Header=BB183_12 Depth=1
	s_and_b32 vcc_lo, exec_lo, s66
	s_cbranch_vccz .LBB183_297
; %bb.281:                              ;   in Loop: Header=BB183_12 Depth=1
	s_cmp_eq_u64 s[20:21], 1
                                        ; implicit-def: $sgpr66
                                        ; implicit-def: $sgpr9
	s_cselect_b32 s6, -1, 0
	s_and_b32 s64, s6, s7
	s_mov_b32 s6, -1
	s_and_saveexec_b32 s65, s64
	s_cbranch_execz .LBB183_316
; %bb.282:                              ;   in Loop: Header=BB183_12 Depth=1
	ds_read_b64 v[4:5], v19 offset:5120
	s_waitcnt lgkmcnt(0)
	s_barrier
	buffer_gl0_inv
	v_readfirstlane_b32 s6, v4
	v_readfirstlane_b32 s7, v5
	s_and_saveexec_b32 s9, s8
; %bb.283:                              ;   in Loop: Header=BB183_12 Depth=1
	v_mov_b32_e32 v18, v19
	ds_write_b64 v35, v[18:19]
; %bb.284:                              ;   in Loop: Header=BB183_12 Depth=1
	s_or_b32 exec_lo, exec_lo, s9
	v_or_b32_e32 v23, s13, v23
	v_or_b32_e32 v22, s12, v22
	;; [unrolled: 1-line block ×4, first 2 shown]
	s_mov_b32 s9, -1
	s_mov_b32 s66, 0
	s_cmp_eq_u64 s[6:7], 0
	s_mov_b32 s24, 0
	s_mov_b32 s25, -1
	s_waitcnt lgkmcnt(0)
	s_barrier
	buffer_gl0_inv
                                        ; implicit-def: $vgpr6_vgpr7
	s_cbranch_scc1 .LBB183_300
; %bb.285:                              ;   in Loop: Header=BB183_12 Depth=1
	s_add_u32 s44, s6, s80
	s_addc_u32 s23, s7, s81
	s_mov_b32 s22, s27
	s_cmp_lg_u64 s[22:23], 0
	s_cbranch_scc0 .LBB183_343
; %bb.286:                              ;   in Loop: Header=BB183_12 Depth=1
	v_cvt_f32_u32_e32 v2, s49
	s_sub_u32 s25, 0, s49
	s_subb_u32 s26, 0, 0
	v_fmac_f32_e64 v2, 0x4f800000, 0
	v_rcp_f32_e32 v2, v2
	v_mul_f32_e32 v2, 0x5f7ffffc, v2
	v_mul_f32_e32 v4, 0x2f800000, v2
	v_trunc_f32_e32 v4, v4
	v_fmac_f32_e32 v2, 0xcf800000, v4
	v_cvt_u32_f32_e32 v4, v4
	v_cvt_u32_f32_e32 v2, v2
	v_readfirstlane_b32 s22, v4
	v_readfirstlane_b32 s24, v2
	s_mul_i32 s45, s25, s22
	s_mul_hi_u32 s47, s25, s24
	s_mul_i32 s46, s26, s24
	s_add_i32 s45, s47, s45
	s_mul_i32 s58, s25, s24
	s_add_i32 s45, s45, s46
	s_mul_hi_u32 s47, s24, s58
	s_mul_i32 s68, s24, s45
	s_mul_hi_u32 s67, s22, s58
	s_mul_i32 s46, s22, s58
	s_mul_hi_u32 s58, s24, s45
	s_add_u32 s47, s47, s68
	s_addc_u32 s58, 0, s58
	s_mul_hi_u32 s69, s22, s45
	s_add_u32 s46, s47, s46
	s_mul_i32 s45, s22, s45
	s_addc_u32 s46, s58, s67
	s_addc_u32 s47, s69, 0
	s_add_u32 s45, s46, s45
	s_addc_u32 s46, 0, s47
	s_add_u32 s24, s24, s45
	s_cselect_b32 s45, -1, 0
	s_mul_hi_u32 s47, s25, s24
	s_cmp_lg_u32 s45, 0
	s_mul_i32 s45, s25, s24
	s_addc_u32 s22, s22, s46
	s_mul_i32 s26, s26, s24
	s_mul_i32 s25, s25, s22
	s_mul_hi_u32 s46, s24, s45
	s_add_i32 s25, s47, s25
	s_mul_hi_u32 s47, s22, s45
	s_add_i32 s25, s25, s26
	s_mul_i32 s26, s22, s45
	s_mul_i32 s67, s24, s25
	s_mul_hi_u32 s58, s24, s25
	s_add_u32 s46, s46, s67
	s_addc_u32 s58, 0, s58
	s_mul_hi_u32 s45, s22, s25
	s_add_u32 s26, s46, s26
	s_mul_i32 s25, s22, s25
	s_addc_u32 s26, s58, s47
	s_addc_u32 s45, s45, 0
	s_add_u32 s25, s26, s25
	s_addc_u32 s26, 0, s45
	s_add_u32 s24, s24, s25
	s_cselect_b32 s25, -1, 0
	s_mul_hi_u32 s45, s44, s24
	s_cmp_lg_u32 s25, 0
	s_mul_hi_u32 s25, s23, s24
	s_addc_u32 s22, s22, s26
	s_mul_i32 s24, s23, s24
	s_mul_i32 s46, s44, s22
	s_mul_hi_u32 s26, s44, s22
	s_add_u32 s45, s45, s46
	s_addc_u32 s26, 0, s26
	s_mul_hi_u32 s47, s23, s22
	s_add_u32 s24, s45, s24
	s_mul_i32 s22, s23, s22
	s_addc_u32 s24, s26, s25
	s_addc_u32 s25, s47, 0
	s_add_u32 s22, s24, s22
	s_addc_u32 s24, 0, s25
	s_mul_hi_u32 s25, s49, s22
	s_mul_i32 s24, s49, s24
	s_mul_i32 s22, s49, s22
	s_add_i32 s25, s25, s24
	s_sub_u32 s22, s44, s22
	s_cselect_b32 s24, -1, 0
	s_cmp_lg_u32 s24, 0
	s_subb_u32 s24, s23, s25
	s_sub_u32 s25, s22, s49
	s_cselect_b32 s26, -1, 0
	s_cmp_lg_u32 s26, 0
	s_subb_u32 s26, s24, 0
	;; [unrolled: 4-line block ×3, first 2 shown]
	s_cmp_ge_u32 s25, s49
	s_cselect_b32 s47, -1, 0
	s_cmp_eq_u32 s26, 0
	s_cselect_b32 s47, s47, -1
	s_cmp_lg_u32 s47, 0
	s_cselect_b32 s26, s46, s26
	s_cselect_b32 s45, s45, s25
	s_cmp_ge_u32 s22, s49
	s_cselect_b32 s25, -1, 0
	s_cmp_eq_u32 s24, 0
	s_cselect_b32 s25, s25, -1
	s_cmp_lg_u32 s25, 0
	s_cselect_b32 s25, s26, s24
	s_cselect_b32 s24, s45, s22
	s_cbranch_execnz .LBB183_288
.LBB183_287:                            ;   in Loop: Header=BB183_12 Depth=1
	v_cvt_f32_u32_e32 v2, s49
	s_sub_i32 s24, 0, s49
	v_rcp_iflag_f32_e32 v2, v2
	v_mul_f32_e32 v2, 0x4f7ffffe, v2
	v_cvt_u32_f32_e32 v2, v2
	v_readfirstlane_b32 s22, v2
	s_mul_i32 s24, s24, s22
	s_mul_hi_u32 s24, s22, s24
	s_add_i32 s22, s22, s24
	s_mul_hi_u32 s22, s44, s22
	s_mul_i32 s22, s22, s49
	s_sub_i32 s22, s44, s22
	s_sub_i32 s24, s22, s49
	s_cmp_ge_u32 s22, s49
	s_cselect_b32 s22, s24, s22
	s_sub_i32 s24, s22, s49
	s_cmp_ge_u32 s22, s49
	s_cselect_b32 s26, s24, s22
	s_mov_b64 s[24:25], s[26:27]
.LBB183_288:                            ;   in Loop: Header=BB183_12 Depth=1
	s_sub_u32 s22, s44, s24
	s_subb_u32 s23, s23, s25
	s_mov_b32 s25, 0
	s_mov_b32 s24, 0
	s_mov_b32 s26, exec_lo
                                        ; implicit-def: $vgpr6_vgpr7
	v_cmpx_gt_u64_e64 s[22:23], v[0:1]
	s_cbranch_execz .LBB183_299
; %bb.289:                              ;   in Loop: Header=BB183_12 Depth=1
	v_mov_b32_e32 v9, v1
	v_mov_b32_e32 v10, v34
	;; [unrolled: 1-line block ×3, first 2 shown]
                                        ; implicit-def: $sgpr44
	s_branch .LBB183_293
.LBB183_290:                            ;   in Loop: Header=BB183_293 Depth=2
	s_or_b32 exec_lo, exec_lo, s45
	s_waitcnt lgkmcnt(0)
	s_barrier
	buffer_gl0_inv
	ds_read_b128 v[4:7], v19 offset:3072
	s_waitcnt lgkmcnt(0)
	s_barrier
	buffer_gl0_inv
	v_cmp_neq_f64_e32 vcc_lo, 0, v[4:5]
	s_cbranch_vccnz .LBB183_296
; %bb.291:                              ;   in Loop: Header=BB183_293 Depth=2
	v_add_co_u32 v8, vcc_lo, v8, s49
	v_add_co_ci_u32_e64 v9, null, 0, v9, vcc_lo
	v_add_nc_u32_e32 v10, s86, v10
	s_mov_b32 s45, 0
	v_cmp_le_u64_e32 vcc_lo, s[22:23], v[8:9]
	s_orn2_b32 s46, vcc_lo, exec_lo
.LBB183_292:                            ;   in Loop: Header=BB183_293 Depth=2
	s_and_b32 s46, exec_lo, s46
	s_or_b32 s24, s46, s24
	s_andn2_b32 s44, s44, exec_lo
	s_and_b32 s45, s45, exec_lo
	s_or_b32 s44, s44, s45
	s_andn2_b32 exec_lo, exec_lo, s24
	s_cbranch_execz .LBB183_298
.LBB183_293:                            ;   Parent Loop BB183_12 Depth=1
                                        ; =>  This Inner Loop Header: Depth=2
	s_mov_b32 s45, exec_lo
	v_cmpx_gt_u64_e64 s[6:7], v[8:9]
	s_cbranch_execz .LBB183_290
; %bb.294:                              ;   in Loop: Header=BB183_293 Depth=2
	ds_read_b64 v[4:5], v10
	s_waitcnt lgkmcnt(0)
	v_cmp_o_f64_e32 vcc_lo, v[4:5], v[4:5]
	v_ashrrev_i32_e32 v2, 31, v5
	v_or_b32_e32 v6, 0x80000000, v2
	v_xor_b32_e32 v2, v2, v4
	v_xor_b32_e32 v6, v6, v5
	v_cndmask_b32_e32 v6, -1, v6, vcc_lo
	v_cndmask_b32_e32 v2, -1, v2, vcc_lo
	v_and_b32_e32 v7, v6, v25
	v_and_b32_e32 v6, v2, v24
	v_cmp_eq_u64_e32 vcc_lo, v[6:7], v[22:23]
	s_and_b32 exec_lo, exec_lo, vcc_lo
	s_cbranch_execz .LBB183_290
; %bb.295:                              ;   in Loop: Header=BB183_293 Depth=2
	v_mov_b32_e32 v2, v19
	ds_write_b128 v19, v[2:5] offset:3072
	s_branch .LBB183_290
.LBB183_296:                            ;   in Loop: Header=BB183_293 Depth=2
	s_mov_b32 s46, -1
	s_mov_b32 s45, -1
                                        ; implicit-def: $vgpr8_vgpr9
                                        ; implicit-def: $vgpr10
	s_branch .LBB183_292
.LBB183_297:                            ;   in Loop: Header=BB183_12 Depth=1
	v_mov_b32_e32 v23, v15
	v_mov_b32_e32 v25, v13
	v_mov_b32_e32 v6, v10
	v_mov_b32_e32 v22, v14
	v_mov_b32_e32 v24, v12
	v_mov_b32_e32 v7, v11
	s_mov_b32 s66, 0
	s_and_saveexec_b32 s6, s63
	s_cbranch_execnz .LBB183_481
	s_branch .LBB183_482
.LBB183_298:                            ;   in Loop: Header=BB183_12 Depth=1
	s_or_b32 exec_lo, exec_lo, s24
	s_and_b32 s24, s44, exec_lo
.LBB183_299:                            ;   in Loop: Header=BB183_12 Depth=1
	s_or_b32 exec_lo, exec_lo, s26
.LBB183_300:                            ;   in Loop: Header=BB183_12 Depth=1
	s_and_b32 vcc_lo, exec_lo, s25
	s_cbranch_vccz .LBB183_315
; %bb.301:                              ;   in Loop: Header=BB183_12 Depth=1
	s_mov_b32 s58, s27
	s_cmp_lg_u64 s[58:59], 0
	s_cbranch_scc0 .LBB183_344
; %bb.302:                              ;   in Loop: Header=BB183_12 Depth=1
	v_cvt_f32_u32_e32 v2, s49
	s_sub_u32 s9, 0, s49
	s_subb_u32 s22, 0, 0
	v_fmac_f32_e64 v2, 0x4f800000, 0
	v_rcp_f32_e32 v2, v2
	v_mul_f32_e32 v2, 0x5f7ffffc, v2
	v_mul_f32_e32 v4, 0x2f800000, v2
	v_trunc_f32_e32 v4, v4
	v_fmac_f32_e32 v2, 0xcf800000, v4
	v_cvt_u32_f32_e32 v4, v4
	v_cvt_u32_f32_e32 v2, v2
	v_readfirstlane_b32 s6, v4
	v_readfirstlane_b32 s7, v2
	s_mul_i32 s23, s9, s6
	s_mul_hi_u32 s26, s9, s7
	s_mul_i32 s25, s22, s7
	s_add_i32 s23, s26, s23
	s_mul_i32 s44, s9, s7
	s_add_i32 s23, s23, s25
	s_mul_hi_u32 s26, s7, s44
	s_mul_i32 s46, s7, s23
	s_mul_hi_u32 s45, s6, s44
	s_mul_i32 s25, s6, s44
	s_mul_hi_u32 s44, s7, s23
	s_add_u32 s26, s26, s46
	s_addc_u32 s44, 0, s44
	s_mul_hi_u32 s47, s6, s23
	s_add_u32 s25, s26, s25
	s_mul_i32 s23, s6, s23
	s_addc_u32 s25, s44, s45
	s_addc_u32 s26, s47, 0
	s_add_u32 s23, s25, s23
	s_addc_u32 s25, 0, s26
	s_add_u32 s7, s7, s23
	s_cselect_b32 s23, -1, 0
	s_mul_hi_u32 s26, s9, s7
	s_cmp_lg_u32 s23, 0
	s_mul_i32 s23, s9, s7
	s_addc_u32 s6, s6, s25
	s_mul_i32 s22, s22, s7
	s_mul_i32 s9, s9, s6
	s_mul_hi_u32 s25, s7, s23
	s_add_i32 s9, s26, s9
	s_mul_hi_u32 s26, s6, s23
	s_add_i32 s9, s9, s22
	s_mul_i32 s22, s6, s23
	s_mul_i32 s45, s7, s9
	s_mul_hi_u32 s44, s7, s9
	s_add_u32 s25, s25, s45
	s_addc_u32 s44, 0, s44
	s_mul_hi_u32 s23, s6, s9
	s_add_u32 s22, s25, s22
	s_mul_i32 s9, s6, s9
	s_addc_u32 s22, s44, s26
	s_addc_u32 s23, s23, 0
	s_add_u32 s9, s22, s9
	s_addc_u32 s22, 0, s23
	s_add_u32 s7, s7, s9
	s_cselect_b32 s9, -1, 0
	s_mul_hi_u32 s23, s82, s7
	s_cmp_lg_u32 s9, 0
	s_mul_hi_u32 s9, s59, s7
	s_addc_u32 s6, s6, s22
	s_mul_i32 s7, s59, s7
	s_mul_i32 s25, s82, s6
	s_mul_hi_u32 s22, s82, s6
	s_add_u32 s23, s23, s25
	s_addc_u32 s22, 0, s22
	s_mul_hi_u32 s26, s59, s6
	s_add_u32 s7, s23, s7
	s_mul_i32 s6, s59, s6
	s_addc_u32 s7, s22, s9
	s_addc_u32 s9, s26, 0
	s_add_u32 s6, s7, s6
	s_addc_u32 s7, 0, s9
	s_mul_hi_u32 s9, s49, s6
	s_mul_i32 s7, s49, s7
	s_mul_i32 s6, s49, s6
	s_add_i32 s9, s9, s7
	s_sub_u32 s6, s82, s6
	s_cselect_b32 s7, -1, 0
	s_cmp_lg_u32 s7, 0
	s_subb_u32 s7, s59, s9
	s_sub_u32 s9, s6, s49
	s_cselect_b32 s22, -1, 0
	s_cmp_lg_u32 s22, 0
	s_subb_u32 s22, s7, 0
	;; [unrolled: 4-line block ×3, first 2 shown]
	s_cmp_ge_u32 s9, s49
	s_cselect_b32 s26, -1, 0
	s_cmp_eq_u32 s22, 0
	s_cselect_b32 s26, s26, -1
	s_cmp_lg_u32 s26, 0
	s_cselect_b32 s22, s25, s22
	s_cselect_b32 s9, s23, s9
	s_cmp_ge_u32 s6, s49
	s_cselect_b32 s23, -1, 0
	s_cmp_eq_u32 s7, 0
	s_cselect_b32 s23, s23, -1
	s_cmp_lg_u32 s23, 0
	s_cselect_b32 s7, s22, s7
	s_cselect_b32 s6, s9, s6
	s_cbranch_execnz .LBB183_304
.LBB183_303:                            ;   in Loop: Header=BB183_12 Depth=1
	v_cvt_f32_u32_e32 v2, s49
	s_sub_i32 s7, 0, s49
	v_rcp_iflag_f32_e32 v2, v2
	v_mul_f32_e32 v2, 0x4f7ffffe, v2
	v_cvt_u32_f32_e32 v2, v2
	v_readfirstlane_b32 s6, v2
	s_mul_i32 s7, s7, s6
	s_mul_hi_u32 s7, s6, s7
	s_add_i32 s6, s6, s7
	s_mul_hi_u32 s6, s82, s6
	s_mul_i32 s6, s6, s49
	s_sub_i32 s6, s82, s6
	s_sub_i32 s7, s6, s49
	s_cmp_ge_u32 s6, s49
	s_cselect_b32 s6, s7, s6
	s_sub_i32 s7, s6, s49
	s_cmp_ge_u32 s6, s49
	s_cselect_b32 s26, s7, s6
	s_mov_b64 s[6:7], s[26:27]
.LBB183_304:                            ;   in Loop: Header=BB183_12 Depth=1
	s_sub_u32 s6, s82, s6
	s_subb_u32 s7, s59, s7
	s_mov_b32 s9, exec_lo
                                        ; implicit-def: $vgpr6_vgpr7
	v_cmpx_gt_u64_e64 s[6:7], v[0:1]
	s_cbranch_execz .LBB183_314
; %bb.305:                              ;   in Loop: Header=BB183_12 Depth=1
	v_mov_b32_e32 v9, v1
	v_mov_b32_e32 v8, v0
	s_mov_b32 s23, 0
                                        ; implicit-def: $sgpr22
	s_branch .LBB183_309
.LBB183_306:                            ;   in Loop: Header=BB183_309 Depth=2
	s_or_b32 exec_lo, exec_lo, s25
	s_waitcnt lgkmcnt(0)
	s_barrier
	buffer_gl0_inv
	ds_read_b128 v[4:7], v19 offset:3072
	s_waitcnt lgkmcnt(0)
	s_barrier
	buffer_gl0_inv
	v_cmp_neq_f64_e32 vcc_lo, 0, v[4:5]
	s_cbranch_vccnz .LBB183_312
; %bb.307:                              ;   in Loop: Header=BB183_309 Depth=2
	v_add_co_u32 v8, vcc_lo, v8, s49
	v_add_co_ci_u32_e64 v9, null, 0, v9, vcc_lo
	s_mov_b32 s25, 0
	v_cmp_le_u64_e32 vcc_lo, s[6:7], v[8:9]
	s_orn2_b32 s26, vcc_lo, exec_lo
.LBB183_308:                            ;   in Loop: Header=BB183_309 Depth=2
	s_and_b32 s26, exec_lo, s26
	s_or_b32 s23, s26, s23
	s_andn2_b32 s22, s22, exec_lo
	s_and_b32 s25, s25, exec_lo
	s_or_b32 s22, s22, s25
	s_andn2_b32 exec_lo, exec_lo, s23
	s_cbranch_execz .LBB183_313
.LBB183_309:                            ;   Parent Loop BB183_12 Depth=1
                                        ; =>  This Inner Loop Header: Depth=2
	s_mov_b32 s25, exec_lo
	v_cmpx_gt_u64_e64 s[36:37], v[8:9]
	s_cbranch_execz .LBB183_306
; %bb.310:                              ;   in Loop: Header=BB183_309 Depth=2
	v_mul_lo_u32 v2, v9, s30
	v_mul_lo_u32 v6, v8, s31
	v_mad_u64_u32 v[4:5], null, v8, s30, 0
	v_add3_u32 v5, v5, v6, v2
	v_lshlrev_b64 v[4:5], 3, v[4:5]
	v_add_co_u32 v4, vcc_lo, s33, v4
	v_add_co_ci_u32_e64 v5, null, s35, v5, vcc_lo
	global_load_dwordx2 v[4:5], v[4:5], off
	s_waitcnt vmcnt(0)
	v_cmp_o_f64_e32 vcc_lo, v[4:5], v[4:5]
	v_ashrrev_i32_e32 v2, 31, v5
	v_or_b32_e32 v6, 0x80000000, v2
	v_xor_b32_e32 v2, v2, v4
	v_xor_b32_e32 v6, v6, v5
	v_cndmask_b32_e32 v6, -1, v6, vcc_lo
	v_cndmask_b32_e32 v2, -1, v2, vcc_lo
	v_and_b32_e32 v7, v6, v25
	v_and_b32_e32 v6, v2, v24
	v_cmp_eq_u64_e32 vcc_lo, v[6:7], v[22:23]
	s_and_b32 exec_lo, exec_lo, vcc_lo
	s_cbranch_execz .LBB183_306
; %bb.311:                              ;   in Loop: Header=BB183_309 Depth=2
	v_mov_b32_e32 v2, v19
	ds_write_b128 v19, v[2:5] offset:3072
	s_branch .LBB183_306
.LBB183_312:                            ;   in Loop: Header=BB183_309 Depth=2
	s_mov_b32 s26, -1
	s_mov_b32 s25, -1
                                        ; implicit-def: $vgpr8_vgpr9
	s_branch .LBB183_308
.LBB183_313:                            ;   in Loop: Header=BB183_12 Depth=1
	s_or_b32 exec_lo, exec_lo, s23
	s_andn2_b32 s6, s24, exec_lo
	s_and_b32 s7, s22, exec_lo
	s_or_b32 s24, s6, s7
.LBB183_314:                            ;   in Loop: Header=BB183_12 Depth=1
	s_or_b32 exec_lo, exec_lo, s9
	s_mov_b32 s9, 0
	s_mov_b32 s66, -1
.LBB183_315:                            ;   in Loop: Header=BB183_12 Depth=1
	s_orn2_b32 s6, s24, exec_lo
.LBB183_316:                            ;   in Loop: Header=BB183_12 Depth=1
	s_or_b32 exec_lo, exec_lo, s65
                                        ; implicit-def: $vgpr28_vgpr29
                                        ; implicit-def: $vgpr39
	s_and_saveexec_b32 s24, s6
	s_cbranch_execz .LBB183_480
; %bb.317:                              ;   in Loop: Header=BB183_12 Depth=1
	v_mov_b32_e32 v28, 1
	v_mov_b32_e32 v29, 0
	;; [unrolled: 1-line block ×3, first 2 shown]
	s_xor_b32 s22, s64, -1
	s_mov_b32 s7, 0
	s_and_saveexec_b32 s6, s22
	s_cbranch_execz .LBB183_326
; %bb.318:                              ;   in Loop: Header=BB183_12 Depth=1
	s_mov_b32 s7, exec_lo
	v_cmpx_ge_u64_e64 s[20:21], v[26:27]
	s_xor_b32 s7, exec_lo, s7
	s_cbranch_execz .LBB183_323
; %bb.319:                              ;   in Loop: Header=BB183_12 Depth=1
	ds_read_b64 v[4:5], v19 offset:5120
	v_or_b32_e32 v23, s13, v23
	v_or_b32_e32 v22, s12, v22
	;; [unrolled: 1-line block ×4, first 2 shown]
	s_waitcnt lgkmcnt(0)
	v_cmp_ne_u64_e32 vcc_lo, 0, v[4:5]
	s_cbranch_vccnz .LBB183_323
; %bb.320:                              ;   in Loop: Header=BB183_12 Depth=1
	s_and_saveexec_b32 s22, s3
; %bb.321:                              ;   in Loop: Header=BB183_12 Depth=1
	v_mov_b32_e32 v4, s20
	v_mov_b32_e32 v5, s21
	ds_write_b64 v19, v[4:5] offset:5128
; %bb.322:                              ;   in Loop: Header=BB183_12 Depth=1
	s_or_b32 exec_lo, exec_lo, s22
	s_waitcnt lgkmcnt(0)
	s_barrier
	buffer_gl0_inv
.LBB183_323:                            ;   in Loop: Header=BB183_12 Depth=1
	s_or_saveexec_b32 s7, s7
	v_mov_b32_e32 v39, 5
	s_mov_b32 s22, 0
	s_xor_b32 exec_lo, exec_lo, s7
; %bb.324:                              ;   in Loop: Header=BB183_12 Depth=1
	v_sub_co_u32 v26, vcc_lo, v26, s20
	v_subrev_co_ci_u32_e64 v27, null, s21, v27, vcc_lo
	v_mov_b32_e32 v39, 0
	s_mov_b32 s22, exec_lo
; %bb.325:                              ;   in Loop: Header=BB183_12 Depth=1
	s_or_b32 exec_lo, exec_lo, s7
	v_mov_b32_e32 v29, v27
	v_mov_b32_e32 v28, v26
	s_and_b32 s7, s22, exec_lo
.LBB183_326:                            ;   in Loop: Header=BB183_12 Depth=1
	s_or_b32 exec_lo, exec_lo, s6
	s_mov_b32 s6, -1
                                        ; implicit-def: $sgpr64
                                        ; implicit-def: $sgpr65
	s_and_saveexec_b32 s20, s7
	s_xor_b32 s25, exec_lo, s20
	s_cbranch_execz .LBB183_477
; %bb.327:                              ;   in Loop: Header=BB183_12 Depth=1
	v_cmp_eq_u64_e32 vcc_lo, 1, v[28:29]
	s_cmp_eq_u64 s[18:19], 1
                                        ; implicit-def: $sgpr65
                                        ; implicit-def: $sgpr64
	s_cselect_b32 s6, -1, 0
	s_and_b32 s67, s6, vcc_lo
	s_mov_b32 s6, -1
	s_and_saveexec_b32 s68, s67
	s_cbranch_execz .LBB183_363
; %bb.328:                              ;   in Loop: Header=BB183_12 Depth=1
	ds_read_b64 v[4:5], v19 offset:5120
	s_waitcnt lgkmcnt(0)
	s_barrier
	buffer_gl0_inv
	v_readfirstlane_b32 s6, v4
	v_readfirstlane_b32 s7, v5
	s_and_saveexec_b32 s20, s8
; %bb.329:                              ;   in Loop: Header=BB183_12 Depth=1
	v_mov_b32_e32 v18, v19
	ds_write_b64 v35, v[18:19]
; %bb.330:                              ;   in Loop: Header=BB183_12 Depth=1
	s_or_b32 exec_lo, exec_lo, s20
	v_and_b32_e32 v2, s15, v23
	v_and_b32_e32 v4, s14, v22
	s_lshl_b64 s[20:21], 2, s93
	v_or_b32_e32 v25, s13, v25
	v_or_b32_e32 v24, s12, v24
	;; [unrolled: 1-line block ×4, first 2 shown]
	s_mov_b32 s64, -1
	s_mov_b32 s65, 0
	s_cmp_eq_u64 s[6:7], 0
	s_mov_b32 s22, 0
	s_mov_b32 s23, -1
	s_waitcnt lgkmcnt(0)
	s_barrier
	buffer_gl0_inv
                                        ; implicit-def: $vgpr6_vgpr7
	s_cbranch_scc1 .LBB183_347
; %bb.331:                              ;   in Loop: Header=BB183_12 Depth=1
	s_add_u32 s44, s6, s80
	s_addc_u32 s21, s7, s81
	s_mov_b32 s20, s27
	s_cmp_lg_u64 s[20:21], 0
	s_cbranch_scc0 .LBB183_390
; %bb.332:                              ;   in Loop: Header=BB183_12 Depth=1
	v_cvt_f32_u32_e32 v2, s49
	s_sub_u32 s23, 0, s49
	s_subb_u32 s26, 0, 0
	v_fmac_f32_e64 v2, 0x4f800000, 0
	v_rcp_f32_e32 v2, v2
	v_mul_f32_e32 v2, 0x5f7ffffc, v2
	v_mul_f32_e32 v4, 0x2f800000, v2
	v_trunc_f32_e32 v4, v4
	v_fmac_f32_e32 v2, 0xcf800000, v4
	v_cvt_u32_f32_e32 v4, v4
	v_cvt_u32_f32_e32 v2, v2
	v_readfirstlane_b32 s20, v4
	v_readfirstlane_b32 s22, v2
	s_mul_i32 s45, s23, s20
	s_mul_hi_u32 s47, s23, s22
	s_mul_i32 s46, s26, s22
	s_add_i32 s45, s47, s45
	s_mul_i32 s58, s23, s22
	s_add_i32 s45, s45, s46
	s_mul_hi_u32 s47, s22, s58
	s_mul_i32 s70, s22, s45
	s_mul_hi_u32 s69, s20, s58
	s_mul_i32 s46, s20, s58
	s_mul_hi_u32 s58, s22, s45
	s_add_u32 s47, s47, s70
	s_addc_u32 s58, 0, s58
	s_mul_hi_u32 s71, s20, s45
	s_add_u32 s46, s47, s46
	s_mul_i32 s45, s20, s45
	s_addc_u32 s46, s58, s69
	s_addc_u32 s47, s71, 0
	s_add_u32 s45, s46, s45
	s_addc_u32 s46, 0, s47
	s_add_u32 s22, s22, s45
	s_cselect_b32 s45, -1, 0
	s_mul_hi_u32 s47, s23, s22
	s_cmp_lg_u32 s45, 0
	s_mul_i32 s45, s23, s22
	s_addc_u32 s20, s20, s46
	s_mul_i32 s26, s26, s22
	s_mul_i32 s23, s23, s20
	s_mul_hi_u32 s46, s22, s45
	s_add_i32 s23, s47, s23
	s_mul_hi_u32 s47, s20, s45
	s_add_i32 s23, s23, s26
	s_mul_i32 s26, s20, s45
	s_mul_i32 s69, s22, s23
	s_mul_hi_u32 s58, s22, s23
	s_add_u32 s46, s46, s69
	s_addc_u32 s58, 0, s58
	s_mul_hi_u32 s45, s20, s23
	s_add_u32 s26, s46, s26
	s_mul_i32 s23, s20, s23
	s_addc_u32 s26, s58, s47
	s_addc_u32 s45, s45, 0
	s_add_u32 s23, s26, s23
	s_addc_u32 s26, 0, s45
	s_add_u32 s22, s22, s23
	s_cselect_b32 s23, -1, 0
	s_mul_hi_u32 s45, s44, s22
	s_cmp_lg_u32 s23, 0
	s_mul_hi_u32 s23, s21, s22
	s_addc_u32 s20, s20, s26
	s_mul_i32 s22, s21, s22
	s_mul_i32 s46, s44, s20
	s_mul_hi_u32 s26, s44, s20
	s_add_u32 s45, s45, s46
	s_addc_u32 s26, 0, s26
	s_mul_hi_u32 s47, s21, s20
	s_add_u32 s22, s45, s22
	s_mul_i32 s20, s21, s20
	s_addc_u32 s22, s26, s23
	s_addc_u32 s23, s47, 0
	s_add_u32 s20, s22, s20
	s_addc_u32 s22, 0, s23
	s_mul_hi_u32 s23, s49, s20
	s_mul_i32 s22, s49, s22
	s_mul_i32 s20, s49, s20
	s_add_i32 s23, s23, s22
	s_sub_u32 s20, s44, s20
	s_cselect_b32 s22, -1, 0
	s_cmp_lg_u32 s22, 0
	s_subb_u32 s22, s21, s23
	s_sub_u32 s23, s20, s49
	s_cselect_b32 s26, -1, 0
	s_cmp_lg_u32 s26, 0
	s_subb_u32 s26, s22, 0
	;; [unrolled: 4-line block ×3, first 2 shown]
	s_cmp_ge_u32 s23, s49
	s_cselect_b32 s47, -1, 0
	s_cmp_eq_u32 s26, 0
	s_cselect_b32 s47, s47, -1
	s_cmp_lg_u32 s47, 0
	s_cselect_b32 s26, s46, s26
	s_cselect_b32 s45, s45, s23
	s_cmp_ge_u32 s20, s49
	s_cselect_b32 s23, -1, 0
	s_cmp_eq_u32 s22, 0
	s_cselect_b32 s23, s23, -1
	s_cmp_lg_u32 s23, 0
	s_cselect_b32 s23, s26, s22
	s_cselect_b32 s22, s45, s20
	s_cbranch_execnz .LBB183_334
.LBB183_333:                            ;   in Loop: Header=BB183_12 Depth=1
	v_cvt_f32_u32_e32 v2, s49
	s_sub_i32 s22, 0, s49
	v_rcp_iflag_f32_e32 v2, v2
	v_mul_f32_e32 v2, 0x4f7ffffe, v2
	v_cvt_u32_f32_e32 v2, v2
	v_readfirstlane_b32 s20, v2
	s_mul_i32 s22, s22, s20
	s_mul_hi_u32 s22, s20, s22
	s_add_i32 s20, s20, s22
	s_mul_hi_u32 s20, s44, s20
	s_mul_i32 s20, s20, s49
	s_sub_i32 s20, s44, s20
	s_sub_i32 s22, s20, s49
	s_cmp_ge_u32 s20, s49
	s_cselect_b32 s20, s22, s20
	s_sub_i32 s22, s20, s49
	s_cmp_ge_u32 s20, s49
	s_cselect_b32 s26, s22, s20
	s_mov_b64 s[22:23], s[26:27]
.LBB183_334:                            ;   in Loop: Header=BB183_12 Depth=1
	s_sub_u32 s20, s44, s22
	s_subb_u32 s21, s21, s23
	s_mov_b32 s23, 0
	s_mov_b32 s22, 0
	s_mov_b32 s26, exec_lo
                                        ; implicit-def: $vgpr6_vgpr7
	v_cmpx_gt_u64_e64 s[20:21], v[0:1]
	s_cbranch_execz .LBB183_346
; %bb.335:                              ;   in Loop: Header=BB183_12 Depth=1
	v_mov_b32_e32 v9, v1
	v_mov_b32_e32 v10, v34
	;; [unrolled: 1-line block ×3, first 2 shown]
                                        ; implicit-def: $sgpr44
	s_branch .LBB183_339
.LBB183_336:                            ;   in Loop: Header=BB183_339 Depth=2
	s_or_b32 exec_lo, exec_lo, s45
	s_waitcnt lgkmcnt(0)
	s_barrier
	buffer_gl0_inv
	ds_read_b128 v[4:7], v19 offset:3072
	s_waitcnt lgkmcnt(0)
	s_barrier
	buffer_gl0_inv
	v_cmp_neq_f64_e32 vcc_lo, 0, v[4:5]
	s_cbranch_vccnz .LBB183_342
; %bb.337:                              ;   in Loop: Header=BB183_339 Depth=2
	v_add_co_u32 v8, vcc_lo, v8, s49
	v_add_co_ci_u32_e64 v9, null, 0, v9, vcc_lo
	v_add_nc_u32_e32 v10, s86, v10
	s_mov_b32 s45, 0
	v_cmp_le_u64_e32 vcc_lo, s[20:21], v[8:9]
	s_orn2_b32 s46, vcc_lo, exec_lo
.LBB183_338:                            ;   in Loop: Header=BB183_339 Depth=2
	s_and_b32 s46, exec_lo, s46
	s_or_b32 s22, s46, s22
	s_andn2_b32 s44, s44, exec_lo
	s_and_b32 s45, s45, exec_lo
	s_or_b32 s44, s44, s45
	s_andn2_b32 exec_lo, exec_lo, s22
	s_cbranch_execz .LBB183_345
.LBB183_339:                            ;   Parent Loop BB183_12 Depth=1
                                        ; =>  This Inner Loop Header: Depth=2
	s_mov_b32 s45, exec_lo
	v_cmpx_gt_u64_e64 s[6:7], v[8:9]
	s_cbranch_execz .LBB183_336
; %bb.340:                              ;   in Loop: Header=BB183_339 Depth=2
	ds_read_b64 v[4:5], v10
	s_waitcnt lgkmcnt(0)
	v_cmp_o_f64_e32 vcc_lo, v[4:5], v[4:5]
	v_ashrrev_i32_e32 v2, 31, v5
	v_or_b32_e32 v6, 0x80000000, v2
	v_xor_b32_e32 v2, v2, v4
	v_xor_b32_e32 v6, v6, v5
	v_cndmask_b32_e32 v6, -1, v6, vcc_lo
	v_cndmask_b32_e32 v2, -1, v2, vcc_lo
	v_and_b32_e32 v7, v6, v25
	v_and_b32_e32 v6, v2, v24
	v_cmp_eq_u64_e32 vcc_lo, v[6:7], v[22:23]
	s_and_b32 exec_lo, exec_lo, vcc_lo
	s_cbranch_execz .LBB183_336
; %bb.341:                              ;   in Loop: Header=BB183_339 Depth=2
	v_mov_b32_e32 v2, v19
	ds_write_b128 v19, v[2:5] offset:3072
	s_branch .LBB183_336
.LBB183_342:                            ;   in Loop: Header=BB183_339 Depth=2
	s_mov_b32 s46, -1
	s_mov_b32 s45, -1
                                        ; implicit-def: $vgpr8_vgpr9
                                        ; implicit-def: $vgpr10
	s_branch .LBB183_338
.LBB183_343:                            ;   in Loop: Header=BB183_12 Depth=1
                                        ; implicit-def: $sgpr24_sgpr25
	s_branch .LBB183_287
.LBB183_344:                            ;   in Loop: Header=BB183_12 Depth=1
                                        ; implicit-def: $sgpr6_sgpr7
	s_branch .LBB183_303
.LBB183_345:                            ;   in Loop: Header=BB183_12 Depth=1
	s_or_b32 exec_lo, exec_lo, s22
	s_and_b32 s22, s44, exec_lo
.LBB183_346:                            ;   in Loop: Header=BB183_12 Depth=1
	s_or_b32 exec_lo, exec_lo, s26
.LBB183_347:                            ;   in Loop: Header=BB183_12 Depth=1
	s_and_b32 vcc_lo, exec_lo, s23
	s_cbranch_vccz .LBB183_362
; %bb.348:                              ;   in Loop: Header=BB183_12 Depth=1
	s_mov_b32 s58, s27
	s_cmp_lg_u64 s[58:59], 0
	s_cbranch_scc0 .LBB183_391
; %bb.349:                              ;   in Loop: Header=BB183_12 Depth=1
	v_cvt_f32_u32_e32 v2, s49
	s_sub_u32 s20, 0, s49
	s_subb_u32 s21, 0, 0
	v_fmac_f32_e64 v2, 0x4f800000, 0
	v_rcp_f32_e32 v2, v2
	v_mul_f32_e32 v2, 0x5f7ffffc, v2
	v_mul_f32_e32 v4, 0x2f800000, v2
	v_trunc_f32_e32 v4, v4
	v_fmac_f32_e32 v2, 0xcf800000, v4
	v_cvt_u32_f32_e32 v4, v4
	v_cvt_u32_f32_e32 v2, v2
	v_readfirstlane_b32 s6, v4
	v_readfirstlane_b32 s7, v2
	s_mul_i32 s23, s20, s6
	s_mul_hi_u32 s44, s20, s7
	s_mul_i32 s26, s21, s7
	s_add_i32 s23, s44, s23
	s_mul_i32 s45, s20, s7
	s_add_i32 s23, s23, s26
	s_mul_hi_u32 s44, s7, s45
	s_mul_i32 s47, s7, s23
	s_mul_hi_u32 s46, s6, s45
	s_mul_i32 s26, s6, s45
	s_mul_hi_u32 s45, s7, s23
	s_add_u32 s44, s44, s47
	s_addc_u32 s45, 0, s45
	s_mul_hi_u32 s58, s6, s23
	s_add_u32 s26, s44, s26
	s_mul_i32 s23, s6, s23
	s_addc_u32 s26, s45, s46
	s_addc_u32 s44, s58, 0
	s_add_u32 s23, s26, s23
	s_addc_u32 s26, 0, s44
	s_add_u32 s7, s7, s23
	s_cselect_b32 s23, -1, 0
	s_mul_hi_u32 s44, s20, s7
	s_cmp_lg_u32 s23, 0
	s_mul_i32 s23, s20, s7
	s_addc_u32 s6, s6, s26
	s_mul_i32 s21, s21, s7
	s_mul_i32 s20, s20, s6
	s_mul_hi_u32 s26, s7, s23
	s_add_i32 s20, s44, s20
	s_mul_hi_u32 s44, s6, s23
	s_add_i32 s20, s20, s21
	s_mul_i32 s21, s6, s23
	s_mul_i32 s46, s7, s20
	s_mul_hi_u32 s45, s7, s20
	s_add_u32 s26, s26, s46
	s_addc_u32 s45, 0, s45
	s_mul_hi_u32 s23, s6, s20
	s_add_u32 s21, s26, s21
	s_mul_i32 s20, s6, s20
	s_addc_u32 s21, s45, s44
	s_addc_u32 s23, s23, 0
	s_add_u32 s20, s21, s20
	s_addc_u32 s21, 0, s23
	s_add_u32 s7, s7, s20
	s_cselect_b32 s20, -1, 0
	s_mul_hi_u32 s23, s82, s7
	s_cmp_lg_u32 s20, 0
	s_mul_hi_u32 s20, s59, s7
	s_addc_u32 s6, s6, s21
	s_mul_i32 s7, s59, s7
	s_mul_i32 s26, s82, s6
	s_mul_hi_u32 s21, s82, s6
	s_add_u32 s23, s23, s26
	s_addc_u32 s21, 0, s21
	s_mul_hi_u32 s44, s59, s6
	s_add_u32 s7, s23, s7
	s_mul_i32 s6, s59, s6
	s_addc_u32 s7, s21, s20
	s_addc_u32 s20, s44, 0
	s_add_u32 s6, s7, s6
	s_addc_u32 s7, 0, s20
	s_mul_hi_u32 s20, s49, s6
	s_mul_i32 s7, s49, s7
	s_mul_i32 s6, s49, s6
	s_add_i32 s20, s20, s7
	s_sub_u32 s6, s82, s6
	s_cselect_b32 s7, -1, 0
	s_cmp_lg_u32 s7, 0
	s_subb_u32 s7, s59, s20
	s_sub_u32 s20, s6, s49
	s_cselect_b32 s21, -1, 0
	s_cmp_lg_u32 s21, 0
	s_subb_u32 s21, s7, 0
	;; [unrolled: 4-line block ×3, first 2 shown]
	s_cmp_ge_u32 s20, s49
	s_cselect_b32 s44, -1, 0
	s_cmp_eq_u32 s21, 0
	s_cselect_b32 s44, s44, -1
	s_cmp_lg_u32 s44, 0
	s_cselect_b32 s21, s26, s21
	s_cselect_b32 s20, s23, s20
	s_cmp_ge_u32 s6, s49
	s_cselect_b32 s23, -1, 0
	s_cmp_eq_u32 s7, 0
	s_cselect_b32 s23, s23, -1
	s_cmp_lg_u32 s23, 0
	s_cselect_b32 s7, s21, s7
	s_cselect_b32 s6, s20, s6
	s_cbranch_execnz .LBB183_351
.LBB183_350:                            ;   in Loop: Header=BB183_12 Depth=1
	v_cvt_f32_u32_e32 v2, s49
	s_sub_i32 s7, 0, s49
	v_rcp_iflag_f32_e32 v2, v2
	v_mul_f32_e32 v2, 0x4f7ffffe, v2
	v_cvt_u32_f32_e32 v2, v2
	v_readfirstlane_b32 s6, v2
	s_mul_i32 s7, s7, s6
	s_mul_hi_u32 s7, s6, s7
	s_add_i32 s6, s6, s7
	s_mul_hi_u32 s6, s82, s6
	s_mul_i32 s6, s6, s49
	s_sub_i32 s6, s82, s6
	s_sub_i32 s7, s6, s49
	s_cmp_ge_u32 s6, s49
	s_cselect_b32 s6, s7, s6
	s_sub_i32 s7, s6, s49
	s_cmp_ge_u32 s6, s49
	s_cselect_b32 s26, s7, s6
	s_mov_b64 s[6:7], s[26:27]
.LBB183_351:                            ;   in Loop: Header=BB183_12 Depth=1
	s_sub_u32 s6, s82, s6
	s_subb_u32 s7, s59, s7
	s_mov_b32 s20, exec_lo
                                        ; implicit-def: $vgpr6_vgpr7
	v_cmpx_gt_u64_e64 s[6:7], v[0:1]
	s_cbranch_execz .LBB183_361
; %bb.352:                              ;   in Loop: Header=BB183_12 Depth=1
	v_mov_b32_e32 v9, v1
	v_mov_b32_e32 v8, v0
	s_mov_b32 s21, 0
                                        ; implicit-def: $sgpr23
	s_branch .LBB183_356
.LBB183_353:                            ;   in Loop: Header=BB183_356 Depth=2
	s_or_b32 exec_lo, exec_lo, s26
	s_waitcnt lgkmcnt(0)
	s_barrier
	buffer_gl0_inv
	ds_read_b128 v[4:7], v19 offset:3072
	s_waitcnt lgkmcnt(0)
	s_barrier
	buffer_gl0_inv
	v_cmp_eq_f64_e32 vcc_lo, 0, v[4:5]
	s_cbranch_vccz .LBB183_359
; %bb.354:                              ;   in Loop: Header=BB183_356 Depth=2
	v_add_co_u32 v8, vcc_lo, v8, s49
	v_add_co_ci_u32_e64 v9, null, 0, v9, vcc_lo
	s_mov_b32 s26, 0
	v_cmp_le_u64_e32 vcc_lo, s[6:7], v[8:9]
	s_orn2_b32 s44, vcc_lo, exec_lo
.LBB183_355:                            ;   in Loop: Header=BB183_356 Depth=2
	s_and_b32 s44, exec_lo, s44
	s_or_b32 s21, s44, s21
	s_andn2_b32 s23, s23, exec_lo
	s_and_b32 s26, s26, exec_lo
	s_or_b32 s23, s23, s26
	s_andn2_b32 exec_lo, exec_lo, s21
	s_cbranch_execz .LBB183_360
.LBB183_356:                            ;   Parent Loop BB183_12 Depth=1
                                        ; =>  This Inner Loop Header: Depth=2
	s_mov_b32 s26, exec_lo
	v_cmpx_gt_u64_e64 s[36:37], v[8:9]
	s_cbranch_execz .LBB183_353
; %bb.357:                              ;   in Loop: Header=BB183_356 Depth=2
	v_mul_lo_u32 v2, v9, s30
	v_mul_lo_u32 v6, v8, s31
	v_mad_u64_u32 v[4:5], null, v8, s30, 0
	v_add3_u32 v5, v5, v6, v2
	v_lshlrev_b64 v[4:5], 3, v[4:5]
	v_add_co_u32 v4, vcc_lo, s33, v4
	v_add_co_ci_u32_e64 v5, null, s35, v5, vcc_lo
	global_load_dwordx2 v[4:5], v[4:5], off
	s_waitcnt vmcnt(0)
	v_cmp_o_f64_e32 vcc_lo, v[4:5], v[4:5]
	v_ashrrev_i32_e32 v2, 31, v5
	v_or_b32_e32 v6, 0x80000000, v2
	v_xor_b32_e32 v2, v2, v4
	v_xor_b32_e32 v6, v6, v5
	v_cndmask_b32_e32 v6, -1, v6, vcc_lo
	v_cndmask_b32_e32 v2, -1, v2, vcc_lo
	v_and_b32_e32 v7, v6, v25
	v_and_b32_e32 v6, v2, v24
	v_cmp_eq_u64_e32 vcc_lo, v[6:7], v[22:23]
	s_and_b32 exec_lo, exec_lo, vcc_lo
	s_cbranch_execz .LBB183_353
; %bb.358:                              ;   in Loop: Header=BB183_356 Depth=2
	v_mov_b32_e32 v2, v19
	ds_write_b128 v19, v[2:5] offset:3072
	s_branch .LBB183_353
.LBB183_359:                            ;   in Loop: Header=BB183_356 Depth=2
	s_mov_b32 s44, -1
	s_mov_b32 s26, -1
                                        ; implicit-def: $vgpr8_vgpr9
	s_branch .LBB183_355
.LBB183_360:                            ;   in Loop: Header=BB183_12 Depth=1
	s_or_b32 exec_lo, exec_lo, s21
	s_andn2_b32 s6, s22, exec_lo
	s_and_b32 s7, s23, exec_lo
	s_or_b32 s22, s6, s7
.LBB183_361:                            ;   in Loop: Header=BB183_12 Depth=1
	s_or_b32 exec_lo, exec_lo, s20
	s_mov_b32 s64, 0
	s_mov_b32 s65, -1
.LBB183_362:                            ;   in Loop: Header=BB183_12 Depth=1
	s_orn2_b32 s6, s22, exec_lo
.LBB183_363:                            ;   in Loop: Header=BB183_12 Depth=1
	s_or_b32 exec_lo, exec_lo, s68
	s_mov_b32 s7, 0
	s_and_saveexec_b32 s22, s6
	s_cbranch_execz .LBB183_476
; %bb.364:                              ;   in Loop: Header=BB183_12 Depth=1
	v_mov_b32_e32 v8, 1
	v_mov_b32_e32 v9, 0
	;; [unrolled: 1-line block ×3, first 2 shown]
	s_xor_b32 s20, s67, -1
	s_and_saveexec_b32 s6, s20
	s_cbranch_execz .LBB183_373
; %bb.365:                              ;   in Loop: Header=BB183_12 Depth=1
	s_mov_b32 s7, exec_lo
	v_cmpx_ge_u64_e64 s[18:19], v[28:29]
	s_xor_b32 s7, exec_lo, s7
	s_cbranch_execz .LBB183_370
; %bb.366:                              ;   in Loop: Header=BB183_12 Depth=1
	ds_read_b64 v[4:5], v19 offset:5120
	v_and_b32_e32 v2, s15, v23
	v_and_b32_e32 v8, s14, v22
	s_lshl_b64 s[20:21], 2, s93
	v_or_b32_e32 v25, s13, v25
	v_or_b32_e32 v24, s12, v24
	;; [unrolled: 1-line block ×4, first 2 shown]
	s_waitcnt lgkmcnt(0)
	v_cmp_ne_u64_e32 vcc_lo, 0, v[4:5]
	s_cbranch_vccnz .LBB183_370
; %bb.367:                              ;   in Loop: Header=BB183_12 Depth=1
	s_and_saveexec_b32 s20, s3
; %bb.368:                              ;   in Loop: Header=BB183_12 Depth=1
	v_mov_b32_e32 v4, s18
	v_mov_b32_e32 v5, s19
	ds_write_b64 v19, v[4:5] offset:5128
; %bb.369:                              ;   in Loop: Header=BB183_12 Depth=1
	s_or_b32 exec_lo, exec_lo, s20
	s_waitcnt lgkmcnt(0)
	s_barrier
	buffer_gl0_inv
.LBB183_370:                            ;   in Loop: Header=BB183_12 Depth=1
	s_or_saveexec_b32 s7, s7
	v_mov_b32_e32 v39, 5
	s_mov_b32 s20, 0
	s_xor_b32 exec_lo, exec_lo, s7
; %bb.371:                              ;   in Loop: Header=BB183_12 Depth=1
	v_sub_co_u32 v28, vcc_lo, v28, s18
	v_subrev_co_ci_u32_e64 v29, null, s19, v29, vcc_lo
	v_mov_b32_e32 v39, 0
	s_mov_b32 s20, exec_lo
; %bb.372:                              ;   in Loop: Header=BB183_12 Depth=1
	s_or_b32 exec_lo, exec_lo, s7
	v_mov_b32_e32 v8, v28
	v_mov_b32_e32 v9, v29
	s_and_b32 s7, s20, exec_lo
.LBB183_373:                            ;   in Loop: Header=BB183_12 Depth=1
	s_or_b32 exec_lo, exec_lo, s6
	s_mov_b32 s6, -1
                                        ; implicit-def: $sgpr67
                                        ; implicit-def: $sgpr68
	s_and_saveexec_b32 s23, s7
	s_cbranch_execz .LBB183_475
; %bb.374:                              ;   in Loop: Header=BB183_12 Depth=1
	v_cmp_eq_u64_e32 vcc_lo, 1, v[8:9]
	s_cmp_eq_u64 s[16:17], 1
                                        ; implicit-def: $sgpr68
                                        ; implicit-def: $sgpr67
	s_cselect_b32 s6, -1, 0
	s_and_b32 s69, s6, vcc_lo
	s_mov_b32 s6, -1
	s_and_saveexec_b32 s70, s69
	s_cbranch_execz .LBB183_410
; %bb.375:                              ;   in Loop: Header=BB183_12 Depth=1
	ds_read_b64 v[4:5], v19 offset:5120
	s_waitcnt lgkmcnt(0)
	s_barrier
	buffer_gl0_inv
	v_readfirstlane_b32 s6, v4
	v_readfirstlane_b32 s7, v5
	s_and_saveexec_b32 s18, s8
; %bb.376:                              ;   in Loop: Header=BB183_12 Depth=1
	v_mov_b32_e32 v18, v19
	ds_write_b64 v35, v[18:19]
; %bb.377:                              ;   in Loop: Header=BB183_12 Depth=1
	s_or_b32 exec_lo, exec_lo, s18
	v_and_b32_e32 v2, s15, v23
	v_and_b32_e32 v4, s14, v22
	s_lshl_b64 s[18:19], 1, s93
	v_or_b32_e32 v25, s13, v25
	v_or_b32_e32 v24, s12, v24
	;; [unrolled: 1-line block ×4, first 2 shown]
	s_mov_b32 s67, -1
	s_mov_b32 s68, 0
	s_cmp_eq_u64 s[6:7], 0
	s_mov_b32 s20, 0
	s_mov_b32 s21, -1
	s_waitcnt lgkmcnt(0)
	s_barrier
	buffer_gl0_inv
                                        ; implicit-def: $vgpr6_vgpr7
	s_cbranch_scc1 .LBB183_394
; %bb.378:                              ;   in Loop: Header=BB183_12 Depth=1
	s_add_u32 s44, s6, s80
	s_addc_u32 s19, s7, s81
	s_mov_b32 s18, s27
	s_cmp_lg_u64 s[18:19], 0
	s_cbranch_scc0 .LBB183_427
; %bb.379:                              ;   in Loop: Header=BB183_12 Depth=1
	v_cvt_f32_u32_e32 v2, s49
	s_sub_u32 s21, 0, s49
	s_subb_u32 s26, 0, 0
	v_fmac_f32_e64 v2, 0x4f800000, 0
	v_rcp_f32_e32 v2, v2
	v_mul_f32_e32 v2, 0x5f7ffffc, v2
	v_mul_f32_e32 v4, 0x2f800000, v2
	v_trunc_f32_e32 v4, v4
	v_fmac_f32_e32 v2, 0xcf800000, v4
	v_cvt_u32_f32_e32 v4, v4
	v_cvt_u32_f32_e32 v2, v2
	v_readfirstlane_b32 s18, v4
	v_readfirstlane_b32 s20, v2
	s_mul_i32 s45, s21, s18
	s_mul_hi_u32 s47, s21, s20
	s_mul_i32 s46, s26, s20
	s_add_i32 s45, s47, s45
	s_mul_i32 s58, s21, s20
	s_add_i32 s45, s45, s46
	s_mul_hi_u32 s47, s20, s58
	s_mul_i32 s72, s20, s45
	s_mul_hi_u32 s71, s18, s58
	s_mul_i32 s46, s18, s58
	s_mul_hi_u32 s58, s20, s45
	s_add_u32 s47, s47, s72
	s_addc_u32 s58, 0, s58
	s_mul_hi_u32 s73, s18, s45
	s_add_u32 s46, s47, s46
	s_mul_i32 s45, s18, s45
	s_addc_u32 s46, s58, s71
	s_addc_u32 s47, s73, 0
	s_add_u32 s45, s46, s45
	s_addc_u32 s46, 0, s47
	s_add_u32 s20, s20, s45
	s_cselect_b32 s45, -1, 0
	s_mul_hi_u32 s47, s21, s20
	s_cmp_lg_u32 s45, 0
	s_mul_i32 s45, s21, s20
	s_addc_u32 s18, s18, s46
	s_mul_i32 s26, s26, s20
	s_mul_i32 s21, s21, s18
	s_mul_hi_u32 s46, s20, s45
	s_add_i32 s21, s47, s21
	s_mul_hi_u32 s47, s18, s45
	s_add_i32 s21, s21, s26
	s_mul_i32 s26, s18, s45
	s_mul_i32 s71, s20, s21
	s_mul_hi_u32 s58, s20, s21
	s_add_u32 s46, s46, s71
	s_addc_u32 s58, 0, s58
	s_mul_hi_u32 s45, s18, s21
	s_add_u32 s26, s46, s26
	s_mul_i32 s21, s18, s21
	s_addc_u32 s26, s58, s47
	s_addc_u32 s45, s45, 0
	s_add_u32 s21, s26, s21
	s_addc_u32 s26, 0, s45
	s_add_u32 s20, s20, s21
	s_cselect_b32 s21, -1, 0
	s_mul_hi_u32 s45, s44, s20
	s_cmp_lg_u32 s21, 0
	s_mul_hi_u32 s21, s19, s20
	s_addc_u32 s18, s18, s26
	s_mul_i32 s20, s19, s20
	s_mul_i32 s46, s44, s18
	s_mul_hi_u32 s26, s44, s18
	s_add_u32 s45, s45, s46
	s_addc_u32 s26, 0, s26
	s_mul_hi_u32 s47, s19, s18
	s_add_u32 s20, s45, s20
	s_mul_i32 s18, s19, s18
	s_addc_u32 s20, s26, s21
	s_addc_u32 s21, s47, 0
	s_add_u32 s18, s20, s18
	s_addc_u32 s20, 0, s21
	s_mul_hi_u32 s21, s49, s18
	s_mul_i32 s20, s49, s20
	s_mul_i32 s18, s49, s18
	s_add_i32 s21, s21, s20
	s_sub_u32 s18, s44, s18
	s_cselect_b32 s20, -1, 0
	s_cmp_lg_u32 s20, 0
	s_subb_u32 s20, s19, s21
	s_sub_u32 s21, s18, s49
	s_cselect_b32 s26, -1, 0
	s_cmp_lg_u32 s26, 0
	s_subb_u32 s26, s20, 0
	;; [unrolled: 4-line block ×3, first 2 shown]
	s_cmp_ge_u32 s21, s49
	s_cselect_b32 s47, -1, 0
	s_cmp_eq_u32 s26, 0
	s_cselect_b32 s47, s47, -1
	s_cmp_lg_u32 s47, 0
	s_cselect_b32 s26, s46, s26
	s_cselect_b32 s45, s45, s21
	s_cmp_ge_u32 s18, s49
	s_cselect_b32 s21, -1, 0
	s_cmp_eq_u32 s20, 0
	s_cselect_b32 s21, s21, -1
	s_cmp_lg_u32 s21, 0
	s_cselect_b32 s21, s26, s20
	s_cselect_b32 s20, s45, s18
	s_cbranch_execnz .LBB183_381
.LBB183_380:                            ;   in Loop: Header=BB183_12 Depth=1
	v_cvt_f32_u32_e32 v2, s49
	s_sub_i32 s20, 0, s49
	v_rcp_iflag_f32_e32 v2, v2
	v_mul_f32_e32 v2, 0x4f7ffffe, v2
	v_cvt_u32_f32_e32 v2, v2
	v_readfirstlane_b32 s18, v2
	s_mul_i32 s20, s20, s18
	s_mul_hi_u32 s20, s18, s20
	s_add_i32 s18, s18, s20
	s_mul_hi_u32 s18, s44, s18
	s_mul_i32 s18, s18, s49
	s_sub_i32 s18, s44, s18
	s_sub_i32 s20, s18, s49
	s_cmp_ge_u32 s18, s49
	s_cselect_b32 s18, s20, s18
	s_sub_i32 s20, s18, s49
	s_cmp_ge_u32 s18, s49
	s_cselect_b32 s26, s20, s18
	s_mov_b64 s[20:21], s[26:27]
.LBB183_381:                            ;   in Loop: Header=BB183_12 Depth=1
	s_sub_u32 s18, s44, s20
	s_subb_u32 s19, s19, s21
	s_mov_b32 s21, 0
	s_mov_b32 s20, 0
	s_mov_b32 s26, exec_lo
                                        ; implicit-def: $vgpr6_vgpr7
	v_cmpx_gt_u64_e64 s[18:19], v[0:1]
	s_cbranch_execz .LBB183_393
; %bb.382:                              ;   in Loop: Header=BB183_12 Depth=1
	v_mov_b32_e32 v11, v1
	v_mov_b32_e32 v12, v34
	;; [unrolled: 1-line block ×3, first 2 shown]
                                        ; implicit-def: $sgpr44
	s_branch .LBB183_386
.LBB183_383:                            ;   in Loop: Header=BB183_386 Depth=2
	s_or_b32 exec_lo, exec_lo, s45
	s_waitcnt lgkmcnt(0)
	s_barrier
	buffer_gl0_inv
	ds_read_b128 v[4:7], v19 offset:3072
	s_waitcnt lgkmcnt(0)
	s_barrier
	buffer_gl0_inv
	v_cmp_neq_f64_e32 vcc_lo, 0, v[4:5]
	s_cbranch_vccnz .LBB183_389
; %bb.384:                              ;   in Loop: Header=BB183_386 Depth=2
	v_add_co_u32 v10, vcc_lo, v10, s49
	v_add_co_ci_u32_e64 v11, null, 0, v11, vcc_lo
	v_add_nc_u32_e32 v12, s86, v12
	s_mov_b32 s45, 0
	v_cmp_le_u64_e32 vcc_lo, s[18:19], v[10:11]
	s_orn2_b32 s46, vcc_lo, exec_lo
.LBB183_385:                            ;   in Loop: Header=BB183_386 Depth=2
	s_and_b32 s46, exec_lo, s46
	s_or_b32 s20, s46, s20
	s_andn2_b32 s44, s44, exec_lo
	s_and_b32 s45, s45, exec_lo
	s_or_b32 s44, s44, s45
	s_andn2_b32 exec_lo, exec_lo, s20
	s_cbranch_execz .LBB183_392
.LBB183_386:                            ;   Parent Loop BB183_12 Depth=1
                                        ; =>  This Inner Loop Header: Depth=2
	s_mov_b32 s45, exec_lo
	v_cmpx_gt_u64_e64 s[6:7], v[10:11]
	s_cbranch_execz .LBB183_383
; %bb.387:                              ;   in Loop: Header=BB183_386 Depth=2
	ds_read_b64 v[4:5], v12
	s_waitcnt lgkmcnt(0)
	v_cmp_o_f64_e32 vcc_lo, v[4:5], v[4:5]
	v_ashrrev_i32_e32 v2, 31, v5
	v_or_b32_e32 v6, 0x80000000, v2
	v_xor_b32_e32 v2, v2, v4
	v_xor_b32_e32 v6, v6, v5
	v_cndmask_b32_e32 v6, -1, v6, vcc_lo
	v_cndmask_b32_e32 v2, -1, v2, vcc_lo
	v_and_b32_e32 v7, v6, v25
	v_and_b32_e32 v6, v2, v24
	v_cmp_eq_u64_e32 vcc_lo, v[6:7], v[22:23]
	s_and_b32 exec_lo, exec_lo, vcc_lo
	s_cbranch_execz .LBB183_383
; %bb.388:                              ;   in Loop: Header=BB183_386 Depth=2
	v_mov_b32_e32 v2, v19
	ds_write_b128 v19, v[2:5] offset:3072
	s_branch .LBB183_383
.LBB183_389:                            ;   in Loop: Header=BB183_386 Depth=2
	s_mov_b32 s46, -1
	s_mov_b32 s45, -1
                                        ; implicit-def: $vgpr10_vgpr11
                                        ; implicit-def: $vgpr12
	s_branch .LBB183_385
.LBB183_390:                            ;   in Loop: Header=BB183_12 Depth=1
                                        ; implicit-def: $sgpr22_sgpr23
	s_branch .LBB183_333
.LBB183_391:                            ;   in Loop: Header=BB183_12 Depth=1
                                        ; implicit-def: $sgpr6_sgpr7
	s_branch .LBB183_350
.LBB183_392:                            ;   in Loop: Header=BB183_12 Depth=1
	s_or_b32 exec_lo, exec_lo, s20
	s_and_b32 s20, s44, exec_lo
.LBB183_393:                            ;   in Loop: Header=BB183_12 Depth=1
	s_or_b32 exec_lo, exec_lo, s26
.LBB183_394:                            ;   in Loop: Header=BB183_12 Depth=1
	s_and_b32 vcc_lo, exec_lo, s21
	s_cbranch_vccz .LBB183_409
; %bb.395:                              ;   in Loop: Header=BB183_12 Depth=1
	s_mov_b32 s58, s27
	s_cmp_lg_u64 s[58:59], 0
	s_cbranch_scc0 .LBB183_428
; %bb.396:                              ;   in Loop: Header=BB183_12 Depth=1
	v_cvt_f32_u32_e32 v2, s49
	s_sub_u32 s18, 0, s49
	s_subb_u32 s19, 0, 0
	v_fmac_f32_e64 v2, 0x4f800000, 0
	v_rcp_f32_e32 v2, v2
	v_mul_f32_e32 v2, 0x5f7ffffc, v2
	v_mul_f32_e32 v4, 0x2f800000, v2
	v_trunc_f32_e32 v4, v4
	v_fmac_f32_e32 v2, 0xcf800000, v4
	v_cvt_u32_f32_e32 v4, v4
	v_cvt_u32_f32_e32 v2, v2
	v_readfirstlane_b32 s6, v4
	v_readfirstlane_b32 s7, v2
	s_mul_i32 s21, s18, s6
	s_mul_hi_u32 s44, s18, s7
	s_mul_i32 s26, s19, s7
	s_add_i32 s21, s44, s21
	s_mul_i32 s45, s18, s7
	s_add_i32 s21, s21, s26
	s_mul_hi_u32 s44, s7, s45
	s_mul_i32 s47, s7, s21
	s_mul_hi_u32 s46, s6, s45
	s_mul_i32 s26, s6, s45
	s_mul_hi_u32 s45, s7, s21
	s_add_u32 s44, s44, s47
	s_addc_u32 s45, 0, s45
	s_mul_hi_u32 s58, s6, s21
	s_add_u32 s26, s44, s26
	s_mul_i32 s21, s6, s21
	s_addc_u32 s26, s45, s46
	s_addc_u32 s44, s58, 0
	s_add_u32 s21, s26, s21
	s_addc_u32 s26, 0, s44
	s_add_u32 s7, s7, s21
	s_cselect_b32 s21, -1, 0
	s_mul_hi_u32 s44, s18, s7
	s_cmp_lg_u32 s21, 0
	s_mul_i32 s21, s18, s7
	s_addc_u32 s6, s6, s26
	s_mul_i32 s19, s19, s7
	s_mul_i32 s18, s18, s6
	s_mul_hi_u32 s26, s7, s21
	s_add_i32 s18, s44, s18
	s_mul_hi_u32 s44, s6, s21
	s_add_i32 s18, s18, s19
	s_mul_i32 s19, s6, s21
	s_mul_i32 s46, s7, s18
	s_mul_hi_u32 s45, s7, s18
	s_add_u32 s26, s26, s46
	s_addc_u32 s45, 0, s45
	s_mul_hi_u32 s21, s6, s18
	s_add_u32 s19, s26, s19
	s_mul_i32 s18, s6, s18
	s_addc_u32 s19, s45, s44
	s_addc_u32 s21, s21, 0
	s_add_u32 s18, s19, s18
	s_addc_u32 s19, 0, s21
	s_add_u32 s7, s7, s18
	s_cselect_b32 s18, -1, 0
	s_mul_hi_u32 s21, s82, s7
	s_cmp_lg_u32 s18, 0
	s_mul_hi_u32 s18, s59, s7
	s_addc_u32 s6, s6, s19
	s_mul_i32 s7, s59, s7
	s_mul_i32 s26, s82, s6
	s_mul_hi_u32 s19, s82, s6
	s_add_u32 s21, s21, s26
	s_addc_u32 s19, 0, s19
	s_mul_hi_u32 s44, s59, s6
	s_add_u32 s7, s21, s7
	s_mul_i32 s6, s59, s6
	s_addc_u32 s7, s19, s18
	s_addc_u32 s18, s44, 0
	s_add_u32 s6, s7, s6
	s_addc_u32 s7, 0, s18
	s_mul_hi_u32 s18, s49, s6
	s_mul_i32 s7, s49, s7
	s_mul_i32 s6, s49, s6
	s_add_i32 s18, s18, s7
	s_sub_u32 s6, s82, s6
	s_cselect_b32 s7, -1, 0
	s_cmp_lg_u32 s7, 0
	s_subb_u32 s7, s59, s18
	s_sub_u32 s18, s6, s49
	s_cselect_b32 s19, -1, 0
	s_cmp_lg_u32 s19, 0
	s_subb_u32 s19, s7, 0
	;; [unrolled: 4-line block ×3, first 2 shown]
	s_cmp_ge_u32 s18, s49
	s_cselect_b32 s44, -1, 0
	s_cmp_eq_u32 s19, 0
	s_cselect_b32 s44, s44, -1
	s_cmp_lg_u32 s44, 0
	s_cselect_b32 s19, s26, s19
	s_cselect_b32 s18, s21, s18
	s_cmp_ge_u32 s6, s49
	s_cselect_b32 s21, -1, 0
	s_cmp_eq_u32 s7, 0
	s_cselect_b32 s21, s21, -1
	s_cmp_lg_u32 s21, 0
	s_cselect_b32 s7, s19, s7
	s_cselect_b32 s6, s18, s6
	s_cbranch_execnz .LBB183_398
.LBB183_397:                            ;   in Loop: Header=BB183_12 Depth=1
	v_cvt_f32_u32_e32 v2, s49
	s_sub_i32 s7, 0, s49
	v_rcp_iflag_f32_e32 v2, v2
	v_mul_f32_e32 v2, 0x4f7ffffe, v2
	v_cvt_u32_f32_e32 v2, v2
	v_readfirstlane_b32 s6, v2
	s_mul_i32 s7, s7, s6
	s_mul_hi_u32 s7, s6, s7
	s_add_i32 s6, s6, s7
	s_mul_hi_u32 s6, s82, s6
	s_mul_i32 s6, s6, s49
	s_sub_i32 s6, s82, s6
	s_sub_i32 s7, s6, s49
	s_cmp_ge_u32 s6, s49
	s_cselect_b32 s6, s7, s6
	s_sub_i32 s7, s6, s49
	s_cmp_ge_u32 s6, s49
	s_cselect_b32 s26, s7, s6
	s_mov_b64 s[6:7], s[26:27]
.LBB183_398:                            ;   in Loop: Header=BB183_12 Depth=1
	s_sub_u32 s6, s82, s6
	s_subb_u32 s7, s59, s7
	s_mov_b32 s18, exec_lo
                                        ; implicit-def: $vgpr6_vgpr7
	v_cmpx_gt_u64_e64 s[6:7], v[0:1]
	s_cbranch_execz .LBB183_408
; %bb.399:                              ;   in Loop: Header=BB183_12 Depth=1
	v_mov_b32_e32 v11, v1
	v_mov_b32_e32 v10, v0
	s_mov_b32 s19, 0
                                        ; implicit-def: $sgpr21
	s_branch .LBB183_403
.LBB183_400:                            ;   in Loop: Header=BB183_403 Depth=2
	s_or_b32 exec_lo, exec_lo, s26
	s_waitcnt lgkmcnt(0)
	s_barrier
	buffer_gl0_inv
	ds_read_b128 v[4:7], v19 offset:3072
	s_waitcnt lgkmcnt(0)
	s_barrier
	buffer_gl0_inv
	v_cmp_eq_f64_e32 vcc_lo, 0, v[4:5]
	s_cbranch_vccz .LBB183_406
; %bb.401:                              ;   in Loop: Header=BB183_403 Depth=2
	v_add_co_u32 v10, vcc_lo, v10, s49
	v_add_co_ci_u32_e64 v11, null, 0, v11, vcc_lo
	s_mov_b32 s26, 0
	v_cmp_le_u64_e32 vcc_lo, s[6:7], v[10:11]
	s_orn2_b32 s44, vcc_lo, exec_lo
.LBB183_402:                            ;   in Loop: Header=BB183_403 Depth=2
	s_and_b32 s44, exec_lo, s44
	s_or_b32 s19, s44, s19
	s_andn2_b32 s21, s21, exec_lo
	s_and_b32 s26, s26, exec_lo
	s_or_b32 s21, s21, s26
	s_andn2_b32 exec_lo, exec_lo, s19
	s_cbranch_execz .LBB183_407
.LBB183_403:                            ;   Parent Loop BB183_12 Depth=1
                                        ; =>  This Inner Loop Header: Depth=2
	s_mov_b32 s26, exec_lo
	v_cmpx_gt_u64_e64 s[36:37], v[10:11]
	s_cbranch_execz .LBB183_400
; %bb.404:                              ;   in Loop: Header=BB183_403 Depth=2
	v_mul_lo_u32 v2, v11, s30
	v_mul_lo_u32 v6, v10, s31
	v_mad_u64_u32 v[4:5], null, v10, s30, 0
	v_add3_u32 v5, v5, v6, v2
	v_lshlrev_b64 v[4:5], 3, v[4:5]
	v_add_co_u32 v4, vcc_lo, s33, v4
	v_add_co_ci_u32_e64 v5, null, s35, v5, vcc_lo
	global_load_dwordx2 v[4:5], v[4:5], off
	s_waitcnt vmcnt(0)
	v_cmp_o_f64_e32 vcc_lo, v[4:5], v[4:5]
	v_ashrrev_i32_e32 v2, 31, v5
	v_or_b32_e32 v6, 0x80000000, v2
	v_xor_b32_e32 v2, v2, v4
	v_xor_b32_e32 v6, v6, v5
	v_cndmask_b32_e32 v6, -1, v6, vcc_lo
	v_cndmask_b32_e32 v2, -1, v2, vcc_lo
	v_and_b32_e32 v7, v6, v25
	v_and_b32_e32 v6, v2, v24
	v_cmp_eq_u64_e32 vcc_lo, v[6:7], v[22:23]
	s_and_b32 exec_lo, exec_lo, vcc_lo
	s_cbranch_execz .LBB183_400
; %bb.405:                              ;   in Loop: Header=BB183_403 Depth=2
	v_mov_b32_e32 v2, v19
	ds_write_b128 v19, v[2:5] offset:3072
	s_branch .LBB183_400
.LBB183_406:                            ;   in Loop: Header=BB183_403 Depth=2
	s_mov_b32 s44, -1
	s_mov_b32 s26, -1
                                        ; implicit-def: $vgpr10_vgpr11
	s_branch .LBB183_402
.LBB183_407:                            ;   in Loop: Header=BB183_12 Depth=1
	s_or_b32 exec_lo, exec_lo, s19
	s_andn2_b32 s6, s20, exec_lo
	s_and_b32 s7, s21, exec_lo
	s_or_b32 s20, s6, s7
.LBB183_408:                            ;   in Loop: Header=BB183_12 Depth=1
	s_or_b32 exec_lo, exec_lo, s18
	s_mov_b32 s67, 0
	s_mov_b32 s68, -1
.LBB183_409:                            ;   in Loop: Header=BB183_12 Depth=1
	s_orn2_b32 s6, s20, exec_lo
.LBB183_410:                            ;   in Loop: Header=BB183_12 Depth=1
	s_or_b32 exec_lo, exec_lo, s70
	s_mov_b32 s7, 0
	s_and_saveexec_b32 s20, s6
	s_cbranch_execz .LBB183_474
; %bb.411:                              ;   in Loop: Header=BB183_12 Depth=1
	v_mov_b32_e32 v10, 1
	v_mov_b32_e32 v11, 0
	;; [unrolled: 1-line block ×3, first 2 shown]
	s_xor_b32 s18, s69, -1
	s_and_saveexec_b32 s6, s18
	s_cbranch_execz .LBB183_420
; %bb.412:                              ;   in Loop: Header=BB183_12 Depth=1
	s_mov_b32 s7, exec_lo
	v_cmpx_ge_u64_e64 s[16:17], v[8:9]
	s_xor_b32 s7, exec_lo, s7
	s_cbranch_execz .LBB183_417
; %bb.413:                              ;   in Loop: Header=BB183_12 Depth=1
	ds_read_b64 v[4:5], v19 offset:5120
	v_and_b32_e32 v2, s15, v23
	v_and_b32_e32 v10, s14, v22
	s_lshl_b64 s[18:19], 1, s93
	v_or_b32_e32 v25, s13, v25
	v_or_b32_e32 v24, s12, v24
	;; [unrolled: 1-line block ×4, first 2 shown]
	s_waitcnt lgkmcnt(0)
	v_cmp_ne_u64_e32 vcc_lo, 0, v[4:5]
	s_cbranch_vccnz .LBB183_417
; %bb.414:                              ;   in Loop: Header=BB183_12 Depth=1
	s_and_saveexec_b32 s18, s3
; %bb.415:                              ;   in Loop: Header=BB183_12 Depth=1
	v_mov_b32_e32 v4, s16
	v_mov_b32_e32 v5, s17
	ds_write_b64 v19, v[4:5] offset:5128
; %bb.416:                              ;   in Loop: Header=BB183_12 Depth=1
	s_or_b32 exec_lo, exec_lo, s18
	s_waitcnt lgkmcnt(0)
	s_barrier
	buffer_gl0_inv
.LBB183_417:                            ;   in Loop: Header=BB183_12 Depth=1
	s_or_saveexec_b32 s7, s7
	v_mov_b32_e32 v39, 5
	s_mov_b32 s18, 0
	s_xor_b32 exec_lo, exec_lo, s7
; %bb.418:                              ;   in Loop: Header=BB183_12 Depth=1
	v_sub_co_u32 v8, vcc_lo, v8, s16
	v_subrev_co_ci_u32_e64 v9, null, s17, v9, vcc_lo
	v_mov_b32_e32 v39, 0
	s_mov_b32 s18, exec_lo
; %bb.419:                              ;   in Loop: Header=BB183_12 Depth=1
	s_or_b32 exec_lo, exec_lo, s7
	v_mov_b32_e32 v11, v9
	v_mov_b32_e32 v10, v8
	s_and_b32 s7, s18, exec_lo
.LBB183_420:                            ;   in Loop: Header=BB183_12 Depth=1
	s_or_b32 exec_lo, exec_lo, s6
	s_mov_b32 s6, -1
                                        ; implicit-def: $sgpr71
                                        ; implicit-def: $sgpr58
	s_and_saveexec_b32 s21, s7
	s_cbranch_execz .LBB183_473
; %bb.421:                              ;   in Loop: Header=BB183_12 Depth=1
	v_cmp_eq_u64_e32 vcc_lo, 1, v[10:11]
	s_cmp_eq_u64 s[10:11], 1
	s_mov_b32 s7, -1
	s_cselect_b32 s6, -1, 0
                                        ; implicit-def: $sgpr71
                                        ; implicit-def: $sgpr58
	s_and_b32 s69, s6, vcc_lo
	s_and_saveexec_b32 s70, s69
	s_cbranch_execz .LBB183_461
; %bb.422:                              ;   in Loop: Header=BB183_12 Depth=1
	ds_read_b64 v[4:5], v19 offset:5120
	s_waitcnt lgkmcnt(0)
	s_barrier
	buffer_gl0_inv
	v_readfirstlane_b32 s6, v4
	v_readfirstlane_b32 s7, v5
	s_and_saveexec_b32 s16, s8
; %bb.423:                              ;   in Loop: Header=BB183_12 Depth=1
	v_mov_b32_e32 v18, v19
	ds_write_b64 v35, v[18:19]
; %bb.424:                              ;   in Loop: Header=BB183_12 Depth=1
	s_or_b32 exec_lo, exec_lo, s16
	v_and_b32_e32 v23, s15, v23
	v_and_b32_e32 v22, s14, v22
	v_or_b32_e32 v25, s13, v25
	v_or_b32_e32 v24, s12, v24
	s_mov_b32 s58, -1
	s_mov_b32 s71, 0
	s_cmp_eq_u64 s[6:7], 0
	s_mov_b32 s18, 0
	s_mov_b32 s19, -1
	s_waitcnt lgkmcnt(0)
	s_barrier
	buffer_gl0_inv
                                        ; implicit-def: $vgpr6_vgpr7
	s_cbranch_scc1 .LBB183_443
; %bb.425:                              ;   in Loop: Header=BB183_12 Depth=1
	s_add_u32 s44, s6, s80
	s_addc_u32 s17, s7, s81
	s_mov_b32 s16, s27
	s_cmp_lg_u64 s[16:17], 0
	s_cbranch_scc0 .LBB183_429
; %bb.426:                              ;   in Loop: Header=BB183_12 Depth=1
	v_cvt_f32_u32_e32 v2, s49
	s_sub_u32 s19, 0, s49
	s_subb_u32 s26, 0, 0
	v_fmac_f32_e64 v2, 0x4f800000, 0
	v_rcp_f32_e32 v2, v2
	v_mul_f32_e32 v2, 0x5f7ffffc, v2
	v_mul_f32_e32 v4, 0x2f800000, v2
	v_trunc_f32_e32 v4, v4
	v_fmac_f32_e32 v2, 0xcf800000, v4
	v_cvt_u32_f32_e32 v4, v4
	v_cvt_u32_f32_e32 v2, v2
	v_readfirstlane_b32 s16, v4
	v_readfirstlane_b32 s18, v2
	s_mul_i32 s45, s19, s16
	s_mul_hi_u32 s47, s19, s18
	s_mul_i32 s46, s26, s18
	s_add_i32 s45, s47, s45
	s_mul_i32 s72, s19, s18
	s_add_i32 s45, s45, s46
	s_mul_hi_u32 s47, s18, s72
	s_mul_i32 s74, s18, s45
	s_mul_hi_u32 s73, s16, s72
	s_mul_i32 s46, s16, s72
	s_mul_hi_u32 s72, s18, s45
	s_add_u32 s47, s47, s74
	s_addc_u32 s72, 0, s72
	s_mul_hi_u32 s75, s16, s45
	s_add_u32 s46, s47, s46
	s_mul_i32 s45, s16, s45
	s_addc_u32 s46, s72, s73
	s_addc_u32 s47, s75, 0
	s_add_u32 s45, s46, s45
	s_addc_u32 s46, 0, s47
	s_add_u32 s18, s18, s45
	s_cselect_b32 s45, -1, 0
	s_mul_hi_u32 s47, s19, s18
	s_cmp_lg_u32 s45, 0
	s_mul_i32 s45, s19, s18
	s_addc_u32 s16, s16, s46
	s_mul_i32 s26, s26, s18
	s_mul_i32 s19, s19, s16
	s_mul_hi_u32 s46, s18, s45
	s_add_i32 s19, s47, s19
	s_mul_hi_u32 s47, s16, s45
	s_add_i32 s19, s19, s26
	s_mul_i32 s26, s16, s45
	s_mul_i32 s73, s18, s19
	s_mul_hi_u32 s72, s18, s19
	s_add_u32 s46, s46, s73
	s_addc_u32 s72, 0, s72
	s_mul_hi_u32 s45, s16, s19
	s_add_u32 s26, s46, s26
	s_mul_i32 s19, s16, s19
	s_addc_u32 s26, s72, s47
	s_addc_u32 s45, s45, 0
	s_add_u32 s19, s26, s19
	s_addc_u32 s26, 0, s45
	s_add_u32 s18, s18, s19
	s_cselect_b32 s19, -1, 0
	s_mul_hi_u32 s45, s44, s18
	s_cmp_lg_u32 s19, 0
	s_mul_hi_u32 s19, s17, s18
	s_addc_u32 s16, s16, s26
	s_mul_i32 s18, s17, s18
	s_mul_i32 s46, s44, s16
	s_mul_hi_u32 s26, s44, s16
	s_add_u32 s45, s45, s46
	s_addc_u32 s26, 0, s26
	s_mul_hi_u32 s47, s17, s16
	s_add_u32 s18, s45, s18
	s_mul_i32 s16, s17, s16
	s_addc_u32 s18, s26, s19
	s_addc_u32 s19, s47, 0
	s_add_u32 s16, s18, s16
	s_addc_u32 s18, 0, s19
	s_mul_hi_u32 s19, s49, s16
	s_mul_i32 s18, s49, s18
	s_mul_i32 s16, s49, s16
	s_add_i32 s19, s19, s18
	s_sub_u32 s16, s44, s16
	s_cselect_b32 s18, -1, 0
	s_cmp_lg_u32 s18, 0
	s_subb_u32 s18, s17, s19
	s_sub_u32 s19, s16, s49
	s_cselect_b32 s26, -1, 0
	s_cmp_lg_u32 s26, 0
	s_subb_u32 s26, s18, 0
	;; [unrolled: 4-line block ×3, first 2 shown]
	s_cmp_ge_u32 s19, s49
	s_cselect_b32 s47, -1, 0
	s_cmp_eq_u32 s26, 0
	s_cselect_b32 s47, s47, -1
	s_cmp_lg_u32 s47, 0
	s_cselect_b32 s26, s46, s26
	s_cselect_b32 s45, s45, s19
	s_cmp_ge_u32 s16, s49
	s_cselect_b32 s19, -1, 0
	s_cmp_eq_u32 s18, 0
	s_cselect_b32 s19, s19, -1
	s_cmp_lg_u32 s19, 0
	s_cselect_b32 s19, s26, s18
	s_cselect_b32 s18, s45, s16
	s_mov_b32 s16, 0
	s_branch .LBB183_430
.LBB183_427:                            ;   in Loop: Header=BB183_12 Depth=1
                                        ; implicit-def: $sgpr20_sgpr21
	s_branch .LBB183_380
.LBB183_428:                            ;   in Loop: Header=BB183_12 Depth=1
                                        ; implicit-def: $sgpr6_sgpr7
	s_branch .LBB183_397
.LBB183_429:                            ;   in Loop: Header=BB183_12 Depth=1
	s_mov_b32 s16, -1
                                        ; implicit-def: $sgpr18_sgpr19
.LBB183_430:                            ;   in Loop: Header=BB183_12 Depth=1
	s_andn2_b32 vcc_lo, exec_lo, s16
	s_cbranch_vccnz .LBB183_432
; %bb.431:                              ;   in Loop: Header=BB183_12 Depth=1
	v_cvt_f32_u32_e32 v2, s49
	s_sub_i32 s18, 0, s49
	v_rcp_iflag_f32_e32 v2, v2
	v_mul_f32_e32 v2, 0x4f7ffffe, v2
	v_cvt_u32_f32_e32 v2, v2
	v_readfirstlane_b32 s16, v2
	s_mul_i32 s18, s18, s16
	s_mul_hi_u32 s18, s16, s18
	s_add_i32 s16, s16, s18
	s_mul_hi_u32 s16, s44, s16
	s_mul_i32 s16, s16, s49
	s_sub_i32 s16, s44, s16
	s_sub_i32 s18, s16, s49
	s_cmp_ge_u32 s16, s49
	s_cselect_b32 s16, s18, s16
	s_sub_i32 s18, s16, s49
	s_cmp_ge_u32 s16, s49
	s_cselect_b32 s26, s18, s16
	s_mov_b64 s[18:19], s[26:27]
.LBB183_432:                            ;   in Loop: Header=BB183_12 Depth=1
	s_sub_u32 s16, s44, s18
	s_subb_u32 s17, s17, s19
	s_mov_b32 s19, 0
	s_mov_b32 s18, 0
	s_mov_b32 s26, exec_lo
                                        ; implicit-def: $vgpr6_vgpr7
	v_cmpx_gt_u64_e64 s[16:17], v[0:1]
	s_cbranch_execz .LBB183_442
; %bb.433:                              ;   in Loop: Header=BB183_12 Depth=1
	v_mov_b32_e32 v9, v1
	v_mov_b32_e32 v12, v34
	v_mov_b32_e32 v8, v0
                                        ; implicit-def: $sgpr44
	s_branch .LBB183_437
.LBB183_434:                            ;   in Loop: Header=BB183_437 Depth=2
	s_or_b32 exec_lo, exec_lo, s45
	s_waitcnt lgkmcnt(0)
	s_barrier
	buffer_gl0_inv
	ds_read_b128 v[4:7], v19 offset:3072
	s_waitcnt lgkmcnt(0)
	s_barrier
	buffer_gl0_inv
	v_cmp_neq_f64_e32 vcc_lo, 0, v[4:5]
	s_cbranch_vccnz .LBB183_440
; %bb.435:                              ;   in Loop: Header=BB183_437 Depth=2
	v_add_co_u32 v8, vcc_lo, v8, s49
	v_add_co_ci_u32_e64 v9, null, 0, v9, vcc_lo
	v_add_nc_u32_e32 v12, s86, v12
	s_mov_b32 s45, 0
	v_cmp_le_u64_e32 vcc_lo, s[16:17], v[8:9]
	s_orn2_b32 s46, vcc_lo, exec_lo
.LBB183_436:                            ;   in Loop: Header=BB183_437 Depth=2
	s_and_b32 s46, exec_lo, s46
	s_or_b32 s18, s46, s18
	s_andn2_b32 s44, s44, exec_lo
	s_and_b32 s45, s45, exec_lo
	s_or_b32 s44, s44, s45
	s_andn2_b32 exec_lo, exec_lo, s18
	s_cbranch_execz .LBB183_441
.LBB183_437:                            ;   Parent Loop BB183_12 Depth=1
                                        ; =>  This Inner Loop Header: Depth=2
	s_mov_b32 s45, exec_lo
	v_cmpx_gt_u64_e64 s[6:7], v[8:9]
	s_cbranch_execz .LBB183_434
; %bb.438:                              ;   in Loop: Header=BB183_437 Depth=2
	ds_read_b64 v[4:5], v12
	s_waitcnt lgkmcnt(0)
	v_cmp_o_f64_e32 vcc_lo, v[4:5], v[4:5]
	v_ashrrev_i32_e32 v2, 31, v5
	v_or_b32_e32 v6, 0x80000000, v2
	v_xor_b32_e32 v2, v2, v4
	v_xor_b32_e32 v6, v6, v5
	v_cndmask_b32_e32 v6, -1, v6, vcc_lo
	v_cndmask_b32_e32 v2, -1, v2, vcc_lo
	v_and_b32_e32 v7, v6, v25
	v_and_b32_e32 v6, v2, v24
	v_cmp_eq_u64_e32 vcc_lo, v[6:7], v[22:23]
	s_and_b32 exec_lo, exec_lo, vcc_lo
	s_cbranch_execz .LBB183_434
; %bb.439:                              ;   in Loop: Header=BB183_437 Depth=2
	v_mov_b32_e32 v2, v19
	ds_write_b128 v19, v[2:5] offset:3072
	s_branch .LBB183_434
.LBB183_440:                            ;   in Loop: Header=BB183_437 Depth=2
	s_mov_b32 s46, -1
	s_mov_b32 s45, -1
                                        ; implicit-def: $vgpr8_vgpr9
                                        ; implicit-def: $vgpr12
	s_branch .LBB183_436
.LBB183_441:                            ;   in Loop: Header=BB183_12 Depth=1
	s_or_b32 exec_lo, exec_lo, s18
	s_and_b32 s18, s44, exec_lo
.LBB183_442:                            ;   in Loop: Header=BB183_12 Depth=1
	s_or_b32 exec_lo, exec_lo, s26
.LBB183_443:                            ;   in Loop: Header=BB183_12 Depth=1
	s_and_b32 vcc_lo, exec_lo, s19
	s_cbranch_vccz .LBB183_460
; %bb.444:                              ;   in Loop: Header=BB183_12 Depth=1
	s_mov_b32 s58, s27
	s_cmp_lg_u64 s[58:59], 0
	s_cbranch_scc0 .LBB183_446
; %bb.445:                              ;   in Loop: Header=BB183_12 Depth=1
	v_cvt_f32_u32_e32 v2, s49
	s_sub_u32 s16, 0, s49
	s_subb_u32 s17, 0, 0
	v_fmac_f32_e64 v2, 0x4f800000, 0
	v_rcp_f32_e32 v2, v2
	v_mul_f32_e32 v2, 0x5f7ffffc, v2
	v_mul_f32_e32 v4, 0x2f800000, v2
	v_trunc_f32_e32 v4, v4
	v_fmac_f32_e32 v2, 0xcf800000, v4
	v_cvt_u32_f32_e32 v4, v4
	v_cvt_u32_f32_e32 v2, v2
	v_readfirstlane_b32 s6, v4
	v_readfirstlane_b32 s7, v2
	s_mul_i32 s19, s16, s6
	s_mul_hi_u32 s44, s16, s7
	s_mul_i32 s26, s17, s7
	s_add_i32 s19, s44, s19
	s_mul_i32 s45, s16, s7
	s_add_i32 s19, s19, s26
	s_mul_hi_u32 s44, s7, s45
	s_mul_i32 s47, s7, s19
	s_mul_hi_u32 s46, s6, s45
	s_mul_i32 s26, s6, s45
	s_mul_hi_u32 s45, s7, s19
	s_add_u32 s44, s44, s47
	s_addc_u32 s45, 0, s45
	s_mul_hi_u32 s58, s6, s19
	s_add_u32 s26, s44, s26
	s_mul_i32 s19, s6, s19
	s_addc_u32 s26, s45, s46
	s_addc_u32 s44, s58, 0
	s_add_u32 s19, s26, s19
	s_addc_u32 s26, 0, s44
	s_add_u32 s7, s7, s19
	s_cselect_b32 s19, -1, 0
	s_mul_hi_u32 s44, s16, s7
	s_cmp_lg_u32 s19, 0
	s_mul_i32 s19, s16, s7
	s_addc_u32 s6, s6, s26
	s_mul_i32 s17, s17, s7
	s_mul_i32 s16, s16, s6
	s_mul_hi_u32 s26, s7, s19
	s_add_i32 s16, s44, s16
	s_mul_hi_u32 s44, s6, s19
	s_add_i32 s16, s16, s17
	s_mul_i32 s17, s6, s19
	s_mul_i32 s46, s7, s16
	s_mul_hi_u32 s45, s7, s16
	s_add_u32 s26, s26, s46
	s_addc_u32 s45, 0, s45
	s_mul_hi_u32 s19, s6, s16
	s_add_u32 s17, s26, s17
	s_mul_i32 s16, s6, s16
	s_addc_u32 s17, s45, s44
	s_addc_u32 s19, s19, 0
	s_add_u32 s16, s17, s16
	s_addc_u32 s17, 0, s19
	s_add_u32 s7, s7, s16
	s_cselect_b32 s16, -1, 0
	s_mul_hi_u32 s19, s82, s7
	s_cmp_lg_u32 s16, 0
	s_mul_hi_u32 s16, s59, s7
	s_addc_u32 s6, s6, s17
	s_mul_i32 s7, s59, s7
	s_mul_i32 s26, s82, s6
	s_mul_hi_u32 s17, s82, s6
	s_add_u32 s19, s19, s26
	s_addc_u32 s17, 0, s17
	s_mul_hi_u32 s44, s59, s6
	s_add_u32 s7, s19, s7
	s_mul_i32 s6, s59, s6
	s_addc_u32 s7, s17, s16
	s_addc_u32 s16, s44, 0
	s_add_u32 s6, s7, s6
	s_addc_u32 s7, 0, s16
	s_mul_hi_u32 s16, s49, s6
	s_mul_i32 s7, s49, s7
	s_mul_i32 s6, s49, s6
	s_add_i32 s16, s16, s7
	s_sub_u32 s6, s82, s6
	s_cselect_b32 s7, -1, 0
	s_cmp_lg_u32 s7, 0
	s_subb_u32 s7, s59, s16
	s_sub_u32 s16, s6, s49
	s_cselect_b32 s17, -1, 0
	s_cmp_lg_u32 s17, 0
	s_subb_u32 s17, s7, 0
	;; [unrolled: 4-line block ×3, first 2 shown]
	s_cmp_ge_u32 s16, s49
	s_cselect_b32 s44, -1, 0
	s_cmp_eq_u32 s17, 0
	s_cselect_b32 s44, s44, -1
	s_cmp_lg_u32 s44, 0
	s_cselect_b32 s17, s26, s17
	s_cselect_b32 s16, s19, s16
	s_cmp_ge_u32 s6, s49
	s_cselect_b32 s19, -1, 0
	s_cmp_eq_u32 s7, 0
	s_cselect_b32 s19, s19, -1
	s_cmp_lg_u32 s19, 0
	s_cselect_b32 s7, s17, s7
	s_cselect_b32 s6, s16, s6
	s_mov_b32 s16, 0
	s_branch .LBB183_447
.LBB183_446:                            ;   in Loop: Header=BB183_12 Depth=1
	s_mov_b32 s16, -1
                                        ; implicit-def: $sgpr6_sgpr7
.LBB183_447:                            ;   in Loop: Header=BB183_12 Depth=1
	s_andn2_b32 vcc_lo, exec_lo, s16
	s_cbranch_vccnz .LBB183_449
; %bb.448:                              ;   in Loop: Header=BB183_12 Depth=1
	v_cvt_f32_u32_e32 v2, s49
	s_sub_i32 s7, 0, s49
	v_rcp_iflag_f32_e32 v2, v2
	v_mul_f32_e32 v2, 0x4f7ffffe, v2
	v_cvt_u32_f32_e32 v2, v2
	v_readfirstlane_b32 s6, v2
	s_mul_i32 s7, s7, s6
	s_mul_hi_u32 s7, s6, s7
	s_add_i32 s6, s6, s7
	s_mul_hi_u32 s6, s82, s6
	s_mul_i32 s6, s6, s49
	s_sub_i32 s6, s82, s6
	s_sub_i32 s7, s6, s49
	s_cmp_ge_u32 s6, s49
	s_cselect_b32 s6, s7, s6
	s_sub_i32 s7, s6, s49
	s_cmp_ge_u32 s6, s49
	s_cselect_b32 s26, s7, s6
	s_mov_b64 s[6:7], s[26:27]
.LBB183_449:                            ;   in Loop: Header=BB183_12 Depth=1
	s_sub_u32 s6, s82, s6
	s_subb_u32 s7, s59, s7
	s_mov_b32 s16, exec_lo
                                        ; implicit-def: $vgpr6_vgpr7
	v_cmpx_gt_u64_e64 s[6:7], v[0:1]
	s_cbranch_execz .LBB183_459
; %bb.450:                              ;   in Loop: Header=BB183_12 Depth=1
	v_mov_b32_e32 v9, v1
	v_mov_b32_e32 v8, v0
	s_mov_b32 s17, 0
                                        ; implicit-def: $sgpr19
	s_branch .LBB183_454
.LBB183_451:                            ;   in Loop: Header=BB183_454 Depth=2
	s_or_b32 exec_lo, exec_lo, s26
	s_waitcnt lgkmcnt(0)
	s_barrier
	buffer_gl0_inv
	ds_read_b128 v[4:7], v19 offset:3072
	s_waitcnt lgkmcnt(0)
	s_barrier
	buffer_gl0_inv
	v_cmp_eq_f64_e32 vcc_lo, 0, v[4:5]
	s_cbranch_vccz .LBB183_457
; %bb.452:                              ;   in Loop: Header=BB183_454 Depth=2
	v_add_co_u32 v8, vcc_lo, v8, s49
	v_add_co_ci_u32_e64 v9, null, 0, v9, vcc_lo
	s_mov_b32 s26, 0
	v_cmp_le_u64_e32 vcc_lo, s[6:7], v[8:9]
	s_orn2_b32 s44, vcc_lo, exec_lo
.LBB183_453:                            ;   in Loop: Header=BB183_454 Depth=2
	s_and_b32 s44, exec_lo, s44
	s_or_b32 s17, s44, s17
	s_andn2_b32 s19, s19, exec_lo
	s_and_b32 s26, s26, exec_lo
	s_or_b32 s19, s19, s26
	s_andn2_b32 exec_lo, exec_lo, s17
	s_cbranch_execz .LBB183_458
.LBB183_454:                            ;   Parent Loop BB183_12 Depth=1
                                        ; =>  This Inner Loop Header: Depth=2
	s_mov_b32 s26, exec_lo
	v_cmpx_gt_u64_e64 s[36:37], v[8:9]
	s_cbranch_execz .LBB183_451
; %bb.455:                              ;   in Loop: Header=BB183_454 Depth=2
	v_mul_lo_u32 v2, v9, s30
	v_mul_lo_u32 v6, v8, s31
	v_mad_u64_u32 v[4:5], null, v8, s30, 0
	v_add3_u32 v5, v5, v6, v2
	v_lshlrev_b64 v[4:5], 3, v[4:5]
	v_add_co_u32 v4, vcc_lo, s33, v4
	v_add_co_ci_u32_e64 v5, null, s35, v5, vcc_lo
	global_load_dwordx2 v[4:5], v[4:5], off
	s_waitcnt vmcnt(0)
	v_cmp_o_f64_e32 vcc_lo, v[4:5], v[4:5]
	v_ashrrev_i32_e32 v2, 31, v5
	v_or_b32_e32 v6, 0x80000000, v2
	v_xor_b32_e32 v2, v2, v4
	v_xor_b32_e32 v6, v6, v5
	v_cndmask_b32_e32 v6, -1, v6, vcc_lo
	v_cndmask_b32_e32 v2, -1, v2, vcc_lo
	v_and_b32_e32 v7, v6, v25
	v_and_b32_e32 v6, v2, v24
	v_cmp_eq_u64_e32 vcc_lo, v[6:7], v[22:23]
	s_and_b32 exec_lo, exec_lo, vcc_lo
	s_cbranch_execz .LBB183_451
; %bb.456:                              ;   in Loop: Header=BB183_454 Depth=2
	v_mov_b32_e32 v2, v19
	ds_write_b128 v19, v[2:5] offset:3072
	s_branch .LBB183_451
.LBB183_457:                            ;   in Loop: Header=BB183_454 Depth=2
	s_mov_b32 s44, -1
	s_mov_b32 s26, -1
                                        ; implicit-def: $vgpr8_vgpr9
	s_branch .LBB183_453
.LBB183_458:                            ;   in Loop: Header=BB183_12 Depth=1
	s_or_b32 exec_lo, exec_lo, s17
	s_andn2_b32 s6, s18, exec_lo
	s_and_b32 s7, s19, exec_lo
	s_or_b32 s18, s6, s7
.LBB183_459:                            ;   in Loop: Header=BB183_12 Depth=1
	s_or_b32 exec_lo, exec_lo, s16
	s_mov_b32 s58, 0
	s_mov_b32 s71, -1
.LBB183_460:                            ;   in Loop: Header=BB183_12 Depth=1
	s_orn2_b32 s7, s18, exec_lo
.LBB183_461:                            ;   in Loop: Header=BB183_12 Depth=1
	s_or_b32 exec_lo, exec_lo, s70
	s_mov_b32 s16, 0
	s_and_saveexec_b32 s6, s7
	s_cbranch_execz .LBB183_472
; %bb.462:                              ;   in Loop: Header=BB183_12 Depth=1
	v_mov_b32_e32 v4, 1
	v_mov_b32_e32 v5, 0
	;; [unrolled: 1-line block ×3, first 2 shown]
	s_xor_b32 s16, s69, -1
	s_and_saveexec_b32 s7, s16
	s_cbranch_execz .LBB183_471
; %bb.463:                              ;   in Loop: Header=BB183_12 Depth=1
	s_mov_b32 s16, exec_lo
	v_cmpx_ge_u64_e64 s[10:11], v[10:11]
	s_xor_b32 s16, exec_lo, s16
	s_cbranch_execz .LBB183_468
; %bb.464:                              ;   in Loop: Header=BB183_12 Depth=1
	ds_read_b64 v[4:5], v19 offset:5120
	v_and_b32_e32 v23, s15, v23
	v_and_b32_e32 v22, s14, v22
	v_or_b32_e32 v25, s13, v25
	v_or_b32_e32 v24, s12, v24
	s_waitcnt lgkmcnt(0)
	v_cmp_ne_u64_e32 vcc_lo, 0, v[4:5]
	s_cbranch_vccnz .LBB183_468
; %bb.465:                              ;   in Loop: Header=BB183_12 Depth=1
	s_and_saveexec_b32 s12, s3
; %bb.466:                              ;   in Loop: Header=BB183_12 Depth=1
	v_mov_b32_e32 v4, s10
	v_mov_b32_e32 v5, s11
	ds_write_b64 v19, v[4:5] offset:5128
; %bb.467:                              ;   in Loop: Header=BB183_12 Depth=1
	s_or_b32 exec_lo, exec_lo, s12
	s_waitcnt lgkmcnt(0)
	s_barrier
	buffer_gl0_inv
.LBB183_468:                            ;   in Loop: Header=BB183_12 Depth=1
	s_andn2_saveexec_b32 s12, s16
; %bb.469:                              ;   in Loop: Header=BB183_12 Depth=1
	v_sub_co_u32 v10, vcc_lo, v10, s10
	v_subrev_co_ci_u32_e64 v11, null, s11, v11, vcc_lo
; %bb.470:                              ;   in Loop: Header=BB183_12 Depth=1
	s_or_b32 exec_lo, exec_lo, s12
	v_mov_b32_e32 v4, v10
	v_mov_b32_e32 v39, 5
	v_mov_b32_e32 v5, v11
.LBB183_471:                            ;   in Loop: Header=BB183_12 Depth=1
	s_or_b32 exec_lo, exec_lo, s7
	v_mov_b32_e32 v11, v5
	v_mov_b32_e32 v10, v4
	s_mov_b32 s16, exec_lo
.LBB183_472:                            ;   in Loop: Header=BB183_12 Depth=1
	s_or_b32 exec_lo, exec_lo, s6
	s_orn2_b32 s6, s16, exec_lo
.LBB183_473:                            ;   in Loop: Header=BB183_12 Depth=1
	s_or_b32 exec_lo, exec_lo, s21
	s_andn2_b32 s7, s68, exec_lo
	s_and_b32 s10, s71, exec_lo
	s_andn2_b32 s11, s67, exec_lo
	s_and_b32 s12, s58, exec_lo
	v_mov_b32_e32 v8, v10
	v_mov_b32_e32 v9, v11
	s_or_b32 s68, s7, s10
	s_or_b32 s67, s11, s12
	s_and_b32 s7, s6, exec_lo
.LBB183_474:                            ;   in Loop: Header=BB183_12 Depth=1
	s_or_b32 exec_lo, exec_lo, s20
	s_orn2_b32 s6, s7, exec_lo
.LBB183_475:                            ;   in Loop: Header=BB183_12 Depth=1
	s_or_b32 exec_lo, exec_lo, s23
	s_andn2_b32 s7, s65, exec_lo
	s_and_b32 s10, s68, exec_lo
	s_andn2_b32 s11, s64, exec_lo
	s_and_b32 s12, s67, exec_lo
	v_mov_b32_e32 v29, v9
	v_mov_b32_e32 v28, v8
	s_or_b32 s65, s7, s10
	s_or_b32 s64, s11, s12
	s_and_b32 s7, s6, exec_lo
.LBB183_476:                            ;   in Loop: Header=BB183_12 Depth=1
	s_or_b32 exec_lo, exec_lo, s22
	s_orn2_b32 s6, s7, exec_lo
.LBB183_477:                            ;   in Loop: Header=BB183_12 Depth=1
	s_or_b32 exec_lo, exec_lo, s25
	s_mov_b32 s7, s63
	s_mov_b32 s10, s62
	s_and_saveexec_b32 s11, s6
; %bb.478:                              ;   in Loop: Header=BB183_12 Depth=1
	v_cmp_ne_u32_e32 vcc_lo, 5, v39
	v_cmp_eq_u32_e64 s6, 5, v39
	s_andn2_b32 s7, s62, exec_lo
	s_andn2_b32 s12, s63, exec_lo
	s_and_b32 s10, vcc_lo, exec_lo
	s_and_b32 s6, s6, exec_lo
	s_or_b32 s10, s7, s10
	s_or_b32 s7, s12, s6
; %bb.479:                              ;   in Loop: Header=BB183_12 Depth=1
	s_or_b32 exec_lo, exec_lo, s11
	s_andn2_b32 s6, s66, exec_lo
	s_and_b32 s11, s65, exec_lo
	s_andn2_b32 s9, s9, exec_lo
	s_and_b32 s12, s64, exec_lo
	s_or_b32 s66, s6, s11
	s_andn2_b32 s6, s62, exec_lo
	s_and_b32 s10, s10, exec_lo
	s_andn2_b32 s11, s63, exec_lo
	s_and_b32 s7, s7, exec_lo
	s_or_b32 s9, s9, s12
	s_or_b32 s62, s6, s10
	;; [unrolled: 1-line block ×3, first 2 shown]
.LBB183_480:                            ;   in Loop: Header=BB183_12 Depth=1
	s_or_b32 exec_lo, exec_lo, s24
	s_mov_b32 s64, 0
	s_mov_b32 s65, 0
	s_and_saveexec_b32 s6, s63
.LBB183_481:                            ;   in Loop: Header=BB183_12 Depth=1
	v_mov_b32_e32 v39, 0
	s_or_b32 s62, s62, exec_lo
.LBB183_482:                            ;   in Loop: Header=BB183_12 Depth=1
	s_or_b32 exec_lo, exec_lo, s6
	s_andn2_b32 s6, s97, exec_lo
	s_and_b32 s10, s66, exec_lo
	s_andn2_b32 s11, s95, exec_lo
	s_and_b32 s9, s9, exec_lo
	v_mov_b32_e32 v26, v28
	v_mov_b32_e32 v27, v29
	s_or_b32 s97, s6, s10
	s_or_b32 s95, s11, s9
	s_andn2_b32 s6, s99, exec_lo
	s_and_b32 s9, s65, exec_lo
	s_andn2_b32 s10, s98, exec_lo
	s_and_b32 s11, s64, exec_lo
	s_mov_b32 s7, -1
	s_andn2_b32 s96, s96, exec_lo
	s_or_b32 s99, s6, s9
	s_or_b32 s98, s10, s11
	s_and_saveexec_b32 s6, s62
	s_xor_b32 s6, exec_lo, s6
	s_cbranch_execz .LBB183_11
; %bb.483:                              ;   in Loop: Header=BB183_12 Depth=1
	s_mov_b32 s9, -1
	s_mov_b32 s10, exec_lo
	v_cmpx_eq_u32_e32 0, v39
	s_cbranch_execz .LBB183_10
; %bb.484:                              ;   in Loop: Header=BB183_12 Depth=1
	s_xor_b32 s89, s89, 1
	s_add_i32 s11, s93, -2
	s_cmp_eq_u32 s93, 0
	s_mov_b32 s93, s11
	s_cselect_b32 s7, -1, 0
	s_xor_b32 s9, exec_lo, -1
	s_orn2_b32 s7, s7, exec_lo
	s_branch .LBB183_10
.LBB183_485:
	s_or_b32 exec_lo, exec_lo, s87
	s_xor_b32 s7, s94, -1
	s_xor_b32 s9, s91, -1
	;; [unrolled: 1-line block ×5, first 2 shown]
	s_mov_b32 s8, 0
	s_and_saveexec_b32 s12, s11
	s_xor_b32 s12, exec_lo, s12
	s_cbranch_execnz .LBB183_490
; %bb.486:
	s_andn2_saveexec_b32 s0, s12
	s_cbranch_execnz .LBB183_509
.LBB183_487:
	s_or_b32 exec_lo, exec_lo, s0
	s_and_saveexec_b32 s0, s8
.LBB183_488:
	; divergent unreachable
.LBB183_489:
	s_endpgm
.LBB183_490:
	s_and_saveexec_b32 s11, s10
	s_xor_b32 s13, exec_lo, s11
	s_cbranch_execz .LBB183_507
; %bb.491:
	s_and_saveexec_b32 s10, s9
	s_xor_b32 s14, exec_lo, s10
	s_cbranch_execz .LBB183_505
; %bb.492:
	;; [unrolled: 4-line block ×3, first 2 shown]
	s_and_saveexec_b32 s7, s6
	s_xor_b32 s6, exec_lo, s7
; %bb.494:
	v_lshrrev_b32_e32 v2, 31, v23
	v_add_co_u32 v2, s7, v2, -1
	v_add_co_ci_u32_e64 v3, null, 0, -1, s7
	v_xor_b32_e32 v6, v2, v22
	v_or_b32_e32 v3, 0x80000000, v3
	v_xor_b32_e32 v7, v3, v23
; %bb.495:
	s_or_b32 exec_lo, exec_lo, s6
	s_and_saveexec_b32 s6, s3
; %bb.496:
	v_mov_b32_e32 v2, 0
	v_mov_b32_e32 v3, v2
	ds_write_b64 v2, v[2:3] offset:5136
; %bb.497:
	s_or_b32 exec_lo, exec_lo, s6
	v_mov_b32_e32 v4, 0
	v_mov_b32_e32 v5, 0
	s_waitcnt lgkmcnt(0)
	s_barrier
	buffer_gl0_inv
	s_and_saveexec_b32 s3, s1
	s_cbranch_execz .LBB183_499
; %bb.498:
	global_load_dwordx2 v[4:5], v[16:17], off
.LBB183_499:
	s_or_b32 exec_lo, exec_lo, s3
	s_load_dwordx4 s[24:27], s[4:5], 0x298
	s_add_u32 s3, s36, 31
	s_mul_i32 s8, s48, s51
	s_mul_hi_u32 s9, s48, s50
	s_mul_i32 s10, s48, s50
	s_addc_u32 s7, s37, 0
	s_and_b32 s6, s3, 0xffffffe0
	s_add_i32 s9, s9, s8
	s_sub_u32 s3, s34, s10
	s_subb_u32 s8, 0, s9
	s_mul_i32 s18, s52, s29
	s_mul_hi_u32 s19, s52, s28
	v_cmp_o_f64_e32 vcc_lo, v[6:7], v[6:7]
	s_mul_i32 s20, s52, s28
	s_add_i32 s9, s19, s18
	v_ashrrev_i32_e32 v2, 31, v7
	s_mul_hi_u32 s22, s52, s40
	s_mov_b32 s21, -1
	v_or_b32_e32 v3, 0x80000000, v2
	s_waitcnt lgkmcnt(0)
	s_mul_i32 s11, s48, s25
	s_mul_hi_u32 s16, s48, s24
	s_mul_i32 s10, s3, s27
	s_add_i32 s17, s16, s11
	s_mul_hi_u32 s11, s3, s26
	s_mul_i32 s8, s8, s26
	s_add_i32 s10, s11, s10
	s_mul_i32 s18, s3, s26
	s_add_i32 s19, s10, s8
	s_sub_u32 s20, s34, s20
	s_subb_u32 s9, 0, s9
	s_mul_i32 s3, s20, s43
	s_mul_hi_u32 s8, s20, s42
	s_mul_i32 s9, s9, s42
	s_add_i32 s3, s8, s3
	s_mul_i32 s16, s48, s24
	s_add_i32 s23, s3, s9
	s_clause 0x1
	s_load_dwordx2 s[8:9], s[4:5], 0x368
	s_load_dwordx2 s[10:11], s[4:5], 0x510
	s_lshl_b64 s[4:5], s[16:17], 3
	v_readlane_b32 s16, v51, 2
	v_readlane_b32 s17, v51, 3
	s_mul_i32 s3, s52, s41
	s_mul_i32 s24, s52, s40
	s_add_i32 s25, s22, s3
	s_add_u32 s3, s16, s4
	s_addc_u32 s4, s17, s5
	s_lshl_b64 s[16:17], s[18:19], 3
	v_xor_b32_e32 v3, v3, v7
	s_add_u32 s5, s3, s16
	v_xor_b32_e32 v2, v2, v6
	s_addc_u32 s16, s4, s17
	s_lshl_b64 s[18:19], s[24:25], 3
	v_readlane_b32 s24, v51, 0
	v_readlane_b32 s25, v51, 1
	s_mul_i32 s22, s20, s42
	v_cndmask_b32_e32 v3, -1, v3, vcc_lo
	v_cndmask_b32_e32 v2, -1, v2, vcc_lo
	s_add_u32 s3, s24, s18
	v_cmp_gt_u64_e32 vcc_lo, s[6:7], v[0:1]
	s_addc_u32 s4, s25, s19
	s_lshl_b64 s[18:19], s[22:23], 3
	s_add_u32 s17, s3, s18
	s_addc_u32 s18, s4, s19
	s_mov_b32 s19, 0
	s_mov_b32 s3, 0
	s_and_saveexec_b32 s20, vcc_lo
	s_cbranch_execnz .LBB183_510
; %bb.500:
	s_or_b32 exec_lo, exec_lo, s20
	s_and_saveexec_b32 s2, s21
	s_cbranch_execnz .LBB183_527
.LBB183_501:
	s_or_b32 exec_lo, exec_lo, s2
	s_and_saveexec_b32 s0, s3
	s_xor_b32 s0, exec_lo, s0
	s_cbranch_execnz .LBB183_552
.LBB183_502:
	s_or_b32 exec_lo, exec_lo, s0
	s_waitcnt lgkmcnt(0)
	s_and_b32 s8, s19, exec_lo
.LBB183_503:
	s_andn2_saveexec_b32 s0, s15
	s_cbranch_execnz .LBB183_554
.LBB183_504:
	s_or_b32 exec_lo, exec_lo, s0
	s_and_b32 s8, s8, exec_lo
.LBB183_505:
	s_andn2_saveexec_b32 s0, s14
	s_cbranch_execnz .LBB183_553
.LBB183_506:
	s_or_b32 exec_lo, exec_lo, s0
	s_and_b32 s8, s8, exec_lo
.LBB183_507:
	s_andn2_saveexec_b32 s0, s13
	s_cbranch_execnz .LBB183_548
.LBB183_508:
	s_or_b32 exec_lo, exec_lo, s0
	s_and_b32 s8, s8, exec_lo
	s_andn2_saveexec_b32 s0, s12
	s_cbranch_execz .LBB183_487
.LBB183_509:
	s_or_b32 s8, s8, exec_lo
	s_trap 2
	s_or_b32 exec_lo, exec_lo, s0
	s_and_saveexec_b32 s0, s8
	s_cbranch_execnz .LBB183_488
	s_branch .LBB183_489
.LBB183_510:
	v_mov_b32_e32 v15, v1
	v_mov_b32_e32 v7, 0
	;; [unrolled: 1-line block ×3, first 2 shown]
	s_mov_b32 s21, 0
                                        ; implicit-def: $sgpr22
                                        ; implicit-def: $vgpr10_vgpr11
	s_branch .LBB183_512
.LBB183_511:                            ;   in Loop: Header=BB183_512 Depth=1
	s_or_b32 exec_lo, exec_lo, s24
	s_xor_b32 s3, s23, -1
	s_and_b32 s4, exec_lo, s4
	s_waitcnt vmcnt(0)
	v_mov_b32_e32 v4, v12
	v_mov_b32_e32 v15, v9
	;; [unrolled: 1-line block ×3, first 2 shown]
	s_or_b32 s21, s4, s21
	v_mov_b32_e32 v14, v8
	s_andn2_b32 s4, s22, exec_lo
	s_and_b32 s3, s3, exec_lo
	s_or_b32 s22, s4, s3
	s_andn2_b32 exec_lo, exec_lo, s21
	s_cbranch_execz .LBB183_526
.LBB183_512:                            ; =>This Inner Loop Header: Depth=1
	v_add_co_u32 v8, s3, v14, s49
	v_mov_b32_e32 v12, 0
	v_add_co_ci_u32_e64 v9, null, 0, v15, s3
	v_mov_b32_e32 v13, 0
	s_mov_b32 s4, exec_lo
	v_cmpx_gt_u64_e64 s[36:37], v[8:9]
	s_cbranch_execz .LBB183_514
; %bb.513:                              ;   in Loop: Header=BB183_512 Depth=1
	v_mul_lo_u32 v6, v9, s30
	v_mul_lo_u32 v18, v8, s31
	v_mad_u64_u32 v[12:13], null, v8, s30, 0
	v_add3_u32 v13, v13, v18, v6
	v_lshlrev_b64 v[12:13], 3, v[12:13]
	v_add_co_u32 v12, s3, s33, v12
	v_add_co_ci_u32_e64 v13, null, s35, v13, s3
	global_load_dwordx2 v[12:13], v[12:13], off
.LBB183_514:                            ;   in Loop: Header=BB183_512 Depth=1
	s_or_b32 exec_lo, exec_lo, s4
	s_mov_b32 s23, 0
	s_mov_b32 s4, exec_lo
	v_cmpx_gt_u64_e64 s[36:37], v[14:15]
	s_cbranch_execz .LBB183_516
; %bb.515:                              ;   in Loop: Header=BB183_512 Depth=1
	s_waitcnt vmcnt(0)
	v_cmp_o_f64_e64 s3, v[4:5], v[4:5]
	v_ashrrev_i32_e32 v6, 31, v5
	v_or_b32_e32 v18, 0x80000000, v6
	v_xor_b32_e32 v6, v6, v4
	v_xor_b32_e32 v18, v18, v5
	v_cndmask_b32_e64 v19, -1, v18, s3
	v_cndmask_b32_e64 v18, -1, v6, s3
	v_cmp_gt_u64_e64 s3, v[18:19], v[2:3]
	v_cndmask_b32_e64 v6, 0, 1, s3
	v_cmp_lt_u64_e64 s3, v[18:19], v[2:3]
	v_cndmask_b32_e64 v18, 0, 1, s3
	v_cndmask_b32_e64 v6, v18, v6, s2
	v_and_b32_e32 v6, 1, v6
	v_cmp_eq_u32_e64 s3, 1, v6
	s_and_b32 s23, s3, exec_lo
.LBB183_516:                            ;   in Loop: Header=BB183_512 Depth=1
	s_or_b32 exec_lo, exec_lo, s4
	v_cndmask_b32_e64 v6, 0, 1, s23
	v_cmp_ne_u32_e64 s3, 0, v6
	s_cmp_lg_u32 s3, 0
	s_cselect_b32 s4, -1, 0
	s_and_b32 s4, s0, s4
	s_and_saveexec_b32 s24, s4
	s_cbranch_execz .LBB183_520
; %bb.517:                              ;   in Loop: Header=BB183_512 Depth=1
	s_mov_b32 s27, exec_lo
	s_bcnt1_i32_b32 s25, s3
	v_mbcnt_lo_u32_b32 v18, s27, 0
	s_mov_b32 s26, exec_lo
                                        ; implicit-def: $vgpr10_vgpr11
	v_cmpx_eq_u32_e32 0, v18
	s_cbranch_execz .LBB183_519
; %bb.518:                              ;   in Loop: Header=BB183_512 Depth=1
	s_bcnt1_i32_b32 s4, s27
	s_mul_i32 s4, s25, s4
	v_mov_b32_e32 v6, s4
	s_waitcnt lgkmcnt(0)
	ds_add_rtn_u64 v[10:11], v7, v[6:7] offset:5136
.LBB183_519:                            ;   in Loop: Header=BB183_512 Depth=1
	s_or_b32 exec_lo, exec_lo, s26
	s_waitcnt lgkmcnt(0)
	v_readfirstlane_b32 s27, v11
	v_readfirstlane_b32 s26, v10
	v_mad_u64_u32 v[10:11], null, s25, v18, s[26:27]
.LBB183_520:                            ;   in Loop: Header=BB183_512 Depth=1
	s_or_b32 exec_lo, exec_lo, s24
	s_waitcnt lgkmcnt(0)
	ds_bpermute_b32 v10, v7, v10
	ds_bpermute_b32 v11, v7, v11
	s_mov_b32 s4, -1
	s_mov_b32 s25, -1
	s_and_saveexec_b32 s24, s23
	s_cbranch_execz .LBB183_524
; %bb.521:                              ;   in Loop: Header=BB183_512 Depth=1
	v_and_b32_e32 v6, s3, v32
	s_mov_b32 s23, 0
	s_mov_b32 s25, exec_lo
	v_bcnt_u32_b32 v6, v6, 0
	s_waitcnt lgkmcnt(0)
	v_add_co_u32 v18, s3, v10, v6
	v_add_co_ci_u32_e64 v19, null, 0, v11, s3
	v_cmpx_gt_u64_e64 s[38:39], v[18:19]
	s_cbranch_execz .LBB183_523
; %bb.522:                              ;   in Loop: Header=BB183_512 Depth=1
	v_mul_lo_u32 v6, v19, s8
	v_mul_lo_u32 v22, v18, s9
	v_mad_u64_u32 v[20:21], null, v18, s8, 0
	v_mul_lo_u32 v23, v19, s10
	v_mul_lo_u32 v24, v18, s11
	v_mad_u64_u32 v[18:19], null, v18, s10, 0
	s_mov_b32 s23, exec_lo
	v_add3_u32 v21, v21, v22, v6
	v_add3_u32 v19, v19, v24, v23
	v_lshlrev_b64 v[20:21], 3, v[20:21]
	v_lshlrev_b64 v[18:19], 3, v[18:19]
	v_add_co_u32 v20, s3, s5, v20
	v_add_co_ci_u32_e64 v21, null, s16, v21, s3
	v_add_co_u32 v18, s3, s17, v18
	v_add_co_ci_u32_e64 v19, null, s18, v19, s3
	s_waitcnt vmcnt(0)
	global_store_dwordx2 v[20:21], v[4:5], off
	global_store_dwordx2 v[18:19], v[14:15], off
.LBB183_523:                            ;   in Loop: Header=BB183_512 Depth=1
	s_or_b32 exec_lo, exec_lo, s25
	s_orn2_b32 s25, s23, exec_lo
.LBB183_524:                            ;   in Loop: Header=BB183_512 Depth=1
	s_or_b32 exec_lo, exec_lo, s24
	s_mov_b32 s23, -1
	s_and_saveexec_b32 s24, s25
	s_cbranch_execz .LBB183_511
; %bb.525:                              ;   in Loop: Header=BB183_512 Depth=1
	v_cmp_le_u64_e64 s3, s[6:7], v[8:9]
	s_xor_b32 s23, exec_lo, -1
	s_orn2_b32 s4, s3, exec_lo
	s_branch .LBB183_511
.LBB183_526:
	s_or_b32 exec_lo, exec_lo, s21
	s_mov_b32 s3, exec_lo
	s_orn2_b32 s21, s22, exec_lo
	s_or_b32 exec_lo, exec_lo, s20
	s_and_saveexec_b32 s2, s21
	s_cbranch_execz .LBB183_501
.LBB183_527:
	v_mov_b32_e32 v8, 0
	v_mov_b32_e32 v9, 0
	s_waitcnt vmcnt(0) lgkmcnt(0)
	s_waitcnt_vscnt null, 0x0
	s_barrier
	buffer_gl0_inv
	s_and_saveexec_b32 s4, s1
	s_cbranch_execz .LBB183_529
; %bb.528:
	global_load_dwordx2 v[8:9], v[16:17], off
.LBB183_529:
	s_or_b32 exec_lo, exec_lo, s4
	s_mov_b32 s1, 0
	s_and_saveexec_b32 s4, vcc_lo
	s_cbranch_execz .LBB183_551
; %bb.530:
	v_mov_b32_e32 v5, 0
	s_mov_b32 s19, 0
                                        ; implicit-def: $sgpr20
                                        ; implicit-def: $vgpr10_vgpr11
	s_branch .LBB183_533
.LBB183_531:                            ;   in Loop: Header=BB183_533 Depth=1
	s_or_b32 exec_lo, exec_lo, s21
	s_orn2_b32 s23, s24, exec_lo
	s_orn2_b32 s22, s22, exec_lo
.LBB183_532:                            ;   in Loop: Header=BB183_533 Depth=1
	s_or_b32 exec_lo, exec_lo, s1
	s_xor_b32 s1, s23, -1
	s_and_b32 s21, exec_lo, s22
	v_mov_b32_e32 v0, v6
	s_waitcnt vmcnt(0)
	v_mov_b32_e32 v8, v12
	v_mov_b32_e32 v1, v7
	s_or_b32 s19, s21, s19
	v_mov_b32_e32 v9, v13
	s_andn2_b32 s20, s20, exec_lo
	s_and_b32 s1, s1, exec_lo
	s_or_b32 s20, s20, s1
	s_andn2_b32 exec_lo, exec_lo, s19
	s_cbranch_execz .LBB183_549
.LBB183_533:                            ; =>This Inner Loop Header: Depth=1
	v_add_co_u32 v6, vcc_lo, v0, s49
	v_mov_b32_e32 v12, 0
	v_add_co_ci_u32_e64 v7, null, 0, v1, vcc_lo
	v_mov_b32_e32 v13, 0
	s_mov_b32 s1, exec_lo
	v_cmpx_gt_u64_e64 s[36:37], v[6:7]
	s_cbranch_execz .LBB183_535
; %bb.534:                              ;   in Loop: Header=BB183_533 Depth=1
	v_mul_lo_u32 v4, v7, s30
	v_mul_lo_u32 v14, v6, s31
	v_mad_u64_u32 v[12:13], null, v6, s30, 0
	v_add3_u32 v13, v13, v14, v4
	v_lshlrev_b64 v[12:13], 3, v[12:13]
	v_add_co_u32 v12, vcc_lo, s33, v12
	v_add_co_ci_u32_e64 v13, null, s35, v13, vcc_lo
	global_load_dwordx2 v[12:13], v[12:13], off
.LBB183_535:                            ;   in Loop: Header=BB183_533 Depth=1
	s_or_b32 exec_lo, exec_lo, s1
	s_mov_b32 s21, 0
	s_mov_b32 s1, exec_lo
	v_cmpx_gt_u64_e64 s[36:37], v[0:1]
	s_cbranch_execz .LBB183_537
; %bb.536:                              ;   in Loop: Header=BB183_533 Depth=1
	s_waitcnt vmcnt(0)
	v_cmp_o_f64_e32 vcc_lo, v[8:9], v[8:9]
	v_ashrrev_i32_e32 v4, 31, v9
	v_or_b32_e32 v14, 0x80000000, v4
	v_xor_b32_e32 v4, v4, v8
	v_xor_b32_e32 v14, v14, v9
	v_cndmask_b32_e32 v15, -1, v14, vcc_lo
	v_cndmask_b32_e32 v14, -1, v4, vcc_lo
	v_cmp_eq_u64_e32 vcc_lo, v[14:15], v[2:3]
	s_and_b32 s21, vcc_lo, exec_lo
.LBB183_537:                            ;   in Loop: Header=BB183_533 Depth=1
	s_or_b32 exec_lo, exec_lo, s1
	v_cndmask_b32_e64 v4, 0, 1, s21
	v_cmp_ne_u32_e32 vcc_lo, 0, v4
	s_cmp_lg_u32 vcc_lo, 0
	s_cselect_b32 s1, -1, 0
	s_and_b32 s1, s0, s1
	s_and_saveexec_b32 s22, s1
	s_cbranch_execz .LBB183_541
; %bb.538:                              ;   in Loop: Header=BB183_533 Depth=1
	s_mov_b32 s25, exec_lo
	s_bcnt1_i32_b32 s23, vcc_lo
	v_mbcnt_lo_u32_b32 v14, s25, 0
	s_mov_b32 s24, exec_lo
                                        ; implicit-def: $vgpr10_vgpr11
	v_cmpx_eq_u32_e32 0, v14
; %bb.539:                              ;   in Loop: Header=BB183_533 Depth=1
	s_bcnt1_i32_b32 s1, s25
	s_mul_i32 s1, s23, s1
	v_mov_b32_e32 v4, s1
	ds_add_rtn_u64 v[10:11], v5, v[4:5] offset:5136
; %bb.540:                              ;   in Loop: Header=BB183_533 Depth=1
	s_or_b32 exec_lo, exec_lo, s24
	s_waitcnt lgkmcnt(0)
	v_readfirstlane_b32 s25, v11
	v_readfirstlane_b32 s24, v10
	v_mad_u64_u32 v[10:11], null, s23, v14, s[24:25]
.LBB183_541:                            ;   in Loop: Header=BB183_533 Depth=1
	s_or_b32 exec_lo, exec_lo, s22
	ds_bpermute_b32 v10, v5, v10
	ds_bpermute_b32 v11, v5, v11
	s_cmp_eq_u32 vcc_lo, 0
	s_mov_b32 s22, -1
	s_cselect_b32 s23, -1, 0
	s_waitcnt lgkmcnt(0)
	v_cmp_gt_u64_e64 s1, s[38:39], v[10:11]
	s_or_b32 s24, s23, s1
	s_mov_b32 s23, -1
	s_and_saveexec_b32 s1, s24
	s_cbranch_execz .LBB183_532
; %bb.542:                              ;   in Loop: Header=BB183_533 Depth=1
	v_and_b32_e32 v4, vcc_lo, v32
	v_sub_co_u32 v14, vcc_lo, s38, v10
	v_sub_co_ci_u32_e64 v15, null, s39, v11, vcc_lo
	v_bcnt_u32_b32 v4, v4, 0
	s_mov_b32 s24, -1
	v_bcnt_u32_b32 v4, 0, v4
	v_cmp_gt_u64_e32 vcc_lo, v[14:15], v[4:5]
	s_and_b32 s25, s21, vcc_lo
	s_and_saveexec_b32 s21, s25
	s_cbranch_execz .LBB183_546
; %bb.543:                              ;   in Loop: Header=BB183_533 Depth=1
	v_add_co_u32 v14, vcc_lo, v10, v4
	v_add_co_ci_u32_e64 v15, null, 0, v11, vcc_lo
	s_mov_b32 s23, 0
	s_mov_b32 s24, exec_lo
	v_cmpx_gt_u64_e64 s[38:39], v[14:15]
	s_cbranch_execz .LBB183_545
; %bb.544:                              ;   in Loop: Header=BB183_533 Depth=1
	v_mul_lo_u32 v4, v15, s8
	v_mul_lo_u32 v18, v14, s9
	v_mad_u64_u32 v[16:17], null, v14, s8, 0
	v_mul_lo_u32 v19, v15, s10
	v_mul_lo_u32 v20, v14, s11
	v_mad_u64_u32 v[14:15], null, v14, s10, 0
	s_mov_b32 s23, exec_lo
	v_add3_u32 v17, v17, v18, v4
	v_add3_u32 v15, v15, v20, v19
	v_lshlrev_b64 v[16:17], 3, v[16:17]
	v_lshlrev_b64 v[14:15], 3, v[14:15]
	v_add_co_u32 v16, vcc_lo, s5, v16
	v_add_co_ci_u32_e64 v17, null, s16, v17, vcc_lo
	v_add_co_u32 v14, vcc_lo, s17, v14
	v_add_co_ci_u32_e64 v15, null, s18, v15, vcc_lo
	s_waitcnt vmcnt(0)
	global_store_dwordx2 v[16:17], v[8:9], off
	global_store_dwordx2 v[14:15], v[0:1], off
.LBB183_545:                            ;   in Loop: Header=BB183_533 Depth=1
	s_or_b32 exec_lo, exec_lo, s24
	s_xor_b32 s24, exec_lo, -1
	s_orn2_b32 s23, s23, exec_lo
.LBB183_546:                            ;   in Loop: Header=BB183_533 Depth=1
	s_or_b32 exec_lo, exec_lo, s21
	s_and_saveexec_b32 s21, s23
	s_cbranch_execz .LBB183_531
; %bb.547:                              ;   in Loop: Header=BB183_533 Depth=1
	v_cmp_le_u64_e32 vcc_lo, s[6:7], v[6:7]
	s_or_b32 s24, s24, exec_lo
	s_orn2_b32 s22, vcc_lo, exec_lo
	s_branch .LBB183_531
.LBB183_548:
	s_or_b32 s8, s8, exec_lo
	s_trap 2
	s_branch .LBB183_508
.LBB183_549:
	s_or_b32 exec_lo, exec_lo, s19
	s_mov_b32 s0, 0
	s_and_saveexec_b32 s1, s20
	s_xor_b32 s1, exec_lo, s1
	s_cbranch_execnz .LBB183_555
.LBB183_550:
	s_or_b32 exec_lo, exec_lo, s1
	s_and_b32 s1, s0, exec_lo
.LBB183_551:
	s_or_b32 exec_lo, exec_lo, s4
	s_and_b32 s19, s1, exec_lo
	s_andn2_b32 s3, s3, exec_lo
	s_or_b32 exec_lo, exec_lo, s2
	s_and_saveexec_b32 s0, s3
	s_xor_b32 s0, exec_lo, s0
	s_cbranch_execz .LBB183_502
.LBB183_552:
	s_or_b32 s19, s19, exec_lo
	s_trap 2
	s_branch .LBB183_502
.LBB183_553:
	s_or_b32 s8, s8, exec_lo
	s_trap 2
	s_branch .LBB183_506
.LBB183_554:
	s_or_b32 s8, s8, exec_lo
	s_trap 2
	s_branch .LBB183_504
.LBB183_555:
	s_mov_b32 s0, exec_lo
	s_trap 2
	s_branch .LBB183_550
	.section	.rodata,"a",@progbits
	.p2align	6, 0x0
	.amdhsa_kernel _ZN2at6native6sbtopk10gatherTopKIdmLi2ELb0EEEvNS_4cuda6detail10TensorInfoIKT_T0_EES8_S8_bS8_S8_NS5_IS6_S8_EES8_NS5_IlS8_EES8_PS6_
		.amdhsa_group_segment_fixed_size 5152
		.amdhsa_private_segment_fixed_size 0
		.amdhsa_kernarg_size 1568
		.amdhsa_user_sgpr_count 6
		.amdhsa_user_sgpr_private_segment_buffer 1
		.amdhsa_user_sgpr_dispatch_ptr 0
		.amdhsa_user_sgpr_queue_ptr 0
		.amdhsa_user_sgpr_kernarg_segment_ptr 1
		.amdhsa_user_sgpr_dispatch_id 0
		.amdhsa_user_sgpr_flat_scratch_init 0
		.amdhsa_user_sgpr_private_segment_size 0
		.amdhsa_wavefront_size32 1
		.amdhsa_uses_dynamic_stack 0
		.amdhsa_system_sgpr_private_segment_wavefront_offset 0
		.amdhsa_system_sgpr_workgroup_id_x 1
		.amdhsa_system_sgpr_workgroup_id_y 1
		.amdhsa_system_sgpr_workgroup_id_z 1
		.amdhsa_system_sgpr_workgroup_info 0
		.amdhsa_system_vgpr_workitem_id 0
		.amdhsa_next_free_vgpr 52
		.amdhsa_next_free_sgpr 105
		.amdhsa_reserve_vcc 1
		.amdhsa_reserve_flat_scratch 0
		.amdhsa_float_round_mode_32 0
		.amdhsa_float_round_mode_16_64 0
		.amdhsa_float_denorm_mode_32 3
		.amdhsa_float_denorm_mode_16_64 3
		.amdhsa_dx10_clamp 1
		.amdhsa_ieee_mode 1
		.amdhsa_fp16_overflow 0
		.amdhsa_workgroup_processor_mode 1
		.amdhsa_memory_ordered 1
		.amdhsa_forward_progress 1
		.amdhsa_shared_vgpr_count 0
		.amdhsa_exception_fp_ieee_invalid_op 0
		.amdhsa_exception_fp_denorm_src 0
		.amdhsa_exception_fp_ieee_div_zero 0
		.amdhsa_exception_fp_ieee_overflow 0
		.amdhsa_exception_fp_ieee_underflow 0
		.amdhsa_exception_fp_ieee_inexact 0
		.amdhsa_exception_int_div_zero 0
	.end_amdhsa_kernel
	.section	.text._ZN2at6native6sbtopk10gatherTopKIdmLi2ELb0EEEvNS_4cuda6detail10TensorInfoIKT_T0_EES8_S8_bS8_S8_NS5_IS6_S8_EES8_NS5_IlS8_EES8_PS6_,"axG",@progbits,_ZN2at6native6sbtopk10gatherTopKIdmLi2ELb0EEEvNS_4cuda6detail10TensorInfoIKT_T0_EES8_S8_bS8_S8_NS5_IS6_S8_EES8_NS5_IlS8_EES8_PS6_,comdat
.Lfunc_end183:
	.size	_ZN2at6native6sbtopk10gatherTopKIdmLi2ELb0EEEvNS_4cuda6detail10TensorInfoIKT_T0_EES8_S8_bS8_S8_NS5_IS6_S8_EES8_NS5_IlS8_EES8_PS6_, .Lfunc_end183-_ZN2at6native6sbtopk10gatherTopKIdmLi2ELb0EEEvNS_4cuda6detail10TensorInfoIKT_T0_EES8_S8_bS8_S8_NS5_IS6_S8_EES8_NS5_IlS8_EES8_PS6_
                                        ; -- End function
	.set _ZN2at6native6sbtopk10gatherTopKIdmLi2ELb0EEEvNS_4cuda6detail10TensorInfoIKT_T0_EES8_S8_bS8_S8_NS5_IS6_S8_EES8_NS5_IlS8_EES8_PS6_.num_vgpr, 52
	.set _ZN2at6native6sbtopk10gatherTopKIdmLi2ELb0EEEvNS_4cuda6detail10TensorInfoIKT_T0_EES8_S8_bS8_S8_NS5_IS6_S8_EES8_NS5_IlS8_EES8_PS6_.num_agpr, 0
	.set _ZN2at6native6sbtopk10gatherTopKIdmLi2ELb0EEEvNS_4cuda6detail10TensorInfoIKT_T0_EES8_S8_bS8_S8_NS5_IS6_S8_EES8_NS5_IlS8_EES8_PS6_.numbered_sgpr, 105
	.set _ZN2at6native6sbtopk10gatherTopKIdmLi2ELb0EEEvNS_4cuda6detail10TensorInfoIKT_T0_EES8_S8_bS8_S8_NS5_IS6_S8_EES8_NS5_IlS8_EES8_PS6_.num_named_barrier, 0
	.set _ZN2at6native6sbtopk10gatherTopKIdmLi2ELb0EEEvNS_4cuda6detail10TensorInfoIKT_T0_EES8_S8_bS8_S8_NS5_IS6_S8_EES8_NS5_IlS8_EES8_PS6_.private_seg_size, 0
	.set _ZN2at6native6sbtopk10gatherTopKIdmLi2ELb0EEEvNS_4cuda6detail10TensorInfoIKT_T0_EES8_S8_bS8_S8_NS5_IS6_S8_EES8_NS5_IlS8_EES8_PS6_.uses_vcc, 1
	.set _ZN2at6native6sbtopk10gatherTopKIdmLi2ELb0EEEvNS_4cuda6detail10TensorInfoIKT_T0_EES8_S8_bS8_S8_NS5_IS6_S8_EES8_NS5_IlS8_EES8_PS6_.uses_flat_scratch, 0
	.set _ZN2at6native6sbtopk10gatherTopKIdmLi2ELb0EEEvNS_4cuda6detail10TensorInfoIKT_T0_EES8_S8_bS8_S8_NS5_IS6_S8_EES8_NS5_IlS8_EES8_PS6_.has_dyn_sized_stack, 0
	.set _ZN2at6native6sbtopk10gatherTopKIdmLi2ELb0EEEvNS_4cuda6detail10TensorInfoIKT_T0_EES8_S8_bS8_S8_NS5_IS6_S8_EES8_NS5_IlS8_EES8_PS6_.has_recursion, 0
	.set _ZN2at6native6sbtopk10gatherTopKIdmLi2ELb0EEEvNS_4cuda6detail10TensorInfoIKT_T0_EES8_S8_bS8_S8_NS5_IS6_S8_EES8_NS5_IlS8_EES8_PS6_.has_indirect_call, 0
	.section	.AMDGPU.csdata,"",@progbits
; Kernel info:
; codeLenInByte = 26120
; TotalNumSgprs: 107
; NumVgprs: 52
; ScratchSize: 0
; MemoryBound: 0
; FloatMode: 240
; IeeeMode: 1
; LDSByteSize: 5152 bytes/workgroup (compile time only)
; SGPRBlocks: 0
; VGPRBlocks: 6
; NumSGPRsForWavesPerEU: 107
; NumVGPRsForWavesPerEU: 52
; Occupancy: 16
; WaveLimiterHint : 1
; COMPUTE_PGM_RSRC2:SCRATCH_EN: 0
; COMPUTE_PGM_RSRC2:USER_SGPR: 6
; COMPUTE_PGM_RSRC2:TRAP_HANDLER: 0
; COMPUTE_PGM_RSRC2:TGID_X_EN: 1
; COMPUTE_PGM_RSRC2:TGID_Y_EN: 1
; COMPUTE_PGM_RSRC2:TGID_Z_EN: 1
; COMPUTE_PGM_RSRC2:TIDIG_COMP_CNT: 0
	.section	.text._ZN2at6native6mbtopk23computeBlockDigitCountsIdmmLi3EEEvNS_4cuda6detail10TensorInfoIKT_T0_EEjPjjS8_iijT1_PSB_Ps,"axG",@progbits,_ZN2at6native6mbtopk23computeBlockDigitCountsIdmmLi3EEEvNS_4cuda6detail10TensorInfoIKT_T0_EEjPjjS8_iijT1_PSB_Ps,comdat
	.protected	_ZN2at6native6mbtopk23computeBlockDigitCountsIdmmLi3EEEvNS_4cuda6detail10TensorInfoIKT_T0_EEjPjjS8_iijT1_PSB_Ps ; -- Begin function _ZN2at6native6mbtopk23computeBlockDigitCountsIdmmLi3EEEvNS_4cuda6detail10TensorInfoIKT_T0_EEjPjjS8_iijT1_PSB_Ps
	.globl	_ZN2at6native6mbtopk23computeBlockDigitCountsIdmmLi3EEEvNS_4cuda6detail10TensorInfoIKT_T0_EEjPjjS8_iijT1_PSB_Ps
	.p2align	8
	.type	_ZN2at6native6mbtopk23computeBlockDigitCountsIdmmLi3EEEvNS_4cuda6detail10TensorInfoIKT_T0_EEjPjjS8_iijT1_PSB_Ps,@function
_ZN2at6native6mbtopk23computeBlockDigitCountsIdmmLi3EEEvNS_4cuda6detail10TensorInfoIKT_T0_EEjPjjS8_iijT1_PSB_Ps: ; @_ZN2at6native6mbtopk23computeBlockDigitCountsIdmmLi3EEEvNS_4cuda6detail10TensorInfoIKT_T0_EEjPjjS8_iijT1_PSB_Ps
; %bb.0:
	s_clause 0x2
	s_load_dwordx4 s[0:3], s[4:5], 0x1c0
	s_load_dword s9, s[4:5], 0x1b0
	s_load_dwordx2 s[10:11], s[4:5], 0x1e8
	s_mov_b32 s21, 0
	s_waitcnt lgkmcnt(0)
	v_cvt_f32_u32_e32 v1, s2
	s_mul_i32 s8, s11, s8
	s_sub_i32 s11, 0, s2
	s_add_i32 s7, s8, s7
	v_rcp_iflag_f32_e32 v1, v1
	s_mul_i32 s26, s7, s10
	s_add_i32 s26, s26, s6
	v_mul_f32_e32 v1, 0x4f7ffffe, v1
	v_cvt_u32_f32_e32 v1, v1
	v_readfirstlane_b32 s3, v1
	s_mul_i32 s11, s11, s3
	s_mul_hi_u32 s7, s3, s11
	s_add_i32 s3, s3, s7
	s_mul_hi_u32 s3, s26, s3
	s_mul_i32 s6, s3, s2
	s_add_i32 s7, s3, 1
	s_sub_i32 s6, s26, s6
	s_sub_i32 s8, s6, s2
	s_cmp_ge_u32 s6, s2
	s_cselect_b32 s3, s7, s3
	s_cselect_b32 s6, s8, s6
	s_add_i32 s7, s3, 1
	s_cmp_ge_u32 s6, s2
	s_cselect_b32 s20, s7, s3
	s_cmp_ge_u32 s20, s9
	s_cbranch_scc1 .LBB184_25
; %bb.1:
	s_clause 0x1
	s_load_dwordx4 s[12:15], s[4:5], 0x10
	s_load_dwordx4 s[8:11], s[4:5], 0x1d0
	s_lshl_b64 s[6:7], s[20:21], 3
	s_mov_b64 s[22:23], 0
	s_waitcnt lgkmcnt(0)
	v_cmp_lt_u64_e64 s3, s[20:21], s[14:15]
	s_add_u32 s24, s10, s6
	s_addc_u32 s25, s11, s7
	s_mov_b64 s[10:11], 0
	s_and_b32 vcc_lo, exec_lo, s3
	s_cbranch_vccz .LBB184_15
; %bb.2:
	s_load_dwordx2 s[6:7], s[4:5], 0x1e0
	v_cmp_lt_u64_e64 s3, s[22:23], s[12:13]
	s_and_b32 vcc_lo, exec_lo, s3
	s_cbranch_vccz .LBB184_16
.LBB184_3:
	v_cmp_gt_u32_e32 vcc_lo, 0x100, v0
	v_lshlrev_b32_e32 v3, 2, v0
	s_and_saveexec_b32 s3, vcc_lo
.LBB184_4:
	v_mov_b32_e32 v1, 0
	ds_write_b32 v3, v1
.LBB184_5:
	s_or_b32 exec_lo, exec_lo, s3
	s_load_dword s11, s[4:5], 0x1a0
	s_mul_i32 s3, s20, s2
	s_waitcnt lgkmcnt(0)
	s_sub_i32 s3, s26, s3
	s_barrier
	s_mul_i32 s16, s1, s3
	s_add_i32 s3, s3, 1
	s_lshl_b32 s27, s16, 8
	buffer_gl0_inv
	s_sub_i32 s16, s11, s27
	s_add_u32 s16, s16, 0xff
	s_addc_u32 s17, 0, 0
	s_lshr_b64 s[16:17], s[16:17], 8
	s_cmp_lt_u32 s3, s2
	s_cselect_b32 s1, s1, s16
	s_cmp_lt_i32 s1, 1
	s_cbranch_scc1 .LBB184_23
; %bb.6:
	s_clause 0x2
	s_load_dwordx2 s[28:29], s[4:5], 0xe0
	s_load_dwordx4 s[16:19], s[4:5], 0xd0
	s_load_dwordx2 s[30:31], s[4:5], 0x0
	s_load_dwordx2 s[2:3], s[24:25], 0x0
	s_mul_i32 s15, s22, s15
	s_mul_hi_u32 s24, s22, s14
	s_mul_i32 s14, s22, s14
	s_add_i32 s24, s24, s15
	s_mul_i32 s13, s10, s13
	s_mul_hi_u32 s25, s10, s12
	s_sub_u32 s14, s20, s14
	s_mul_i32 s33, s10, s12
	s_subb_u32 s12, 0, s24
	s_add_i32 s25, s25, s13
	s_load_dwordx2 s[4:5], s[4:5], 0x1b8
	v_add_nc_u32_e32 v4, s27, v0
	s_waitcnt lgkmcnt(0)
	s_mul_i32 s13, s14, s29
	s_mul_hi_u32 s15, s14, s28
	s_mul_i32 s20, s12, s28
	s_add_i32 s13, s15, s13
	s_mul_i32 s17, s10, s17
	s_add_i32 s15, s13, s20
	s_mul_hi_u32 s24, s10, s16
	s_mul_i32 s12, s10, s16
	s_sub_u32 s10, s22, s33
	s_subb_u32 s16, s23, s25
	s_add_i32 s13, s24, s17
	s_mul_i32 s17, s10, s19
	s_mul_hi_u32 s19, s10, s18
	s_mul_i32 s16, s16, s18
	s_add_i32 s17, s19, s17
	s_lshl_b64 s[12:13], s[12:13], 3
	s_add_i32 s17, s17, s16
	s_mul_i32 s16, s10, s18
	s_add_u32 s10, s30, s12
	s_addc_u32 s18, s31, s13
	s_lshl_b64 s[12:13], s[16:17], 3
	s_mul_i32 s14, s14, s28
	s_add_u32 s10, s10, s12
	s_addc_u32 s16, s18, s13
	s_lshl_b64 s[12:13], s[14:15], 3
	s_add_u32 s12, s10, s12
	s_addc_u32 s13, s16, s13
	s_and_b32 s10, s0, 0xff
	s_cmp_eq_u32 s1, 1
	s_cbranch_scc1 .LBB184_18
; %bb.7:
	v_mov_b32_e32 v5, 1
	v_mov_b32_e32 v6, 2
	v_mov_b32_e32 v7, v4
	s_and_b32 s14, s1, 0x7ffffffe
	s_mov_b32 s15, 0
	s_branch .LBB184_9
.LBB184_8:                              ;   in Loop: Header=BB184_9 Depth=1
	s_or_b32 exec_lo, exec_lo, s16
	v_add_nc_u32_e32 v7, 0x200, v7
	s_add_i32 s15, s15, 2
	s_cmp_eq_u32 s14, s15
	s_cbranch_scc1 .LBB184_17
.LBB184_9:                              ; =>This Inner Loop Header: Depth=1
	s_mov_b32 s16, exec_lo
	v_cmpx_gt_u32_e64 s11, v7
	s_cbranch_execz .LBB184_12
; %bb.10:                               ;   in Loop: Header=BB184_9 Depth=1
	v_mad_u64_u32 v[1:2], null, s4, v7, 0
	v_mad_u64_u32 v[8:9], null, s5, v7, v[2:3]
	v_mov_b32_e32 v2, v8
	v_lshlrev_b64 v[1:2], 3, v[1:2]
	v_add_co_u32 v1, s0, s12, v1
	v_add_co_ci_u32_e64 v2, null, s13, v2, s0
	global_load_dwordx2 v[1:2], v[1:2], off
	s_waitcnt vmcnt(0)
	v_cmp_o_f64_e64 s0, v[1:2], v[1:2]
	v_ashrrev_i32_e32 v8, 31, v2
	v_or_b32_e32 v9, 0x80000000, v8
	v_xor_b32_e32 v1, v8, v1
	v_xor_b32_e32 v9, v9, v2
	v_cndmask_b32_e64 v2, -1, v9, s0
	v_cndmask_b32_e64 v1, -1, v1, s0
	v_xor_b32_e32 v8, s3, v2
	v_xor_b32_e32 v10, s2, v1
	v_and_b32_e32 v9, s9, v8
	v_and_b32_e32 v8, s8, v10
	v_cmp_eq_u64_e64 s0, 0, v[8:9]
	s_and_b32 exec_lo, exec_lo, s0
; %bb.11:                               ;   in Loop: Header=BB184_9 Depth=1
	v_lshrrev_b64 v[1:2], s10, v[1:2]
	v_lshlrev_b32_sdwa v1, v6, v1 dst_sel:DWORD dst_unused:UNUSED_PAD src0_sel:DWORD src1_sel:BYTE_0
	ds_add_u32 v1, v5
.LBB184_12:                             ;   in Loop: Header=BB184_9 Depth=1
	s_or_b32 exec_lo, exec_lo, s16
	v_add_nc_u32_e32 v1, 0x100, v7
	s_mov_b32 s16, exec_lo
	v_cmpx_gt_u32_e64 s11, v1
	s_cbranch_execz .LBB184_8
; %bb.13:                               ;   in Loop: Header=BB184_9 Depth=1
	v_mad_u64_u32 v[8:9], null, s4, v1, 0
	v_mov_b32_e32 v2, v9
	v_mad_u64_u32 v[1:2], null, s5, v1, v[2:3]
	v_mov_b32_e32 v9, v1
	v_lshlrev_b64 v[1:2], 3, v[8:9]
	v_add_co_u32 v1, s0, s12, v1
	v_add_co_ci_u32_e64 v2, null, s13, v2, s0
	global_load_dwordx2 v[1:2], v[1:2], off
	s_waitcnt vmcnt(0)
	v_cmp_o_f64_e64 s0, v[1:2], v[1:2]
	v_ashrrev_i32_e32 v8, 31, v2
	v_or_b32_e32 v9, 0x80000000, v8
	v_xor_b32_e32 v1, v8, v1
	v_xor_b32_e32 v9, v9, v2
	v_cndmask_b32_e64 v2, -1, v9, s0
	v_cndmask_b32_e64 v1, -1, v1, s0
	v_xor_b32_e32 v8, s3, v2
	v_xor_b32_e32 v10, s2, v1
	v_and_b32_e32 v9, s9, v8
	v_and_b32_e32 v8, s8, v10
	v_cmp_eq_u64_e64 s0, 0, v[8:9]
	s_and_b32 exec_lo, exec_lo, s0
	s_cbranch_execz .LBB184_8
; %bb.14:                               ;   in Loop: Header=BB184_9 Depth=1
	v_lshrrev_b64 v[1:2], s10, v[1:2]
	v_lshlrev_b32_sdwa v1, v6, v1 dst_sel:DWORD dst_unused:UNUSED_PAD src0_sel:DWORD src1_sel:BYTE_0
	ds_add_u32 v1, v5
	s_branch .LBB184_8
.LBB184_15:
	v_cvt_f32_u32_e32 v1, s14
	s_sub_i32 s6, 0, s14
	s_mov_b32 s23, 0
	v_rcp_iflag_f32_e32 v1, v1
	v_mul_f32_e32 v1, 0x4f7ffffe, v1
	v_cvt_u32_f32_e32 v1, v1
	v_readfirstlane_b32 s3, v1
	s_mul_i32 s6, s6, s3
	s_mul_hi_u32 s6, s3, s6
	s_add_i32 s3, s3, s6
	s_mul_hi_u32 s3, s20, s3
	s_mul_i32 s6, s3, s14
	s_add_i32 s7, s3, 1
	s_sub_i32 s6, s20, s6
	s_sub_i32 s11, s6, s14
	s_cmp_ge_u32 s6, s14
	s_cselect_b32 s3, s7, s3
	s_cselect_b32 s6, s11, s6
	s_add_i32 s7, s3, 1
	s_cmp_ge_u32 s6, s14
	s_cselect_b32 s22, s7, s3
	s_load_dwordx2 s[6:7], s[4:5], 0x1e0
	v_cmp_lt_u64_e64 s3, s[22:23], s[12:13]
	s_and_b32 vcc_lo, exec_lo, s3
	s_cbranch_vccnz .LBB184_3
.LBB184_16:
	v_cvt_f32_u32_e32 v1, s12
	s_sub_i32 s10, 0, s12
	v_rcp_iflag_f32_e32 v1, v1
	v_mul_f32_e32 v1, 0x4f7ffffe, v1
	v_cvt_u32_f32_e32 v1, v1
	v_readfirstlane_b32 s3, v1
	s_mul_i32 s10, s10, s3
	s_mul_hi_u32 s10, s3, s10
	s_add_i32 s3, s3, s10
	s_mul_hi_u32 s3, s22, s3
	s_mul_i32 s10, s3, s12
	s_add_i32 s11, s3, 1
	s_sub_i32 s10, s22, s10
	s_sub_i32 s16, s10, s12
	s_cmp_ge_u32 s10, s12
	s_cselect_b32 s3, s11, s3
	s_cselect_b32 s10, s16, s10
	s_add_i32 s11, s3, 1
	s_cmp_ge_u32 s10, s12
	s_cselect_b32 s10, s11, s3
	v_cmp_gt_u32_e32 vcc_lo, 0x100, v0
	v_lshlrev_b32_e32 v3, 2, v0
	s_and_saveexec_b32 s3, vcc_lo
	s_cbranch_execnz .LBB184_4
	s_branch .LBB184_5
.LBB184_17:
	s_lshl_b32 s21, s14, 8
.LBB184_18:
	s_bitcmp0_b32 s1, 0
	s_cbranch_scc1 .LBB184_23
; %bb.19:
	v_add_nc_u32_e32 v1, s21, v4
	s_mov_b32 s1, exec_lo
	v_cmpx_gt_u32_e64 s11, v1
	s_cbranch_execz .LBB184_22
; %bb.20:
	v_mad_u64_u32 v[4:5], null, s4, v1, 0
	v_mov_b32_e32 v2, v5
	v_mad_u64_u32 v[1:2], null, s5, v1, v[2:3]
	v_mov_b32_e32 v5, v1
	v_lshlrev_b64 v[1:2], 3, v[4:5]
	v_add_co_u32 v1, s0, s12, v1
	v_add_co_ci_u32_e64 v2, null, s13, v2, s0
	global_load_dwordx2 v[1:2], v[1:2], off
	s_waitcnt vmcnt(0)
	v_cmp_o_f64_e64 s0, v[1:2], v[1:2]
	v_ashrrev_i32_e32 v4, 31, v2
	v_or_b32_e32 v5, 0x80000000, v4
	v_xor_b32_e32 v1, v4, v1
	v_xor_b32_e32 v5, v5, v2
	v_cndmask_b32_e64 v2, -1, v5, s0
	v_cndmask_b32_e64 v1, -1, v1, s0
	v_xor_b32_e32 v4, s3, v2
	v_xor_b32_e32 v6, s2, v1
	v_and_b32_e32 v5, s9, v4
	v_and_b32_e32 v4, s8, v6
	v_cmp_eq_u64_e64 s0, 0, v[4:5]
	s_and_b32 exec_lo, exec_lo, s0
	s_cbranch_execz .LBB184_22
; %bb.21:
	v_lshrrev_b64 v[1:2], s10, v[1:2]
	v_mov_b32_e32 v2, 2
	v_lshlrev_b32_sdwa v1, v2, v1 dst_sel:DWORD dst_unused:UNUSED_PAD src0_sel:DWORD src1_sel:BYTE_0
	v_mov_b32_e32 v2, 1
	ds_add_u32 v1, v2
.LBB184_22:
	s_or_b32 exec_lo, exec_lo, s1
.LBB184_23:
	s_waitcnt lgkmcnt(0)
	s_barrier
	buffer_gl0_inv
	s_and_saveexec_b32 s0, vcc_lo
	s_cbranch_execz .LBB184_25
; %bb.24:
	ds_read_b32 v2, v3
	v_lshl_or_b32 v0, s26, 8, v0
	v_mov_b32_e32 v1, 0
	v_lshlrev_b64 v[0:1], 1, v[0:1]
	v_add_co_u32 v0, vcc_lo, s6, v0
	v_add_co_ci_u32_e64 v1, null, s7, v1, vcc_lo
	s_waitcnt lgkmcnt(0)
	global_store_short v[0:1], v2, off
.LBB184_25:
	s_endpgm
	.section	.rodata,"a",@progbits
	.p2align	6, 0x0
	.amdhsa_kernel _ZN2at6native6mbtopk23computeBlockDigitCountsIdmmLi3EEEvNS_4cuda6detail10TensorInfoIKT_T0_EEjPjjS8_iijT1_PSB_Ps
		.amdhsa_group_segment_fixed_size 1024
		.amdhsa_private_segment_fixed_size 0
		.amdhsa_kernarg_size 744
		.amdhsa_user_sgpr_count 6
		.amdhsa_user_sgpr_private_segment_buffer 1
		.amdhsa_user_sgpr_dispatch_ptr 0
		.amdhsa_user_sgpr_queue_ptr 0
		.amdhsa_user_sgpr_kernarg_segment_ptr 1
		.amdhsa_user_sgpr_dispatch_id 0
		.amdhsa_user_sgpr_flat_scratch_init 0
		.amdhsa_user_sgpr_private_segment_size 0
		.amdhsa_wavefront_size32 1
		.amdhsa_uses_dynamic_stack 0
		.amdhsa_system_sgpr_private_segment_wavefront_offset 0
		.amdhsa_system_sgpr_workgroup_id_x 1
		.amdhsa_system_sgpr_workgroup_id_y 1
		.amdhsa_system_sgpr_workgroup_id_z 1
		.amdhsa_system_sgpr_workgroup_info 0
		.amdhsa_system_vgpr_workitem_id 0
		.amdhsa_next_free_vgpr 11
		.amdhsa_next_free_sgpr 34
		.amdhsa_reserve_vcc 1
		.amdhsa_reserve_flat_scratch 0
		.amdhsa_float_round_mode_32 0
		.amdhsa_float_round_mode_16_64 0
		.amdhsa_float_denorm_mode_32 3
		.amdhsa_float_denorm_mode_16_64 3
		.amdhsa_dx10_clamp 1
		.amdhsa_ieee_mode 1
		.amdhsa_fp16_overflow 0
		.amdhsa_workgroup_processor_mode 1
		.amdhsa_memory_ordered 1
		.amdhsa_forward_progress 1
		.amdhsa_shared_vgpr_count 0
		.amdhsa_exception_fp_ieee_invalid_op 0
		.amdhsa_exception_fp_denorm_src 0
		.amdhsa_exception_fp_ieee_div_zero 0
		.amdhsa_exception_fp_ieee_overflow 0
		.amdhsa_exception_fp_ieee_underflow 0
		.amdhsa_exception_fp_ieee_inexact 0
		.amdhsa_exception_int_div_zero 0
	.end_amdhsa_kernel
	.section	.text._ZN2at6native6mbtopk23computeBlockDigitCountsIdmmLi3EEEvNS_4cuda6detail10TensorInfoIKT_T0_EEjPjjS8_iijT1_PSB_Ps,"axG",@progbits,_ZN2at6native6mbtopk23computeBlockDigitCountsIdmmLi3EEEvNS_4cuda6detail10TensorInfoIKT_T0_EEjPjjS8_iijT1_PSB_Ps,comdat
.Lfunc_end184:
	.size	_ZN2at6native6mbtopk23computeBlockDigitCountsIdmmLi3EEEvNS_4cuda6detail10TensorInfoIKT_T0_EEjPjjS8_iijT1_PSB_Ps, .Lfunc_end184-_ZN2at6native6mbtopk23computeBlockDigitCountsIdmmLi3EEEvNS_4cuda6detail10TensorInfoIKT_T0_EEjPjjS8_iijT1_PSB_Ps
                                        ; -- End function
	.set _ZN2at6native6mbtopk23computeBlockDigitCountsIdmmLi3EEEvNS_4cuda6detail10TensorInfoIKT_T0_EEjPjjS8_iijT1_PSB_Ps.num_vgpr, 11
	.set _ZN2at6native6mbtopk23computeBlockDigitCountsIdmmLi3EEEvNS_4cuda6detail10TensorInfoIKT_T0_EEjPjjS8_iijT1_PSB_Ps.num_agpr, 0
	.set _ZN2at6native6mbtopk23computeBlockDigitCountsIdmmLi3EEEvNS_4cuda6detail10TensorInfoIKT_T0_EEjPjjS8_iijT1_PSB_Ps.numbered_sgpr, 34
	.set _ZN2at6native6mbtopk23computeBlockDigitCountsIdmmLi3EEEvNS_4cuda6detail10TensorInfoIKT_T0_EEjPjjS8_iijT1_PSB_Ps.num_named_barrier, 0
	.set _ZN2at6native6mbtopk23computeBlockDigitCountsIdmmLi3EEEvNS_4cuda6detail10TensorInfoIKT_T0_EEjPjjS8_iijT1_PSB_Ps.private_seg_size, 0
	.set _ZN2at6native6mbtopk23computeBlockDigitCountsIdmmLi3EEEvNS_4cuda6detail10TensorInfoIKT_T0_EEjPjjS8_iijT1_PSB_Ps.uses_vcc, 1
	.set _ZN2at6native6mbtopk23computeBlockDigitCountsIdmmLi3EEEvNS_4cuda6detail10TensorInfoIKT_T0_EEjPjjS8_iijT1_PSB_Ps.uses_flat_scratch, 0
	.set _ZN2at6native6mbtopk23computeBlockDigitCountsIdmmLi3EEEvNS_4cuda6detail10TensorInfoIKT_T0_EEjPjjS8_iijT1_PSB_Ps.has_dyn_sized_stack, 0
	.set _ZN2at6native6mbtopk23computeBlockDigitCountsIdmmLi3EEEvNS_4cuda6detail10TensorInfoIKT_T0_EEjPjjS8_iijT1_PSB_Ps.has_recursion, 0
	.set _ZN2at6native6mbtopk23computeBlockDigitCountsIdmmLi3EEEvNS_4cuda6detail10TensorInfoIKT_T0_EEjPjjS8_iijT1_PSB_Ps.has_indirect_call, 0
	.section	.AMDGPU.csdata,"",@progbits
; Kernel info:
; codeLenInByte = 1476
; TotalNumSgprs: 36
; NumVgprs: 11
; ScratchSize: 0
; MemoryBound: 0
; FloatMode: 240
; IeeeMode: 1
; LDSByteSize: 1024 bytes/workgroup (compile time only)
; SGPRBlocks: 0
; VGPRBlocks: 1
; NumSGPRsForWavesPerEU: 36
; NumVGPRsForWavesPerEU: 11
; Occupancy: 16
; WaveLimiterHint : 1
; COMPUTE_PGM_RSRC2:SCRATCH_EN: 0
; COMPUTE_PGM_RSRC2:USER_SGPR: 6
; COMPUTE_PGM_RSRC2:TRAP_HANDLER: 0
; COMPUTE_PGM_RSRC2:TGID_X_EN: 1
; COMPUTE_PGM_RSRC2:TGID_Y_EN: 1
; COMPUTE_PGM_RSRC2:TGID_Z_EN: 1
; COMPUTE_PGM_RSRC2:TIDIG_COMP_CNT: 0
	.section	.text._ZN2at6native6mbtopk10gatherTopKIdmLi3EEEvNS_4cuda6detail10TensorInfoIKT_T0_EES8_S8_bjS8_NS5_IS6_S8_EES8_NS5_IlS8_EES8_jjPS6_PjSD_j,"axG",@progbits,_ZN2at6native6mbtopk10gatherTopKIdmLi3EEEvNS_4cuda6detail10TensorInfoIKT_T0_EES8_S8_bjS8_NS5_IS6_S8_EES8_NS5_IlS8_EES8_jjPS6_PjSD_j,comdat
	.protected	_ZN2at6native6mbtopk10gatherTopKIdmLi3EEEvNS_4cuda6detail10TensorInfoIKT_T0_EES8_S8_bjS8_NS5_IS6_S8_EES8_NS5_IlS8_EES8_jjPS6_PjSD_j ; -- Begin function _ZN2at6native6mbtopk10gatherTopKIdmLi3EEEvNS_4cuda6detail10TensorInfoIKT_T0_EES8_S8_bjS8_NS5_IS6_S8_EES8_NS5_IlS8_EES8_jjPS6_PjSD_j
	.globl	_ZN2at6native6mbtopk10gatherTopKIdmLi3EEEvNS_4cuda6detail10TensorInfoIKT_T0_EES8_S8_bjS8_NS5_IS6_S8_EES8_NS5_IlS8_EES8_jjPS6_PjSD_j
	.p2align	8
	.type	_ZN2at6native6mbtopk10gatherTopKIdmLi3EEEvNS_4cuda6detail10TensorInfoIKT_T0_EES8_S8_bjS8_NS5_IS6_S8_EES8_NS5_IlS8_EES8_jjPS6_PjSD_j,@function
_ZN2at6native6mbtopk10gatherTopKIdmLi3EEEvNS_4cuda6detail10TensorInfoIKT_T0_EES8_S8_bjS8_NS5_IS6_S8_EES8_NS5_IlS8_EES8_jjPS6_PjSD_j: ; @_ZN2at6native6mbtopk10gatherTopKIdmLi3EEEvNS_4cuda6detail10TensorInfoIKT_T0_EES8_S8_bjS8_NS5_IS6_S8_EES8_NS5_IlS8_EES8_jjPS6_PjSD_j
; %bb.0:
	s_clause 0x1
	s_load_dwordx2 s[0:1], s[4:5], 0x538
	s_load_dword s2, s[4:5], 0x530
	s_waitcnt lgkmcnt(0)
	s_mul_i32 s1, s1, s8
	s_add_i32 s1, s1, s7
	s_mul_i32 s0, s1, s0
	s_add_i32 s0, s0, s6
	s_cmp_ge_u32 s0, s2
	s_cbranch_scc1 .LBB185_54
; %bb.1:
	s_clause 0x2
	s_load_dwordx2 s[6:7], s[4:5], 0x510
	s_load_dwordx4 s[8:11], s[4:5], 0x1a0
	s_load_dwordx4 s[12:15], s[4:5], 0x10
	s_mov_b32 s35, 0
	s_waitcnt lgkmcnt(0)
	v_cvt_f32_u32_e32 v1, s7
	s_sub_i32 s2, 0, s7
	s_lshl_b32 s33, s6, 8
	v_rcp_iflag_f32_e32 v1, v1
	v_mul_f32_e32 v1, 0x4f7ffffe, v1
	v_cvt_u32_f32_e32 v1, v1
	v_readfirstlane_b32 s1, v1
	s_mul_i32 s2, s2, s1
	s_mul_hi_u32 s2, s1, s2
	s_add_i32 s1, s1, s2
	s_mul_hi_u32 s1, s0, s1
	s_mul_i32 s2, s1, s7
	s_add_i32 s3, s1, 1
	s_sub_i32 s2, s0, s2
	s_sub_i32 s16, s2, s7
	s_cmp_ge_u32 s2, s7
	s_cselect_b32 s1, s3, s1
	s_cselect_b32 s2, s16, s2
	s_add_i32 s3, s1, 1
	s_cmp_ge_u32 s2, s7
	s_cselect_b32 s34, s3, s1
	s_mul_i32 s20, s34, s7
	s_sub_i32 s74, s0, s20
	s_add_i32 s0, s74, 1
	s_cmp_lt_u32 s0, s7
	s_cbranch_scc1 .LBB185_3
; %bb.2:
	s_mul_i32 s0, s74, s33
	s_sub_u32 s0, s8, s0
	s_subb_u32 s1, s9, 0
	s_add_u32 s0, s0, 0xff
	s_addc_u32 s1, s1, 0
	s_ashr_i32 s2, s1, 31
	s_lshr_b32 s2, s2, 24
	s_add_u32 s0, s0, s2
	s_addc_u32 s1, s1, 0
	s_lshr_b64 s[0:1], s[0:1], 8
	s_mov_b32 s6, s0
.LBB185_3:
	v_cmp_lt_u64_e64 s0, s[34:35], s[14:15]
	s_mov_b64 s[48:49], 0
	s_mov_b64 s[50:51], 0
	s_and_b32 vcc_lo, exec_lo, s0
	s_cbranch_vccnz .LBB185_5
; %bb.4:
	v_cvt_f32_u32_e32 v1, s14
	s_sub_i32 s1, 0, s14
	s_mov_b32 s51, 0
	v_rcp_iflag_f32_e32 v1, v1
	v_mul_f32_e32 v1, 0x4f7ffffe, v1
	v_cvt_u32_f32_e32 v1, v1
	v_readfirstlane_b32 s0, v1
	s_mul_i32 s1, s1, s0
	s_mul_hi_u32 s1, s0, s1
	s_add_i32 s0, s0, s1
	s_mul_hi_u32 s0, s34, s0
	s_mul_i32 s1, s0, s14
	s_add_i32 s2, s0, 1
	s_sub_i32 s1, s34, s1
	s_sub_i32 s3, s1, s14
	s_cmp_ge_u32 s1, s14
	s_cselect_b32 s0, s2, s0
	s_cselect_b32 s1, s3, s1
	s_add_i32 s2, s0, 1
	s_cmp_ge_u32 s1, s14
	s_cselect_b32 s50, s2, s0
.LBB185_5:
	s_load_dwordx4 s[24:27], s[4:5], 0x1d0
	v_cmp_lt_u64_e64 s0, s[50:51], s[12:13]
	s_and_b32 vcc_lo, exec_lo, s0
	s_cbranch_vccnz .LBB185_7
; %bb.6:
	v_cvt_f32_u32_e32 v1, s12
	s_sub_i32 s1, 0, s12
	v_rcp_iflag_f32_e32 v1, v1
	v_mul_f32_e32 v1, 0x4f7ffffe, v1
	v_cvt_u32_f32_e32 v1, v1
	v_readfirstlane_b32 s0, v1
	s_mul_i32 s1, s1, s0
	s_mul_hi_u32 s1, s0, s1
	s_add_i32 s0, s0, s1
	s_mul_hi_u32 s0, s50, s0
	s_mul_i32 s1, s0, s12
	s_add_i32 s2, s0, 1
	s_sub_i32 s1, s50, s1
	s_sub_i32 s3, s1, s12
	s_cmp_ge_u32 s1, s12
	s_cselect_b32 s0, s2, s0
	s_cselect_b32 s1, s3, s1
	s_add_i32 s2, s0, 1
	s_cmp_ge_u32 s1, s12
	s_cselect_b32 s48, s2, s0
.LBB185_7:
	s_waitcnt lgkmcnt(0)
	v_cmp_lt_u64_e64 s0, s[34:35], s[26:27]
	s_mov_b64 s[52:53], 0
	s_mov_b64 s[60:61], 0
	s_and_b32 vcc_lo, exec_lo, s0
	s_cbranch_vccnz .LBB185_9
; %bb.8:
	v_cvt_f32_u32_e32 v1, s26
	s_sub_i32 s1, 0, s26
	s_mov_b32 s61, 0
	v_rcp_iflag_f32_e32 v1, v1
	v_mul_f32_e32 v1, 0x4f7ffffe, v1
	v_cvt_u32_f32_e32 v1, v1
	v_readfirstlane_b32 s0, v1
	s_mul_i32 s1, s1, s0
	s_mul_hi_u32 s1, s0, s1
	s_add_i32 s0, s0, s1
	s_mul_hi_u32 s0, s34, s0
	s_mul_i32 s1, s0, s26
	s_add_i32 s2, s0, 1
	s_sub_i32 s1, s34, s1
	s_sub_i32 s3, s1, s26
	s_cmp_ge_u32 s1, s26
	s_cselect_b32 s0, s2, s0
	s_cselect_b32 s1, s3, s1
	s_add_i32 s2, s0, 1
	s_cmp_ge_u32 s1, s26
	s_cselect_b32 s60, s2, s0
.LBB185_9:
	s_load_dwordx4 s[28:31], s[4:5], 0x378
	v_cmp_lt_u64_e64 s0, s[60:61], s[24:25]
	s_and_b32 vcc_lo, exec_lo, s0
	s_cbranch_vccnz .LBB185_11
; %bb.10:
	v_cvt_f32_u32_e32 v1, s24
	s_sub_i32 s1, 0, s24
	v_rcp_iflag_f32_e32 v1, v1
	v_mul_f32_e32 v1, 0x4f7ffffe, v1
	v_cvt_u32_f32_e32 v1, v1
	v_readfirstlane_b32 s0, v1
	s_mul_i32 s1, s1, s0
	s_mul_hi_u32 s1, s0, s1
	s_add_i32 s0, s0, s1
	s_mul_hi_u32 s0, s60, s0
	s_mul_i32 s1, s0, s24
	s_add_i32 s2, s0, 1
	s_sub_i32 s1, s60, s1
	s_sub_i32 s3, s1, s24
	s_cmp_ge_u32 s1, s24
	s_cselect_b32 s0, s2, s0
	s_cselect_b32 s1, s3, s1
	s_add_i32 s2, s0, 1
	s_cmp_ge_u32 s1, s24
	s_cselect_b32 s52, s2, s0
.LBB185_11:
	s_waitcnt lgkmcnt(0)
	v_cmp_lt_u64_e64 s0, s[34:35], s[30:31]
	s_mov_b64 s[54:55], 0
	s_mov_b64 s[64:65], 0
	s_and_b32 vcc_lo, exec_lo, s0
	s_cbranch_vccnz .LBB185_13
; %bb.12:
	v_cvt_f32_u32_e32 v1, s30
	s_sub_i32 s1, 0, s30
	s_mov_b32 s65, 0
	v_rcp_iflag_f32_e32 v1, v1
	v_mul_f32_e32 v1, 0x4f7ffffe, v1
	v_cvt_u32_f32_e32 v1, v1
	v_readfirstlane_b32 s0, v1
	s_mul_i32 s1, s1, s0
	s_mul_hi_u32 s1, s0, s1
	s_add_i32 s0, s0, s1
	s_mul_hi_u32 s0, s34, s0
	s_mul_i32 s1, s0, s30
	s_add_i32 s2, s0, 1
	s_sub_i32 s1, s34, s1
	s_sub_i32 s3, s1, s30
	s_cmp_ge_u32 s1, s30
	s_cselect_b32 s0, s2, s0
	s_cselect_b32 s1, s3, s1
	s_add_i32 s2, s0, 1
	s_cmp_ge_u32 s1, s30
	s_cselect_b32 s64, s2, s0
.LBB185_13:
	s_clause 0x5
	s_load_dwordx2 s[62:63], s[4:5], 0xe0
	s_load_dwordx4 s[44:47], s[4:5], 0xd0
	s_load_dwordx2 s[58:59], s[4:5], 0x2a0
	s_load_dwordx4 s[40:43], s[4:5], 0x290
	;; [unrolled: 2-line block ×3, first 2 shown]
	v_cmp_lt_u64_e64 s0, s[64:65], s[28:29]
	s_and_b32 vcc_lo, exec_lo, s0
	s_cbranch_vccnz .LBB185_15
; %bb.14:
	v_cvt_f32_u32_e32 v1, s28
	s_sub_i32 s1, 0, s28
	v_rcp_iflag_f32_e32 v1, v1
	v_mul_f32_e32 v1, 0x4f7ffffe, v1
	v_cvt_u32_f32_e32 v1, v1
	v_readfirstlane_b32 s0, v1
	s_mul_i32 s1, s1, s0
	s_mul_hi_u32 s1, s0, s1
	s_add_i32 s0, s0, s1
	s_mul_hi_u32 s0, s64, s0
	s_mul_i32 s1, s0, s28
	s_add_i32 s2, s0, 1
	s_sub_i32 s1, s64, s1
	s_sub_i32 s3, s1, s28
	s_cmp_ge_u32 s1, s28
	s_cselect_b32 s0, s2, s0
	s_cselect_b32 s1, s3, s1
	s_add_i32 s2, s0, 1
	s_cmp_ge_u32 s1, s28
	s_cselect_b32 s54, s2, s0
.LBB185_15:
	s_load_dwordx4 s[0:3], s[4:5], 0x518
	s_lshl_b64 s[16:17], s[34:35], 3
	s_mov_b32 s21, 0
	s_waitcnt lgkmcnt(0)
	s_add_u32 s0, s0, s16
	s_addc_u32 s1, s1, s17
	s_load_dwordx2 s[68:69], s[4:5], 0x0
	s_load_dwordx2 s[56:57], s[0:1], 0x0
	v_cmp_ne_u32_e64 s0, 0, v0
	v_cmp_eq_u32_e64 s1, 0, v0
	s_and_saveexec_b32 s35, s1
	s_cbranch_execz .LBB185_31
; %bb.16:
	s_load_dwordx2 s[22:23], s[4:5], 0x528
	s_lshl_b64 s[70:71], s[20:21], 2
	s_mov_b32 s20, 0
	s_add_u32 s16, s2, s70
	s_addc_u32 s17, s3, s71
	s_mov_b32 s49, 0
	s_waitcnt lgkmcnt(0)
	s_add_u32 s18, s22, s70
	s_addc_u32 s19, s23, s71
	s_cmp_lt_u32 s7, 4
	s_cbranch_scc1 .LBB185_28
; %bb.17:
	s_mov_b32 s53, 0
.LBB185_18:                             ; =>This Inner Loop Header: Depth=1
	s_add_u32 s16, s2, s70
	s_addc_u32 s17, s3, s71
	s_add_u32 s72, s22, s70
	s_load_dwordx4 s[16:19], s[16:17], 0x0
	s_addc_u32 s73, s23, s71
	s_cmp_ge_u32 s53, s74
	s_cbranch_scc0 .LBB185_25
; %bb.19:                               ;   in Loop: Header=BB185_18 Depth=1
	s_add_i32 s55, s53, 1
	s_cmp_ge_u32 s55, s74
	s_cbranch_scc0 .LBB185_26
.LBB185_20:                             ;   in Loop: Header=BB185_18 Depth=1
	s_add_i32 s55, s55, 1
	s_cmp_ge_u32 s55, s74
	s_cbranch_scc0 .LBB185_27
.LBB185_21:                             ;   in Loop: Header=BB185_18 Depth=1
	s_add_i32 s55, s55, 1
	s_cmp_ge_u32 s55, s74
	s_cbranch_scc1 .LBB185_23
.LBB185_22:                             ;   in Loop: Header=BB185_18 Depth=1
	s_load_dword s72, s[72:73], 0xc
	s_waitcnt lgkmcnt(0)
	s_add_i32 s21, s21, s19
	s_add_i32 s20, s72, s20
.LBB185_23:                             ;   in Loop: Header=BB185_18 Depth=1
	s_waitcnt lgkmcnt(0)
	s_add_i32 s16, s16, s49
	s_add_i32 s16, s16, s17
	;; [unrolled: 1-line block ×4, first 2 shown]
	s_add_u32 s2, s2, 16
	s_addc_u32 s3, s3, 0
	s_add_u32 s22, s22, 16
	s_addc_u32 s23, s23, 0
	s_add_i32 s72, s55, 4
	s_add_u32 s18, s22, s70
	s_addc_u32 s19, s23, s71
	s_add_u32 s16, s2, s70
	s_addc_u32 s17, s3, s71
	s_add_i32 s55, s55, 1
	s_cmp_ge_u32 s72, s7
	s_cbranch_scc1 .LBB185_29
; %bb.24:                               ;   in Loop: Header=BB185_18 Depth=1
	s_mov_b32 s53, s55
	s_branch .LBB185_18
.LBB185_25:                             ;   in Loop: Header=BB185_18 Depth=1
	s_load_dword s55, s[72:73], 0x0
	s_waitcnt lgkmcnt(0)
	s_add_i32 s21, s16, s21
	s_add_i32 s20, s55, s20
	;; [unrolled: 1-line block ×3, first 2 shown]
	s_cmp_ge_u32 s55, s74
	s_cbranch_scc1 .LBB185_20
.LBB185_26:                             ;   in Loop: Header=BB185_18 Depth=1
	s_load_dword s75, s[72:73], 0x4
	s_waitcnt lgkmcnt(0)
	s_add_i32 s21, s21, s17
	s_add_i32 s20, s75, s20
	;; [unrolled: 1-line block ×3, first 2 shown]
	s_cmp_ge_u32 s55, s74
	s_cbranch_scc1 .LBB185_21
.LBB185_27:                             ;   in Loop: Header=BB185_18 Depth=1
	s_load_dword s75, s[72:73], 0x8
	s_waitcnt lgkmcnt(0)
	s_add_i32 s21, s21, s18
	s_add_i32 s20, s75, s20
	;; [unrolled: 1-line block ×3, first 2 shown]
	s_cmp_ge_u32 s55, s74
	s_cbranch_scc0 .LBB185_22
	s_branch .LBB185_23
.LBB185_28:
	s_mov_b32 s2, 0
	s_cmp_ge_u32 s2, s7
	s_cbranch_scc0 .LBB185_52
	s_branch .LBB185_30
.LBB185_29:
	s_add_i32 s2, s53, 4
	s_cmp_ge_u32 s2, s7
	s_cbranch_scc0 .LBB185_52
.LBB185_30:
	v_mov_b32_e32 v1, s20
	v_mov_b32_e32 v2, s49
	;; [unrolled: 1-line block ×4, first 2 shown]
	ds_write_b96 v4, v[1:3] offset:1056
.LBB185_31:
	s_or_b32 exec_lo, exec_lo, s35
	s_clause 0x1
	s_load_dwordx4 s[16:19], s[4:5], 0x1b8
	s_load_dwordx4 s[20:23], s[4:5], 0x360
	s_cmp_eq_u32 s6, 0
	s_waitcnt lgkmcnt(0)
	s_barrier
	buffer_gl0_inv
	s_cbranch_scc1 .LBB185_54
; %bb.32:
	s_mul_i32 s2, s64, s31
	s_mul_hi_u32 s3, s64, s30
	s_mul_i32 s7, s64, s30
	s_add_i32 s3, s3, s2
	s_sub_u32 s2, s34, s7
	s_subb_u32 s3, 0, s3
	s_mul_i32 s7, s2, s67
	s_mul_hi_u32 s30, s2, s66
	s_mul_i32 s3, s3, s66
	s_add_i32 s7, s30, s7
	s_mul_hi_u32 s31, s52, s40
	s_add_i32 s3, s7, s3
	s_mul_i32 s7, s52, s25
	s_mul_hi_u32 s25, s52, s24
	s_mul_i32 s24, s52, s24
	s_add_i32 s25, s25, s7
	s_sub_u32 s24, s60, s24
	s_subb_u32 s25, s61, s25
	s_mul_i32 s7, s24, s43
	s_mul_hi_u32 s30, s24, s42
	s_mul_i32 s25, s25, s42
	s_add_i32 s7, s30, s7
	s_mul_i32 s30, s52, s41
	s_add_i32 s25, s7, s25
	s_mul_i32 s7, s60, s27
	s_mul_hi_u32 s27, s60, s26
	s_mul_i32 s26, s60, s26
	s_add_i32 s31, s31, s30
	s_add_i32 s27, s27, s7
	s_sub_u32 s26, s34, s26
	s_subb_u32 s27, 0, s27
	s_mul_i32 s7, s26, s59
	s_mul_hi_u32 s30, s26, s58
	s_mul_i32 s27, s27, s58
	s_add_i32 s7, s30, s7
	s_mul_hi_u32 s35, s48, s44
	s_add_i32 s27, s7, s27
	s_mul_i32 s7, s48, s13
	s_mul_hi_u32 s13, s48, s12
	s_mul_i32 s12, s48, s12
	s_add_i32 s13, s13, s7
	s_sub_u32 s7, s50, s12
	s_subb_u32 s13, s51, s13
	s_mul_i32 s12, s7, s47
	s_mul_hi_u32 s30, s7, s46
	s_mul_i32 s13, s13, s46
	s_add_i32 s12, s30, s12
	s_mul_i32 s30, s48, s45
	s_add_i32 s13, s12, s13
	s_mul_i32 s12, s50, s15
	s_mul_hi_u32 s15, s50, s14
	s_mul_i32 s14, s50, s14
	s_add_i32 s35, s35, s30
	s_add_i32 s15, s15, s12
	s_sub_u32 s14, s34, s14
	s_subb_u32 s15, 0, s15
	s_mul_i32 s12, s14, s63
	s_mul_hi_u32 s30, s14, s62
	s_mul_i32 s15, s15, s62
	s_add_i32 s12, s30, s12
	s_mul_i32 s34, s48, s44
	s_add_i32 s15, s12, s15
	s_mul_i32 s12, s54, s29
	s_mul_hi_u32 s29, s54, s28
	s_mul_i32 s28, s54, s28
	s_add_i32 s29, s29, s12
	s_sub_u32 s28, s64, s28
	s_mul_i32 s12, s7, s46
	s_mul_i32 s7, s28, s39
	s_mul_hi_u32 s30, s28, s38
	s_subb_u32 s29, s65, s29
	s_add_i32 s7, s30, s7
	s_mul_i32 s29, s29, s38
	s_mul_hi_u32 s30, s54, s36
	s_add_i32 s29, s7, s29
	s_mul_i32 s7, s54, s37
	s_lshl_b64 s[34:35], s[34:35], 3
	s_add_i32 s37, s30, s7
	s_add_u32 s7, s68, s34
	s_addc_u32 s30, s69, s35
	s_lshl_b64 s[12:13], s[12:13], 3
	s_mul_i32 s14, s14, s62
	s_add_u32 s7, s7, s12
	s_addc_u32 s34, s30, s13
	s_lshl_b64 s[12:13], s[14:15], 3
	s_mul_i32 s30, s52, s40
	;; [unrolled: 4-line block ×3, first 2 shown]
	s_add_u32 s15, s18, s12
	s_addc_u32 s18, s19, s13
	s_lshl_b64 s[12:13], s[24:25], 3
	v_cmp_o_f64_e64 s24, s[56:57], s[56:57]
	s_mul_i32 s26, s26, s58
	s_add_u32 s15, s15, s12
	v_mov_b32_e32 v5, 0
	s_addc_u32 s18, s18, s13
	s_lshl_b64 s[12:13], s[26:27], 3
	s_mul_i32 s36, s54, s36
	s_add_u32 s15, s15, s12
	s_addc_u32 s18, s18, s13
	s_lshl_b64 s[12:13], s[36:37], 3
	s_mul_i32 s28, s28, s38
	ds_read_b96 v[1:3], v5 offset:1056
	s_add_u32 s19, s22, s12
	s_addc_u32 s22, s23, s13
	s_lshl_b64 s[12:13], s[28:29], 3
	s_mul_i32 s2, s2, s66
	s_add_u32 s12, s19, s12
	s_addc_u32 s13, s22, s13
	s_lshl_b64 s[2:3], s[2:3], 3
	v_add_nc_u32_e32 v4, -1, v0
	s_add_u32 s19, s12, s2
	s_addc_u32 s22, s13, s3
	s_ashr_i32 s2, s57, 31
	v_lshrrev_b32_e32 v6, 3, v0
	s_or_b32 s3, s2, 0x80000000
	v_lshrrev_b32_e32 v7, 3, v4
	s_xor_b64 s[2:3], s[2:3], s[56:57]
	s_and_b32 s12, s24, exec_lo
	s_cselect_b32 s13, s3, -1
	s_clause 0x1
	s_load_dword s3, s[4:5], 0x1b0
	s_load_dwordx2 s[4:5], s[4:5], 0x508
	s_waitcnt lgkmcnt(0)
	v_add_nc_u32_e32 v1, v1, v2
	v_and_b32_e32 v2, 28, v6
	v_and_b32_e32 v12, 0x1ffffffc, v7
	;; [unrolled: 1-line block ×3, first 2 shown]
	v_lshlrev_b32_e32 v9, 5, v0
	v_mad_u64_u32 v[6:7], null, s74, s33, v[0:1]
	v_mbcnt_lo_u32_b32 v10, -1, 0
	s_cselect_b32 s12, s2, -1
	v_lshl_add_u32 v11, v0, 2, v2
	v_cmp_gt_u32_e64 s2, 32, v0
	v_lshl_add_u32 v0, v4, 2, v12
	v_add_nc_u32_e32 v12, v8, v9
	v_and_b32_e32 v13, 15, v10
	v_bfe_i32 v14, v10, 4, 1
	v_add_nc_u32_e32 v15, -1, v10
	v_mov_b32_e32 v4, v6
                                        ; implicit-def: $vgpr6_vgpr7
	s_bitcmp1_b32 s3, 0
	s_cselect_b32 s3, -1, 0
	s_branch .LBB185_35
.LBB185_33:                             ;   in Loop: Header=BB185_35 Depth=1
	s_or_b32 exec_lo, exec_lo, s23
	v_add_nc_u32_e32 v1, v2, v1
.LBB185_34:                             ;   in Loop: Header=BB185_35 Depth=1
	v_add_nc_u32_e32 v3, v16, v3
	v_add_nc_u32_e32 v4, 0x100, v4
	s_add_i32 s6, s6, -1
	s_cmp_lg_u32 s6, 0
	s_cbranch_scc0 .LBB185_54
.LBB185_35:                             ; =>This Inner Loop Header: Depth=1
	v_mov_b32_e32 v2, v5
	v_mov_b32_e32 v8, v5
	s_mov_b32 s23, exec_lo
	v_cmpx_gt_u64_e64 s[8:9], v[4:5]
	s_cbranch_execz .LBB185_37
; %bb.36:                               ;   in Loop: Header=BB185_35 Depth=1
	v_mad_u64_u32 v[6:7], null, s16, v4, 0
	v_mov_b32_e32 v2, v7
	v_mad_u64_u32 v[7:8], null, s17, v4, v[2:3]
	v_lshlrev_b64 v[6:7], 3, v[6:7]
	v_add_co_u32 v6, vcc_lo, s7, v6
	v_add_co_ci_u32_e64 v7, null, s14, v7, vcc_lo
	global_load_dwordx2 v[6:7], v[6:7], off
	s_waitcnt vmcnt(0)
	v_cmp_o_f64_e32 vcc_lo, v[6:7], v[6:7]
	v_ashrrev_i32_e32 v2, 31, v7
	v_or_b32_e32 v8, 0x80000000, v2
	v_xor_b32_e32 v2, v2, v6
	v_xor_b32_e32 v8, v8, v7
	v_cndmask_b32_e32 v9, -1, v8, vcc_lo
	v_cndmask_b32_e32 v8, -1, v2, vcc_lo
	v_cmp_lt_u64_e32 vcc_lo, s[12:13], v[8:9]
	v_cndmask_b32_e64 v2, 0, 1, vcc_lo
	v_cmp_gt_u64_e32 vcc_lo, s[12:13], v[8:9]
	v_cndmask_b32_e64 v16, 0, 1, vcc_lo
	v_cmp_eq_u64_e32 vcc_lo, s[12:13], v[8:9]
	v_cndmask_b32_e64 v2, v16, v2, s3
	v_cndmask_b32_e64 v8, 0, 1, vcc_lo
	v_and_b32_e32 v2, 1, v2
.LBB185_37:                             ;   in Loop: Header=BB185_35 Depth=1
	s_or_b32 exec_lo, exec_lo, s23
	ds_write_b32 v11, v2
	s_waitcnt lgkmcnt(0)
	s_barrier
	buffer_gl0_inv
	s_and_saveexec_b32 s23, s2
	s_cbranch_execz .LBB185_39
; %bb.38:                               ;   in Loop: Header=BB185_35 Depth=1
	ds_read2_b32 v[16:17], v12 offset1:1
	ds_read2_b32 v[18:19], v12 offset0:2 offset1:3
	ds_read2_b32 v[20:21], v12 offset0:4 offset1:5
	;; [unrolled: 1-line block ×3, first 2 shown]
	v_cmp_ne_u32_e32 vcc_lo, 0, v13
	; wave barrier
	s_waitcnt lgkmcnt(3)
	v_add_nc_u32_e32 v9, v17, v16
	s_waitcnt lgkmcnt(2)
	v_add3_u32 v9, v9, v18, v19
	s_waitcnt lgkmcnt(1)
	v_add3_u32 v9, v9, v20, v21
	;; [unrolled: 2-line block ×3, first 2 shown]
	v_mov_b32_dpp v17, v9 row_shr:1 row_mask:0xf bank_mask:0xf
	v_cndmask_b32_e32 v17, 0, v17, vcc_lo
	v_cmp_lt_u32_e32 vcc_lo, 1, v13
	v_add_nc_u32_e32 v9, v17, v9
	v_mov_b32_dpp v17, v9 row_shr:2 row_mask:0xf bank_mask:0xf
	v_cndmask_b32_e32 v17, 0, v17, vcc_lo
	v_cmp_lt_u32_e32 vcc_lo, 3, v13
	v_add_nc_u32_e32 v9, v9, v17
	;; [unrolled: 4-line block ×3, first 2 shown]
	v_mov_b32_dpp v17, v9 row_shr:8 row_mask:0xf bank_mask:0xf
	v_cndmask_b32_e32 v17, 0, v17, vcc_lo
	v_cmp_gt_i32_e32 vcc_lo, 0, v15
	v_add_nc_u32_e32 v9, v9, v17
	v_cndmask_b32_e32 v18, v15, v10, vcc_lo
	ds_swizzle_b32 v17, v9 offset:swizzle(BROADCAST,32,15)
	v_lshlrev_b32_e32 v18, 2, v18
	s_waitcnt lgkmcnt(0)
	v_and_b32_e32 v17, v14, v17
	v_add_nc_u32_e32 v9, v9, v17
	ds_bpermute_b32 v9, v18, v9
	s_waitcnt lgkmcnt(0)
	v_add_nc_u32_e32 v9, v9, v16
	v_cndmask_b32_e64 v9, v9, v2, s1
	ds_write_b32 v12, v9
	; wave barrier
	ds_read2_b32 v[16:17], v12 offset0:1 offset1:2
	ds_read2_b32 v[18:19], v12 offset0:3 offset1:4
	;; [unrolled: 1-line block ×3, first 2 shown]
	ds_read_b32 v22, v12 offset:28
	s_waitcnt lgkmcnt(3)
	v_add_nc_u32_e32 v9, v16, v9
	v_add_nc_u32_e32 v16, v17, v9
	s_waitcnt lgkmcnt(2)
	v_add_nc_u32_e32 v17, v18, v16
	v_add_nc_u32_e32 v18, v19, v17
	s_waitcnt lgkmcnt(1)
	v_add_nc_u32_e32 v19, v20, v18
	v_add_nc_u32_e32 v20, v21, v19
	s_waitcnt lgkmcnt(0)
	v_add_nc_u32_e32 v21, v22, v20
	ds_write2_b32 v12, v9, v16 offset0:1 offset1:2
	ds_write2_b32 v12, v17, v18 offset0:3 offset1:4
	;; [unrolled: 1-line block ×3, first 2 shown]
	ds_write_b32 v12, v21 offset:28
.LBB185_39:                             ;   in Loop: Header=BB185_35 Depth=1
	s_or_b32 exec_lo, exec_lo, s23
	v_mov_b32_e32 v9, 0
	s_waitcnt lgkmcnt(0)
	s_barrier
	buffer_gl0_inv
	s_and_saveexec_b32 s23, s0
; %bb.40:                               ;   in Loop: Header=BB185_35 Depth=1
	ds_read_b32 v9, v0
; %bb.41:                               ;   in Loop: Header=BB185_35 Depth=1
	s_or_b32 exec_lo, exec_lo, s23
	ds_read_b32 v16, v5 offset:1048
	s_mov_b32 s23, exec_lo
	s_waitcnt lgkmcnt(0)
	s_barrier
	buffer_gl0_inv
	v_cmpx_ne_u32_e32 0, v2
	s_cbranch_execz .LBB185_43
; %bb.42:                               ;   in Loop: Header=BB185_35 Depth=1
	v_add_nc_u32_e32 v22, v9, v3
	v_mad_u64_u32 v[17:18], null, s20, v22, 0
	v_mad_u64_u32 v[19:20], null, s4, v22, 0
	v_mov_b32_e32 v2, v18
	v_mov_b32_e32 v9, v20
	v_mad_u64_u32 v[20:21], null, s21, v22, v[2:3]
	v_mad_u64_u32 v[21:22], null, s5, v22, v[9:10]
	v_mov_b32_e32 v18, v20
	v_mov_b32_e32 v20, v21
	v_lshlrev_b64 v[17:18], 3, v[17:18]
	v_lshlrev_b64 v[19:20], 3, v[19:20]
	v_add_co_u32 v17, vcc_lo, s15, v17
	v_add_co_ci_u32_e64 v18, null, s18, v18, vcc_lo
	v_add_co_u32 v19, vcc_lo, s19, v19
	v_add_co_ci_u32_e64 v20, null, s22, v20, vcc_lo
	global_store_dwordx2 v[17:18], v[6:7], off
	global_store_dwordx2 v[19:20], v[4:5], off
.LBB185_43:                             ;   in Loop: Header=BB185_35 Depth=1
	s_or_b32 exec_lo, exec_lo, s23
	v_mov_b32_e32 v2, v5
	v_cmp_le_u64_e32 vcc_lo, s[10:11], v[1:2]
	s_cbranch_vccnz .LBB185_34
; %bb.44:                               ;   in Loop: Header=BB185_35 Depth=1
	ds_write_b32 v11, v8
	s_waitcnt lgkmcnt(0)
	s_waitcnt_vscnt null, 0x0
	s_barrier
	buffer_gl0_inv
	s_and_saveexec_b32 s23, s2
	s_cbranch_execz .LBB185_46
; %bb.45:                               ;   in Loop: Header=BB185_35 Depth=1
	ds_read2_b32 v[17:18], v12 offset1:1
	ds_read2_b32 v[19:20], v12 offset0:2 offset1:3
	ds_read2_b32 v[21:22], v12 offset0:4 offset1:5
	;; [unrolled: 1-line block ×3, first 2 shown]
	v_cmp_ne_u32_e32 vcc_lo, 0, v13
	; wave barrier
	s_waitcnt lgkmcnt(3)
	v_add_nc_u32_e32 v2, v18, v17
	s_waitcnt lgkmcnt(2)
	v_add3_u32 v2, v2, v19, v20
	s_waitcnt lgkmcnt(1)
	v_add3_u32 v2, v2, v21, v22
	;; [unrolled: 2-line block ×3, first 2 shown]
	v_mov_b32_dpp v9, v2 row_shr:1 row_mask:0xf bank_mask:0xf
	v_cndmask_b32_e32 v9, 0, v9, vcc_lo
	v_cmp_lt_u32_e32 vcc_lo, 1, v13
	v_add_nc_u32_e32 v2, v9, v2
	v_mov_b32_dpp v9, v2 row_shr:2 row_mask:0xf bank_mask:0xf
	v_cndmask_b32_e32 v9, 0, v9, vcc_lo
	v_cmp_lt_u32_e32 vcc_lo, 3, v13
	v_add_nc_u32_e32 v2, v2, v9
	;; [unrolled: 4-line block ×3, first 2 shown]
	v_mov_b32_dpp v9, v2 row_shr:8 row_mask:0xf bank_mask:0xf
	v_cndmask_b32_e32 v9, 0, v9, vcc_lo
	v_cmp_gt_i32_e32 vcc_lo, 0, v15
	v_add_nc_u32_e32 v2, v2, v9
	v_cndmask_b32_e32 v18, v15, v10, vcc_lo
	ds_swizzle_b32 v9, v2 offset:swizzle(BROADCAST,32,15)
	v_lshlrev_b32_e32 v18, 2, v18
	s_waitcnt lgkmcnt(0)
	v_and_b32_e32 v9, v14, v9
	v_add_nc_u32_e32 v2, v2, v9
	ds_bpermute_b32 v2, v18, v2
	s_waitcnt lgkmcnt(0)
	v_add_nc_u32_e32 v2, v2, v17
	v_cndmask_b32_e64 v2, v2, v8, s1
	ds_write_b32 v12, v2
	; wave barrier
	ds_read2_b32 v[17:18], v12 offset0:1 offset1:2
	ds_read2_b32 v[19:20], v12 offset0:3 offset1:4
	;; [unrolled: 1-line block ×3, first 2 shown]
	ds_read_b32 v9, v12 offset:28
	s_waitcnt lgkmcnt(3)
	v_add_nc_u32_e32 v2, v17, v2
	v_add_nc_u32_e32 v17, v18, v2
	s_waitcnt lgkmcnt(2)
	v_add_nc_u32_e32 v18, v19, v17
	v_add_nc_u32_e32 v19, v20, v18
	;; [unrolled: 3-line block ×3, first 2 shown]
	s_waitcnt lgkmcnt(0)
	v_add_nc_u32_e32 v9, v9, v21
	ds_write2_b32 v12, v2, v17 offset0:1 offset1:2
	ds_write2_b32 v12, v18, v19 offset0:3 offset1:4
	;; [unrolled: 1-line block ×3, first 2 shown]
	ds_write_b32 v12, v9 offset:28
.LBB185_46:                             ;   in Loop: Header=BB185_35 Depth=1
	s_or_b32 exec_lo, exec_lo, s23
	v_mov_b32_e32 v9, 0
	s_waitcnt lgkmcnt(0)
	s_barrier
	buffer_gl0_inv
	s_and_saveexec_b32 s23, s0
; %bb.47:                               ;   in Loop: Header=BB185_35 Depth=1
	ds_read_b32 v9, v0
; %bb.48:                               ;   in Loop: Header=BB185_35 Depth=1
	s_or_b32 exec_lo, exec_lo, s23
	ds_read_b32 v2, v5 offset:1048
	s_mov_b32 s23, exec_lo
	s_waitcnt lgkmcnt(0)
	s_barrier
	buffer_gl0_inv
	v_cmpx_ne_u32_e32 0, v8
	s_cbranch_execz .LBB185_33
; %bb.49:                               ;   in Loop: Header=BB185_35 Depth=1
	v_add_nc_u32_e32 v8, v9, v1
	v_mov_b32_e32 v9, v5
	v_cmp_gt_u64_e32 vcc_lo, s[10:11], v[8:9]
	s_and_b32 exec_lo, exec_lo, vcc_lo
	s_cbranch_execz .LBB185_33
; %bb.50:                               ;   in Loop: Header=BB185_35 Depth=1
	v_mad_u64_u32 v[17:18], null, s20, v8, 0
	v_mad_u64_u32 v[19:20], null, s4, v8, 0
	v_mov_b32_e32 v9, v18
	v_mov_b32_e32 v18, v20
	v_mad_u64_u32 v[20:21], null, s21, v8, v[9:10]
	v_mad_u64_u32 v[8:9], null, s5, v8, v[18:19]
	v_mov_b32_e32 v18, v20
	v_mov_b32_e32 v20, v8
	v_lshlrev_b64 v[8:9], 3, v[17:18]
	v_lshlrev_b64 v[17:18], 3, v[19:20]
	v_add_co_u32 v8, vcc_lo, s15, v8
	v_add_co_ci_u32_e64 v9, null, s18, v9, vcc_lo
	v_add_co_u32 v17, vcc_lo, s19, v17
	v_add_co_ci_u32_e64 v18, null, s22, v18, vcc_lo
	global_store_dwordx2 v[8:9], v[6:7], off
	global_store_dwordx2 v[17:18], v[4:5], off
	s_branch .LBB185_33
	.p2align	6
.LBB185_51:                             ;   in Loop: Header=BB185_52 Depth=1
	s_add_u32 s16, s16, 4
	s_addc_u32 s17, s17, 0
	s_waitcnt lgkmcnt(0)
	s_add_i32 s49, s3, s49
	s_add_u32 s18, s18, 4
	s_addc_u32 s19, s19, 0
	s_add_i32 s2, s2, 1
	s_cmp_lt_u32 s2, s7
	s_cbranch_scc0 .LBB185_30
.LBB185_52:                             ; =>This Inner Loop Header: Depth=1
	s_load_dword s3, s[16:17], 0x0
	s_cmp_ge_u32 s2, s74
	s_cbranch_scc1 .LBB185_51
; %bb.53:                               ;   in Loop: Header=BB185_52 Depth=1
	s_load_dword s22, s[18:19], 0x0
	s_waitcnt lgkmcnt(0)
	s_add_i32 s21, s3, s21
	s_add_i32 s20, s22, s20
	s_branch .LBB185_51
.LBB185_54:
	s_endpgm
	.section	.rodata,"a",@progbits
	.p2align	6, 0x0
	.amdhsa_kernel _ZN2at6native6mbtopk10gatherTopKIdmLi3EEEvNS_4cuda6detail10TensorInfoIKT_T0_EES8_S8_bjS8_NS5_IS6_S8_EES8_NS5_IlS8_EES8_jjPS6_PjSD_j
		.amdhsa_group_segment_fixed_size 1068
		.amdhsa_private_segment_fixed_size 0
		.amdhsa_kernarg_size 1592
		.amdhsa_user_sgpr_count 6
		.amdhsa_user_sgpr_private_segment_buffer 1
		.amdhsa_user_sgpr_dispatch_ptr 0
		.amdhsa_user_sgpr_queue_ptr 0
		.amdhsa_user_sgpr_kernarg_segment_ptr 1
		.amdhsa_user_sgpr_dispatch_id 0
		.amdhsa_user_sgpr_flat_scratch_init 0
		.amdhsa_user_sgpr_private_segment_size 0
		.amdhsa_wavefront_size32 1
		.amdhsa_uses_dynamic_stack 0
		.amdhsa_system_sgpr_private_segment_wavefront_offset 0
		.amdhsa_system_sgpr_workgroup_id_x 1
		.amdhsa_system_sgpr_workgroup_id_y 1
		.amdhsa_system_sgpr_workgroup_id_z 1
		.amdhsa_system_sgpr_workgroup_info 0
		.amdhsa_system_vgpr_workitem_id 0
		.amdhsa_next_free_vgpr 25
		.amdhsa_next_free_sgpr 76
		.amdhsa_reserve_vcc 1
		.amdhsa_reserve_flat_scratch 0
		.amdhsa_float_round_mode_32 0
		.amdhsa_float_round_mode_16_64 0
		.amdhsa_float_denorm_mode_32 3
		.amdhsa_float_denorm_mode_16_64 3
		.amdhsa_dx10_clamp 1
		.amdhsa_ieee_mode 1
		.amdhsa_fp16_overflow 0
		.amdhsa_workgroup_processor_mode 1
		.amdhsa_memory_ordered 1
		.amdhsa_forward_progress 1
		.amdhsa_shared_vgpr_count 0
		.amdhsa_exception_fp_ieee_invalid_op 0
		.amdhsa_exception_fp_denorm_src 0
		.amdhsa_exception_fp_ieee_div_zero 0
		.amdhsa_exception_fp_ieee_overflow 0
		.amdhsa_exception_fp_ieee_underflow 0
		.amdhsa_exception_fp_ieee_inexact 0
		.amdhsa_exception_int_div_zero 0
	.end_amdhsa_kernel
	.section	.text._ZN2at6native6mbtopk10gatherTopKIdmLi3EEEvNS_4cuda6detail10TensorInfoIKT_T0_EES8_S8_bjS8_NS5_IS6_S8_EES8_NS5_IlS8_EES8_jjPS6_PjSD_j,"axG",@progbits,_ZN2at6native6mbtopk10gatherTopKIdmLi3EEEvNS_4cuda6detail10TensorInfoIKT_T0_EES8_S8_bjS8_NS5_IS6_S8_EES8_NS5_IlS8_EES8_jjPS6_PjSD_j,comdat
.Lfunc_end185:
	.size	_ZN2at6native6mbtopk10gatherTopKIdmLi3EEEvNS_4cuda6detail10TensorInfoIKT_T0_EES8_S8_bjS8_NS5_IS6_S8_EES8_NS5_IlS8_EES8_jjPS6_PjSD_j, .Lfunc_end185-_ZN2at6native6mbtopk10gatherTopKIdmLi3EEEvNS_4cuda6detail10TensorInfoIKT_T0_EES8_S8_bjS8_NS5_IS6_S8_EES8_NS5_IlS8_EES8_jjPS6_PjSD_j
                                        ; -- End function
	.set _ZN2at6native6mbtopk10gatherTopKIdmLi3EEEvNS_4cuda6detail10TensorInfoIKT_T0_EES8_S8_bjS8_NS5_IS6_S8_EES8_NS5_IlS8_EES8_jjPS6_PjSD_j.num_vgpr, 25
	.set _ZN2at6native6mbtopk10gatherTopKIdmLi3EEEvNS_4cuda6detail10TensorInfoIKT_T0_EES8_S8_bjS8_NS5_IS6_S8_EES8_NS5_IlS8_EES8_jjPS6_PjSD_j.num_agpr, 0
	.set _ZN2at6native6mbtopk10gatherTopKIdmLi3EEEvNS_4cuda6detail10TensorInfoIKT_T0_EES8_S8_bjS8_NS5_IS6_S8_EES8_NS5_IlS8_EES8_jjPS6_PjSD_j.numbered_sgpr, 76
	.set _ZN2at6native6mbtopk10gatherTopKIdmLi3EEEvNS_4cuda6detail10TensorInfoIKT_T0_EES8_S8_bjS8_NS5_IS6_S8_EES8_NS5_IlS8_EES8_jjPS6_PjSD_j.num_named_barrier, 0
	.set _ZN2at6native6mbtopk10gatherTopKIdmLi3EEEvNS_4cuda6detail10TensorInfoIKT_T0_EES8_S8_bjS8_NS5_IS6_S8_EES8_NS5_IlS8_EES8_jjPS6_PjSD_j.private_seg_size, 0
	.set _ZN2at6native6mbtopk10gatherTopKIdmLi3EEEvNS_4cuda6detail10TensorInfoIKT_T0_EES8_S8_bjS8_NS5_IS6_S8_EES8_NS5_IlS8_EES8_jjPS6_PjSD_j.uses_vcc, 1
	.set _ZN2at6native6mbtopk10gatherTopKIdmLi3EEEvNS_4cuda6detail10TensorInfoIKT_T0_EES8_S8_bjS8_NS5_IS6_S8_EES8_NS5_IlS8_EES8_jjPS6_PjSD_j.uses_flat_scratch, 0
	.set _ZN2at6native6mbtopk10gatherTopKIdmLi3EEEvNS_4cuda6detail10TensorInfoIKT_T0_EES8_S8_bjS8_NS5_IS6_S8_EES8_NS5_IlS8_EES8_jjPS6_PjSD_j.has_dyn_sized_stack, 0
	.set _ZN2at6native6mbtopk10gatherTopKIdmLi3EEEvNS_4cuda6detail10TensorInfoIKT_T0_EES8_S8_bjS8_NS5_IS6_S8_EES8_NS5_IlS8_EES8_jjPS6_PjSD_j.has_recursion, 0
	.set _ZN2at6native6mbtopk10gatherTopKIdmLi3EEEvNS_4cuda6detail10TensorInfoIKT_T0_EES8_S8_bjS8_NS5_IS6_S8_EES8_NS5_IlS8_EES8_jjPS6_PjSD_j.has_indirect_call, 0
	.section	.AMDGPU.csdata,"",@progbits
; Kernel info:
; codeLenInByte = 3536
; TotalNumSgprs: 78
; NumVgprs: 25
; ScratchSize: 0
; MemoryBound: 0
; FloatMode: 240
; IeeeMode: 1
; LDSByteSize: 1068 bytes/workgroup (compile time only)
; SGPRBlocks: 0
; VGPRBlocks: 3
; NumSGPRsForWavesPerEU: 78
; NumVGPRsForWavesPerEU: 25
; Occupancy: 16
; WaveLimiterHint : 1
; COMPUTE_PGM_RSRC2:SCRATCH_EN: 0
; COMPUTE_PGM_RSRC2:USER_SGPR: 6
; COMPUTE_PGM_RSRC2:TRAP_HANDLER: 0
; COMPUTE_PGM_RSRC2:TGID_X_EN: 1
; COMPUTE_PGM_RSRC2:TGID_Y_EN: 1
; COMPUTE_PGM_RSRC2:TGID_Z_EN: 1
; COMPUTE_PGM_RSRC2:TIDIG_COMP_CNT: 0
	.section	.text._ZN2at6native6sbtopk10gatherTopKIdmLi3ELb0EEEvNS_4cuda6detail10TensorInfoIKT_T0_EES8_S8_bS8_S8_NS5_IS6_S8_EES8_NS5_IlS8_EES8_PS6_,"axG",@progbits,_ZN2at6native6sbtopk10gatherTopKIdmLi3ELb0EEEvNS_4cuda6detail10TensorInfoIKT_T0_EES8_S8_bS8_S8_NS5_IS6_S8_EES8_NS5_IlS8_EES8_PS6_,comdat
	.protected	_ZN2at6native6sbtopk10gatherTopKIdmLi3ELb0EEEvNS_4cuda6detail10TensorInfoIKT_T0_EES8_S8_bS8_S8_NS5_IS6_S8_EES8_NS5_IlS8_EES8_PS6_ ; -- Begin function _ZN2at6native6sbtopk10gatherTopKIdmLi3ELb0EEEvNS_4cuda6detail10TensorInfoIKT_T0_EES8_S8_bS8_S8_NS5_IS6_S8_EES8_NS5_IlS8_EES8_PS6_
	.globl	_ZN2at6native6sbtopk10gatherTopKIdmLi3ELb0EEEvNS_4cuda6detail10TensorInfoIKT_T0_EES8_S8_bS8_S8_NS5_IS6_S8_EES8_NS5_IlS8_EES8_PS6_
	.p2align	8
	.type	_ZN2at6native6sbtopk10gatherTopKIdmLi3ELb0EEEvNS_4cuda6detail10TensorInfoIKT_T0_EES8_S8_bS8_S8_NS5_IS6_S8_EES8_NS5_IlS8_EES8_PS6_,@function
_ZN2at6native6sbtopk10gatherTopKIdmLi3ELb0EEEvNS_4cuda6detail10TensorInfoIKT_T0_EES8_S8_bS8_S8_NS5_IS6_S8_EES8_NS5_IlS8_EES8_PS6_: ; @_ZN2at6native6sbtopk10gatherTopKIdmLi3ELb0EEEvNS_4cuda6detail10TensorInfoIKT_T0_EES8_S8_bS8_S8_NS5_IS6_S8_EES8_NS5_IlS8_EES8_PS6_
; %bb.0:
	s_clause 0x1
	s_load_dwordx2 s[18:19], s[4:5], 0x520
	s_load_dwordx4 s[24:27], s[4:5], 0x1b8
	s_add_u32 s16, s4, 0x520
	s_addc_u32 s17, s5, 0
	s_mov_b32 s35, 0
	s_waitcnt lgkmcnt(0)
	s_mul_i32 s0, s19, s8
	s_add_i32 s0, s0, s7
	s_mul_i32 s0, s0, s18
	s_add_i32 s34, s0, s6
	v_cmp_le_u64_e64 s0, s[24:25], s[34:35]
	s_and_b32 vcc_lo, exec_lo, s0
	s_cbranch_vccnz .LBB186_495
; %bb.1:
	s_load_dwordx4 s[8:11], s[4:5], 0x10
	s_mov_b64 s[0:1], 0
	s_mov_b64 s[20:21], 0
	s_waitcnt lgkmcnt(0)
	v_cmp_lt_u64_e64 s2, s[34:35], s[10:11]
	s_and_b32 vcc_lo, exec_lo, s2
	s_cbranch_vccnz .LBB186_3
; %bb.2:
	v_cvt_f32_u32_e32 v1, s10
	s_sub_i32 s2, 0, s10
	s_mov_b32 s21, 0
	v_rcp_iflag_f32_e32 v1, v1
	v_mul_f32_e32 v1, 0x4f7ffffe, v1
	v_cvt_u32_f32_e32 v1, v1
	v_readfirstlane_b32 s1, v1
	s_mul_i32 s2, s2, s1
	s_mul_hi_u32 s2, s1, s2
	s_add_i32 s1, s1, s2
	s_mul_hi_u32 s1, s34, s1
	s_mul_i32 s2, s1, s10
	s_add_i32 s3, s1, 1
	s_sub_i32 s2, s34, s2
	s_sub_i32 s7, s2, s10
	s_cmp_ge_u32 s2, s10
	s_cselect_b32 s1, s3, s1
	s_cselect_b32 s2, s7, s2
	s_add_i32 s3, s1, 1
	s_cmp_ge_u32 s2, s10
	s_cselect_b32 s20, s3, s1
.LBB186_3:
	s_load_dwordx4 s[12:15], s[4:5], 0x1d8
	v_cmp_lt_u64_e64 s1, s[20:21], s[8:9]
	s_and_b32 vcc_lo, exec_lo, s1
	s_cbranch_vccnz .LBB186_5
; %bb.4:
	v_cvt_f32_u32_e32 v1, s8
	s_sub_i32 s1, 0, s8
	v_rcp_iflag_f32_e32 v1, v1
	v_mul_f32_e32 v1, 0x4f7ffffe, v1
	v_cvt_u32_f32_e32 v1, v1
	v_readfirstlane_b32 s0, v1
	s_mul_i32 s1, s1, s0
	s_mul_hi_u32 s1, s0, s1
	s_add_i32 s0, s0, s1
	s_mul_hi_u32 s0, s20, s0
	s_mul_i32 s1, s0, s8
	s_add_i32 s2, s0, 1
	s_sub_i32 s1, s20, s1
	s_sub_i32 s3, s1, s8
	s_cmp_ge_u32 s1, s8
	s_cselect_b32 s0, s2, s0
	s_cselect_b32 s1, s3, s1
	s_add_i32 s2, s0, 1
	s_cmp_ge_u32 s1, s8
	s_cselect_b32 s0, s2, s0
.LBB186_5:
	s_waitcnt lgkmcnt(0)
	v_cmp_lt_u64_e64 s1, s[34:35], s[14:15]
	s_mov_b64 s[22:23], 0
	s_mov_b64 s[52:53], 0
	s_and_b32 vcc_lo, exec_lo, s1
	s_cbranch_vccnz .LBB186_7
; %bb.6:
	v_cvt_f32_u32_e32 v1, s14
	s_sub_i32 s2, 0, s14
	s_mov_b32 s53, 0
	v_rcp_iflag_f32_e32 v1, v1
	v_mul_f32_e32 v1, 0x4f7ffffe, v1
	v_cvt_u32_f32_e32 v1, v1
	v_readfirstlane_b32 s1, v1
	s_mul_i32 s2, s2, s1
	s_mul_hi_u32 s2, s1, s2
	s_add_i32 s1, s1, s2
	s_mul_hi_u32 s1, s34, s1
	s_mul_i32 s2, s1, s14
	s_add_i32 s3, s1, 1
	s_sub_i32 s2, s34, s2
	s_sub_i32 s7, s2, s14
	s_cmp_ge_u32 s2, s14
	s_cselect_b32 s1, s3, s1
	s_cselect_b32 s2, s7, s2
	s_add_i32 s3, s1, 1
	s_cmp_ge_u32 s2, s14
	s_cselect_b32 s52, s3, s1
.LBB186_7:
	s_load_dwordx4 s[40:43], s[4:5], 0x380
	v_cmp_lt_u64_e64 s1, s[52:53], s[12:13]
	s_and_b32 vcc_lo, exec_lo, s1
	s_cbranch_vccnz .LBB186_9
; %bb.8:
	v_cvt_f32_u32_e32 v1, s12
	s_sub_i32 s2, 0, s12
	v_rcp_iflag_f32_e32 v1, v1
	v_mul_f32_e32 v1, 0x4f7ffffe, v1
	v_cvt_u32_f32_e32 v1, v1
	v_readfirstlane_b32 s1, v1
	s_mul_i32 s2, s2, s1
	s_mul_hi_u32 s2, s1, s2
	s_add_i32 s1, s1, s2
	s_mul_hi_u32 s1, s52, s1
	s_mul_i32 s2, s1, s12
	s_add_i32 s3, s1, 1
	s_sub_i32 s2, s52, s2
	s_sub_i32 s7, s2, s12
	s_cmp_ge_u32 s2, s12
	s_cselect_b32 s1, s3, s1
	s_cselect_b32 s2, s7, s2
	s_add_i32 s3, s1, 1
	s_cmp_ge_u32 s2, s12
	s_cselect_b32 s22, s3, s1
.LBB186_9:
                                        ; implicit-def: $vgpr41 : SGPR spill to VGPR lane
	s_waitcnt lgkmcnt(0)
	v_cmp_lt_u64_e64 s1, s[34:35], s[42:43]
	v_writelane_b32 v41, s22, 0
	s_mov_b64 s[24:25], 0
	s_mov_b64 s[60:61], 0
	v_writelane_b32 v41, s23, 1
	s_clause 0x1
	s_load_dwordx2 s[22:23], s[4:5], 0xe0
	s_load_dwordx4 s[12:15], s[4:5], 0xd0
	s_and_b32 vcc_lo, exec_lo, s1
	s_cbranch_vccnz .LBB186_11
; %bb.10:
	v_cvt_f32_u32_e32 v1, s42
	s_sub_i32 s2, 0, s42
	s_mov_b32 s61, 0
	v_rcp_iflag_f32_e32 v1, v1
	v_mul_f32_e32 v1, 0x4f7ffffe, v1
	v_cvt_u32_f32_e32 v1, v1
	v_readfirstlane_b32 s1, v1
	s_mul_i32 s2, s2, s1
	s_mul_hi_u32 s2, s1, s2
	s_add_i32 s1, s1, s2
	s_mul_hi_u32 s1, s34, s1
	s_mul_i32 s2, s1, s42
	s_add_i32 s3, s1, 1
	s_sub_i32 s2, s34, s2
	s_sub_i32 s7, s2, s42
	s_cmp_ge_u32 s2, s42
	s_cselect_b32 s1, s3, s1
	s_cselect_b32 s2, s7, s2
	s_add_i32 s3, s1, 1
	s_cmp_ge_u32 s2, s42
	s_cselect_b32 s60, s3, s1
.LBB186_11:
	s_load_dwordx2 s[68:69], s[4:5], 0x0
	v_cmp_lt_u64_e64 s1, s[60:61], s[40:41]
	s_and_b32 vcc_lo, exec_lo, s1
	s_cbranch_vccnz .LBB186_13
; %bb.12:
	v_cvt_f32_u32_e32 v1, s40
	s_sub_i32 s2, 0, s40
	v_rcp_iflag_f32_e32 v1, v1
	v_mul_f32_e32 v1, 0x4f7ffffe, v1
	v_cvt_u32_f32_e32 v1, v1
	v_readfirstlane_b32 s1, v1
	s_mul_i32 s2, s2, s1
	s_mul_hi_u32 s2, s1, s2
	s_add_i32 s1, s1, s2
	s_mul_hi_u32 s1, s60, s1
	s_mul_i32 s2, s1, s40
	s_add_i32 s3, s1, 1
	s_sub_i32 s2, s60, s2
	s_sub_i32 s7, s2, s40
	s_cmp_ge_u32 s2, s40
	s_cselect_b32 s1, s3, s1
	s_cselect_b32 s2, s7, s2
	s_add_i32 s3, s1, 1
	s_cmp_ge_u32 s2, s40
	s_cselect_b32 s24, s3, s1
.LBB186_13:
	s_clause 0x1
	s_load_dwordx2 s[2:3], s[4:5], 0x370
	s_load_dwordx4 s[28:31], s[4:5], 0x1a0
	v_writelane_b32 v41, s24, 2
	s_mov_b32 s67, 0
	v_writelane_b32 v41, s25, 3
	s_waitcnt lgkmcnt(0)
	v_writelane_b32 v41, s2, 4
	v_writelane_b32 v41, s3, 5
	v_cmp_eq_u32_e64 s3, 0, v0
	s_and_saveexec_b32 s1, s3
	s_cbranch_execz .LBB186_15
; %bb.14:
	v_mov_b32_e32 v1, 0
	v_mov_b32_e32 v3, s28
	;; [unrolled: 1-line block ×4, first 2 shown]
	ds_write_b32 v1, v1 offset:5144
	ds_write_b128 v1, v[1:4] offset:5120
.LBB186_15:
	s_or_b32 exec_lo, exec_lo, s1
	s_mul_i32 s1, s0, s9
	s_mul_hi_u32 s2, s0, s8
	s_mul_i32 s7, s0, s8
	s_add_i32 s2, s2, s1
	s_sub_u32 s7, s20, s7
	s_subb_u32 s2, s21, s2
	s_mul_i32 s1, s7, s15
	s_mul_hi_u32 s8, s7, s14
	s_mul_i32 s2, s2, s14
	s_add_i32 s1, s8, s1
	s_mul_i32 s8, s0, s13
	s_mul_hi_u32 s13, s0, s12
	s_add_i32 s9, s1, s2
	s_add_i32 s1, s13, s8
	s_mul_i32 s2, s20, s11
	s_mul_hi_u32 s8, s20, s10
	s_mul_i32 s10, s20, s10
	s_add_i32 s2, s8, s2
	s_sub_u32 s10, s34, s10
	s_mul_i32 s8, s7, s14
	s_mul_i32 s7, s10, s23
	s_mul_hi_u32 s11, s10, s22
	s_subb_u32 s2, 0, s2
	s_mul_i32 s0, s0, s12
	s_add_i32 s7, s11, s7
	s_mul_i32 s2, s2, s22
	s_lshl_b64 s[0:1], s[0:1], 3
	s_add_i32 s11, s7, s2
	s_add_u32 s7, s68, s0
	s_addc_u32 s12, s69, s1
	s_lshl_b64 s[0:1], s[8:9], 3
	s_mul_i32 s10, s10, s22
	s_add_u32 s7, s7, s0
	s_load_dword s2, s[4:5], 0x1b0
	s_addc_u32 s8, s12, s1
	s_lshl_b64 s[0:1], s[10:11], 3
	s_waitcnt lgkmcnt(0)
	s_add_u32 s25, s7, s0
	s_barrier
	buffer_gl0_inv
	s_load_dword s7, s[16:17], 0xc
	v_mad_u64_u32 v[2:3], null, s26, v0, 0
	v_mbcnt_lo_u32_b32 v33, -1, 0
	s_addc_u32 s33, s8, s1
	v_cmp_gt_u32_e32 vcc_lo, 32, v0
	v_mov_b32_e32 v19, 0
	v_lshlrev_b32_e32 v34, 3, v0
	v_cmp_gt_i32_e64 s1, 4, v33
	v_mov_b32_e32 v1, v3
	v_cmp_lt_u64_e64 s87, 0x180, s[28:29]
	v_mov_b32_e32 v22, 0
	v_mov_b32_e32 v6, 0
	s_bitcmp1_b32 s2, 0
	v_mad_u64_u32 v[3:4], null, s27, v0, v[1:2]
	s_cselect_b32 s0, -1, 0
	s_and_b32 s86, vcc_lo, s1
	s_xor_b32 s55, s0, -1
	v_mov_b32_e32 v1, v19
	s_waitcnt lgkmcnt(0)
	s_and_b32 s35, s7, 0xffff
	s_bfe_u32 s7, s7, 0xb0005
	s_bfe_u32 s9, s35, 0x80008
	v_lshlrev_b64 v[2:3], 3, v[2:3]
	s_lshl_b32 s88, s9, 3
	s_cmp_gt_u32 s35, 31
	v_cmp_gt_u64_e64 s1, s[28:29], v[0:1]
	s_cselect_b32 s89, -1, 0
	s_add_u32 s90, s35, -1
	s_addc_u32 s91, 0, -1
	s_add_u32 s92, s90, s28
	s_addc_u32 s69, s91, s29
	s_cmp_lt_u32 s6, s18
	v_add_co_u32 v16, vcc_lo, s25, v2
	s_cselect_b32 s6, 12, 18
	v_add_co_ci_u32_e64 v17, null, s33, v3, vcc_lo
	s_add_u32 s70, s16, s6
	v_lshlrev_b64 v[2:3], v33, -1
	s_addc_u32 s71, s17, 0
	s_add_i32 s7, s7, -1
	s_bfe_u32 s93, s35, 0x30005
	s_and_b32 s6, s7, 0xffff
	v_mov_b32_e32 v26, s30
	s_cmp_gt_u32 s6, 6
	s_movk_i32 s6, 0x3e0
	v_mov_b32_e32 v24, 0
	v_writelane_b32 v41, s0, 6
	v_cmp_eq_u32_e64 s0, 0, v33
	v_lshlrev_b32_e32 v20, 2, v0
	v_mov_b32_e32 v21, v19
	v_cmp_gt_u32_e64 s8, 2, v0
	v_add_nc_u32_e32 v35, 0xc00, v34
	v_not_b32_e32 v32, v2
	v_and_or_b32 v36, v0, s6, 0xc00
	v_lshlrev_b32_e32 v37, 5, v0
	v_lshl_or_b32 v38, v33, 3, 0xc00
	v_mov_b32_e32 v23, 0
	v_mov_b32_e32 v7, 0
	;; [unrolled: 1-line block ×5, first 2 shown]
	s_cselect_b32 s94, -1, 0
	s_cmp_lg_u32 s93, 0
	s_mov_b32 s65, 62
	s_cselect_b32 s95, -1, 0
	s_lshl_b32 s96, s35, 3
	s_mov_b32 s97, 0
	s_mov_b32 s99, 0
                                        ; implicit-def: $sgpr98
                                        ; implicit-def: $sgpr64
                                        ; implicit-def: $vcc_hi
                                        ; implicit-def: $sgpr58
                                        ; implicit-def: $sgpr104
                                        ; implicit-def: $sgpr50
                                        ; implicit-def: $sgpr51
                                        ; implicit-def: $sgpr59
                                        ; implicit-def: $sgpr49
                                        ; implicit-def: $sgpr48
	s_branch .LBB186_18
.LBB186_16:                             ;   in Loop: Header=BB186_18 Depth=1
	s_or_b32 exec_lo, exec_lo, s10
	v_mov_b32_e32 v26, v28
	v_mov_b32_e32 v27, v29
	s_andn2_b32 s2, s48, exec_lo
	s_and_b32 s9, s9, exec_lo
	s_andn2_b32 s49, s49, exec_lo
	s_or_b32 s48, s2, s9
	s_andn2_b32 s59, s59, exec_lo
	s_andn2_b32 s51, s51, exec_lo
	;; [unrolled: 1-line block ×3, first 2 shown]
	s_orn2_b32 s7, s7, exec_lo
.LBB186_17:                             ;   in Loop: Header=BB186_18 Depth=1
	s_or_b32 exec_lo, exec_lo, s6
	s_and_b32 s6, exec_lo, s7
	s_or_b32 s97, s6, s97
	s_andn2_b32 s6, s104, exec_lo
	s_and_b32 s7, s48, exec_lo
	s_andn2_b32 s9, s58, exec_lo
	s_or_b32 s104, s6, s7
	s_and_b32 s6, s49, exec_lo
	s_andn2_b32 s7, vcc_hi, exec_lo
	s_and_b32 s10, s59, exec_lo
	s_or_b32 s58, s9, s6
	s_or_b32 vcc_hi, s7, s10
	s_andn2_b32 s6, s64, exec_lo
	s_and_b32 s7, s51, exec_lo
	s_andn2_b32 s9, s98, exec_lo
	s_and_b32 s10, s50, exec_lo
	s_or_b32 s64, s6, s7
	s_or_b32 s98, s9, s10
	s_andn2_b32 exec_lo, exec_lo, s97
	s_cbranch_execz .LBB186_491
.LBB186_18:                             ; =>This Loop Header: Depth=1
                                        ;     Child Loop BB186_24 Depth 2
                                        ;     Child Loop BB186_37 Depth 2
	;; [unrolled: 1-line block ×24, first 2 shown]
	ds_read_b128 v[8:11], v19 offset:5120
	s_waitcnt lgkmcnt(0)
	v_readfirstlane_b32 s73, v9
	v_readfirstlane_b32 s72, v8
	s_cmp_lg_u64 s[72:73], 0
	s_cbranch_scc1 .LBB186_45
; %bb.19:                               ;   in Loop: Header=BB186_18 Depth=1
	s_and_b32 vcc_lo, exec_lo, s87
	s_cbranch_vccz .LBB186_32
; %bb.20:                               ;   in Loop: Header=BB186_18 Depth=1
	v_cmp_gt_u64_e32 vcc_lo, 0x181, v[10:11]
	s_mov_b32 s9, 0
	s_mov_b32 s6, 0
	s_cbranch_vccz .LBB186_33
; %bb.21:                               ;   in Loop: Header=BB186_18 Depth=1
	s_and_saveexec_b32 s10, s1
	s_cbranch_execz .LBB186_100
; %bb.22:                               ;   in Loop: Header=BB186_18 Depth=1
	global_load_ushort v2, v19, s[70:71]
	global_load_dwordx2 v[4:5], v[16:17], off
	v_mov_b32_e32 v9, v1
	v_mov_b32_e32 v8, v0
	s_mov_b32 s11, 0
	s_waitcnt vmcnt(1)
	v_and_b32_e32 v2, 0xffff, v2
	s_branch .LBB186_24
.LBB186_23:                             ;   in Loop: Header=BB186_24 Depth=2
	s_or_b32 exec_lo, exec_lo, s7
	v_mov_b32_e32 v4, v10
	v_mov_b32_e32 v5, v11
	s_andn2_b32 exec_lo, exec_lo, s11
	s_cbranch_execz .LBB186_100
.LBB186_24:                             ;   Parent Loop BB186_18 Depth=1
                                        ; =>  This Inner Loop Header: Depth=2
	v_add_co_u32 v8, vcc_lo, v8, v2
	v_mov_b32_e32 v10, 0
	v_add_co_ci_u32_e64 v9, null, 0, v9, vcc_lo
	v_mov_b32_e32 v11, 0
	s_mov_b32 s7, exec_lo
	v_cmp_le_u64_e32 vcc_lo, s[28:29], v[8:9]
	v_cmpx_gt_u64_e64 s[28:29], v[8:9]
	s_cbranch_execz .LBB186_26
; %bb.25:                               ;   in Loop: Header=BB186_24 Depth=2
	s_waitcnt lgkmcnt(0)
	v_mul_lo_u32 v12, v9, s26
	v_mul_lo_u32 v13, v8, s27
	v_mad_u64_u32 v[10:11], null, v8, s26, 0
	v_add3_u32 v11, v11, v13, v12
	v_lshlrev_b64 v[10:11], 3, v[10:11]
	v_add_co_u32 v10, s6, s25, v10
	v_add_co_ci_u32_e64 v11, null, s33, v11, s6
	global_load_dwordx2 v[10:11], v[10:11], off
.LBB186_26:                             ;   in Loop: Header=BB186_24 Depth=2
	s_or_b32 exec_lo, exec_lo, s7
	s_waitcnt vmcnt(0)
	v_cmp_o_f64_e64 s6, v[4:5], v[4:5]
	s_waitcnt lgkmcnt(0)
	v_ashrrev_i32_e32 v12, 31, v5
	v_or_b32_e32 v13, 0x80000000, v12
	v_xor_b32_e32 v12, v12, v4
	v_xor_b32_e32 v13, v13, v5
	v_cndmask_b32_e64 v13, -1, v13, s6
	v_cndmask_b32_e64 v12, -1, v12, s6
	v_and_b32_e32 v13, v13, v25
	v_and_b32_e32 v12, v12, v24
	v_cmp_eq_u64_e64 s6, v[12:13], v[22:23]
	v_mov_b32_e32 v12, 0
	s_cmp_lg_u32 s6, 0
	s_cselect_b32 s7, -1, 0
	s_and_b32 s7, s0, s7
	s_and_saveexec_b32 s12, s7
	s_cbranch_execz .LBB186_30
; %bb.27:                               ;   in Loop: Header=BB186_24 Depth=2
	s_mov_b32 s15, exec_lo
	s_bcnt1_i32_b32 s13, s6
	v_mbcnt_lo_u32_b32 v12, s15, 0
	s_mov_b32 s14, exec_lo
                                        ; implicit-def: $vgpr13
	v_cmpx_eq_u32_e32 0, v12
; %bb.28:                               ;   in Loop: Header=BB186_24 Depth=2
	s_bcnt1_i32_b32 s7, s15
	s_mul_i32 s7, s13, s7
	v_mov_b32_e32 v13, s7
	ds_add_rtn_u32 v13, v19, v13 offset:5144
; %bb.29:                               ;   in Loop: Header=BB186_24 Depth=2
	s_or_b32 exec_lo, exec_lo, s14
	s_waitcnt lgkmcnt(0)
	v_readfirstlane_b32 s7, v13
	v_mad_u32_u24 v12, s13, v12, s7
.LBB186_30:                             ;   in Loop: Header=BB186_24 Depth=2
	s_or_b32 exec_lo, exec_lo, s12
	ds_bpermute_b32 v12, v19, v12
	s_and_b32 s7, exec_lo, vcc_lo
	s_or_b32 s11, s7, s11
	s_and_saveexec_b32 s7, s6
	s_cbranch_execz .LBB186_23
; %bb.31:                               ;   in Loop: Header=BB186_24 Depth=2
	v_and_b32_e32 v13, s6, v32
	v_bcnt_u32_b32 v13, v13, 0
	v_lshlrev_b32_e32 v13, 3, v13
	s_waitcnt lgkmcnt(0)
	v_lshl_add_u32 v12, v12, 3, v13
	ds_write_b64 v12, v[4:5]
	s_branch .LBB186_23
.LBB186_32:                             ;   in Loop: Header=BB186_18 Depth=1
	s_mov_b32 s9, -1
	s_mov_b32 s6, 0
.LBB186_33:                             ;   in Loop: Header=BB186_18 Depth=1
	s_and_b32 vcc_lo, exec_lo, s9
	s_cbranch_vccz .LBB186_43
.LBB186_34:                             ;   in Loop: Header=BB186_18 Depth=1
	s_and_saveexec_b32 s6, s1
	s_cbranch_execz .LBB186_40
; %bb.35:                               ;   in Loop: Header=BB186_18 Depth=1
	global_load_ushort v2, v19, s[70:71]
	global_load_dwordx2 v[4:5], v[16:17], off
	v_mov_b32_e32 v8, v0
	s_mov_b32 s7, exec_lo
	s_waitcnt vmcnt(1)
	v_and_b32_e32 v2, 0xffff, v2
	v_add_nc_u32_e32 v18, v2, v0
	v_cmpx_gt_u64_e64 s[28:29], v[18:19]
	s_cbranch_execz .LBB186_39
; %bb.36:                               ;   in Loop: Header=BB186_18 Depth=1
	v_mov_b32_e32 v10, v18
	v_mov_b32_e32 v9, v1
	;; [unrolled: 1-line block ×4, first 2 shown]
	s_mov_b32 s9, 0
	s_inst_prefetch 0x1
	.p2align	6
.LBB186_37:                             ;   Parent Loop BB186_18 Depth=1
                                        ; =>  This Inner Loop Header: Depth=2
	v_mov_b32_e32 v15, v11
	v_mov_b32_e32 v14, v10
	v_lshlrev_b32_e32 v8, 3, v8
	v_mul_lo_u32 v11, v15, s26
	v_mul_lo_u32 v12, v14, s27
	v_mad_u64_u32 v[9:10], null, v14, s26, 0
	s_waitcnt vmcnt(0)
	ds_write_b64 v8, v[4:5]
	v_add3_u32 v10, v10, v12, v11
	v_lshlrev_b64 v[9:10], 3, v[9:10]
	v_add_co_u32 v9, vcc_lo, s25, v9
	v_add_co_ci_u32_e64 v10, null, s33, v10, vcc_lo
	global_load_dwordx2 v[12:13], v[9:10], off
	v_add_co_u32 v10, vcc_lo, v14, v2
	v_add_co_ci_u32_e64 v11, null, 0, v15, vcc_lo
	v_mov_b32_e32 v8, v14
	v_mov_b32_e32 v9, v15
	v_cmp_le_u64_e32 vcc_lo, s[28:29], v[10:11]
	s_or_b32 s9, vcc_lo, s9
	s_waitcnt vmcnt(0)
	v_mov_b32_e32 v4, v12
	v_mov_b32_e32 v5, v13
	s_andn2_b32 exec_lo, exec_lo, s9
	s_cbranch_execnz .LBB186_37
; %bb.38:                               ;   in Loop: Header=BB186_18 Depth=1
	s_inst_prefetch 0x2
	s_or_b32 exec_lo, exec_lo, s9
	v_mov_b32_e32 v4, v12
	v_sub_nc_u32_e32 v8, v10, v2
	v_mov_b32_e32 v5, v13
.LBB186_39:                             ;   in Loop: Header=BB186_18 Depth=1
	s_or_b32 exec_lo, exec_lo, s7
	v_lshlrev_b32_e32 v2, 3, v8
	s_waitcnt vmcnt(0)
	ds_write_b64 v2, v[4:5]
.LBB186_40:                             ;   in Loop: Header=BB186_18 Depth=1
	s_or_b32 exec_lo, exec_lo, s6
	s_waitcnt lgkmcnt(0)
	s_barrier
	buffer_gl0_inv
	s_and_saveexec_b32 s6, s3
; %bb.41:                               ;   in Loop: Header=BB186_18 Depth=1
	v_mov_b32_e32 v4, s28
	v_mov_b32_e32 v5, s29
	ds_write_b64 v19, v[4:5] offset:5120
; %bb.42:                               ;   in Loop: Header=BB186_18 Depth=1
	s_or_b32 exec_lo, exec_lo, s6
	s_mov_b32 s6, -1
	s_waitcnt lgkmcnt(0)
	s_barrier
.LBB186_43:                             ;   in Loop: Header=BB186_18 Depth=1
	s_and_b32 vcc_lo, exec_lo, s6
	s_mov_b64 s[72:73], 0
	s_cbranch_vccz .LBB186_45
; %bb.44:                               ;   in Loop: Header=BB186_18 Depth=1
	buffer_gl0_inv
	ds_read_b64 v[4:5], v19 offset:5120
	s_waitcnt lgkmcnt(0)
	v_readfirstlane_b32 s72, v4
.LBB186_45:                             ;   in Loop: Header=BB186_18 Depth=1
	s_cmp_lt_i32 s72, 1
	s_mov_b32 s6, -1
                                        ; implicit-def: $vgpr8_vgpr9
                                        ; implicit-def: $vgpr12_vgpr13
	s_cbranch_scc1 .LBB186_55
; %bb.46:                               ;   in Loop: Header=BB186_18 Depth=1
	s_and_b32 vcc_lo, exec_lo, s6
	s_cbranch_vccnz .LBB186_69
.LBB186_47:                             ;   in Loop: Header=BB186_18 Depth=1
	s_lshl_b32 s6, s99, 7
	s_and_saveexec_b32 s7, s0
	s_cbranch_execz .LBB186_49
.LBB186_48:                             ;   in Loop: Header=BB186_18 Depth=1
	v_lshl_add_u32 v2, s6, 3, v36
	ds_write_b128 v2, v[8:11]
	ds_write_b128 v2, v[12:15] offset:16
.LBB186_49:                             ;   in Loop: Header=BB186_18 Depth=1
	s_or_b32 exec_lo, exec_lo, s7
	s_waitcnt lgkmcnt(0)
	s_barrier
	buffer_gl0_inv
	s_and_saveexec_b32 s7, s86
	s_cbranch_execz .LBB186_83
; %bb.50:                               ;   in Loop: Header=BB186_18 Depth=1
	v_mov_b32_e32 v4, 0
	v_mov_b32_e32 v5, 0
	s_andn2_b32 vcc_lo, exec_lo, s89
	s_cbranch_vccnz .LBB186_82
; %bb.51:                               ;   in Loop: Header=BB186_18 Depth=1
	v_mov_b32_e32 v4, 0
	v_mov_b32_e32 v5, 0
	s_andn2_b32 vcc_lo, exec_lo, s94
	s_cbranch_vccnz .LBB186_79
; %bb.52:                               ;   in Loop: Header=BB186_18 Depth=1
	v_lshl_add_u32 v2, s99, 10, v38
	s_mov_b32 s9, 0
	s_inst_prefetch 0x1
	.p2align	6
.LBB186_53:                             ;   Parent Loop BB186_18 Depth=1
                                        ; =>  This Inner Loop Header: Depth=2
	ds_read2_b64 v[8:11], v2 offset1:4
	ds_read2_b64 v[12:15], v2 offset0:8 offset1:12
	ds_read2_b64 v[28:31], v2 offset0:16 offset1:20
	s_add_i32 s9, s9, 8
	s_cmp_eq_u32 s88, s9
	s_waitcnt lgkmcnt(2)
	v_add_co_u32 v4, vcc_lo, v8, v4
	v_add_co_ci_u32_e64 v5, null, v9, v5, vcc_lo
	v_add_co_u32 v4, vcc_lo, v10, v4
	v_add_co_ci_u32_e64 v5, null, v11, v5, vcc_lo
	ds_read2_b64 v[8:11], v2 offset0:24 offset1:28
	s_waitcnt lgkmcnt(2)
	v_add_co_u32 v4, vcc_lo, v12, v4
	v_add_co_ci_u32_e64 v5, null, v13, v5, vcc_lo
	v_add_nc_u32_e32 v2, 0x100, v2
	v_add_co_u32 v4, vcc_lo, v14, v4
	v_add_co_ci_u32_e64 v5, null, v15, v5, vcc_lo
	s_waitcnt lgkmcnt(1)
	v_add_co_u32 v4, vcc_lo, v28, v4
	v_add_co_ci_u32_e64 v5, null, v29, v5, vcc_lo
	v_add_co_u32 v4, vcc_lo, v30, v4
	v_add_co_ci_u32_e64 v5, null, v31, v5, vcc_lo
	s_waitcnt lgkmcnt(0)
	v_add_co_u32 v4, vcc_lo, v8, v4
	v_add_co_ci_u32_e64 v5, null, v9, v5, vcc_lo
	v_add_co_u32 v4, vcc_lo, v10, v4
	v_add_co_ci_u32_e64 v5, null, v11, v5, vcc_lo
	s_cbranch_scc0 .LBB186_53
; %bb.54:                               ;   in Loop: Header=BB186_18 Depth=1
	s_inst_prefetch 0x2
	s_mov_b32 s9, s88
	s_andn2_b32 vcc_lo, exec_lo, s95
	s_cbranch_vccz .LBB186_80
	s_branch .LBB186_82
.LBB186_55:                             ;   in Loop: Header=BB186_18 Depth=1
	global_load_ushort v2, v19, s[70:71]
	s_mov_b32 s7, s29
	s_waitcnt vmcnt(0)
	v_readfirstlane_b32 s6, v2
	s_and_b32 s9, 0xffff, s6
	s_mov_b32 s6, s67
	s_lshl_b32 s56, s9, 2
	s_cmp_lg_u64 s[6:7], 0
	s_cbranch_scc0 .LBB186_78
; %bb.56:                               ;   in Loop: Header=BB186_18 Depth=1
	v_cvt_f32_u32_e32 v4, s56
	s_sub_u32 s9, 0, s56
	s_subb_u32 s10, 0, 0
	v_fmac_f32_e64 v4, 0x4f800000, 0
	v_rcp_f32_e32 v4, v4
	v_mul_f32_e32 v4, 0x5f7ffffc, v4
	v_mul_f32_e32 v5, 0x2f800000, v4
	v_trunc_f32_e32 v5, v5
	v_fmac_f32_e32 v4, 0xcf800000, v5
	v_cvt_u32_f32_e32 v5, v5
	v_cvt_u32_f32_e32 v4, v4
	v_readfirstlane_b32 s6, v5
	v_readfirstlane_b32 s7, v4
	s_mul_i32 s11, s9, s6
	s_mul_hi_u32 s13, s9, s7
	s_mul_i32 s12, s10, s7
	s_add_i32 s11, s13, s11
	s_mul_i32 s14, s9, s7
	s_add_i32 s11, s11, s12
	s_mul_hi_u32 s13, s7, s14
	s_mul_i32 s16, s7, s11
	s_mul_hi_u32 s15, s6, s14
	s_mul_i32 s12, s6, s14
	s_mul_hi_u32 s14, s7, s11
	s_add_u32 s13, s13, s16
	s_addc_u32 s14, 0, s14
	s_mul_hi_u32 s17, s6, s11
	s_add_u32 s12, s13, s12
	s_mul_i32 s11, s6, s11
	s_addc_u32 s12, s14, s15
	s_addc_u32 s13, s17, 0
	s_add_u32 s11, s12, s11
	s_addc_u32 s12, 0, s13
	s_add_u32 s7, s7, s11
	s_cselect_b32 s11, -1, 0
	s_mul_hi_u32 s13, s9, s7
	s_cmp_lg_u32 s11, 0
	s_mul_i32 s11, s9, s7
	s_addc_u32 s6, s6, s12
	s_mul_i32 s10, s10, s7
	s_mul_i32 s9, s9, s6
	s_mul_hi_u32 s12, s7, s11
	s_add_i32 s9, s13, s9
	s_mul_hi_u32 s13, s6, s11
	s_add_i32 s9, s9, s10
	s_mul_i32 s10, s6, s11
	s_mul_i32 s15, s7, s9
	s_mul_hi_u32 s14, s7, s9
	s_add_u32 s12, s12, s15
	s_addc_u32 s14, 0, s14
	s_mul_hi_u32 s11, s6, s9
	s_add_u32 s10, s12, s10
	s_mul_i32 s9, s6, s9
	s_addc_u32 s10, s14, s13
	s_addc_u32 s11, s11, 0
	s_add_u32 s9, s10, s9
	s_addc_u32 s10, 0, s11
	s_add_u32 s7, s7, s9
	s_cselect_b32 s9, -1, 0
	s_mul_hi_u32 s11, s28, s7
	s_cmp_lg_u32 s9, 0
	s_mul_hi_u32 s9, s29, s7
	s_addc_u32 s6, s6, s10
	s_mul_i32 s7, s29, s7
	s_mul_i32 s12, s28, s6
	s_mul_hi_u32 s10, s28, s6
	s_add_u32 s11, s11, s12
	s_addc_u32 s10, 0, s10
	s_mul_hi_u32 s13, s29, s6
	s_add_u32 s7, s11, s7
	s_mul_i32 s6, s29, s6
	s_addc_u32 s7, s10, s9
	s_addc_u32 s9, s13, 0
	s_add_u32 s6, s7, s6
	s_addc_u32 s7, 0, s9
	s_mul_hi_u32 s9, s56, s6
	s_mul_i32 s7, s56, s7
	s_mul_i32 s6, s56, s6
	s_add_i32 s9, s9, s7
	s_sub_u32 s6, s28, s6
	s_cselect_b32 s7, -1, 0
	s_cmp_lg_u32 s7, 0
	s_subb_u32 s7, s29, s9
	s_sub_u32 s9, s6, s56
	s_cselect_b32 s10, -1, 0
	s_cmp_lg_u32 s10, 0
	s_subb_u32 s10, s7, 0
	s_sub_u32 s11, s9, s56
	s_cselect_b32 s12, -1, 0
	s_cmp_lg_u32 s12, 0
	s_subb_u32 s12, s10, 0
	s_cmp_ge_u32 s9, s56
	s_cselect_b32 s13, -1, 0
	s_cmp_eq_u32 s10, 0
	s_cselect_b32 s13, s13, -1
	s_cmp_lg_u32 s13, 0
	s_cselect_b32 s10, s12, s10
	s_cselect_b32 s9, s11, s9
	s_cmp_ge_u32 s6, s56
	s_cselect_b32 s11, -1, 0
	s_cmp_eq_u32 s7, 0
	s_cselect_b32 s11, s11, -1
	s_cmp_lg_u32 s11, 0
	s_cselect_b32 s7, s10, s7
	s_cselect_b32 s6, s9, s6
	s_cbranch_execnz .LBB186_58
.LBB186_57:                             ;   in Loop: Header=BB186_18 Depth=1
	v_cvt_f32_u32_e32 v4, s56
	s_sub_i32 s7, 0, s56
	v_rcp_iflag_f32_e32 v4, v4
	v_mul_f32_e32 v4, 0x4f7ffffe, v4
	v_cvt_u32_f32_e32 v4, v4
	v_readfirstlane_b32 s6, v4
	s_mul_i32 s7, s7, s6
	s_mul_hi_u32 s7, s6, s7
	s_add_i32 s6, s6, s7
	s_mul_hi_u32 s6, s28, s6
	s_mul_i32 s6, s6, s56
	s_sub_i32 s6, s28, s6
	s_sub_i32 s7, s6, s56
	s_cmp_ge_u32 s6, s56
	s_cselect_b32 s6, s7, s6
	s_sub_i32 s7, s6, s56
	s_cmp_ge_u32 s6, s56
	s_cselect_b32 s66, s7, s6
	s_mov_b64 s[6:7], s[66:67]
.LBB186_58:                             ;   in Loop: Header=BB186_18 Depth=1
	v_mov_b32_e32 v8, 0
	v_mov_b32_e32 v10, 0
	;; [unrolled: 1-line block ×8, first 2 shown]
	s_sub_u32 s74, s28, s6
	s_subb_u32 s75, s29, s7
	s_mov_b32 s44, exec_lo
	v_cmpx_gt_u64_e64 s[74:75], v[20:21]
	s_cbranch_execz .LBB186_62
; %bb.59:                               ;   in Loop: Header=BB186_18 Depth=1
	v_mov_b32_e32 v4, v20
	v_mov_b32_e32 v5, v21
	s_mov_b64 s[76:77], 0
	s_mov_b32 s45, 0
	s_mov_b64 s[78:79], 0
	s_mov_b64 s[80:81], 0
	;; [unrolled: 1-line block ×3, first 2 shown]
.LBB186_60:                             ;   Parent Loop BB186_18 Depth=1
                                        ; =>  This Inner Loop Header: Depth=2
	v_mul_lo_u32 v10, v5, s26
	v_mul_lo_u32 v11, v4, s27
	v_mad_u64_u32 v[8:9], null, v4, s26, 0
	s_lshl_b64 s[10:11], s[26:27], 3
	v_add3_u32 v9, v9, v11, v10
	v_lshlrev_b64 v[8:9], 3, v[8:9]
	v_add_co_u32 v8, vcc_lo, s25, v8
	v_add_co_ci_u32_e64 v9, null, s33, v9, vcc_lo
	v_add_co_u32 v10, vcc_lo, v8, s10
	v_add_co_ci_u32_e64 v11, null, s11, v9, vcc_lo
	global_load_dwordx2 v[8:9], v[8:9], off
	s_waitcnt vmcnt(0)
	v_ashrrev_i32_e32 v12, 31, v9
	v_cmp_o_f64_e32 vcc_lo, v[8:9], v[8:9]
	v_or_b32_e32 v13, 0x80000000, v12
	v_xor_b32_e32 v12, v12, v8
	v_add_co_u32 v8, s6, v10, s10
	v_xor_b32_e32 v13, v13, v9
	v_add_co_ci_u32_e64 v9, null, s11, v11, s6
	global_load_dwordx2 v[10:11], v[10:11], off
	s_waitcnt vmcnt(0)
	v_ashrrev_i32_e32 v14, 31, v11
	v_cmp_o_f64_e64 s6, v[10:11], v[10:11]
	v_or_b32_e32 v15, 0x80000000, v14
	v_xor_b32_e32 v14, v14, v10
	v_add_co_u32 v10, s7, v8, s10
	v_xor_b32_e32 v15, v15, v11
	v_add_co_ci_u32_e64 v11, null, s11, v9, s7
	global_load_dwordx2 v[8:9], v[8:9], off
	s_waitcnt vmcnt(0)
	v_ashrrev_i32_e32 v18, 31, v9
	v_cmp_o_f64_e64 s7, v[8:9], v[8:9]
	v_or_b32_e32 v28, 0x80000000, v18
	v_xor_b32_e32 v29, v18, v8
	v_xor_b32_e32 v28, v28, v9
	global_load_dwordx2 v[8:9], v[10:11], off
	s_waitcnt vmcnt(0)
	v_ashrrev_i32_e32 v10, 31, v9
	v_cmp_o_f64_e64 s9, v[8:9], v[8:9]
	v_or_b32_e32 v11, 0x80000000, v10
	v_xor_b32_e32 v30, v10, v8
	v_cndmask_b32_e32 v8, -1, v12, vcc_lo
	v_xor_b32_e32 v31, v11, v9
	v_cndmask_b32_e32 v9, -1, v13, vcc_lo
	v_and_b32_e32 v10, v8, v24
	v_and_b32_e32 v11, v9, v25
	v_lshrrev_b64 v[8:9], s65, v[8:9]
	v_cndmask_b32_e64 v9, -1, v15, s6
	v_cmp_eq_u64_e32 vcc_lo, v[10:11], v[22:23]
	v_and_b32_e32 v18, 3, v8
	v_cndmask_b32_e64 v8, -1, v14, s6
	v_and_b32_e32 v11, v9, v25
	v_cmp_eq_u64_e64 s22, 0, v[18:19]
	v_and_b32_e32 v10, v8, v24
	v_lshrrev_b64 v[8:9], s65, v[8:9]
	v_mov_b32_e32 v9, v19
	v_cmp_eq_u64_e64 s23, 1, v[18:19]
	v_cmp_eq_u64_e64 s6, v[10:11], v[22:23]
	v_cndmask_b32_e64 v11, -1, v28, s7
	v_cndmask_b32_e64 v10, -1, v29, s7
	v_and_b32_e32 v8, 3, v8
	s_and_b32 s22, vcc_lo, s22
	v_and_b32_e32 v13, v11, v25
	v_and_b32_e32 v12, v10, v24
	v_cmp_eq_u64_e64 s10, 0, v[8:9]
	v_cmp_eq_u64_e64 s11, 1, v[8:9]
	;; [unrolled: 1-line block ×4, first 2 shown]
	v_cndmask_b32_e64 v9, -1, v31, s9
	v_cndmask_b32_e64 v8, -1, v30, s9
	v_cmp_eq_u64_e64 s7, v[12:13], v[22:23]
	v_lshrrev_b64 v[10:11], s65, v[10:11]
	v_mov_b32_e32 v11, v19
	v_and_b32_e32 v13, v9, v25
	v_and_b32_e32 v12, v8, v24
	v_lshrrev_b64 v[8:9], s65, v[8:9]
	v_mov_b32_e32 v9, v19
	v_and_b32_e32 v10, 3, v10
	s_and_b32 s10, s6, s10
	v_cmp_eq_u64_e64 s9, v[12:13], v[22:23]
	v_and_b32_e32 v8, 3, v8
	v_cmp_eq_u64_e64 s14, 0, v[10:11]
	v_cmp_eq_u64_e64 s15, 1, v[10:11]
	;; [unrolled: 1-line block ×8, first 2 shown]
	v_cndmask_b32_e64 v8, 0, 1, s22
	s_and_b32 s14, s7, s14
	s_and_b32 s18, s9, s18
	v_cmp_ne_u32_e64 s22, 0, v8
	v_cndmask_b32_e64 v8, 0, 1, s10
	s_bcnt1_i32_b32 s22, s22
	v_cmp_ne_u32_e64 s10, 0, v8
	v_cndmask_b32_e64 v8, 0, 1, s14
	s_bcnt1_i32_b32 s10, s10
	v_cmp_ne_u32_e64 s14, 0, v8
	v_cndmask_b32_e64 v8, 0, 1, s18
	s_add_i32 s10, s10, s22
	s_bcnt1_i32_b32 s14, s14
	v_cmp_ne_u32_e64 s18, 0, v8
	s_add_i32 s10, s10, s14
	s_bcnt1_i32_b32 s14, s18
	v_cmp_eq_u64_e64 s18, 2, v[18:19]
	s_add_i32 s10, s10, s14
	s_add_u32 s82, s82, s10
	s_addc_u32 s83, s83, 0
	s_and_b32 s10, vcc_lo, s23
	s_and_b32 s11, s6, s11
	v_cndmask_b32_e64 v8, 0, 1, s10
	s_and_b32 s14, s7, s15
	s_and_b32 s15, s9, s19
	v_cmp_ne_u32_e64 s10, 0, v8
	v_cndmask_b32_e64 v8, 0, 1, s11
	s_bcnt1_i32_b32 s10, s10
	v_cmp_ne_u32_e64 s11, 0, v8
	v_cndmask_b32_e64 v8, 0, 1, s14
	s_bcnt1_i32_b32 s11, s11
	v_cmp_ne_u32_e64 s14, 0, v8
	v_cndmask_b32_e64 v8, 0, 1, s15
	s_add_i32 s10, s11, s10
	s_bcnt1_i32_b32 s14, s14
	v_cmp_ne_u32_e64 s15, 0, v8
	s_add_i32 s10, s10, s14
	s_bcnt1_i32_b32 s15, s15
	s_add_i32 s10, s10, s15
	v_cmp_eq_u64_e64 s15, 3, v[18:19]
	s_add_u32 s80, s80, s10
	s_addc_u32 s81, s81, 0
	s_and_b32 s10, vcc_lo, s18
	s_and_b32 s11, s6, s12
	v_cndmask_b32_e64 v8, 0, 1, s10
	s_and_b32 s12, s7, s16
	s_and_b32 s14, s9, s20
	v_mov_b32_e32 v10, s80
	v_mov_b32_e32 v11, s81
	v_cmp_ne_u32_e64 s10, 0, v8
	v_cndmask_b32_e64 v8, 0, 1, s11
	s_bcnt1_i32_b32 s10, s10
	v_cmp_ne_u32_e64 s11, 0, v8
	v_cndmask_b32_e64 v8, 0, 1, s12
	s_bcnt1_i32_b32 s11, s11
	v_cmp_ne_u32_e64 s12, 0, v8
	v_cndmask_b32_e64 v8, 0, 1, s14
	s_add_i32 s10, s11, s10
	s_bcnt1_i32_b32 s12, s12
	v_cmp_ne_u32_e64 s14, 0, v8
	s_add_i32 s10, s10, s12
	s_bcnt1_i32_b32 s14, s14
	s_add_i32 s10, s10, s14
	s_add_u32 s78, s78, s10
	s_addc_u32 s79, s79, 0
	s_and_b32 s10, vcc_lo, s15
	s_and_b32 s6, s6, s13
	v_cndmask_b32_e64 v8, 0, 1, s10
	s_and_b32 s7, s7, s17
	s_and_b32 s9, s9, s21
	v_add_co_u32 v4, s10, v4, s56
	v_cmp_ne_u32_e32 vcc_lo, 0, v8
	v_cndmask_b32_e64 v8, 0, 1, s6
	v_add_co_ci_u32_e64 v5, null, 0, v5, s10
	v_mov_b32_e32 v12, s78
	s_bcnt1_i32_b32 s11, vcc_lo
	v_cmp_ne_u32_e64 s6, 0, v8
	v_cndmask_b32_e64 v8, 0, 1, s7
	v_cmp_le_u64_e64 s10, s[74:75], v[4:5]
	v_mov_b32_e32 v13, s79
	s_bcnt1_i32_b32 s6, s6
	v_cmp_ne_u32_e64 s7, 0, v8
	v_cndmask_b32_e64 v8, 0, 1, s9
	s_add_i32 s6, s6, s11
	s_bcnt1_i32_b32 s7, s7
	v_cmp_ne_u32_e64 s9, 0, v8
	s_add_i32 s6, s6, s7
	v_mov_b32_e32 v8, s82
	v_mov_b32_e32 v9, s83
	s_bcnt1_i32_b32 s9, s9
	s_add_i32 s6, s6, s9
	s_add_u32 s76, s76, s6
	s_addc_u32 s77, s77, 0
	v_mov_b32_e32 v14, s76
	v_mov_b32_e32 v15, s77
	s_or_b32 s45, s10, s45
	s_andn2_b32 exec_lo, exec_lo, s45
	s_cbranch_execnz .LBB186_60
; %bb.61:                               ;   in Loop: Header=BB186_18 Depth=1
	s_or_b32 exec_lo, exec_lo, s45
.LBB186_62:                             ;   in Loop: Header=BB186_18 Depth=1
	s_or_b32 exec_lo, exec_lo, s44
	v_add_co_u32 v4, s6, s74, v0
	v_and_b32_e32 v2, 0xffff, v2
	v_add_co_ci_u32_e64 v5, null, s75, 0, s6
	s_mov_b32 s11, exec_lo
	v_cmpx_gt_u64_e64 s[28:29], v[4:5]
	s_cbranch_execz .LBB186_68
; %bb.63:                               ;   in Loop: Header=BB186_18 Depth=1
	v_mul_lo_u32 v18, v5, s26
	v_mul_lo_u32 v30, v4, s27
	v_mad_u64_u32 v[28:29], null, v4, s26, 0
	s_mov_b32 s12, 0
	v_add3_u32 v29, v29, v30, v18
	v_lshlrev_b64 v[28:29], 3, v[28:29]
	v_add_co_u32 v28, vcc_lo, s25, v28
	v_add_co_ci_u32_e64 v29, null, s33, v29, vcc_lo
	global_load_dwordx2 v[30:31], v[28:29], off
	s_branch .LBB186_65
.LBB186_64:                             ;   in Loop: Header=BB186_65 Depth=2
	s_or_b32 exec_lo, exec_lo, s7
	s_waitcnt vmcnt(0)
	v_cmp_o_f64_e64 s6, v[30:31], v[30:31]
	v_ashrrev_i32_e32 v18, 31, v31
	s_and_b32 s9, exec_lo, vcc_lo
	s_or_b32 s12, s9, s12
	v_or_b32_e32 v39, 0x80000000, v18
	v_xor_b32_e32 v18, v18, v30
	v_xor_b32_e32 v39, v39, v31
	v_cndmask_b32_e64 v31, -1, v39, s6
	v_cndmask_b32_e64 v30, -1, v18, s6
	v_lshrrev_b64 v[39:40], s65, v[30:31]
	v_and_b32_e32 v31, v31, v25
	v_and_b32_e32 v30, v30, v24
	;; [unrolled: 1-line block ×3, first 2 shown]
	v_cmp_eq_u64_e64 s6, v[30:31], v[22:23]
	v_cmp_eq_u64_e64 s7, 0, v[18:19]
	v_cmp_eq_u64_e32 vcc_lo, 1, v[18:19]
	v_cmp_eq_u64_e64 s9, 2, v[18:19]
	v_cmp_eq_u64_e64 s10, 3, v[18:19]
	s_and_b32 s7, s6, s7
	v_cndmask_b32_e64 v18, 0, 1, s7
	s_and_b32 s7, s6, vcc_lo
	v_cndmask_b32_e64 v30, 0, 1, s7
	s_and_b32 s7, s6, s9
	s_and_b32 s6, s6, s10
	v_cndmask_b32_e64 v31, 0, 1, s7
	v_cmp_ne_u32_e32 vcc_lo, 0, v18
	v_cndmask_b32_e64 v39, 0, 1, s6
	v_cmp_ne_u32_e64 s6, 0, v30
	v_cmp_ne_u32_e64 s7, 0, v31
	s_bcnt1_i32_b32 s10, vcc_lo
	v_cmp_ne_u32_e64 s9, 0, v39
	s_bcnt1_i32_b32 s6, s6
	v_add_co_u32 v8, vcc_lo, v8, s10
	s_bcnt1_i32_b32 s7, s7
	v_add_co_ci_u32_e64 v9, null, 0, v9, vcc_lo
	v_add_co_u32 v10, vcc_lo, v10, s6
	s_bcnt1_i32_b32 s9, s9
	v_add_co_ci_u32_e64 v11, null, 0, v11, vcc_lo
	v_add_co_u32 v12, vcc_lo, v12, s7
	v_add_co_ci_u32_e64 v13, null, 0, v13, vcc_lo
	v_add_co_u32 v14, vcc_lo, v14, s9
	v_mov_b32_e32 v31, v29
	v_add_co_ci_u32_e64 v15, null, 0, v15, vcc_lo
	v_mov_b32_e32 v30, v28
	s_andn2_b32 exec_lo, exec_lo, s12
	s_cbranch_execz .LBB186_67
.LBB186_65:                             ;   Parent Loop BB186_18 Depth=1
                                        ; =>  This Inner Loop Header: Depth=2
	v_add_co_u32 v4, vcc_lo, v4, v2
	v_mov_b32_e32 v28, 0
	v_add_co_ci_u32_e64 v5, null, 0, v5, vcc_lo
	v_mov_b32_e32 v29, 0
	s_mov_b32 s7, exec_lo
	v_cmp_le_u64_e32 vcc_lo, s[28:29], v[4:5]
	v_cmpx_gt_u64_e64 s[28:29], v[4:5]
	s_cbranch_execz .LBB186_64
; %bb.66:                               ;   in Loop: Header=BB186_65 Depth=2
	v_mul_lo_u32 v18, v5, s26
	v_mul_lo_u32 v39, v4, s27
	v_mad_u64_u32 v[28:29], null, v4, s26, 0
	v_add3_u32 v29, v29, v39, v18
	v_lshlrev_b64 v[28:29], 3, v[28:29]
	v_add_co_u32 v28, s6, s25, v28
	v_add_co_ci_u32_e64 v29, null, s33, v29, s6
	global_load_dwordx2 v[28:29], v[28:29], off
	s_branch .LBB186_64
.LBB186_67:                             ;   in Loop: Header=BB186_18 Depth=1
	s_or_b32 exec_lo, exec_lo, s12
.LBB186_68:                             ;   in Loop: Header=BB186_18 Depth=1
	s_or_b32 exec_lo, exec_lo, s11
	s_branch .LBB186_47
.LBB186_69:                             ;   in Loop: Header=BB186_18 Depth=1
	global_load_ushort v2, v19, s[70:71]
	v_mov_b32_e32 v8, 0
	v_mov_b32_e32 v10, 0
	;; [unrolled: 1-line block ×8, first 2 shown]
	s_mov_b32 s46, exec_lo
	s_waitcnt vmcnt(0)
	v_readfirstlane_b32 s6, v2
	s_and_b32 s44, 0xffff, s6
	s_lshl_b32 s45, s44, 2
	v_cvt_f32_u32_e32 v4, s45
	s_sub_i32 s7, 0, s45
	v_rcp_iflag_f32_e32 v4, v4
	v_mul_f32_e32 v4, 0x4f7ffffe, v4
	v_cvt_u32_f32_e32 v4, v4
	v_readfirstlane_b32 s6, v4
	s_mul_i32 s7, s7, s6
	s_mul_hi_u32 s7, s6, s7
	s_add_i32 s6, s6, s7
	s_mul_hi_u32 s6, s72, s6
	s_mul_i32 s7, s6, s45
	s_add_i32 s9, s6, 1
	s_sub_i32 s7, s72, s7
	s_sub_i32 s10, s7, s45
	s_cmp_ge_u32 s7, s45
	s_cselect_b32 s6, s9, s6
	s_cselect_b32 s7, s10, s7
	s_add_i32 s9, s6, 1
	s_cmp_ge_u32 s7, s45
	s_cselect_b32 s6, s9, s6
	s_mul_hi_u32 s75, s44, s6
	s_mul_i32 s74, s44, s6
	s_lshl_b64 s[76:77], s[74:75], 2
	v_cmpx_gt_u64_e64 s[76:77], v[20:21]
	s_cbranch_execz .LBB186_73
; %bb.70:                               ;   in Loop: Header=BB186_18 Depth=1
	v_mov_b32_e32 v4, v20
	v_mov_b32_e32 v28, v37
	;; [unrolled: 1-line block ×3, first 2 shown]
	s_lshl_b32 s47, s44, 5
	s_mov_b64 s[78:79], 0
	s_mov_b32 s56, 0
	s_mov_b64 s[80:81], 0
	s_mov_b64 s[82:83], 0
	;; [unrolled: 1-line block ×3, first 2 shown]
.LBB186_71:                             ;   Parent Loop BB186_18 Depth=1
                                        ; =>  This Inner Loop Header: Depth=2
	ds_read_b128 v[8:11], v28
	s_waitcnt lgkmcnt(0)
	v_ashrrev_i32_e32 v12, 31, v9
	v_cmp_o_f64_e32 vcc_lo, v[8:9], v[8:9]
	v_cmp_o_f64_e64 s6, v[10:11], v[10:11]
	v_or_b32_e32 v13, 0x80000000, v12
	v_xor_b32_e32 v12, v12, v8
	v_ashrrev_i32_e32 v8, 31, v11
	v_xor_b32_e32 v13, v13, v9
	v_or_b32_e32 v14, 0x80000000, v8
	v_xor_b32_e32 v15, v8, v10
	v_xor_b32_e32 v14, v14, v11
	ds_read_b128 v[8:11], v28 offset:16
	v_add_nc_u32_e32 v28, s47, v28
	s_waitcnt lgkmcnt(0)
	v_ashrrev_i32_e32 v18, 31, v9
	v_cmp_o_f64_e64 s7, v[8:9], v[8:9]
	v_cmp_o_f64_e64 s9, v[10:11], v[10:11]
	v_or_b32_e32 v29, 0x80000000, v18
	v_xor_b32_e32 v18, v18, v8
	v_ashrrev_i32_e32 v8, 31, v11
	v_xor_b32_e32 v29, v29, v9
	v_cndmask_b32_e32 v9, -1, v13, vcc_lo
	v_or_b32_e32 v30, 0x80000000, v8
	v_xor_b32_e32 v31, v8, v10
	v_cndmask_b32_e32 v8, -1, v12, vcc_lo
	v_xor_b32_e32 v30, v30, v11
	v_and_b32_e32 v11, v9, v25
	v_and_b32_e32 v10, v8, v24
	v_lshrrev_b64 v[8:9], s65, v[8:9]
	v_cmp_eq_u64_e32 vcc_lo, v[10:11], v[22:23]
	v_cndmask_b32_e64 v11, -1, v14, s6
	v_cndmask_b32_e64 v10, -1, v15, s6
	v_and_b32_e32 v13, v11, v25
	v_and_b32_e32 v12, v10, v24
	v_cmp_eq_u64_e64 s6, v[12:13], v[22:23]
	v_cndmask_b32_e64 v12, -1, v18, s7
	v_and_b32_e32 v18, 3, v8
	v_lshrrev_b64 v[8:9], s65, v[10:11]
	v_cndmask_b32_e64 v13, -1, v29, s7
	v_mov_b32_e32 v9, v19
	v_and_b32_e32 v14, v12, v24
	v_cmp_eq_u64_e64 s22, 0, v[18:19]
	v_cmp_eq_u64_e64 s23, 1, v[18:19]
	v_and_b32_e32 v8, 3, v8
	v_and_b32_e32 v15, v13, v25
	s_and_b32 s22, vcc_lo, s22
	v_cmp_eq_u64_e64 s10, 0, v[8:9]
	v_cmp_eq_u64_e64 s11, 1, v[8:9]
	;; [unrolled: 1-line block ×4, first 2 shown]
	v_lshrrev_b64 v[8:9], s65, v[12:13]
	v_cmp_eq_u64_e64 s7, v[14:15], v[22:23]
	v_cndmask_b32_e64 v15, -1, v30, s9
	v_cndmask_b32_e64 v14, -1, v31, s9
	v_mov_b32_e32 v9, v19
	s_and_b32 s10, s6, s10
	v_and_b32_e32 v8, 3, v8
	v_and_b32_e32 v30, v15, v25
	;; [unrolled: 1-line block ×3, first 2 shown]
	v_cmp_eq_u64_e64 s14, 0, v[8:9]
	v_cmp_eq_u64_e64 s15, 1, v[8:9]
	;; [unrolled: 1-line block ×4, first 2 shown]
	v_lshrrev_b64 v[8:9], s65, v[14:15]
	v_mov_b32_e32 v9, v19
	v_cmp_eq_u64_e64 s9, v[29:30], v[22:23]
	s_and_b32 s14, s7, s14
	v_and_b32_e32 v8, 3, v8
	v_cmp_eq_u64_e64 s18, 0, v[8:9]
	v_cmp_eq_u64_e64 s19, 1, v[8:9]
	;; [unrolled: 1-line block ×4, first 2 shown]
	v_cndmask_b32_e64 v8, 0, 1, s22
	s_and_b32 s18, s9, s18
	v_cmp_ne_u32_e64 s22, 0, v8
	v_cndmask_b32_e64 v8, 0, 1, s10
	s_bcnt1_i32_b32 s22, s22
	v_cmp_ne_u32_e64 s10, 0, v8
	v_cndmask_b32_e64 v8, 0, 1, s14
	s_bcnt1_i32_b32 s10, s10
	v_cmp_ne_u32_e64 s14, 0, v8
	v_cndmask_b32_e64 v8, 0, 1, s18
	s_add_i32 s10, s10, s22
	s_bcnt1_i32_b32 s14, s14
	v_cmp_ne_u32_e64 s18, 0, v8
	s_add_i32 s10, s10, s14
	s_bcnt1_i32_b32 s18, s18
	s_add_i32 s10, s10, s18
	v_cmp_eq_u64_e64 s18, 2, v[18:19]
	s_add_u32 s84, s84, s10
	s_addc_u32 s85, s85, 0
	s_and_b32 s10, vcc_lo, s23
	s_and_b32 s11, s6, s11
	v_cndmask_b32_e64 v8, 0, 1, s10
	s_and_b32 s14, s7, s15
	s_and_b32 s15, s9, s19
	v_cmp_ne_u32_e64 s10, 0, v8
	v_cndmask_b32_e64 v8, 0, 1, s11
	s_bcnt1_i32_b32 s10, s10
	v_cmp_ne_u32_e64 s11, 0, v8
	v_cndmask_b32_e64 v8, 0, 1, s14
	s_bcnt1_i32_b32 s11, s11
	v_cmp_ne_u32_e64 s14, 0, v8
	v_cndmask_b32_e64 v8, 0, 1, s15
	s_add_i32 s10, s11, s10
	s_bcnt1_i32_b32 s14, s14
	v_cmp_ne_u32_e64 s15, 0, v8
	s_add_i32 s10, s10, s14
	s_bcnt1_i32_b32 s15, s15
	s_add_i32 s10, s10, s15
	v_cmp_eq_u64_e64 s15, 3, v[18:19]
	s_add_u32 s82, s82, s10
	s_addc_u32 s83, s83, 0
	s_and_b32 s10, vcc_lo, s18
	s_and_b32 s11, s6, s12
	v_cndmask_b32_e64 v8, 0, 1, s10
	s_and_b32 s12, s7, s16
	s_and_b32 s14, s9, s20
	v_mov_b32_e32 v10, s82
	v_mov_b32_e32 v11, s83
	v_cmp_ne_u32_e64 s10, 0, v8
	v_cndmask_b32_e64 v8, 0, 1, s11
	s_bcnt1_i32_b32 s10, s10
	v_cmp_ne_u32_e64 s11, 0, v8
	v_cndmask_b32_e64 v8, 0, 1, s12
	s_bcnt1_i32_b32 s11, s11
	v_cmp_ne_u32_e64 s12, 0, v8
	v_cndmask_b32_e64 v8, 0, 1, s14
	s_add_i32 s10, s11, s10
	s_bcnt1_i32_b32 s12, s12
	v_cmp_ne_u32_e64 s14, 0, v8
	s_add_i32 s10, s10, s12
	s_bcnt1_i32_b32 s14, s14
	s_add_i32 s10, s10, s14
	s_add_u32 s80, s80, s10
	s_addc_u32 s81, s81, 0
	s_and_b32 s10, vcc_lo, s15
	s_and_b32 s6, s6, s13
	v_cndmask_b32_e64 v8, 0, 1, s10
	s_and_b32 s7, s7, s17
	s_and_b32 s9, s9, s21
	v_add_co_u32 v4, s10, v4, s45
	v_cmp_ne_u32_e32 vcc_lo, 0, v8
	v_cndmask_b32_e64 v8, 0, 1, s6
	v_add_co_ci_u32_e64 v5, null, 0, v5, s10
	v_mov_b32_e32 v12, s80
	s_bcnt1_i32_b32 s11, vcc_lo
	v_cmp_ne_u32_e64 s6, 0, v8
	v_cndmask_b32_e64 v8, 0, 1, s7
	v_cmp_le_u64_e64 s10, s[76:77], v[4:5]
	v_mov_b32_e32 v13, s81
	s_bcnt1_i32_b32 s6, s6
	v_cmp_ne_u32_e64 s7, 0, v8
	v_cndmask_b32_e64 v8, 0, 1, s9
	s_add_i32 s6, s6, s11
	s_bcnt1_i32_b32 s7, s7
	v_cmp_ne_u32_e64 s9, 0, v8
	s_add_i32 s6, s6, s7
	v_mov_b32_e32 v8, s84
	v_mov_b32_e32 v9, s85
	s_bcnt1_i32_b32 s9, s9
	s_add_i32 s6, s6, s9
	s_add_u32 s78, s78, s6
	s_addc_u32 s79, s79, 0
	v_mov_b32_e32 v14, s78
	v_mov_b32_e32 v15, s79
	s_or_b32 s56, s10, s56
	s_andn2_b32 exec_lo, exec_lo, s56
	s_cbranch_execnz .LBB186_71
; %bb.72:                               ;   in Loop: Header=BB186_18 Depth=1
	s_or_b32 exec_lo, exec_lo, s56
.LBB186_73:                             ;   in Loop: Header=BB186_18 Depth=1
	s_or_b32 exec_lo, exec_lo, s46
	v_add_co_u32 v4, s6, s76, v0
	v_and_b32_e32 v2, 0xffff, v2
	v_add_co_ci_u32_e64 v5, null, s77, 0, s6
	s_and_b32 s66, s72, 0x7fffffff
	s_mov_b32 s12, exec_lo
	v_cmpx_gt_u64_e64 s[66:67], v[4:5]
	s_cbranch_execz .LBB186_77
; %bb.74:                               ;   in Loop: Header=BB186_18 Depth=1
	v_lshl_add_u32 v28, s74, 5, v34
	s_lshl_b32 s14, s44, 3
	s_mov_b32 s13, 0
.LBB186_75:                             ;   Parent Loop BB186_18 Depth=1
                                        ; =>  This Inner Loop Header: Depth=2
	ds_read_b64 v[29:30], v28
	v_add_co_u32 v4, vcc_lo, v4, v2
	v_add_co_ci_u32_e64 v5, null, 0, v5, vcc_lo
	v_add_nc_u32_e32 v28, s14, v28
	v_cmp_le_u64_e32 vcc_lo, s[66:67], v[4:5]
	s_waitcnt lgkmcnt(0)
	v_cmp_o_f64_e64 s6, v[29:30], v[29:30]
	v_ashrrev_i32_e32 v18, 31, v30
	v_or_b32_e32 v31, 0x80000000, v18
	v_xor_b32_e32 v18, v18, v29
	v_xor_b32_e32 v31, v31, v30
	v_cndmask_b32_e64 v30, -1, v31, s6
	v_cndmask_b32_e64 v29, -1, v18, s6
	v_and_b32_e32 v40, v30, v25
	v_and_b32_e32 v39, v29, v24
	v_lshrrev_b64 v[29:30], s65, v[29:30]
	v_cmp_eq_u64_e64 s6, v[39:40], v[22:23]
	v_and_b32_e32 v18, 3, v29
	v_cmp_eq_u64_e64 s7, 0, v[18:19]
	v_cmp_eq_u64_e64 s9, 1, v[18:19]
	;; [unrolled: 1-line block ×4, first 2 shown]
	s_and_b32 s7, s6, s7
	v_cndmask_b32_e64 v18, 0, 1, s7
	s_and_b32 s7, s6, s9
	v_cndmask_b32_e64 v29, 0, 1, s7
	s_and_b32 s7, s6, s10
	s_and_b32 s6, s6, s11
	v_cndmask_b32_e64 v30, 0, 1, s7
	v_cndmask_b32_e64 v31, 0, 1, s6
	v_cmp_ne_u32_e64 s6, 0, v18
	v_cmp_ne_u32_e64 s7, 0, v29
	;; [unrolled: 1-line block ×4, first 2 shown]
	s_bcnt1_i32_b32 s6, s6
	s_bcnt1_i32_b32 s7, s7
	v_add_co_u32 v8, s6, v8, s6
	s_bcnt1_i32_b32 s9, s9
	v_add_co_ci_u32_e64 v9, null, 0, v9, s6
	v_add_co_u32 v10, s6, v10, s7
	s_bcnt1_i32_b32 s10, s10
	v_add_co_ci_u32_e64 v11, null, 0, v11, s6
	v_add_co_u32 v12, s6, v12, s9
	v_add_co_ci_u32_e64 v13, null, 0, v13, s6
	v_add_co_u32 v14, s6, v14, s10
	v_add_co_ci_u32_e64 v15, null, 0, v15, s6
	s_or_b32 s13, vcc_lo, s13
	s_andn2_b32 exec_lo, exec_lo, s13
	s_cbranch_execnz .LBB186_75
; %bb.76:                               ;   in Loop: Header=BB186_18 Depth=1
	s_or_b32 exec_lo, exec_lo, s13
.LBB186_77:                             ;   in Loop: Header=BB186_18 Depth=1
	s_or_b32 exec_lo, exec_lo, s12
	s_lshl_b32 s6, s99, 7
	s_and_saveexec_b32 s7, s0
	s_cbranch_execnz .LBB186_48
	s_branch .LBB186_49
.LBB186_78:                             ;   in Loop: Header=BB186_18 Depth=1
                                        ; implicit-def: $sgpr6_sgpr7
	s_branch .LBB186_57
.LBB186_79:                             ;   in Loop: Header=BB186_18 Depth=1
	s_mov_b32 s9, 0
	s_andn2_b32 vcc_lo, exec_lo, s95
	s_cbranch_vccnz .LBB186_82
.LBB186_80:                             ;   in Loop: Header=BB186_18 Depth=1
	s_lshl_b32 s10, s99, 10
	s_lshl_b32 s9, s9, 5
	v_add3_u32 v2, s10, s9, v38
	s_mov_b32 s9, s93
.LBB186_81:                             ;   Parent Loop BB186_18 Depth=1
                                        ; =>  This Inner Loop Header: Depth=2
	ds_read_b64 v[8:9], v2
	v_add_nc_u32_e32 v2, 32, v2
	s_add_i32 s9, s9, -1
	s_cmp_lg_u32 s9, 0
	s_waitcnt lgkmcnt(0)
	v_add_co_u32 v4, vcc_lo, v8, v4
	v_add_co_ci_u32_e64 v5, null, v9, v5, vcc_lo
	s_cbranch_scc1 .LBB186_81
.LBB186_82:                             ;   in Loop: Header=BB186_18 Depth=1
	v_add_lshl_u32 v2, s6, v33, 3
	ds_write_b64 v2, v[4:5] offset:3072
.LBB186_83:                             ;   in Loop: Header=BB186_18 Depth=1
	s_or_b32 exec_lo, exec_lo, s7
	s_lshl_b32 s6, s6, 3
	s_waitcnt lgkmcnt(0)
	v_mov_b32_e32 v2, s6
	s_barrier
	buffer_gl0_inv
	v_cmp_eq_u64_e64 s7, 1, v[26:27]
	s_lshl_b64 s[12:13], 3, s65
	ds_read_b128 v[8:11], v2 offset:3072
	ds_read_b128 v[12:15], v2 offset:3088
	s_mov_b32 s78, -1
	s_not_b64 s[14:15], s[12:13]
	s_mov_b32 s9, 0
	s_andn2_b32 vcc_lo, exec_lo, s55
	s_mov_b32 s75, 0
	s_mov_b32 s74, 0
                                        ; implicit-def: $sgpr76
                                        ; implicit-def: $sgpr77
                                        ; implicit-def: $vgpr28_vgpr29
                                        ; implicit-def: $vgpr39
	s_waitcnt lgkmcnt(1)
	v_readfirstlane_b32 s11, v9
	v_readfirstlane_b32 s10, v8
	;; [unrolled: 1-line block ×4, first 2 shown]
	s_waitcnt lgkmcnt(0)
	v_readfirstlane_b32 s19, v13
	v_readfirstlane_b32 s18, v12
	;; [unrolled: 1-line block ×4, first 2 shown]
                                        ; implicit-def: $vgpr14_vgpr15
                                        ; implicit-def: $vgpr12_vgpr13
                                        ; implicit-def: $vgpr10_vgpr11
	s_cbranch_vccnz .LBB186_286
; %bb.84:                               ;   in Loop: Header=BB186_18 Depth=1
	s_cmp_eq_u64 s[10:11], 1
	v_mov_b32_e32 v14, v22
	v_mov_b32_e32 v12, v24
	;; [unrolled: 1-line block ×6, first 2 shown]
	s_cselect_b32 s6, -1, 0
	s_mov_b32 s22, -1
	s_and_b32 s6, s6, s7
                                        ; implicit-def: $sgpr77
                                        ; implicit-def: $sgpr76
	s_and_saveexec_b32 s56, s6
	s_cbranch_execz .LBB186_121
; %bb.85:                               ;   in Loop: Header=BB186_18 Depth=1
	ds_read_b64 v[4:5], v19 offset:5120
	s_waitcnt lgkmcnt(0)
	s_barrier
	buffer_gl0_inv
	v_readfirstlane_b32 s22, v4
	v_readfirstlane_b32 s23, v5
	s_and_saveexec_b32 s44, s8
; %bb.86:                               ;   in Loop: Header=BB186_18 Depth=1
	v_mov_b32_e32 v18, v19
	ds_write_b64 v35, v[18:19]
; %bb.87:                               ;   in Loop: Header=BB186_18 Depth=1
	s_or_b32 exec_lo, exec_lo, s44
	v_and_b32_e32 v15, s15, v23
	v_and_b32_e32 v14, s14, v22
	v_or_b32_e32 v13, s13, v25
	v_or_b32_e32 v12, s12, v24
	s_mov_b32 s76, -1
	s_mov_b32 s77, 0
	s_cmp_eq_u64 s[22:23], 0
	s_mov_b32 s44, 0
	s_mov_b32 s45, -1
	s_waitcnt lgkmcnt(0)
	s_barrier
	buffer_gl0_inv
                                        ; implicit-def: $vgpr10_vgpr11
	s_cbranch_scc1 .LBB186_105
; %bb.88:                               ;   in Loop: Header=BB186_18 Depth=1
	s_add_u32 s44, s22, s90
	s_addc_u32 s73, s23, s91
	s_mov_b32 s72, s67
	s_cmp_lg_u64 s[72:73], 0
	s_cbranch_scc0 .LBB186_148
; %bb.89:                               ;   in Loop: Header=BB186_18 Depth=1
	v_cvt_f32_u32_e32 v2, s35
	s_sub_u32 s36, 0, s35
	s_subb_u32 s37, 0, 0
	v_fmac_f32_e64 v2, 0x4f800000, 0
	v_rcp_f32_e32 v2, v2
	v_mul_f32_e32 v2, 0x5f7ffffc, v2
	v_mul_f32_e32 v4, 0x2f800000, v2
	v_trunc_f32_e32 v4, v4
	v_fmac_f32_e32 v2, 0xcf800000, v4
	v_cvt_u32_f32_e32 v4, v4
	v_cvt_u32_f32_e32 v2, v2
	v_readfirstlane_b32 s2, v4
	v_readfirstlane_b32 s24, v2
	s_mul_i32 s38, s36, s2
	s_mul_hi_u32 s45, s36, s24
	s_mul_i32 s39, s37, s24
	s_add_i32 s38, s45, s38
	s_mul_i32 s46, s36, s24
	s_add_i32 s38, s38, s39
	s_mul_hi_u32 s45, s24, s46
	s_mul_i32 s54, s24, s38
	s_mul_hi_u32 s47, s2, s46
	s_mul_i32 s39, s2, s46
	s_mul_hi_u32 s46, s24, s38
	s_add_u32 s45, s45, s54
	s_addc_u32 s46, 0, s46
	s_mul_hi_u32 s57, s2, s38
	s_add_u32 s39, s45, s39
	s_mul_i32 s38, s2, s38
	s_addc_u32 s39, s46, s47
	s_addc_u32 s45, s57, 0
	s_add_u32 s38, s39, s38
	s_addc_u32 s39, 0, s45
	s_add_u32 s24, s24, s38
	s_cselect_b32 s38, -1, 0
	s_mul_hi_u32 s45, s36, s24
	s_cmp_lg_u32 s38, 0
	s_mul_i32 s38, s36, s24
	s_addc_u32 s2, s2, s39
	s_mul_i32 s37, s37, s24
	s_mul_i32 s36, s36, s2
	s_mul_hi_u32 s39, s24, s38
	s_add_i32 s36, s45, s36
	s_mul_hi_u32 s45, s2, s38
	s_add_i32 s36, s36, s37
	s_mul_i32 s37, s2, s38
	s_mul_i32 s47, s24, s36
	s_mul_hi_u32 s46, s24, s36
	s_add_u32 s39, s39, s47
	s_addc_u32 s46, 0, s46
	s_mul_hi_u32 s38, s2, s36
	s_add_u32 s37, s39, s37
	s_mul_i32 s36, s2, s36
	s_addc_u32 s37, s46, s45
	s_addc_u32 s38, s38, 0
	s_add_u32 s36, s37, s36
	s_addc_u32 s37, 0, s38
	s_add_u32 s24, s24, s36
	s_cselect_b32 s36, -1, 0
	s_mul_hi_u32 s38, s44, s24
	s_cmp_lg_u32 s36, 0
	s_mul_hi_u32 s36, s73, s24
	s_addc_u32 s2, s2, s37
	s_mul_i32 s24, s73, s24
	s_mul_i32 s39, s44, s2
	s_mul_hi_u32 s37, s44, s2
	s_add_u32 s38, s38, s39
	s_addc_u32 s37, 0, s37
	s_mul_hi_u32 s45, s73, s2
	s_add_u32 s24, s38, s24
	s_mul_i32 s2, s73, s2
	s_addc_u32 s24, s37, s36
	s_addc_u32 s36, s45, 0
	s_add_u32 s2, s24, s2
	s_addc_u32 s24, 0, s36
	s_mul_hi_u32 s36, s35, s2
	s_mul_i32 s24, s35, s24
	s_mul_i32 s2, s35, s2
	s_add_i32 s36, s36, s24
	s_sub_u32 s2, s44, s2
	s_cselect_b32 s24, -1, 0
	s_cmp_lg_u32 s24, 0
	s_subb_u32 s24, s73, s36
	s_sub_u32 s36, s2, s35
	s_cselect_b32 s37, -1, 0
	s_cmp_lg_u32 s37, 0
	s_subb_u32 s37, s24, 0
	;; [unrolled: 4-line block ×3, first 2 shown]
	s_cmp_ge_u32 s36, s35
	s_cselect_b32 s45, -1, 0
	s_cmp_eq_u32 s37, 0
	s_cselect_b32 s45, s45, -1
	s_cmp_lg_u32 s45, 0
	s_cselect_b32 s37, s39, s37
	s_cselect_b32 s36, s38, s36
	s_cmp_ge_u32 s2, s35
	s_cselect_b32 s38, -1, 0
	s_cmp_eq_u32 s24, 0
	s_cselect_b32 s38, s38, -1
	s_cmp_lg_u32 s38, 0
	s_cselect_b32 s75, s37, s24
	s_cselect_b32 s74, s36, s2
	s_cbranch_execnz .LBB186_91
.LBB186_90:                             ;   in Loop: Header=BB186_18 Depth=1
	v_cvt_f32_u32_e32 v2, s35
	s_sub_i32 s24, 0, s35
	v_rcp_iflag_f32_e32 v2, v2
	v_mul_f32_e32 v2, 0x4f7ffffe, v2
	v_cvt_u32_f32_e32 v2, v2
	v_readfirstlane_b32 s2, v2
	s_mul_i32 s24, s24, s2
	s_mul_hi_u32 s24, s2, s24
	s_add_i32 s2, s2, s24
	s_mul_hi_u32 s2, s44, s2
	s_mul_i32 s2, s2, s35
	s_sub_i32 s2, s44, s2
	s_sub_i32 s24, s2, s35
	s_cmp_ge_u32 s2, s35
	s_cselect_b32 s2, s24, s2
	s_sub_i32 s24, s2, s35
	s_cmp_ge_u32 s2, s35
	s_cselect_b32 s66, s24, s2
	s_mov_b64 s[74:75], s[66:67]
.LBB186_91:                             ;   in Loop: Header=BB186_18 Depth=1
	s_sub_u32 s72, s44, s74
	s_subb_u32 s73, s73, s75
	s_mov_b32 s45, 0
	s_mov_b32 s44, 0
	s_mov_b32 s46, exec_lo
                                        ; implicit-def: $vgpr10_vgpr11
	v_cmpx_gt_u64_e64 s[72:73], v[0:1]
	s_cbranch_execz .LBB186_104
; %bb.92:                               ;   in Loop: Header=BB186_18 Depth=1
	v_mov_b32_e32 v29, v1
	v_mov_b32_e32 v18, v34
	;; [unrolled: 1-line block ×3, first 2 shown]
                                        ; implicit-def: $sgpr47
	s_branch .LBB186_96
.LBB186_93:                             ;   in Loop: Header=BB186_96 Depth=2
	s_or_b32 exec_lo, exec_lo, s57
	s_waitcnt lgkmcnt(0)
	s_barrier
	buffer_gl0_inv
	ds_read_b128 v[8:11], v19 offset:3072
	s_waitcnt lgkmcnt(0)
	s_barrier
	buffer_gl0_inv
	v_cmp_neq_f64_e32 vcc_lo, 0, v[8:9]
	s_cbranch_vccnz .LBB186_99
; %bb.94:                               ;   in Loop: Header=BB186_96 Depth=2
	v_add_co_u32 v28, vcc_lo, v28, s35
	v_add_co_ci_u32_e64 v29, null, 0, v29, vcc_lo
	v_add_nc_u32_e32 v18, s96, v18
	s_mov_b32 s57, 0
	v_cmp_le_u64_e32 vcc_lo, s[72:73], v[28:29]
	s_orn2_b32 s62, vcc_lo, exec_lo
.LBB186_95:                             ;   in Loop: Header=BB186_96 Depth=2
	s_and_b32 s2, exec_lo, s62
	s_or_b32 s44, s2, s44
	s_andn2_b32 s2, s47, exec_lo
	s_and_b32 s24, s57, exec_lo
	s_or_b32 s47, s2, s24
	s_andn2_b32 exec_lo, exec_lo, s44
	s_cbranch_execz .LBB186_103
.LBB186_96:                             ;   Parent Loop BB186_18 Depth=1
                                        ; =>  This Inner Loop Header: Depth=2
	s_mov_b32 s57, exec_lo
	v_cmpx_gt_u64_e64 s[22:23], v[28:29]
	s_cbranch_execz .LBB186_93
; %bb.97:                               ;   in Loop: Header=BB186_96 Depth=2
	ds_read_b64 v[4:5], v18
	s_waitcnt lgkmcnt(0)
	v_cmp_o_f64_e32 vcc_lo, v[4:5], v[4:5]
	v_ashrrev_i32_e32 v2, 31, v5
	v_or_b32_e32 v8, 0x80000000, v2
	v_xor_b32_e32 v2, v2, v4
	v_xor_b32_e32 v8, v8, v5
	v_cndmask_b32_e32 v8, -1, v8, vcc_lo
	v_cndmask_b32_e32 v2, -1, v2, vcc_lo
	v_and_b32_e32 v9, v8, v13
	v_and_b32_e32 v8, v2, v12
	v_cmp_eq_u64_e32 vcc_lo, v[8:9], v[14:15]
	s_and_b32 exec_lo, exec_lo, vcc_lo
	s_cbranch_execz .LBB186_93
; %bb.98:                               ;   in Loop: Header=BB186_96 Depth=2
	v_mov_b32_e32 v2, v19
	ds_write_b128 v19, v[2:5] offset:3072
	s_branch .LBB186_93
.LBB186_99:                             ;   in Loop: Header=BB186_96 Depth=2
	s_mov_b32 s62, -1
	s_mov_b32 s57, -1
                                        ; implicit-def: $vgpr28_vgpr29
                                        ; implicit-def: $vgpr18
	s_branch .LBB186_95
.LBB186_100:                            ;   in Loop: Header=BB186_18 Depth=1
	s_or_b32 exec_lo, exec_lo, s10
	s_waitcnt lgkmcnt(0)
	s_barrier
	buffer_gl0_inv
	s_and_saveexec_b32 s6, s3
	s_cbranch_execz .LBB186_102
; %bb.101:                              ;   in Loop: Header=BB186_18 Depth=1
	ds_read_b32 v4, v19 offset:5144
	s_waitcnt lgkmcnt(0)
	v_ashrrev_i32_e32 v5, 31, v4
	ds_write_b64 v19, v[4:5] offset:5120
.LBB186_102:                            ;   in Loop: Header=BB186_18 Depth=1
	s_or_b32 exec_lo, exec_lo, s6
	s_waitcnt lgkmcnt(0)
	s_mov_b32 s6, -1
	s_barrier
	s_and_b32 vcc_lo, exec_lo, s9
	s_cbranch_vccnz .LBB186_34
	s_branch .LBB186_43
.LBB186_103:                            ;   in Loop: Header=BB186_18 Depth=1
	s_or_b32 exec_lo, exec_lo, s44
	s_and_b32 s44, s47, exec_lo
.LBB186_104:                            ;   in Loop: Header=BB186_18 Depth=1
	s_or_b32 exec_lo, exec_lo, s46
.LBB186_105:                            ;   in Loop: Header=BB186_18 Depth=1
	s_and_b32 vcc_lo, exec_lo, s45
	s_cbranch_vccz .LBB186_120
; %bb.106:                              ;   in Loop: Header=BB186_18 Depth=1
	s_mov_b32 s68, s67
	s_cmp_lg_u64 s[68:69], 0
	s_cbranch_scc0 .LBB186_149
; %bb.107:                              ;   in Loop: Header=BB186_18 Depth=1
	v_cvt_f32_u32_e32 v2, s35
	s_sub_u32 s23, 0, s35
	s_subb_u32 s24, 0, 0
	v_fmac_f32_e64 v2, 0x4f800000, 0
	v_rcp_f32_e32 v2, v2
	v_mul_f32_e32 v2, 0x5f7ffffc, v2
	v_mul_f32_e32 v4, 0x2f800000, v2
	v_trunc_f32_e32 v4, v4
	v_fmac_f32_e32 v2, 0xcf800000, v4
	v_cvt_u32_f32_e32 v4, v4
	v_cvt_u32_f32_e32 v2, v2
	v_readfirstlane_b32 s2, v4
	v_readfirstlane_b32 s22, v2
	s_mul_i32 s36, s23, s2
	s_mul_hi_u32 s38, s23, s22
	s_mul_i32 s37, s24, s22
	s_add_i32 s36, s38, s36
	s_mul_i32 s39, s23, s22
	s_add_i32 s36, s36, s37
	s_mul_hi_u32 s38, s22, s39
	s_mul_i32 s46, s22, s36
	s_mul_hi_u32 s45, s2, s39
	s_mul_i32 s37, s2, s39
	s_mul_hi_u32 s39, s22, s36
	s_add_u32 s38, s38, s46
	s_addc_u32 s39, 0, s39
	s_mul_hi_u32 s47, s2, s36
	s_add_u32 s37, s38, s37
	s_mul_i32 s36, s2, s36
	s_addc_u32 s37, s39, s45
	s_addc_u32 s38, s47, 0
	s_add_u32 s36, s37, s36
	s_addc_u32 s37, 0, s38
	s_add_u32 s22, s22, s36
	s_cselect_b32 s36, -1, 0
	s_mul_hi_u32 s38, s23, s22
	s_cmp_lg_u32 s36, 0
	s_mul_i32 s36, s23, s22
	s_addc_u32 s2, s2, s37
	s_mul_i32 s24, s24, s22
	s_mul_i32 s23, s23, s2
	s_mul_hi_u32 s37, s22, s36
	s_add_i32 s23, s38, s23
	s_mul_hi_u32 s38, s2, s36
	s_add_i32 s23, s23, s24
	s_mul_i32 s24, s2, s36
	s_mul_i32 s45, s22, s23
	s_mul_hi_u32 s39, s22, s23
	s_add_u32 s37, s37, s45
	s_addc_u32 s39, 0, s39
	s_mul_hi_u32 s36, s2, s23
	s_add_u32 s24, s37, s24
	s_mul_i32 s23, s2, s23
	s_addc_u32 s24, s39, s38
	s_addc_u32 s36, s36, 0
	s_add_u32 s23, s24, s23
	s_addc_u32 s24, 0, s36
	s_add_u32 s22, s22, s23
	s_cselect_b32 s23, -1, 0
	s_mul_hi_u32 s36, s92, s22
	s_cmp_lg_u32 s23, 0
	s_mul_hi_u32 s23, s69, s22
	s_addc_u32 s2, s2, s24
	s_mul_i32 s22, s69, s22
	s_mul_i32 s37, s92, s2
	s_mul_hi_u32 s24, s92, s2
	s_add_u32 s36, s36, s37
	s_addc_u32 s24, 0, s24
	s_mul_hi_u32 s38, s69, s2
	s_add_u32 s22, s36, s22
	s_mul_i32 s2, s69, s2
	s_addc_u32 s22, s24, s23
	s_addc_u32 s23, s38, 0
	s_add_u32 s2, s22, s2
	s_addc_u32 s22, 0, s23
	s_mul_hi_u32 s23, s35, s2
	s_mul_i32 s22, s35, s22
	s_mul_i32 s2, s35, s2
	s_add_i32 s23, s23, s22
	s_sub_u32 s2, s92, s2
	s_cselect_b32 s22, -1, 0
	s_cmp_lg_u32 s22, 0
	s_subb_u32 s22, s69, s23
	s_sub_u32 s23, s2, s35
	s_cselect_b32 s24, -1, 0
	s_cmp_lg_u32 s24, 0
	s_subb_u32 s24, s22, 0
	;; [unrolled: 4-line block ×3, first 2 shown]
	s_cmp_ge_u32 s23, s35
	s_cselect_b32 s38, -1, 0
	s_cmp_eq_u32 s24, 0
	s_cselect_b32 s38, s38, -1
	s_cmp_lg_u32 s38, 0
	s_cselect_b32 s24, s37, s24
	s_cselect_b32 s36, s36, s23
	s_cmp_ge_u32 s2, s35
	s_cselect_b32 s23, -1, 0
	s_cmp_eq_u32 s22, 0
	s_cselect_b32 s23, s23, -1
	s_cmp_lg_u32 s23, 0
	s_cselect_b32 s23, s24, s22
	s_cselect_b32 s22, s36, s2
	s_cbranch_execnz .LBB186_109
.LBB186_108:                            ;   in Loop: Header=BB186_18 Depth=1
	v_cvt_f32_u32_e32 v2, s35
	s_sub_i32 s22, 0, s35
	v_rcp_iflag_f32_e32 v2, v2
	v_mul_f32_e32 v2, 0x4f7ffffe, v2
	v_cvt_u32_f32_e32 v2, v2
	v_readfirstlane_b32 s2, v2
	s_mul_i32 s22, s22, s2
	s_mul_hi_u32 s22, s2, s22
	s_add_i32 s2, s2, s22
	s_mul_hi_u32 s2, s92, s2
	s_mul_i32 s2, s2, s35
	s_sub_i32 s2, s92, s2
	s_sub_i32 s22, s2, s35
	s_cmp_ge_u32 s2, s35
	s_cselect_b32 s2, s22, s2
	s_sub_i32 s22, s2, s35
	s_cmp_ge_u32 s2, s35
	s_cselect_b32 s66, s22, s2
	s_mov_b64 s[22:23], s[66:67]
.LBB186_109:                            ;   in Loop: Header=BB186_18 Depth=1
	s_sub_u32 s22, s92, s22
	s_subb_u32 s23, s69, s23
	s_mov_b32 s45, exec_lo
                                        ; implicit-def: $vgpr10_vgpr11
	v_cmpx_gt_u64_e64 s[22:23], v[0:1]
	s_cbranch_execz .LBB186_119
; %bb.110:                              ;   in Loop: Header=BB186_18 Depth=1
	v_mov_b32_e32 v29, v1
	v_mov_b32_e32 v28, v0
	s_mov_b32 s47, 0
                                        ; implicit-def: $sgpr46
	s_branch .LBB186_114
.LBB186_111:                            ;   in Loop: Header=BB186_114 Depth=2
	s_or_b32 exec_lo, exec_lo, s57
	s_waitcnt lgkmcnt(0)
	s_barrier
	buffer_gl0_inv
	ds_read_b128 v[8:11], v19 offset:3072
	s_waitcnt lgkmcnt(0)
	s_barrier
	buffer_gl0_inv
	v_cmp_neq_f64_e32 vcc_lo, 0, v[8:9]
	s_cbranch_vccnz .LBB186_117
; %bb.112:                              ;   in Loop: Header=BB186_114 Depth=2
	v_add_co_u32 v28, vcc_lo, v28, s35
	v_add_co_ci_u32_e64 v29, null, 0, v29, vcc_lo
	s_mov_b32 s57, 0
	v_cmp_le_u64_e32 vcc_lo, s[22:23], v[28:29]
	s_orn2_b32 s62, vcc_lo, exec_lo
.LBB186_113:                            ;   in Loop: Header=BB186_114 Depth=2
	s_and_b32 s2, exec_lo, s62
	s_or_b32 s47, s2, s47
	s_andn2_b32 s2, s46, exec_lo
	s_and_b32 s24, s57, exec_lo
	s_or_b32 s46, s2, s24
	s_andn2_b32 exec_lo, exec_lo, s47
	s_cbranch_execz .LBB186_118
.LBB186_114:                            ;   Parent Loop BB186_18 Depth=1
                                        ; =>  This Inner Loop Header: Depth=2
	s_mov_b32 s57, exec_lo
	v_cmpx_gt_u64_e64 s[28:29], v[28:29]
	s_cbranch_execz .LBB186_111
; %bb.115:                              ;   in Loop: Header=BB186_114 Depth=2
	v_mul_lo_u32 v2, v29, s26
	v_mul_lo_u32 v8, v28, s27
	v_mad_u64_u32 v[4:5], null, v28, s26, 0
	v_add3_u32 v5, v5, v8, v2
	v_lshlrev_b64 v[4:5], 3, v[4:5]
	v_add_co_u32 v4, vcc_lo, s25, v4
	v_add_co_ci_u32_e64 v5, null, s33, v5, vcc_lo
	global_load_dwordx2 v[4:5], v[4:5], off
	s_waitcnt vmcnt(0)
	v_cmp_o_f64_e32 vcc_lo, v[4:5], v[4:5]
	v_ashrrev_i32_e32 v2, 31, v5
	v_or_b32_e32 v8, 0x80000000, v2
	v_xor_b32_e32 v2, v2, v4
	v_xor_b32_e32 v8, v8, v5
	v_cndmask_b32_e32 v8, -1, v8, vcc_lo
	v_cndmask_b32_e32 v2, -1, v2, vcc_lo
	v_and_b32_e32 v9, v8, v13
	v_and_b32_e32 v8, v2, v12
	v_cmp_eq_u64_e32 vcc_lo, v[8:9], v[14:15]
	s_and_b32 exec_lo, exec_lo, vcc_lo
	s_cbranch_execz .LBB186_111
; %bb.116:                              ;   in Loop: Header=BB186_114 Depth=2
	v_mov_b32_e32 v2, v19
	ds_write_b128 v19, v[2:5] offset:3072
	s_branch .LBB186_111
.LBB186_117:                            ;   in Loop: Header=BB186_114 Depth=2
	s_mov_b32 s62, -1
	s_mov_b32 s57, -1
                                        ; implicit-def: $vgpr28_vgpr29
	s_branch .LBB186_113
.LBB186_118:                            ;   in Loop: Header=BB186_18 Depth=1
	s_or_b32 exec_lo, exec_lo, s47
	s_andn2_b32 s2, s44, exec_lo
	s_and_b32 s22, s46, exec_lo
	s_or_b32 s44, s2, s22
.LBB186_119:                            ;   in Loop: Header=BB186_18 Depth=1
	s_or_b32 exec_lo, exec_lo, s45
	s_mov_b32 s76, 0
	s_mov_b32 s77, -1
.LBB186_120:                            ;   in Loop: Header=BB186_18 Depth=1
	s_orn2_b32 s22, s44, exec_lo
.LBB186_121:                            ;   in Loop: Header=BB186_18 Depth=1
	s_or_b32 exec_lo, exec_lo, s56
	s_mov_b32 s78, 0
	s_mov_b32 s75, 0
	;; [unrolled: 1-line block ×3, first 2 shown]
                                        ; implicit-def: $vgpr28_vgpr29
                                        ; implicit-def: $vgpr39
	s_and_saveexec_b32 s79, s22
	s_cbranch_execz .LBB186_285
; %bb.122:                              ;   in Loop: Header=BB186_18 Depth=1
	v_mov_b32_e32 v28, 1
	v_mov_b32_e32 v29, 0
	;; [unrolled: 1-line block ×3, first 2 shown]
	s_xor_b32 s2, s6, -1
	s_mov_b32 s23, 0
	s_and_saveexec_b32 s6, s2
	s_cbranch_execz .LBB186_131
; %bb.123:                              ;   in Loop: Header=BB186_18 Depth=1
	s_mov_b32 s2, exec_lo
	v_cmpx_ge_u64_e64 s[10:11], v[26:27]
	s_xor_b32 s22, exec_lo, s2
	s_cbranch_execz .LBB186_128
; %bb.124:                              ;   in Loop: Header=BB186_18 Depth=1
	ds_read_b64 v[4:5], v19 offset:5120
	v_and_b32_e32 v15, s15, v15
	v_and_b32_e32 v14, s14, v14
	v_or_b32_e32 v13, s13, v13
	v_or_b32_e32 v12, s12, v12
	s_waitcnt lgkmcnt(0)
	v_cmp_ne_u64_e32 vcc_lo, 0, v[4:5]
	s_cbranch_vccnz .LBB186_128
; %bb.125:                              ;   in Loop: Header=BB186_18 Depth=1
	s_and_saveexec_b32 s23, s3
; %bb.126:                              ;   in Loop: Header=BB186_18 Depth=1
	v_mov_b32_e32 v4, s10
	v_mov_b32_e32 v5, s11
	ds_write_b64 v19, v[4:5] offset:5128
; %bb.127:                              ;   in Loop: Header=BB186_18 Depth=1
	s_or_b32 exec_lo, exec_lo, s23
	s_waitcnt lgkmcnt(0)
	s_barrier
	buffer_gl0_inv
.LBB186_128:                            ;   in Loop: Header=BB186_18 Depth=1
	s_or_saveexec_b32 s22, s22
	v_mov_b32_e32 v29, v27
	v_mov_b32_e32 v39, 8
	;; [unrolled: 1-line block ×3, first 2 shown]
	s_mov_b32 s23, 0
	s_xor_b32 exec_lo, exec_lo, s22
; %bb.129:                              ;   in Loop: Header=BB186_18 Depth=1
	v_sub_co_u32 v28, vcc_lo, v26, s10
	v_subrev_co_ci_u32_e64 v29, null, s11, v27, vcc_lo
	v_mov_b32_e32 v39, 0
	s_mov_b32 s23, exec_lo
; %bb.130:                              ;   in Loop: Header=BB186_18 Depth=1
	s_or_b32 exec_lo, exec_lo, s22
	s_and_b32 s23, s23, exec_lo
.LBB186_131:                            ;   in Loop: Header=BB186_18 Depth=1
	s_or_b32 exec_lo, exec_lo, s6
	s_mov_b32 s22, -1
                                        ; implicit-def: $sgpr80
                                        ; implicit-def: $sgpr81
	s_and_saveexec_b32 s2, s23
	s_xor_b32 s6, exec_lo, s2
	s_cbranch_execz .LBB186_282
; %bb.132:                              ;   in Loop: Header=BB186_18 Depth=1
	v_cmp_eq_u64_e32 vcc_lo, 1, v[28:29]
	s_cmp_eq_u64 s[16:17], 1
                                        ; implicit-def: $sgpr81
                                        ; implicit-def: $sgpr80
	s_cselect_b32 s22, -1, 0
	s_and_b32 s62, s22, vcc_lo
	s_mov_b32 s22, -1
	s_and_saveexec_b32 s56, s62
	s_cbranch_execz .LBB186_168
; %bb.133:                              ;   in Loop: Header=BB186_18 Depth=1
	ds_read_b64 v[4:5], v19 offset:5120
	s_waitcnt lgkmcnt(0)
	s_barrier
	buffer_gl0_inv
	v_readfirstlane_b32 s22, v4
	v_readfirstlane_b32 s23, v5
	s_and_saveexec_b32 s44, s8
; %bb.134:                              ;   in Loop: Header=BB186_18 Depth=1
	v_mov_b32_e32 v18, v19
	ds_write_b64 v35, v[18:19]
; %bb.135:                              ;   in Loop: Header=BB186_18 Depth=1
	s_or_b32 exec_lo, exec_lo, s44
	v_and_b32_e32 v2, s15, v15
	v_and_b32_e32 v4, s14, v14
	s_lshl_b64 s[44:45], 1, s65
	v_or_b32_e32 v13, s13, v13
	v_or_b32_e32 v12, s12, v12
	;; [unrolled: 1-line block ×4, first 2 shown]
	s_mov_b32 s80, -1
	s_mov_b32 s81, 0
	s_cmp_eq_u64 s[22:23], 0
	s_mov_b32 s44, 0
	s_mov_b32 s45, -1
	s_waitcnt lgkmcnt(0)
	s_barrier
	buffer_gl0_inv
                                        ; implicit-def: $vgpr10_vgpr11
	s_cbranch_scc1 .LBB186_152
; %bb.136:                              ;   in Loop: Header=BB186_18 Depth=1
	s_add_u32 s44, s22, s90
	s_addc_u32 s73, s23, s91
	s_mov_b32 s72, s67
	s_cmp_lg_u64 s[72:73], 0
	s_cbranch_scc0 .LBB186_195
; %bb.137:                              ;   in Loop: Header=BB186_18 Depth=1
	v_cvt_f32_u32_e32 v2, s35
	s_sub_u32 s47, 0, s35
	s_subb_u32 s57, 0, 0
	v_fmac_f32_e64 v2, 0x4f800000, 0
	v_rcp_f32_e32 v2, v2
	v_mul_f32_e32 v2, 0x5f7ffffc, v2
	v_mul_f32_e32 v4, 0x2f800000, v2
	v_trunc_f32_e32 v4, v4
	v_fmac_f32_e32 v2, 0xcf800000, v4
	v_cvt_u32_f32_e32 v4, v4
	v_cvt_u32_f32_e32 v2, v2
	v_readfirstlane_b32 s45, v4
	v_readfirstlane_b32 s46, v2
	s_mul_i32 s63, s47, s45
	s_mul_hi_u32 s68, s47, s46
	s_mul_i32 s66, s57, s46
	s_add_i32 s63, s68, s63
	s_mul_i32 s72, s47, s46
	s_add_i32 s63, s63, s66
	s_mul_hi_u32 s68, s46, s72
	s_mul_i32 s75, s46, s63
	s_mul_hi_u32 s74, s45, s72
	s_mul_i32 s66, s45, s72
	s_mul_hi_u32 s72, s46, s63
	s_add_u32 s68, s68, s75
	s_addc_u32 s72, 0, s72
	s_mul_hi_u32 s82, s45, s63
	s_add_u32 s66, s68, s66
	s_mul_i32 s63, s45, s63
	s_addc_u32 s66, s72, s74
	s_addc_u32 s68, s82, 0
	s_add_u32 s63, s66, s63
	s_addc_u32 s66, 0, s68
	s_add_u32 s46, s46, s63
	s_cselect_b32 s63, -1, 0
	s_mul_hi_u32 s68, s47, s46
	s_cmp_lg_u32 s63, 0
	s_mul_i32 s63, s47, s46
	s_addc_u32 s45, s45, s66
	s_mul_i32 s57, s57, s46
	s_mul_i32 s47, s47, s45
	s_mul_hi_u32 s66, s46, s63
	s_add_i32 s47, s68, s47
	s_mul_hi_u32 s68, s45, s63
	s_add_i32 s47, s47, s57
	s_mul_i32 s57, s45, s63
	s_mul_i32 s74, s46, s47
	s_mul_hi_u32 s72, s46, s47
	s_add_u32 s66, s66, s74
	s_addc_u32 s72, 0, s72
	s_mul_hi_u32 s63, s45, s47
	s_add_u32 s57, s66, s57
	s_mul_i32 s47, s45, s47
	s_addc_u32 s57, s72, s68
	s_addc_u32 s63, s63, 0
	s_add_u32 s47, s57, s47
	s_addc_u32 s57, 0, s63
	s_add_u32 s46, s46, s47
	s_cselect_b32 s47, -1, 0
	s_mul_hi_u32 s63, s44, s46
	s_cmp_lg_u32 s47, 0
	s_mul_hi_u32 s47, s73, s46
	s_addc_u32 s45, s45, s57
	s_mul_i32 s46, s73, s46
	s_mul_i32 s66, s44, s45
	s_mul_hi_u32 s57, s44, s45
	s_add_u32 s63, s63, s66
	s_addc_u32 s57, 0, s57
	s_mul_hi_u32 s68, s73, s45
	s_add_u32 s46, s63, s46
	s_mul_i32 s45, s73, s45
	s_addc_u32 s46, s57, s47
	s_addc_u32 s47, s68, 0
	s_add_u32 s45, s46, s45
	s_addc_u32 s46, 0, s47
	s_mul_hi_u32 s47, s35, s45
	s_mul_i32 s46, s35, s46
	s_mul_i32 s45, s35, s45
	s_add_i32 s47, s47, s46
	s_sub_u32 s45, s44, s45
	s_cselect_b32 s46, -1, 0
	s_cmp_lg_u32 s46, 0
	s_subb_u32 s46, s73, s47
	s_sub_u32 s47, s45, s35
	s_cselect_b32 s57, -1, 0
	s_cmp_lg_u32 s57, 0
	s_subb_u32 s57, s46, 0
	;; [unrolled: 4-line block ×3, first 2 shown]
	s_cmp_ge_u32 s47, s35
	s_cselect_b32 s68, -1, 0
	s_cmp_eq_u32 s57, 0
	s_cselect_b32 s68, s68, -1
	s_cmp_lg_u32 s68, 0
	s_cselect_b32 s57, s66, s57
	s_cselect_b32 s47, s63, s47
	s_cmp_ge_u32 s45, s35
	s_cselect_b32 s63, -1, 0
	s_cmp_eq_u32 s46, 0
	s_cselect_b32 s63, s63, -1
	s_cmp_lg_u32 s63, 0
	s_cselect_b32 s75, s57, s46
	s_cselect_b32 s74, s47, s45
	s_cbranch_execnz .LBB186_139
.LBB186_138:                            ;   in Loop: Header=BB186_18 Depth=1
	v_cvt_f32_u32_e32 v2, s35
	s_sub_i32 s46, 0, s35
	v_rcp_iflag_f32_e32 v2, v2
	v_mul_f32_e32 v2, 0x4f7ffffe, v2
	v_cvt_u32_f32_e32 v2, v2
	v_readfirstlane_b32 s45, v2
	s_mul_i32 s46, s46, s45
	s_mul_hi_u32 s46, s45, s46
	s_add_i32 s45, s45, s46
	s_mul_hi_u32 s45, s44, s45
	s_mul_i32 s45, s45, s35
	s_sub_i32 s45, s44, s45
	s_sub_i32 s46, s45, s35
	s_cmp_ge_u32 s45, s35
	s_cselect_b32 s45, s46, s45
	s_sub_i32 s46, s45, s35
	s_cmp_ge_u32 s45, s35
	s_cselect_b32 s66, s46, s45
	s_mov_b64 s[74:75], s[66:67]
.LBB186_139:                            ;   in Loop: Header=BB186_18 Depth=1
	s_sub_u32 s72, s44, s74
	s_subb_u32 s73, s73, s75
	s_mov_b32 s45, 0
	s_mov_b32 s44, 0
	s_mov_b32 s46, exec_lo
                                        ; implicit-def: $vgpr10_vgpr11
	v_cmpx_gt_u64_e64 s[72:73], v[0:1]
	s_cbranch_execz .LBB186_151
; %bb.140:                              ;   in Loop: Header=BB186_18 Depth=1
	v_mov_b32_e32 v31, v1
	v_mov_b32_e32 v18, v34
	;; [unrolled: 1-line block ×3, first 2 shown]
                                        ; implicit-def: $sgpr47
	s_branch .LBB186_144
.LBB186_141:                            ;   in Loop: Header=BB186_144 Depth=2
	s_or_b32 exec_lo, exec_lo, s57
	s_waitcnt lgkmcnt(0)
	s_barrier
	buffer_gl0_inv
	ds_read_b128 v[8:11], v19 offset:3072
	s_waitcnt lgkmcnt(0)
	s_barrier
	buffer_gl0_inv
	v_cmp_neq_f64_e32 vcc_lo, 0, v[8:9]
	s_cbranch_vccnz .LBB186_147
; %bb.142:                              ;   in Loop: Header=BB186_144 Depth=2
	v_add_co_u32 v30, vcc_lo, v30, s35
	v_add_co_ci_u32_e64 v31, null, 0, v31, vcc_lo
	v_add_nc_u32_e32 v18, s96, v18
	s_mov_b32 s57, 0
	v_cmp_le_u64_e32 vcc_lo, s[72:73], v[30:31]
	s_orn2_b32 s63, vcc_lo, exec_lo
.LBB186_143:                            ;   in Loop: Header=BB186_144 Depth=2
	s_and_b32 s2, exec_lo, s63
	s_or_b32 s44, s2, s44
	s_andn2_b32 s2, s47, exec_lo
	s_and_b32 s24, s57, exec_lo
	s_or_b32 s47, s2, s24
	s_andn2_b32 exec_lo, exec_lo, s44
	s_cbranch_execz .LBB186_150
.LBB186_144:                            ;   Parent Loop BB186_18 Depth=1
                                        ; =>  This Inner Loop Header: Depth=2
	s_mov_b32 s57, exec_lo
	v_cmpx_gt_u64_e64 s[22:23], v[30:31]
	s_cbranch_execz .LBB186_141
; %bb.145:                              ;   in Loop: Header=BB186_144 Depth=2
	ds_read_b64 v[4:5], v18
	s_waitcnt lgkmcnt(0)
	v_cmp_o_f64_e32 vcc_lo, v[4:5], v[4:5]
	v_ashrrev_i32_e32 v2, 31, v5
	v_or_b32_e32 v8, 0x80000000, v2
	v_xor_b32_e32 v2, v2, v4
	v_xor_b32_e32 v8, v8, v5
	v_cndmask_b32_e32 v8, -1, v8, vcc_lo
	v_cndmask_b32_e32 v2, -1, v2, vcc_lo
	v_and_b32_e32 v9, v8, v13
	v_and_b32_e32 v8, v2, v12
	v_cmp_eq_u64_e32 vcc_lo, v[8:9], v[14:15]
	s_and_b32 exec_lo, exec_lo, vcc_lo
	s_cbranch_execz .LBB186_141
; %bb.146:                              ;   in Loop: Header=BB186_144 Depth=2
	v_mov_b32_e32 v2, v19
	ds_write_b128 v19, v[2:5] offset:3072
	s_branch .LBB186_141
.LBB186_147:                            ;   in Loop: Header=BB186_144 Depth=2
	s_mov_b32 s63, -1
	s_mov_b32 s57, -1
                                        ; implicit-def: $vgpr30_vgpr31
                                        ; implicit-def: $vgpr18
	s_branch .LBB186_143
.LBB186_148:                            ;   in Loop: Header=BB186_18 Depth=1
                                        ; implicit-def: $sgpr74_sgpr75
	s_andn2_b32 vcc_lo, exec_lo, s45
	s_cbranch_vccz .LBB186_90
	s_branch .LBB186_91
.LBB186_149:                            ;   in Loop: Header=BB186_18 Depth=1
                                        ; implicit-def: $sgpr22_sgpr23
	s_branch .LBB186_108
.LBB186_150:                            ;   in Loop: Header=BB186_18 Depth=1
	s_or_b32 exec_lo, exec_lo, s44
	s_and_b32 s44, s47, exec_lo
.LBB186_151:                            ;   in Loop: Header=BB186_18 Depth=1
	s_or_b32 exec_lo, exec_lo, s46
.LBB186_152:                            ;   in Loop: Header=BB186_18 Depth=1
	s_and_b32 vcc_lo, exec_lo, s45
	s_cbranch_vccz .LBB186_167
; %bb.153:                              ;   in Loop: Header=BB186_18 Depth=1
	s_mov_b32 s68, s67
	s_cmp_lg_u64 s[68:69], 0
	s_cbranch_scc0 .LBB186_196
; %bb.154:                              ;   in Loop: Header=BB186_18 Depth=1
	v_cvt_f32_u32_e32 v2, s35
	s_sub_u32 s45, 0, s35
	s_subb_u32 s46, 0, 0
	v_fmac_f32_e64 v2, 0x4f800000, 0
	v_rcp_f32_e32 v2, v2
	v_mul_f32_e32 v2, 0x5f7ffffc, v2
	v_mul_f32_e32 v4, 0x2f800000, v2
	v_trunc_f32_e32 v4, v4
	v_fmac_f32_e32 v2, 0xcf800000, v4
	v_cvt_u32_f32_e32 v4, v4
	v_cvt_u32_f32_e32 v2, v2
	v_readfirstlane_b32 s22, v4
	v_readfirstlane_b32 s23, v2
	s_mul_i32 s47, s45, s22
	s_mul_hi_u32 s63, s45, s23
	s_mul_i32 s57, s46, s23
	s_add_i32 s47, s63, s47
	s_mul_i32 s66, s45, s23
	s_add_i32 s47, s47, s57
	s_mul_hi_u32 s63, s23, s66
	s_mul_i32 s72, s23, s47
	s_mul_hi_u32 s68, s22, s66
	s_mul_i32 s57, s22, s66
	s_mul_hi_u32 s66, s23, s47
	s_add_u32 s63, s63, s72
	s_addc_u32 s66, 0, s66
	s_mul_hi_u32 s73, s22, s47
	s_add_u32 s57, s63, s57
	s_mul_i32 s47, s22, s47
	s_addc_u32 s57, s66, s68
	s_addc_u32 s63, s73, 0
	s_add_u32 s47, s57, s47
	s_addc_u32 s57, 0, s63
	s_add_u32 s23, s23, s47
	s_cselect_b32 s47, -1, 0
	s_mul_hi_u32 s63, s45, s23
	s_cmp_lg_u32 s47, 0
	s_mul_i32 s47, s45, s23
	s_addc_u32 s22, s22, s57
	s_mul_i32 s46, s46, s23
	s_mul_i32 s45, s45, s22
	s_mul_hi_u32 s57, s23, s47
	s_add_i32 s45, s63, s45
	s_mul_hi_u32 s63, s22, s47
	s_add_i32 s45, s45, s46
	s_mul_i32 s46, s22, s47
	s_mul_i32 s68, s23, s45
	s_mul_hi_u32 s66, s23, s45
	s_add_u32 s57, s57, s68
	s_addc_u32 s66, 0, s66
	s_mul_hi_u32 s47, s22, s45
	s_add_u32 s46, s57, s46
	s_mul_i32 s45, s22, s45
	s_addc_u32 s46, s66, s63
	s_addc_u32 s47, s47, 0
	s_add_u32 s45, s46, s45
	s_addc_u32 s46, 0, s47
	s_add_u32 s23, s23, s45
	s_cselect_b32 s45, -1, 0
	s_mul_hi_u32 s47, s92, s23
	s_cmp_lg_u32 s45, 0
	s_mul_hi_u32 s45, s69, s23
	s_addc_u32 s22, s22, s46
	s_mul_i32 s23, s69, s23
	s_mul_i32 s57, s92, s22
	s_mul_hi_u32 s46, s92, s22
	s_add_u32 s47, s47, s57
	s_addc_u32 s46, 0, s46
	s_mul_hi_u32 s63, s69, s22
	s_add_u32 s23, s47, s23
	s_mul_i32 s22, s69, s22
	s_addc_u32 s23, s46, s45
	s_addc_u32 s45, s63, 0
	s_add_u32 s22, s23, s22
	s_addc_u32 s23, 0, s45
	s_mul_hi_u32 s45, s35, s22
	s_mul_i32 s23, s35, s23
	s_mul_i32 s22, s35, s22
	s_add_i32 s45, s45, s23
	s_sub_u32 s22, s92, s22
	s_cselect_b32 s23, -1, 0
	s_cmp_lg_u32 s23, 0
	s_subb_u32 s23, s69, s45
	s_sub_u32 s45, s22, s35
	s_cselect_b32 s46, -1, 0
	s_cmp_lg_u32 s46, 0
	s_subb_u32 s46, s23, 0
	;; [unrolled: 4-line block ×3, first 2 shown]
	s_cmp_ge_u32 s45, s35
	s_cselect_b32 s63, -1, 0
	s_cmp_eq_u32 s46, 0
	s_cselect_b32 s63, s63, -1
	s_cmp_lg_u32 s63, 0
	s_cselect_b32 s46, s57, s46
	s_cselect_b32 s45, s47, s45
	s_cmp_ge_u32 s22, s35
	s_cselect_b32 s47, -1, 0
	s_cmp_eq_u32 s23, 0
	s_cselect_b32 s47, s47, -1
	s_cmp_lg_u32 s47, 0
	s_cselect_b32 s23, s46, s23
	s_cselect_b32 s22, s45, s22
	s_cbranch_execnz .LBB186_156
.LBB186_155:                            ;   in Loop: Header=BB186_18 Depth=1
	v_cvt_f32_u32_e32 v2, s35
	s_sub_i32 s23, 0, s35
	v_rcp_iflag_f32_e32 v2, v2
	v_mul_f32_e32 v2, 0x4f7ffffe, v2
	v_cvt_u32_f32_e32 v2, v2
	v_readfirstlane_b32 s22, v2
	s_mul_i32 s23, s23, s22
	s_mul_hi_u32 s23, s22, s23
	s_add_i32 s22, s22, s23
	s_mul_hi_u32 s22, s92, s22
	s_mul_i32 s22, s22, s35
	s_sub_i32 s22, s92, s22
	s_sub_i32 s23, s22, s35
	s_cmp_ge_u32 s22, s35
	s_cselect_b32 s22, s23, s22
	s_sub_i32 s23, s22, s35
	s_cmp_ge_u32 s22, s35
	s_cselect_b32 s66, s23, s22
	s_mov_b64 s[22:23], s[66:67]
.LBB186_156:                            ;   in Loop: Header=BB186_18 Depth=1
	s_sub_u32 s22, s92, s22
	s_subb_u32 s23, s69, s23
	s_mov_b32 s45, exec_lo
                                        ; implicit-def: $vgpr10_vgpr11
	v_cmpx_gt_u64_e64 s[22:23], v[0:1]
	s_cbranch_execz .LBB186_166
; %bb.157:                              ;   in Loop: Header=BB186_18 Depth=1
	v_mov_b32_e32 v31, v1
	v_mov_b32_e32 v30, v0
	s_mov_b32 s46, 0
                                        ; implicit-def: $sgpr47
	s_branch .LBB186_161
.LBB186_158:                            ;   in Loop: Header=BB186_161 Depth=2
	s_or_b32 exec_lo, exec_lo, s57
	s_waitcnt lgkmcnt(0)
	s_barrier
	buffer_gl0_inv
	ds_read_b128 v[8:11], v19 offset:3072
	s_waitcnt lgkmcnt(0)
	s_barrier
	buffer_gl0_inv
	v_cmp_eq_f64_e32 vcc_lo, 0, v[8:9]
	s_cbranch_vccz .LBB186_164
; %bb.159:                              ;   in Loop: Header=BB186_161 Depth=2
	v_add_co_u32 v30, vcc_lo, v30, s35
	v_add_co_ci_u32_e64 v31, null, 0, v31, vcc_lo
	s_mov_b32 s57, 0
	v_cmp_le_u64_e32 vcc_lo, s[22:23], v[30:31]
	s_orn2_b32 s63, vcc_lo, exec_lo
.LBB186_160:                            ;   in Loop: Header=BB186_161 Depth=2
	s_and_b32 s2, exec_lo, s63
	s_or_b32 s46, s2, s46
	s_andn2_b32 s2, s47, exec_lo
	s_and_b32 s24, s57, exec_lo
	s_or_b32 s47, s2, s24
	s_andn2_b32 exec_lo, exec_lo, s46
	s_cbranch_execz .LBB186_165
.LBB186_161:                            ;   Parent Loop BB186_18 Depth=1
                                        ; =>  This Inner Loop Header: Depth=2
	s_mov_b32 s57, exec_lo
	v_cmpx_gt_u64_e64 s[28:29], v[30:31]
	s_cbranch_execz .LBB186_158
; %bb.162:                              ;   in Loop: Header=BB186_161 Depth=2
	v_mul_lo_u32 v2, v31, s26
	v_mul_lo_u32 v8, v30, s27
	v_mad_u64_u32 v[4:5], null, v30, s26, 0
	v_add3_u32 v5, v5, v8, v2
	v_lshlrev_b64 v[4:5], 3, v[4:5]
	v_add_co_u32 v4, vcc_lo, s25, v4
	v_add_co_ci_u32_e64 v5, null, s33, v5, vcc_lo
	global_load_dwordx2 v[4:5], v[4:5], off
	s_waitcnt vmcnt(0)
	v_cmp_o_f64_e32 vcc_lo, v[4:5], v[4:5]
	v_ashrrev_i32_e32 v2, 31, v5
	v_or_b32_e32 v8, 0x80000000, v2
	v_xor_b32_e32 v2, v2, v4
	v_xor_b32_e32 v8, v8, v5
	v_cndmask_b32_e32 v8, -1, v8, vcc_lo
	v_cndmask_b32_e32 v2, -1, v2, vcc_lo
	v_and_b32_e32 v9, v8, v13
	v_and_b32_e32 v8, v2, v12
	v_cmp_eq_u64_e32 vcc_lo, v[8:9], v[14:15]
	s_and_b32 exec_lo, exec_lo, vcc_lo
	s_cbranch_execz .LBB186_158
; %bb.163:                              ;   in Loop: Header=BB186_161 Depth=2
	v_mov_b32_e32 v2, v19
	ds_write_b128 v19, v[2:5] offset:3072
	s_branch .LBB186_158
.LBB186_164:                            ;   in Loop: Header=BB186_161 Depth=2
	s_mov_b32 s63, -1
	s_mov_b32 s57, -1
                                        ; implicit-def: $vgpr30_vgpr31
	s_branch .LBB186_160
.LBB186_165:                            ;   in Loop: Header=BB186_18 Depth=1
	s_or_b32 exec_lo, exec_lo, s46
	s_andn2_b32 s2, s44, exec_lo
	s_and_b32 s22, s47, exec_lo
	s_or_b32 s44, s2, s22
.LBB186_166:                            ;   in Loop: Header=BB186_18 Depth=1
	s_or_b32 exec_lo, exec_lo, s45
	s_mov_b32 s80, 0
	s_mov_b32 s81, -1
.LBB186_167:                            ;   in Loop: Header=BB186_18 Depth=1
	s_orn2_b32 s22, s44, exec_lo
.LBB186_168:                            ;   in Loop: Header=BB186_18 Depth=1
	s_or_b32 exec_lo, exec_lo, s56
	s_mov_b32 s23, 0
	s_and_saveexec_b32 s82, s22
	s_cbranch_execz .LBB186_281
; %bb.169:                              ;   in Loop: Header=BB186_18 Depth=1
	v_mov_b32_e32 v30, 1
	v_mov_b32_e32 v31, 0
	;; [unrolled: 1-line block ×3, first 2 shown]
	s_xor_b32 s44, s62, -1
	s_and_saveexec_b32 s22, s44
	s_cbranch_execz .LBB186_178
; %bb.170:                              ;   in Loop: Header=BB186_18 Depth=1
	s_mov_b32 s23, exec_lo
	v_cmpx_ge_u64_e64 s[16:17], v[28:29]
	s_xor_b32 s23, exec_lo, s23
	s_cbranch_execz .LBB186_175
; %bb.171:                              ;   in Loop: Header=BB186_18 Depth=1
	ds_read_b64 v[4:5], v19 offset:5120
	v_and_b32_e32 v2, s15, v15
	v_and_b32_e32 v8, s14, v14
	s_lshl_b64 s[44:45], 1, s65
	v_or_b32_e32 v13, s13, v13
	v_or_b32_e32 v12, s12, v12
	;; [unrolled: 1-line block ×4, first 2 shown]
	s_waitcnt lgkmcnt(0)
	v_cmp_ne_u64_e32 vcc_lo, 0, v[4:5]
	s_cbranch_vccnz .LBB186_175
; %bb.172:                              ;   in Loop: Header=BB186_18 Depth=1
	s_and_saveexec_b32 s44, s3
; %bb.173:                              ;   in Loop: Header=BB186_18 Depth=1
	v_mov_b32_e32 v4, s16
	v_mov_b32_e32 v5, s17
	ds_write_b64 v19, v[4:5] offset:5128
; %bb.174:                              ;   in Loop: Header=BB186_18 Depth=1
	s_or_b32 exec_lo, exec_lo, s44
	s_waitcnt lgkmcnt(0)
	s_barrier
	buffer_gl0_inv
.LBB186_175:                            ;   in Loop: Header=BB186_18 Depth=1
	s_or_saveexec_b32 s23, s23
	v_mov_b32_e32 v39, 8
	s_mov_b32 s44, 0
	s_xor_b32 exec_lo, exec_lo, s23
; %bb.176:                              ;   in Loop: Header=BB186_18 Depth=1
	v_sub_co_u32 v28, vcc_lo, v28, s16
	v_subrev_co_ci_u32_e64 v29, null, s17, v29, vcc_lo
	v_mov_b32_e32 v39, 0
	s_mov_b32 s44, exec_lo
; %bb.177:                              ;   in Loop: Header=BB186_18 Depth=1
	s_or_b32 exec_lo, exec_lo, s23
	v_mov_b32_e32 v31, v29
	v_mov_b32_e32 v30, v28
	s_and_b32 s23, s44, exec_lo
.LBB186_178:                            ;   in Loop: Header=BB186_18 Depth=1
	s_or_b32 exec_lo, exec_lo, s22
	s_mov_b32 s22, -1
                                        ; implicit-def: $sgpr84
                                        ; implicit-def: $sgpr85
	s_and_saveexec_b32 s83, s23
	s_cbranch_execz .LBB186_280
; %bb.179:                              ;   in Loop: Header=BB186_18 Depth=1
	v_cmp_eq_u64_e32 vcc_lo, 1, v[30:31]
	s_cmp_eq_u64 s[18:19], 1
                                        ; implicit-def: $sgpr85
                                        ; implicit-def: $sgpr84
	s_cselect_b32 s22, -1, 0
	s_and_b32 s63, s22, vcc_lo
	s_mov_b32 s22, -1
	s_and_saveexec_b32 s56, s63
	s_cbranch_execz .LBB186_215
; %bb.180:                              ;   in Loop: Header=BB186_18 Depth=1
	ds_read_b64 v[4:5], v19 offset:5120
	s_waitcnt lgkmcnt(0)
	s_barrier
	buffer_gl0_inv
	v_readfirstlane_b32 s22, v4
	v_readfirstlane_b32 s23, v5
	s_and_saveexec_b32 s44, s8
; %bb.181:                              ;   in Loop: Header=BB186_18 Depth=1
	v_mov_b32_e32 v18, v19
	ds_write_b64 v35, v[18:19]
; %bb.182:                              ;   in Loop: Header=BB186_18 Depth=1
	s_or_b32 exec_lo, exec_lo, s44
	v_and_b32_e32 v2, s15, v15
	v_and_b32_e32 v4, s14, v14
	s_lshl_b64 s[44:45], 2, s65
	v_or_b32_e32 v13, s13, v13
	v_or_b32_e32 v12, s12, v12
	;; [unrolled: 1-line block ×4, first 2 shown]
	s_mov_b32 s84, -1
	s_mov_b32 s85, 0
	s_cmp_eq_u64 s[22:23], 0
	s_mov_b32 s44, 0
	s_mov_b32 s45, -1
	s_waitcnt lgkmcnt(0)
	s_barrier
	buffer_gl0_inv
                                        ; implicit-def: $vgpr10_vgpr11
	s_cbranch_scc1 .LBB186_199
; %bb.183:                              ;   in Loop: Header=BB186_18 Depth=1
	s_add_u32 s44, s22, s90
	s_addc_u32 s73, s23, s91
	s_mov_b32 s72, s67
	s_cmp_lg_u64 s[72:73], 0
	s_cbranch_scc0 .LBB186_232
; %bb.184:                              ;   in Loop: Header=BB186_18 Depth=1
	v_cvt_f32_u32_e32 v2, s35
	s_sub_u32 s47, 0, s35
	s_subb_u32 s57, 0, 0
	v_fmac_f32_e64 v2, 0x4f800000, 0
	v_rcp_f32_e32 v2, v2
	v_mul_f32_e32 v2, 0x5f7ffffc, v2
	v_mul_f32_e32 v4, 0x2f800000, v2
	v_trunc_f32_e32 v4, v4
	v_fmac_f32_e32 v2, 0xcf800000, v4
	v_cvt_u32_f32_e32 v4, v4
	v_cvt_u32_f32_e32 v2, v2
	v_readfirstlane_b32 s45, v4
	v_readfirstlane_b32 s46, v2
	s_mul_i32 s62, s47, s45
	s_mul_hi_u32 s68, s47, s46
	s_mul_i32 s66, s57, s46
	s_add_i32 s62, s68, s62
	s_mul_i32 s72, s47, s46
	s_add_i32 s62, s62, s66
	s_mul_hi_u32 s68, s46, s72
	s_mul_i32 s75, s46, s62
	s_mul_hi_u32 s74, s45, s72
	s_mul_i32 s66, s45, s72
	s_mul_hi_u32 s72, s46, s62
	s_add_u32 s68, s68, s75
	s_addc_u32 s72, 0, s72
	s_mul_hi_u32 vcc_lo, s45, s62
	s_add_u32 s66, s68, s66
	s_mul_i32 s62, s45, s62
	s_addc_u32 s66, s72, s74
	s_addc_u32 s68, vcc_lo, 0
	s_add_u32 s62, s66, s62
	s_addc_u32 s66, 0, s68
	s_add_u32 s46, s46, s62
	s_cselect_b32 s62, -1, 0
	s_mul_hi_u32 s68, s47, s46
	s_cmp_lg_u32 s62, 0
	s_mul_i32 s62, s47, s46
	s_addc_u32 s45, s45, s66
	s_mul_i32 s57, s57, s46
	s_mul_i32 s47, s47, s45
	s_mul_hi_u32 s66, s46, s62
	s_add_i32 s47, s68, s47
	s_mul_hi_u32 s68, s45, s62
	s_add_i32 s47, s47, s57
	s_mul_i32 s57, s45, s62
	s_mul_i32 s74, s46, s47
	s_mul_hi_u32 s72, s46, s47
	s_add_u32 s66, s66, s74
	s_addc_u32 s72, 0, s72
	s_mul_hi_u32 s62, s45, s47
	s_add_u32 s57, s66, s57
	s_mul_i32 s47, s45, s47
	s_addc_u32 s57, s72, s68
	s_addc_u32 s62, s62, 0
	s_add_u32 s47, s57, s47
	s_addc_u32 s57, 0, s62
	s_add_u32 s46, s46, s47
	s_cselect_b32 s47, -1, 0
	s_mul_hi_u32 s62, s44, s46
	s_cmp_lg_u32 s47, 0
	s_mul_hi_u32 s47, s73, s46
	s_addc_u32 s45, s45, s57
	s_mul_i32 s46, s73, s46
	s_mul_i32 s66, s44, s45
	s_mul_hi_u32 s57, s44, s45
	s_add_u32 s62, s62, s66
	s_addc_u32 s57, 0, s57
	s_mul_hi_u32 s68, s73, s45
	s_add_u32 s46, s62, s46
	s_mul_i32 s45, s73, s45
	s_addc_u32 s46, s57, s47
	s_addc_u32 s47, s68, 0
	s_add_u32 s45, s46, s45
	s_addc_u32 s46, 0, s47
	s_mul_hi_u32 s47, s35, s45
	s_mul_i32 s46, s35, s46
	s_mul_i32 s45, s35, s45
	s_add_i32 s47, s47, s46
	s_sub_u32 s45, s44, s45
	s_cselect_b32 s46, -1, 0
	s_cmp_lg_u32 s46, 0
	s_subb_u32 s46, s73, s47
	s_sub_u32 s47, s45, s35
	s_cselect_b32 s57, -1, 0
	s_cmp_lg_u32 s57, 0
	s_subb_u32 s57, s46, 0
	;; [unrolled: 4-line block ×3, first 2 shown]
	s_cmp_ge_u32 s47, s35
	s_cselect_b32 s68, -1, 0
	s_cmp_eq_u32 s57, 0
	s_cselect_b32 s68, s68, -1
	s_cmp_lg_u32 s68, 0
	s_cselect_b32 s57, s66, s57
	s_cselect_b32 s47, s62, s47
	s_cmp_ge_u32 s45, s35
	s_cselect_b32 s62, -1, 0
	s_cmp_eq_u32 s46, 0
	s_cselect_b32 s62, s62, -1
	s_cmp_lg_u32 s62, 0
	s_cselect_b32 s75, s57, s46
	s_cselect_b32 s74, s47, s45
	s_cbranch_execnz .LBB186_186
.LBB186_185:                            ;   in Loop: Header=BB186_18 Depth=1
	v_cvt_f32_u32_e32 v2, s35
	s_sub_i32 s46, 0, s35
	v_rcp_iflag_f32_e32 v2, v2
	v_mul_f32_e32 v2, 0x4f7ffffe, v2
	v_cvt_u32_f32_e32 v2, v2
	v_readfirstlane_b32 s45, v2
	s_mul_i32 s46, s46, s45
	s_mul_hi_u32 s46, s45, s46
	s_add_i32 s45, s45, s46
	s_mul_hi_u32 s45, s44, s45
	s_mul_i32 s45, s45, s35
	s_sub_i32 s45, s44, s45
	s_sub_i32 s46, s45, s35
	s_cmp_ge_u32 s45, s35
	s_cselect_b32 s45, s46, s45
	s_sub_i32 s46, s45, s35
	s_cmp_ge_u32 s45, s35
	s_cselect_b32 s66, s46, s45
	s_mov_b64 s[74:75], s[66:67]
.LBB186_186:                            ;   in Loop: Header=BB186_18 Depth=1
	s_sub_u32 s72, s44, s74
	s_subb_u32 s73, s73, s75
	s_mov_b32 s45, 0
	s_mov_b32 s44, 0
	s_mov_b32 s46, exec_lo
                                        ; implicit-def: $vgpr10_vgpr11
	v_cmpx_gt_u64_e64 s[72:73], v[0:1]
	s_cbranch_execz .LBB186_198
; %bb.187:                              ;   in Loop: Header=BB186_18 Depth=1
	v_mov_b32_e32 v29, v1
	v_mov_b32_e32 v18, v34
	;; [unrolled: 1-line block ×3, first 2 shown]
                                        ; implicit-def: $sgpr47
	s_branch .LBB186_191
.LBB186_188:                            ;   in Loop: Header=BB186_191 Depth=2
	s_or_b32 exec_lo, exec_lo, s57
	s_waitcnt lgkmcnt(0)
	s_barrier
	buffer_gl0_inv
	ds_read_b128 v[8:11], v19 offset:3072
	s_waitcnt lgkmcnt(0)
	s_barrier
	buffer_gl0_inv
	v_cmp_neq_f64_e32 vcc_lo, 0, v[8:9]
	s_cbranch_vccnz .LBB186_194
; %bb.189:                              ;   in Loop: Header=BB186_191 Depth=2
	v_add_co_u32 v28, vcc_lo, v28, s35
	v_add_co_ci_u32_e64 v29, null, 0, v29, vcc_lo
	v_add_nc_u32_e32 v18, s96, v18
	s_mov_b32 s57, 0
	v_cmp_le_u64_e32 vcc_lo, s[72:73], v[28:29]
	s_orn2_b32 s62, vcc_lo, exec_lo
.LBB186_190:                            ;   in Loop: Header=BB186_191 Depth=2
	s_and_b32 s2, exec_lo, s62
	s_or_b32 s44, s2, s44
	s_andn2_b32 s2, s47, exec_lo
	s_and_b32 s24, s57, exec_lo
	s_or_b32 s47, s2, s24
	s_andn2_b32 exec_lo, exec_lo, s44
	s_cbranch_execz .LBB186_197
.LBB186_191:                            ;   Parent Loop BB186_18 Depth=1
                                        ; =>  This Inner Loop Header: Depth=2
	s_mov_b32 s57, exec_lo
	v_cmpx_gt_u64_e64 s[22:23], v[28:29]
	s_cbranch_execz .LBB186_188
; %bb.192:                              ;   in Loop: Header=BB186_191 Depth=2
	ds_read_b64 v[4:5], v18
	s_waitcnt lgkmcnt(0)
	v_cmp_o_f64_e32 vcc_lo, v[4:5], v[4:5]
	v_ashrrev_i32_e32 v2, 31, v5
	v_or_b32_e32 v8, 0x80000000, v2
	v_xor_b32_e32 v2, v2, v4
	v_xor_b32_e32 v8, v8, v5
	v_cndmask_b32_e32 v8, -1, v8, vcc_lo
	v_cndmask_b32_e32 v2, -1, v2, vcc_lo
	v_and_b32_e32 v9, v8, v13
	v_and_b32_e32 v8, v2, v12
	v_cmp_eq_u64_e32 vcc_lo, v[8:9], v[14:15]
	s_and_b32 exec_lo, exec_lo, vcc_lo
	s_cbranch_execz .LBB186_188
; %bb.193:                              ;   in Loop: Header=BB186_191 Depth=2
	v_mov_b32_e32 v2, v19
	ds_write_b128 v19, v[2:5] offset:3072
	s_branch .LBB186_188
.LBB186_194:                            ;   in Loop: Header=BB186_191 Depth=2
	s_mov_b32 s62, -1
	s_mov_b32 s57, -1
                                        ; implicit-def: $vgpr28_vgpr29
                                        ; implicit-def: $vgpr18
	s_branch .LBB186_190
.LBB186_195:                            ;   in Loop: Header=BB186_18 Depth=1
                                        ; implicit-def: $sgpr74_sgpr75
	s_andn2_b32 vcc_lo, exec_lo, s45
	s_cbranch_vccz .LBB186_138
	s_branch .LBB186_139
.LBB186_196:                            ;   in Loop: Header=BB186_18 Depth=1
                                        ; implicit-def: $sgpr22_sgpr23
	s_branch .LBB186_155
.LBB186_197:                            ;   in Loop: Header=BB186_18 Depth=1
	s_or_b32 exec_lo, exec_lo, s44
	s_and_b32 s44, s47, exec_lo
.LBB186_198:                            ;   in Loop: Header=BB186_18 Depth=1
	s_or_b32 exec_lo, exec_lo, s46
.LBB186_199:                            ;   in Loop: Header=BB186_18 Depth=1
	s_and_b32 vcc_lo, exec_lo, s45
	s_cbranch_vccz .LBB186_214
; %bb.200:                              ;   in Loop: Header=BB186_18 Depth=1
	s_mov_b32 s68, s67
	s_cmp_lg_u64 s[68:69], 0
	s_cbranch_scc0 .LBB186_233
; %bb.201:                              ;   in Loop: Header=BB186_18 Depth=1
	v_cvt_f32_u32_e32 v2, s35
	s_sub_u32 s45, 0, s35
	s_subb_u32 s46, 0, 0
	v_fmac_f32_e64 v2, 0x4f800000, 0
	v_rcp_f32_e32 v2, v2
	v_mul_f32_e32 v2, 0x5f7ffffc, v2
	v_mul_f32_e32 v4, 0x2f800000, v2
	v_trunc_f32_e32 v4, v4
	v_fmac_f32_e32 v2, 0xcf800000, v4
	v_cvt_u32_f32_e32 v4, v4
	v_cvt_u32_f32_e32 v2, v2
	v_readfirstlane_b32 s22, v4
	v_readfirstlane_b32 s23, v2
	s_mul_i32 s47, s45, s22
	s_mul_hi_u32 s62, s45, s23
	s_mul_i32 s57, s46, s23
	s_add_i32 s47, s62, s47
	s_mul_i32 s66, s45, s23
	s_add_i32 s47, s47, s57
	s_mul_hi_u32 s62, s23, s66
	s_mul_i32 s72, s23, s47
	s_mul_hi_u32 s68, s22, s66
	s_mul_i32 s57, s22, s66
	s_mul_hi_u32 s66, s23, s47
	s_add_u32 s62, s62, s72
	s_addc_u32 s66, 0, s66
	s_mul_hi_u32 s73, s22, s47
	s_add_u32 s57, s62, s57
	s_mul_i32 s47, s22, s47
	s_addc_u32 s57, s66, s68
	s_addc_u32 s62, s73, 0
	s_add_u32 s47, s57, s47
	s_addc_u32 s57, 0, s62
	s_add_u32 s23, s23, s47
	s_cselect_b32 s47, -1, 0
	s_mul_hi_u32 s62, s45, s23
	s_cmp_lg_u32 s47, 0
	s_mul_i32 s47, s45, s23
	s_addc_u32 s22, s22, s57
	s_mul_i32 s46, s46, s23
	s_mul_i32 s45, s45, s22
	s_mul_hi_u32 s57, s23, s47
	s_add_i32 s45, s62, s45
	s_mul_hi_u32 s62, s22, s47
	s_add_i32 s45, s45, s46
	s_mul_i32 s46, s22, s47
	s_mul_i32 s68, s23, s45
	s_mul_hi_u32 s66, s23, s45
	s_add_u32 s57, s57, s68
	s_addc_u32 s66, 0, s66
	s_mul_hi_u32 s47, s22, s45
	s_add_u32 s46, s57, s46
	s_mul_i32 s45, s22, s45
	s_addc_u32 s46, s66, s62
	s_addc_u32 s47, s47, 0
	s_add_u32 s45, s46, s45
	s_addc_u32 s46, 0, s47
	s_add_u32 s23, s23, s45
	s_cselect_b32 s45, -1, 0
	s_mul_hi_u32 s47, s92, s23
	s_cmp_lg_u32 s45, 0
	s_mul_hi_u32 s45, s69, s23
	s_addc_u32 s22, s22, s46
	s_mul_i32 s23, s69, s23
	s_mul_i32 s57, s92, s22
	s_mul_hi_u32 s46, s92, s22
	s_add_u32 s47, s47, s57
	s_addc_u32 s46, 0, s46
	s_mul_hi_u32 s62, s69, s22
	s_add_u32 s23, s47, s23
	s_mul_i32 s22, s69, s22
	s_addc_u32 s23, s46, s45
	s_addc_u32 s45, s62, 0
	s_add_u32 s22, s23, s22
	s_addc_u32 s23, 0, s45
	s_mul_hi_u32 s45, s35, s22
	s_mul_i32 s23, s35, s23
	s_mul_i32 s22, s35, s22
	s_add_i32 s45, s45, s23
	s_sub_u32 s22, s92, s22
	s_cselect_b32 s23, -1, 0
	s_cmp_lg_u32 s23, 0
	s_subb_u32 s23, s69, s45
	s_sub_u32 s45, s22, s35
	s_cselect_b32 s46, -1, 0
	s_cmp_lg_u32 s46, 0
	s_subb_u32 s46, s23, 0
	;; [unrolled: 4-line block ×3, first 2 shown]
	s_cmp_ge_u32 s45, s35
	s_cselect_b32 s62, -1, 0
	s_cmp_eq_u32 s46, 0
	s_cselect_b32 s62, s62, -1
	s_cmp_lg_u32 s62, 0
	s_cselect_b32 s46, s57, s46
	s_cselect_b32 s45, s47, s45
	s_cmp_ge_u32 s22, s35
	s_cselect_b32 s47, -1, 0
	s_cmp_eq_u32 s23, 0
	s_cselect_b32 s47, s47, -1
	s_cmp_lg_u32 s47, 0
	s_cselect_b32 s23, s46, s23
	s_cselect_b32 s22, s45, s22
	s_cbranch_execnz .LBB186_203
.LBB186_202:                            ;   in Loop: Header=BB186_18 Depth=1
	v_cvt_f32_u32_e32 v2, s35
	s_sub_i32 s23, 0, s35
	v_rcp_iflag_f32_e32 v2, v2
	v_mul_f32_e32 v2, 0x4f7ffffe, v2
	v_cvt_u32_f32_e32 v2, v2
	v_readfirstlane_b32 s22, v2
	s_mul_i32 s23, s23, s22
	s_mul_hi_u32 s23, s22, s23
	s_add_i32 s22, s22, s23
	s_mul_hi_u32 s22, s92, s22
	s_mul_i32 s22, s22, s35
	s_sub_i32 s22, s92, s22
	s_sub_i32 s23, s22, s35
	s_cmp_ge_u32 s22, s35
	s_cselect_b32 s22, s23, s22
	s_sub_i32 s23, s22, s35
	s_cmp_ge_u32 s22, s35
	s_cselect_b32 s66, s23, s22
	s_mov_b64 s[22:23], s[66:67]
.LBB186_203:                            ;   in Loop: Header=BB186_18 Depth=1
	s_sub_u32 s22, s92, s22
	s_subb_u32 s23, s69, s23
	s_mov_b32 s45, exec_lo
                                        ; implicit-def: $vgpr10_vgpr11
	v_cmpx_gt_u64_e64 s[22:23], v[0:1]
	s_cbranch_execz .LBB186_213
; %bb.204:                              ;   in Loop: Header=BB186_18 Depth=1
	v_mov_b32_e32 v29, v1
	v_mov_b32_e32 v28, v0
	s_mov_b32 s46, 0
                                        ; implicit-def: $sgpr47
	s_branch .LBB186_208
.LBB186_205:                            ;   in Loop: Header=BB186_208 Depth=2
	s_or_b32 exec_lo, exec_lo, s57
	s_waitcnt lgkmcnt(0)
	s_barrier
	buffer_gl0_inv
	ds_read_b128 v[8:11], v19 offset:3072
	s_waitcnt lgkmcnt(0)
	s_barrier
	buffer_gl0_inv
	v_cmp_eq_f64_e32 vcc_lo, 0, v[8:9]
	s_cbranch_vccz .LBB186_211
; %bb.206:                              ;   in Loop: Header=BB186_208 Depth=2
	v_add_co_u32 v28, vcc_lo, v28, s35
	v_add_co_ci_u32_e64 v29, null, 0, v29, vcc_lo
	s_mov_b32 s57, 0
	v_cmp_le_u64_e32 vcc_lo, s[22:23], v[28:29]
	s_orn2_b32 s62, vcc_lo, exec_lo
.LBB186_207:                            ;   in Loop: Header=BB186_208 Depth=2
	s_and_b32 s2, exec_lo, s62
	s_or_b32 s46, s2, s46
	s_andn2_b32 s2, s47, exec_lo
	s_and_b32 s24, s57, exec_lo
	s_or_b32 s47, s2, s24
	s_andn2_b32 exec_lo, exec_lo, s46
	s_cbranch_execz .LBB186_212
.LBB186_208:                            ;   Parent Loop BB186_18 Depth=1
                                        ; =>  This Inner Loop Header: Depth=2
	s_mov_b32 s57, exec_lo
	v_cmpx_gt_u64_e64 s[28:29], v[28:29]
	s_cbranch_execz .LBB186_205
; %bb.209:                              ;   in Loop: Header=BB186_208 Depth=2
	v_mul_lo_u32 v2, v29, s26
	v_mul_lo_u32 v8, v28, s27
	v_mad_u64_u32 v[4:5], null, v28, s26, 0
	v_add3_u32 v5, v5, v8, v2
	v_lshlrev_b64 v[4:5], 3, v[4:5]
	v_add_co_u32 v4, vcc_lo, s25, v4
	v_add_co_ci_u32_e64 v5, null, s33, v5, vcc_lo
	global_load_dwordx2 v[4:5], v[4:5], off
	s_waitcnt vmcnt(0)
	v_cmp_o_f64_e32 vcc_lo, v[4:5], v[4:5]
	v_ashrrev_i32_e32 v2, 31, v5
	v_or_b32_e32 v8, 0x80000000, v2
	v_xor_b32_e32 v2, v2, v4
	v_xor_b32_e32 v8, v8, v5
	v_cndmask_b32_e32 v8, -1, v8, vcc_lo
	v_cndmask_b32_e32 v2, -1, v2, vcc_lo
	v_and_b32_e32 v9, v8, v13
	v_and_b32_e32 v8, v2, v12
	v_cmp_eq_u64_e32 vcc_lo, v[8:9], v[14:15]
	s_and_b32 exec_lo, exec_lo, vcc_lo
	s_cbranch_execz .LBB186_205
; %bb.210:                              ;   in Loop: Header=BB186_208 Depth=2
	v_mov_b32_e32 v2, v19
	ds_write_b128 v19, v[2:5] offset:3072
	s_branch .LBB186_205
.LBB186_211:                            ;   in Loop: Header=BB186_208 Depth=2
	s_mov_b32 s62, -1
	s_mov_b32 s57, -1
                                        ; implicit-def: $vgpr28_vgpr29
	s_branch .LBB186_207
.LBB186_212:                            ;   in Loop: Header=BB186_18 Depth=1
	s_or_b32 exec_lo, exec_lo, s46
	s_andn2_b32 s2, s44, exec_lo
	s_and_b32 s22, s47, exec_lo
	s_or_b32 s44, s2, s22
.LBB186_213:                            ;   in Loop: Header=BB186_18 Depth=1
	s_or_b32 exec_lo, exec_lo, s45
	s_mov_b32 s84, 0
	s_mov_b32 s85, -1
.LBB186_214:                            ;   in Loop: Header=BB186_18 Depth=1
	s_orn2_b32 s22, s44, exec_lo
.LBB186_215:                            ;   in Loop: Header=BB186_18 Depth=1
	s_or_b32 exec_lo, exec_lo, s56
	s_mov_b32 s23, 0
	s_and_saveexec_b32 s62, s22
	s_cbranch_execz .LBB186_279
; %bb.216:                              ;   in Loop: Header=BB186_18 Depth=1
	v_mov_b32_e32 v28, 1
	v_mov_b32_e32 v29, 0
	;; [unrolled: 1-line block ×3, first 2 shown]
	s_xor_b32 s44, s63, -1
	s_and_saveexec_b32 s22, s44
	s_cbranch_execz .LBB186_225
; %bb.217:                              ;   in Loop: Header=BB186_18 Depth=1
	s_mov_b32 s23, exec_lo
	v_cmpx_ge_u64_e64 s[18:19], v[30:31]
	s_xor_b32 s23, exec_lo, s23
	s_cbranch_execz .LBB186_222
; %bb.218:                              ;   in Loop: Header=BB186_18 Depth=1
	ds_read_b64 v[4:5], v19 offset:5120
	v_and_b32_e32 v2, s15, v15
	s_lshl_b64 s[44:45], 2, s65
	v_or_b32_e32 v13, s13, v13
	v_or_b32_e32 v12, s12, v12
	;; [unrolled: 1-line block ×3, first 2 shown]
	s_waitcnt lgkmcnt(0)
	v_cmp_ne_u64_e32 vcc_lo, 0, v[4:5]
	v_and_b32_e32 v4, s14, v14
	v_or_b32_e32 v14, s44, v4
	s_cbranch_vccnz .LBB186_222
; %bb.219:                              ;   in Loop: Header=BB186_18 Depth=1
	s_and_saveexec_b32 s44, s3
; %bb.220:                              ;   in Loop: Header=BB186_18 Depth=1
	v_mov_b32_e32 v4, s18
	v_mov_b32_e32 v5, s19
	ds_write_b64 v19, v[4:5] offset:5128
; %bb.221:                              ;   in Loop: Header=BB186_18 Depth=1
	s_or_b32 exec_lo, exec_lo, s44
	s_waitcnt lgkmcnt(0)
	s_barrier
	buffer_gl0_inv
.LBB186_222:                            ;   in Loop: Header=BB186_18 Depth=1
	s_or_saveexec_b32 s23, s23
	v_mov_b32_e32 v39, 8
	s_mov_b32 s44, 0
	s_xor_b32 exec_lo, exec_lo, s23
; %bb.223:                              ;   in Loop: Header=BB186_18 Depth=1
	v_sub_co_u32 v30, vcc_lo, v30, s18
	v_subrev_co_ci_u32_e64 v31, null, s19, v31, vcc_lo
	v_mov_b32_e32 v39, 0
	s_mov_b32 s44, exec_lo
; %bb.224:                              ;   in Loop: Header=BB186_18 Depth=1
	s_or_b32 exec_lo, exec_lo, s23
	v_mov_b32_e32 v28, v30
	v_mov_b32_e32 v29, v31
	s_and_b32 s23, s44, exec_lo
.LBB186_225:                            ;   in Loop: Header=BB186_18 Depth=1
	s_or_b32 exec_lo, exec_lo, s22
	s_mov_b32 s22, -1
                                        ; implicit-def: $sgpr44
                                        ; implicit-def: $sgpr68
	s_and_saveexec_b32 s63, s23
	s_cbranch_execz .LBB186_278
; %bb.226:                              ;   in Loop: Header=BB186_18 Depth=1
	v_cmp_eq_u64_e32 vcc_lo, 1, v[28:29]
	s_cmp_eq_u64 s[20:21], 1
	s_mov_b32 s23, -1
	s_cselect_b32 s22, -1, 0
                                        ; implicit-def: $sgpr44
                                        ; implicit-def: $sgpr68
	s_and_b32 s56, s22, vcc_lo
	s_and_saveexec_b32 s57, s56
	s_cbranch_execz .LBB186_266
; %bb.227:                              ;   in Loop: Header=BB186_18 Depth=1
	ds_read_b64 v[4:5], v19 offset:5120
	s_waitcnt lgkmcnt(0)
	s_barrier
	buffer_gl0_inv
	v_readfirstlane_b32 s22, v4
	v_readfirstlane_b32 s23, v5
	s_and_saveexec_b32 s44, s8
; %bb.228:                              ;   in Loop: Header=BB186_18 Depth=1
	v_mov_b32_e32 v18, v19
	ds_write_b64 v35, v[18:19]
; %bb.229:                              ;   in Loop: Header=BB186_18 Depth=1
	s_or_b32 exec_lo, exec_lo, s44
	v_or_b32_e32 v15, s13, v15
	v_or_b32_e32 v14, s12, v14
	;; [unrolled: 1-line block ×4, first 2 shown]
	s_mov_b32 s68, -1
	s_mov_b32 s44, 0
	s_cmp_eq_u64 s[22:23], 0
	s_mov_b32 s45, 0
	s_mov_b32 s46, -1
	s_waitcnt lgkmcnt(0)
	s_barrier
	buffer_gl0_inv
                                        ; implicit-def: $vgpr10_vgpr11
	s_cbranch_scc1 .LBB186_248
; %bb.230:                              ;   in Loop: Header=BB186_18 Depth=1
	s_add_u32 s45, s22, s90
	s_addc_u32 s73, s23, s91
	s_mov_b32 s72, s67
	s_cmp_lg_u64 s[72:73], 0
	s_cbranch_scc0 .LBB186_234
; %bb.231:                              ;   in Loop: Header=BB186_18 Depth=1
	v_cvt_f32_u32_e32 v2, s35
	s_sub_u32 s66, 0, s35
	s_subb_u32 s72, 0, 0
	v_fmac_f32_e64 v2, 0x4f800000, 0
	v_rcp_f32_e32 v2, v2
	v_mul_f32_e32 v2, 0x5f7ffffc, v2
	v_mul_f32_e32 v4, 0x2f800000, v2
	v_trunc_f32_e32 v4, v4
	v_fmac_f32_e32 v2, 0xcf800000, v4
	v_cvt_u32_f32_e32 v4, v4
	v_cvt_u32_f32_e32 v2, v2
	v_readfirstlane_b32 s46, v4
	v_readfirstlane_b32 s47, v2
	s_mul_i32 s74, s66, s46
	s_mul_hi_u32 vcc_lo, s66, s47
	s_mul_i32 s75, s72, s47
	s_add_i32 s74, vcc_lo, s74
	s_mul_i32 s24, s66, s47
	s_add_i32 s74, s74, s75
	s_mul_hi_u32 vcc_lo, s47, s24
	s_mul_i32 s2, s47, s74
	s_mul_hi_u32 s75, s47, s74
	s_mul_hi_u32 s54, s46, s24
	s_mul_i32 s24, s46, s24
	s_add_u32 s2, vcc_lo, s2
	s_addc_u32 s38, 0, s75
	s_mul_hi_u32 s36, s46, s74
	s_add_u32 s2, s2, s24
	s_mul_i32 s37, s46, s74
	s_addc_u32 s2, s38, s54
	s_addc_u32 s24, s36, 0
	s_add_u32 s2, s2, s37
	s_addc_u32 s24, 0, s24
	s_add_u32 s2, s47, s2
	s_cselect_b32 s36, -1, 0
	s_mul_hi_u32 s37, s66, s2
	s_cmp_lg_u32 s36, 0
	s_mul_i32 s36, s66, s2
	s_addc_u32 s24, s46, s24
	s_mul_i32 s72, s72, s2
	s_mul_i32 s66, s66, s24
	s_mul_hi_u32 s38, s2, s36
	s_add_i32 s37, s37, s66
	s_mul_hi_u32 s39, s24, s36
	s_add_i32 s37, s37, s72
	s_mul_i32 s36, s24, s36
	s_mul_i32 s54, s2, s37
	s_mul_hi_u32 s47, s2, s37
	s_add_u32 s38, s38, s54
	s_addc_u32 s47, 0, s47
	s_mul_hi_u32 s46, s24, s37
	s_add_u32 s36, s38, s36
	s_mul_i32 s37, s24, s37
	s_addc_u32 s36, s47, s39
	s_addc_u32 s38, s46, 0
	s_add_u32 s36, s36, s37
	s_addc_u32 s37, 0, s38
	s_add_u32 s2, s2, s36
	s_cselect_b32 s36, -1, 0
	s_mul_hi_u32 s38, s45, s2
	s_cmp_lg_u32 s36, 0
	s_mul_hi_u32 s36, s73, s2
	s_addc_u32 s24, s24, s37
	s_mul_i32 s2, s73, s2
	s_mul_i32 s39, s45, s24
	s_mul_hi_u32 s37, s45, s24
	s_add_u32 s38, s38, s39
	s_addc_u32 s37, 0, s37
	s_mul_hi_u32 s46, s73, s24
	s_add_u32 s2, s38, s2
	s_mul_i32 s24, s73, s24
	s_addc_u32 s2, s37, s36
	s_addc_u32 s36, s46, 0
	s_add_u32 s2, s2, s24
	s_addc_u32 s24, 0, s36
	s_mul_hi_u32 s36, s35, s2
	s_mul_i32 s24, s35, s24
	s_mul_i32 s2, s35, s2
	s_add_i32 s36, s36, s24
	s_sub_u32 s2, s45, s2
	s_cselect_b32 s24, -1, 0
	s_cmp_lg_u32 s24, 0
	s_subb_u32 s24, s73, s36
	s_sub_u32 s36, s2, s35
	s_cselect_b32 s37, -1, 0
	s_cmp_lg_u32 s37, 0
	s_subb_u32 s37, s24, 0
	;; [unrolled: 4-line block ×3, first 2 shown]
	s_cmp_ge_u32 s36, s35
	s_cselect_b32 s46, -1, 0
	s_cmp_eq_u32 s37, 0
	s_cselect_b32 s46, s46, -1
	s_cmp_lg_u32 s46, 0
	s_mov_b32 s46, 0
	s_cselect_b32 s37, s39, s37
	s_cselect_b32 s36, s38, s36
	s_cmp_ge_u32 s2, s35
	s_cselect_b32 s38, -1, 0
	s_cmp_eq_u32 s24, 0
	s_cselect_b32 s38, s38, -1
	s_cmp_lg_u32 s38, 0
	s_cselect_b32 s75, s37, s24
	s_cselect_b32 s74, s36, s2
	s_branch .LBB186_235
.LBB186_232:                            ;   in Loop: Header=BB186_18 Depth=1
                                        ; implicit-def: $sgpr74_sgpr75
	s_andn2_b32 vcc_lo, exec_lo, s45
	s_cbranch_vccz .LBB186_185
	s_branch .LBB186_186
.LBB186_233:                            ;   in Loop: Header=BB186_18 Depth=1
                                        ; implicit-def: $sgpr22_sgpr23
	s_branch .LBB186_202
.LBB186_234:                            ;   in Loop: Header=BB186_18 Depth=1
                                        ; implicit-def: $sgpr74_sgpr75
.LBB186_235:                            ;   in Loop: Header=BB186_18 Depth=1
	s_andn2_b32 vcc_lo, exec_lo, s46
	s_cbranch_vccnz .LBB186_237
; %bb.236:                              ;   in Loop: Header=BB186_18 Depth=1
	v_cvt_f32_u32_e32 v2, s35
	s_sub_i32 s47, 0, s35
	v_rcp_iflag_f32_e32 v2, v2
	v_mul_f32_e32 v2, 0x4f7ffffe, v2
	v_cvt_u32_f32_e32 v2, v2
	v_readfirstlane_b32 s46, v2
	s_mul_i32 s47, s47, s46
	s_mul_hi_u32 s47, s46, s47
	s_add_i32 s46, s46, s47
	s_mul_hi_u32 s46, s45, s46
	s_mul_i32 s46, s46, s35
	s_sub_i32 s46, s45, s46
	s_sub_i32 s47, s46, s35
	s_cmp_ge_u32 s46, s35
	s_cselect_b32 s46, s47, s46
	s_sub_i32 s47, s46, s35
	s_cmp_ge_u32 s46, s35
	s_cselect_b32 s66, s47, s46
	s_mov_b64 s[74:75], s[66:67]
.LBB186_237:                            ;   in Loop: Header=BB186_18 Depth=1
	s_sub_u32 s72, s45, s74
	s_subb_u32 s73, s73, s75
	s_mov_b32 s46, 0
	s_mov_b32 s45, 0
	s_mov_b32 s47, exec_lo
                                        ; implicit-def: $vgpr10_vgpr11
	v_cmpx_gt_u64_e64 s[72:73], v[0:1]
	s_cbranch_execz .LBB186_247
; %bb.238:                              ;   in Loop: Header=BB186_18 Depth=1
	v_mov_b32_e32 v31, v1
	v_mov_b32_e32 v18, v34
	;; [unrolled: 1-line block ×3, first 2 shown]
                                        ; implicit-def: $sgpr66
	s_branch .LBB186_242
.LBB186_239:                            ;   in Loop: Header=BB186_242 Depth=2
	s_or_b32 exec_lo, exec_lo, s74
	s_waitcnt lgkmcnt(0)
	s_barrier
	buffer_gl0_inv
	ds_read_b128 v[8:11], v19 offset:3072
	s_waitcnt lgkmcnt(0)
	s_barrier
	buffer_gl0_inv
	v_cmp_neq_f64_e32 vcc_lo, 0, v[8:9]
	s_cbranch_vccnz .LBB186_245
; %bb.240:                              ;   in Loop: Header=BB186_242 Depth=2
	v_add_co_u32 v30, vcc_lo, v30, s35
	v_add_co_ci_u32_e64 v31, null, 0, v31, vcc_lo
	v_add_nc_u32_e32 v18, s96, v18
	s_mov_b32 s74, 0
	v_cmp_le_u64_e32 vcc_lo, s[72:73], v[30:31]
	s_orn2_b32 s75, vcc_lo, exec_lo
.LBB186_241:                            ;   in Loop: Header=BB186_242 Depth=2
	s_and_b32 s2, exec_lo, s75
	s_or_b32 s45, s2, s45
	s_andn2_b32 s2, s66, exec_lo
	s_and_b32 s24, s74, exec_lo
	s_or_b32 s66, s2, s24
	s_andn2_b32 exec_lo, exec_lo, s45
	s_cbranch_execz .LBB186_246
.LBB186_242:                            ;   Parent Loop BB186_18 Depth=1
                                        ; =>  This Inner Loop Header: Depth=2
	s_mov_b32 s74, exec_lo
	v_cmpx_gt_u64_e64 s[22:23], v[30:31]
	s_cbranch_execz .LBB186_239
; %bb.243:                              ;   in Loop: Header=BB186_242 Depth=2
	ds_read_b64 v[4:5], v18
	s_waitcnt lgkmcnt(0)
	v_cmp_o_f64_e32 vcc_lo, v[4:5], v[4:5]
	v_ashrrev_i32_e32 v2, 31, v5
	v_or_b32_e32 v8, 0x80000000, v2
	v_xor_b32_e32 v2, v2, v4
	v_xor_b32_e32 v8, v8, v5
	v_cndmask_b32_e32 v8, -1, v8, vcc_lo
	v_cndmask_b32_e32 v2, -1, v2, vcc_lo
	v_and_b32_e32 v9, v8, v13
	v_and_b32_e32 v8, v2, v12
	v_cmp_eq_u64_e32 vcc_lo, v[8:9], v[14:15]
	s_and_b32 exec_lo, exec_lo, vcc_lo
	s_cbranch_execz .LBB186_239
; %bb.244:                              ;   in Loop: Header=BB186_242 Depth=2
	v_mov_b32_e32 v2, v19
	ds_write_b128 v19, v[2:5] offset:3072
	s_branch .LBB186_239
.LBB186_245:                            ;   in Loop: Header=BB186_242 Depth=2
	s_mov_b32 s75, -1
	s_mov_b32 s74, -1
                                        ; implicit-def: $vgpr30_vgpr31
                                        ; implicit-def: $vgpr18
	s_branch .LBB186_241
.LBB186_246:                            ;   in Loop: Header=BB186_18 Depth=1
	s_or_b32 exec_lo, exec_lo, s45
	s_and_b32 s45, s66, exec_lo
.LBB186_247:                            ;   in Loop: Header=BB186_18 Depth=1
	s_or_b32 exec_lo, exec_lo, s47
.LBB186_248:                            ;   in Loop: Header=BB186_18 Depth=1
	s_and_b32 vcc_lo, exec_lo, s46
	s_cbranch_vccz .LBB186_265
; %bb.249:                              ;   in Loop: Header=BB186_18 Depth=1
	s_mov_b32 s68, s67
	s_cmp_lg_u64 s[68:69], 0
	s_cbranch_scc0 .LBB186_251
; %bb.250:                              ;   in Loop: Header=BB186_18 Depth=1
	v_cvt_f32_u32_e32 v2, s35
	s_sub_u32 s23, 0, s35
	s_subb_u32 s24, 0, 0
	v_fmac_f32_e64 v2, 0x4f800000, 0
	v_rcp_f32_e32 v2, v2
	v_mul_f32_e32 v2, 0x5f7ffffc, v2
	v_mul_f32_e32 v4, 0x2f800000, v2
	v_trunc_f32_e32 v4, v4
	v_fmac_f32_e32 v2, 0xcf800000, v4
	v_cvt_u32_f32_e32 v4, v4
	v_cvt_u32_f32_e32 v2, v2
	v_readfirstlane_b32 s2, v4
	v_readfirstlane_b32 s22, v2
	s_mul_i32 s36, s23, s2
	s_mul_hi_u32 s38, s23, s22
	s_mul_i32 s37, s24, s22
	s_add_i32 s36, s38, s36
	s_mul_i32 s39, s23, s22
	s_add_i32 s36, s36, s37
	s_mul_hi_u32 s38, s22, s39
	s_mul_i32 s46, s22, s36
	s_mul_hi_u32 s44, s2, s39
	s_mul_i32 s37, s2, s39
	s_mul_hi_u32 s39, s22, s36
	s_add_u32 s38, s38, s46
	s_addc_u32 s39, 0, s39
	s_mul_hi_u32 s47, s2, s36
	s_add_u32 s37, s38, s37
	s_mul_i32 s36, s2, s36
	s_addc_u32 s37, s39, s44
	s_addc_u32 s38, s47, 0
	s_add_u32 s36, s37, s36
	s_addc_u32 s37, 0, s38
	s_add_u32 s22, s22, s36
	s_cselect_b32 s36, -1, 0
	s_mul_hi_u32 s38, s23, s22
	s_cmp_lg_u32 s36, 0
	s_mul_i32 s36, s23, s22
	s_addc_u32 s2, s2, s37
	s_mul_i32 s24, s24, s22
	s_mul_i32 s23, s23, s2
	s_mul_hi_u32 s37, s22, s36
	s_add_i32 s23, s38, s23
	s_mul_hi_u32 s38, s2, s36
	s_add_i32 s23, s23, s24
	s_mul_i32 s24, s2, s36
	s_mul_i32 s44, s22, s23
	s_mul_hi_u32 s39, s22, s23
	s_add_u32 s37, s37, s44
	s_addc_u32 s39, 0, s39
	s_mul_hi_u32 s36, s2, s23
	s_add_u32 s24, s37, s24
	s_mul_i32 s23, s2, s23
	s_addc_u32 s24, s39, s38
	s_addc_u32 s36, s36, 0
	s_add_u32 s23, s24, s23
	s_addc_u32 s24, 0, s36
	s_add_u32 s22, s22, s23
	s_cselect_b32 s23, -1, 0
	s_mul_hi_u32 s36, s92, s22
	s_cmp_lg_u32 s23, 0
	s_mul_hi_u32 s23, s69, s22
	s_addc_u32 s2, s2, s24
	s_mul_i32 s22, s69, s22
	s_mul_i32 s37, s92, s2
	s_mul_hi_u32 s24, s92, s2
	s_add_u32 s36, s36, s37
	s_addc_u32 s24, 0, s24
	s_mul_hi_u32 s38, s69, s2
	s_add_u32 s22, s36, s22
	s_mul_i32 s2, s69, s2
	s_addc_u32 s22, s24, s23
	s_addc_u32 s23, s38, 0
	s_add_u32 s2, s22, s2
	s_addc_u32 s22, 0, s23
	s_mul_hi_u32 s23, s35, s2
	s_mul_i32 s22, s35, s22
	s_mul_i32 s2, s35, s2
	s_add_i32 s23, s23, s22
	s_sub_u32 s2, s92, s2
	s_cselect_b32 s22, -1, 0
	s_mov_b32 s44, 0
	s_cmp_lg_u32 s22, 0
	s_subb_u32 s22, s69, s23
	s_sub_u32 s23, s2, s35
	s_cselect_b32 s24, -1, 0
	s_cmp_lg_u32 s24, 0
	s_subb_u32 s24, s22, 0
	s_sub_u32 s36, s23, s35
	s_cselect_b32 s37, -1, 0
	s_cmp_lg_u32 s37, 0
	s_subb_u32 s37, s24, 0
	s_cmp_ge_u32 s23, s35
	s_cselect_b32 s38, -1, 0
	s_cmp_eq_u32 s24, 0
	s_cselect_b32 s38, s38, -1
	s_cmp_lg_u32 s38, 0
	s_cselect_b32 s24, s37, s24
	s_cselect_b32 s36, s36, s23
	s_cmp_ge_u32 s2, s35
	s_cselect_b32 s23, -1, 0
	s_cmp_eq_u32 s22, 0
	s_cselect_b32 s23, s23, -1
	s_cmp_lg_u32 s23, 0
	s_cselect_b32 s23, s24, s22
	s_cselect_b32 s22, s36, s2
	s_branch .LBB186_252
.LBB186_251:                            ;   in Loop: Header=BB186_18 Depth=1
	s_mov_b32 s44, -1
                                        ; implicit-def: $sgpr22_sgpr23
.LBB186_252:                            ;   in Loop: Header=BB186_18 Depth=1
	s_andn2_b32 vcc_lo, exec_lo, s44
	s_cbranch_vccnz .LBB186_254
; %bb.253:                              ;   in Loop: Header=BB186_18 Depth=1
	v_cvt_f32_u32_e32 v2, s35
	s_sub_i32 s22, 0, s35
	v_rcp_iflag_f32_e32 v2, v2
	v_mul_f32_e32 v2, 0x4f7ffffe, v2
	v_cvt_u32_f32_e32 v2, v2
	v_readfirstlane_b32 s2, v2
	s_mul_i32 s22, s22, s2
	s_mul_hi_u32 s22, s2, s22
	s_add_i32 s2, s2, s22
	s_mul_hi_u32 s2, s92, s2
	s_mul_i32 s2, s2, s35
	s_sub_i32 s2, s92, s2
	s_sub_i32 s22, s2, s35
	s_cmp_ge_u32 s2, s35
	s_cselect_b32 s2, s22, s2
	s_sub_i32 s22, s2, s35
	s_cmp_ge_u32 s2, s35
	s_cselect_b32 s66, s22, s2
	s_mov_b64 s[22:23], s[66:67]
.LBB186_254:                            ;   in Loop: Header=BB186_18 Depth=1
	s_sub_u32 s22, s92, s22
	s_subb_u32 s23, s69, s23
	s_mov_b32 s44, exec_lo
                                        ; implicit-def: $vgpr10_vgpr11
	v_cmpx_gt_u64_e64 s[22:23], v[0:1]
	s_cbranch_execz .LBB186_264
; %bb.255:                              ;   in Loop: Header=BB186_18 Depth=1
	v_mov_b32_e32 v31, v1
	v_mov_b32_e32 v30, v0
	s_mov_b32 s46, 0
                                        ; implicit-def: $sgpr47
	s_branch .LBB186_259
.LBB186_256:                            ;   in Loop: Header=BB186_259 Depth=2
	s_or_b32 exec_lo, exec_lo, s66
	s_waitcnt lgkmcnt(0)
	s_barrier
	buffer_gl0_inv
	ds_read_b128 v[8:11], v19 offset:3072
	s_waitcnt lgkmcnt(0)
	s_barrier
	buffer_gl0_inv
	v_cmp_eq_f64_e32 vcc_lo, 0, v[8:9]
	s_cbranch_vccz .LBB186_262
; %bb.257:                              ;   in Loop: Header=BB186_259 Depth=2
	v_add_co_u32 v30, vcc_lo, v30, s35
	v_add_co_ci_u32_e64 v31, null, 0, v31, vcc_lo
	s_mov_b32 s66, 0
	v_cmp_le_u64_e32 vcc_lo, s[22:23], v[30:31]
	s_orn2_b32 s68, vcc_lo, exec_lo
.LBB186_258:                            ;   in Loop: Header=BB186_259 Depth=2
	s_and_b32 s2, exec_lo, s68
	s_or_b32 s46, s2, s46
	s_andn2_b32 s2, s47, exec_lo
	s_and_b32 s24, s66, exec_lo
	s_or_b32 s47, s2, s24
	s_andn2_b32 exec_lo, exec_lo, s46
	s_cbranch_execz .LBB186_263
.LBB186_259:                            ;   Parent Loop BB186_18 Depth=1
                                        ; =>  This Inner Loop Header: Depth=2
	s_mov_b32 s66, exec_lo
	v_cmpx_gt_u64_e64 s[28:29], v[30:31]
	s_cbranch_execz .LBB186_256
; %bb.260:                              ;   in Loop: Header=BB186_259 Depth=2
	v_mul_lo_u32 v2, v31, s26
	v_mul_lo_u32 v8, v30, s27
	v_mad_u64_u32 v[4:5], null, v30, s26, 0
	v_add3_u32 v5, v5, v8, v2
	v_lshlrev_b64 v[4:5], 3, v[4:5]
	v_add_co_u32 v4, vcc_lo, s25, v4
	v_add_co_ci_u32_e64 v5, null, s33, v5, vcc_lo
	global_load_dwordx2 v[4:5], v[4:5], off
	s_waitcnt vmcnt(0)
	v_cmp_o_f64_e32 vcc_lo, v[4:5], v[4:5]
	v_ashrrev_i32_e32 v2, 31, v5
	v_or_b32_e32 v8, 0x80000000, v2
	v_xor_b32_e32 v2, v2, v4
	v_xor_b32_e32 v8, v8, v5
	v_cndmask_b32_e32 v8, -1, v8, vcc_lo
	v_cndmask_b32_e32 v2, -1, v2, vcc_lo
	v_and_b32_e32 v9, v8, v13
	v_and_b32_e32 v8, v2, v12
	v_cmp_eq_u64_e32 vcc_lo, v[8:9], v[14:15]
	s_and_b32 exec_lo, exec_lo, vcc_lo
	s_cbranch_execz .LBB186_256
; %bb.261:                              ;   in Loop: Header=BB186_259 Depth=2
	v_mov_b32_e32 v2, v19
	ds_write_b128 v19, v[2:5] offset:3072
	s_branch .LBB186_256
.LBB186_262:                            ;   in Loop: Header=BB186_259 Depth=2
	s_mov_b32 s68, -1
	s_mov_b32 s66, -1
                                        ; implicit-def: $vgpr30_vgpr31
	s_branch .LBB186_258
.LBB186_263:                            ;   in Loop: Header=BB186_18 Depth=1
	s_or_b32 exec_lo, exec_lo, s46
	s_andn2_b32 s2, s45, exec_lo
	s_and_b32 s22, s47, exec_lo
	s_or_b32 s45, s2, s22
.LBB186_264:                            ;   in Loop: Header=BB186_18 Depth=1
	s_or_b32 exec_lo, exec_lo, s44
	s_mov_b32 s68, 0
	s_mov_b32 s44, -1
.LBB186_265:                            ;   in Loop: Header=BB186_18 Depth=1
	s_orn2_b32 s23, s45, exec_lo
.LBB186_266:                            ;   in Loop: Header=BB186_18 Depth=1
	s_or_b32 exec_lo, exec_lo, s57
	s_mov_b32 s45, 0
	s_and_saveexec_b32 s22, s23
	s_cbranch_execz .LBB186_277
; %bb.267:                              ;   in Loop: Header=BB186_18 Depth=1
	v_mov_b32_e32 v4, 1
	v_mov_b32_e32 v5, 0
	;; [unrolled: 1-line block ×3, first 2 shown]
	s_xor_b32 s2, s56, -1
	s_and_saveexec_b32 s23, s2
	s_cbranch_execz .LBB186_276
; %bb.268:                              ;   in Loop: Header=BB186_18 Depth=1
	s_mov_b32 s2, exec_lo
	v_cmpx_ge_u64_e64 s[20:21], v[28:29]
	s_xor_b32 s45, exec_lo, s2
	s_cbranch_execz .LBB186_273
; %bb.269:                              ;   in Loop: Header=BB186_18 Depth=1
	ds_read_b64 v[4:5], v19 offset:5120
	v_or_b32_e32 v15, s13, v15
	v_or_b32_e32 v14, s12, v14
	;; [unrolled: 1-line block ×4, first 2 shown]
	s_waitcnt lgkmcnt(0)
	v_cmp_ne_u64_e32 vcc_lo, 0, v[4:5]
	s_cbranch_vccnz .LBB186_273
; %bb.270:                              ;   in Loop: Header=BB186_18 Depth=1
	s_and_saveexec_b32 s46, s3
; %bb.271:                              ;   in Loop: Header=BB186_18 Depth=1
	v_mov_b32_e32 v4, s20
	v_mov_b32_e32 v5, s21
	ds_write_b64 v19, v[4:5] offset:5128
; %bb.272:                              ;   in Loop: Header=BB186_18 Depth=1
	s_or_b32 exec_lo, exec_lo, s46
	s_waitcnt lgkmcnt(0)
	s_barrier
	buffer_gl0_inv
.LBB186_273:                            ;   in Loop: Header=BB186_18 Depth=1
	s_andn2_saveexec_b32 s45, s45
; %bb.274:                              ;   in Loop: Header=BB186_18 Depth=1
	v_sub_co_u32 v28, vcc_lo, v28, s20
	v_subrev_co_ci_u32_e64 v29, null, s21, v29, vcc_lo
; %bb.275:                              ;   in Loop: Header=BB186_18 Depth=1
	s_or_b32 exec_lo, exec_lo, s45
	v_mov_b32_e32 v4, v28
	v_mov_b32_e32 v39, 8
	;; [unrolled: 1-line block ×3, first 2 shown]
.LBB186_276:                            ;   in Loop: Header=BB186_18 Depth=1
	s_or_b32 exec_lo, exec_lo, s23
	v_mov_b32_e32 v29, v5
	v_mov_b32_e32 v28, v4
	s_mov_b32 s45, exec_lo
.LBB186_277:                            ;   in Loop: Header=BB186_18 Depth=1
	s_or_b32 exec_lo, exec_lo, s22
	s_orn2_b32 s22, s45, exec_lo
.LBB186_278:                            ;   in Loop: Header=BB186_18 Depth=1
	s_or_b32 exec_lo, exec_lo, s63
	v_mov_b32_e32 v31, v29
	v_mov_b32_e32 v30, v28
	s_andn2_b32 s23, s85, exec_lo
	s_and_b32 s44, s44, exec_lo
	s_andn2_b32 s45, s84, exec_lo
	s_and_b32 s46, s68, exec_lo
	s_or_b32 s85, s23, s44
	s_or_b32 s84, s45, s46
	s_and_b32 s23, s22, exec_lo
.LBB186_279:                            ;   in Loop: Header=BB186_18 Depth=1
	s_or_b32 exec_lo, exec_lo, s62
	s_orn2_b32 s22, s23, exec_lo
.LBB186_280:                            ;   in Loop: Header=BB186_18 Depth=1
	s_or_b32 exec_lo, exec_lo, s83
	v_mov_b32_e32 v28, v30
	v_mov_b32_e32 v29, v31
	s_andn2_b32 s23, s81, exec_lo
	s_and_b32 s44, s85, exec_lo
	s_andn2_b32 s45, s80, exec_lo
	s_and_b32 s46, s84, exec_lo
	s_or_b32 s81, s23, s44
	s_or_b32 s80, s45, s46
	s_and_b32 s23, s22, exec_lo
.LBB186_281:                            ;   in Loop: Header=BB186_18 Depth=1
	s_or_b32 exec_lo, exec_lo, s82
	s_orn2_b32 s22, s23, exec_lo
.LBB186_282:                            ;   in Loop: Header=BB186_18 Depth=1
	s_or_b32 exec_lo, exec_lo, s6
	s_mov_b32 s6, 0
	s_mov_b32 s23, 0
	s_and_saveexec_b32 s44, s22
	s_xor_b32 s22, exec_lo, s44
; %bb.283:                              ;   in Loop: Header=BB186_18 Depth=1
	v_cmp_ne_u32_e32 vcc_lo, 8, v39
	v_cmp_eq_u32_e64 s6, 8, v39
	s_and_b32 s23, vcc_lo, exec_lo
	s_and_b32 s6, s6, exec_lo
; %bb.284:                              ;   in Loop: Header=BB186_18 Depth=1
	s_or_b32 exec_lo, exec_lo, s22
	s_andn2_b32 s22, s77, exec_lo
	s_and_b32 s44, s81, exec_lo
	s_andn2_b32 s45, s76, exec_lo
	s_and_b32 s46, s80, exec_lo
	s_or_b32 s77, s22, s44
	s_or_b32 s76, s45, s46
	s_and_b32 s74, s23, exec_lo
	s_and_b32 s75, s6, exec_lo
.LBB186_285:                            ;   in Loop: Header=BB186_18 Depth=1
	s_or_b32 exec_lo, exec_lo, s79
.LBB186_286:                            ;   in Loop: Header=BB186_18 Depth=1
	s_and_b32 vcc_lo, exec_lo, s78
	s_cbranch_vccz .LBB186_303
; %bb.287:                              ;   in Loop: Header=BB186_18 Depth=1
	s_cmp_eq_u64 s[20:21], 1
                                        ; implicit-def: $sgpr78
                                        ; implicit-def: $sgpr9
	s_cselect_b32 s6, -1, 0
	s_and_b32 s56, s6, s7
	s_mov_b32 s6, -1
	s_and_saveexec_b32 s57, s56
	s_cbranch_execz .LBB186_322
; %bb.288:                              ;   in Loop: Header=BB186_18 Depth=1
	ds_read_b64 v[4:5], v19 offset:5120
	s_waitcnt lgkmcnt(0)
	s_barrier
	buffer_gl0_inv
	v_readfirstlane_b32 s6, v4
	v_readfirstlane_b32 s7, v5
	s_and_saveexec_b32 s9, s8
; %bb.289:                              ;   in Loop: Header=BB186_18 Depth=1
	v_mov_b32_e32 v18, v19
	ds_write_b64 v35, v[18:19]
; %bb.290:                              ;   in Loop: Header=BB186_18 Depth=1
	s_or_b32 exec_lo, exec_lo, s9
	v_or_b32_e32 v23, s13, v23
	v_or_b32_e32 v22, s12, v22
	v_or_b32_e32 v25, s13, v25
	v_or_b32_e32 v24, s12, v24
	s_mov_b32 s9, -1
	s_mov_b32 s78, 0
	s_cmp_eq_u64 s[6:7], 0
	s_mov_b32 s44, 0
	s_mov_b32 s45, -1
	s_waitcnt lgkmcnt(0)
	s_barrier
	buffer_gl0_inv
                                        ; implicit-def: $vgpr6_vgpr7
	s_cbranch_scc1 .LBB186_306
; %bb.291:                              ;   in Loop: Header=BB186_18 Depth=1
	s_add_u32 s44, s6, s90
	s_addc_u32 s23, s7, s91
	s_mov_b32 s22, s67
	s_cmp_lg_u64 s[22:23], 0
	s_cbranch_scc0 .LBB186_349
; %bb.292:                              ;   in Loop: Header=BB186_18 Depth=1
	v_cvt_f32_u32_e32 v2, s35
	s_sub_u32 s46, 0, s35
	s_subb_u32 s47, 0, 0
	v_fmac_f32_e64 v2, 0x4f800000, 0
	v_rcp_f32_e32 v2, v2
	v_mul_f32_e32 v2, 0x5f7ffffc, v2
	v_mul_f32_e32 v4, 0x2f800000, v2
	v_trunc_f32_e32 v4, v4
	v_fmac_f32_e32 v2, 0xcf800000, v4
	v_cvt_u32_f32_e32 v4, v4
	v_cvt_u32_f32_e32 v2, v2
	v_readfirstlane_b32 s22, v4
	v_readfirstlane_b32 s45, v2
	s_mul_i32 s62, s46, s22
	s_mul_hi_u32 s66, s46, s45
	s_mul_i32 s63, s47, s45
	s_add_i32 s62, s66, s62
	s_mul_i32 s68, s46, s45
	s_add_i32 s62, s62, s63
	s_mul_hi_u32 s66, s45, s68
	s_mul_i32 s73, s45, s62
	s_mul_hi_u32 s72, s22, s68
	s_mul_i32 s63, s22, s68
	s_mul_hi_u32 s68, s45, s62
	s_add_u32 s66, s66, s73
	s_addc_u32 s68, 0, s68
	s_mul_hi_u32 s76, s22, s62
	s_add_u32 s63, s66, s63
	s_mul_i32 s62, s22, s62
	s_addc_u32 s63, s68, s72
	s_addc_u32 s66, s76, 0
	s_add_u32 s62, s63, s62
	s_addc_u32 s63, 0, s66
	s_add_u32 s45, s45, s62
	s_cselect_b32 s62, -1, 0
	s_mul_hi_u32 s66, s46, s45
	s_cmp_lg_u32 s62, 0
	s_mul_i32 s62, s46, s45
	s_addc_u32 s22, s22, s63
	s_mul_i32 s47, s47, s45
	s_mul_i32 s46, s46, s22
	s_mul_hi_u32 s63, s45, s62
	s_add_i32 s46, s66, s46
	s_mul_hi_u32 s66, s22, s62
	s_add_i32 s46, s46, s47
	s_mul_i32 s47, s22, s62
	s_mul_i32 s72, s45, s46
	s_mul_hi_u32 s68, s45, s46
	s_add_u32 s63, s63, s72
	s_addc_u32 s68, 0, s68
	s_mul_hi_u32 s62, s22, s46
	s_add_u32 s47, s63, s47
	s_mul_i32 s46, s22, s46
	s_addc_u32 s47, s68, s66
	s_addc_u32 s62, s62, 0
	s_add_u32 s46, s47, s46
	s_addc_u32 s47, 0, s62
	s_add_u32 s45, s45, s46
	s_cselect_b32 s46, -1, 0
	s_mul_hi_u32 s62, s44, s45
	s_cmp_lg_u32 s46, 0
	s_mul_hi_u32 s46, s23, s45
	s_addc_u32 s22, s22, s47
	s_mul_i32 s45, s23, s45
	s_mul_i32 s63, s44, s22
	s_mul_hi_u32 s47, s44, s22
	s_add_u32 s62, s62, s63
	s_addc_u32 s47, 0, s47
	s_mul_hi_u32 s66, s23, s22
	s_add_u32 s45, s62, s45
	s_mul_i32 s22, s23, s22
	s_addc_u32 s45, s47, s46
	s_addc_u32 s46, s66, 0
	s_add_u32 s22, s45, s22
	s_addc_u32 s45, 0, s46
	s_mul_hi_u32 s46, s35, s22
	s_mul_i32 s45, s35, s45
	s_mul_i32 s22, s35, s22
	s_add_i32 s46, s46, s45
	s_sub_u32 s22, s44, s22
	s_cselect_b32 s45, -1, 0
	s_cmp_lg_u32 s45, 0
	s_subb_u32 s45, s23, s46
	s_sub_u32 s46, s22, s35
	s_cselect_b32 s47, -1, 0
	s_cmp_lg_u32 s47, 0
	s_subb_u32 s47, s45, 0
	;; [unrolled: 4-line block ×3, first 2 shown]
	s_cmp_ge_u32 s46, s35
	s_cselect_b32 s66, -1, 0
	s_cmp_eq_u32 s47, 0
	s_cselect_b32 s66, s66, -1
	s_cmp_lg_u32 s66, 0
	s_cselect_b32 s47, s63, s47
	s_cselect_b32 s46, s62, s46
	s_cmp_ge_u32 s22, s35
	s_cselect_b32 s62, -1, 0
	s_cmp_eq_u32 s45, 0
	s_cselect_b32 s62, s62, -1
	s_cmp_lg_u32 s62, 0
	s_cselect_b32 s73, s47, s45
	s_cselect_b32 s72, s46, s22
	s_cbranch_execnz .LBB186_294
.LBB186_293:                            ;   in Loop: Header=BB186_18 Depth=1
	v_cvt_f32_u32_e32 v2, s35
	s_sub_i32 s45, 0, s35
	v_rcp_iflag_f32_e32 v2, v2
	v_mul_f32_e32 v2, 0x4f7ffffe, v2
	v_cvt_u32_f32_e32 v2, v2
	v_readfirstlane_b32 s22, v2
	s_mul_i32 s45, s45, s22
	s_mul_hi_u32 s45, s22, s45
	s_add_i32 s22, s22, s45
	s_mul_hi_u32 s22, s44, s22
	s_mul_i32 s22, s22, s35
	s_sub_i32 s22, s44, s22
	s_sub_i32 s45, s22, s35
	s_cmp_ge_u32 s22, s35
	s_cselect_b32 s22, s45, s22
	s_sub_i32 s45, s22, s35
	s_cmp_ge_u32 s22, s35
	s_cselect_b32 s66, s45, s22
	s_mov_b64 s[72:73], s[66:67]
.LBB186_294:                            ;   in Loop: Header=BB186_18 Depth=1
	s_sub_u32 s22, s44, s72
	s_subb_u32 s23, s23, s73
	s_mov_b32 s45, 0
	s_mov_b32 s44, 0
	s_mov_b32 s46, exec_lo
                                        ; implicit-def: $vgpr6_vgpr7
	v_cmpx_gt_u64_e64 s[22:23], v[0:1]
	s_cbranch_execz .LBB186_305
; %bb.295:                              ;   in Loop: Header=BB186_18 Depth=1
	v_mov_b32_e32 v9, v1
	v_mov_b32_e32 v10, v34
	;; [unrolled: 1-line block ×3, first 2 shown]
                                        ; implicit-def: $sgpr47
	s_branch .LBB186_299
.LBB186_296:                            ;   in Loop: Header=BB186_299 Depth=2
	s_or_b32 exec_lo, exec_lo, s62
	s_waitcnt lgkmcnt(0)
	s_barrier
	buffer_gl0_inv
	ds_read_b128 v[4:7], v19 offset:3072
	s_waitcnt lgkmcnt(0)
	s_barrier
	buffer_gl0_inv
	v_cmp_neq_f64_e32 vcc_lo, 0, v[4:5]
	s_cbranch_vccnz .LBB186_302
; %bb.297:                              ;   in Loop: Header=BB186_299 Depth=2
	v_add_co_u32 v8, vcc_lo, v8, s35
	v_add_co_ci_u32_e64 v9, null, 0, v9, vcc_lo
	v_add_nc_u32_e32 v10, s96, v10
	s_mov_b32 s62, 0
	v_cmp_le_u64_e32 vcc_lo, s[22:23], v[8:9]
	s_orn2_b32 s63, vcc_lo, exec_lo
.LBB186_298:                            ;   in Loop: Header=BB186_299 Depth=2
	s_and_b32 s2, exec_lo, s63
	s_or_b32 s44, s2, s44
	s_andn2_b32 s2, s47, exec_lo
	s_and_b32 s24, s62, exec_lo
	s_or_b32 s47, s2, s24
	s_andn2_b32 exec_lo, exec_lo, s44
	s_cbranch_execz .LBB186_304
.LBB186_299:                            ;   Parent Loop BB186_18 Depth=1
                                        ; =>  This Inner Loop Header: Depth=2
	s_mov_b32 s62, exec_lo
	v_cmpx_gt_u64_e64 s[6:7], v[8:9]
	s_cbranch_execz .LBB186_296
; %bb.300:                              ;   in Loop: Header=BB186_299 Depth=2
	ds_read_b64 v[4:5], v10
	s_waitcnt lgkmcnt(0)
	v_cmp_o_f64_e32 vcc_lo, v[4:5], v[4:5]
	v_ashrrev_i32_e32 v2, 31, v5
	v_or_b32_e32 v6, 0x80000000, v2
	v_xor_b32_e32 v2, v2, v4
	v_xor_b32_e32 v6, v6, v5
	v_cndmask_b32_e32 v6, -1, v6, vcc_lo
	v_cndmask_b32_e32 v2, -1, v2, vcc_lo
	v_and_b32_e32 v7, v6, v25
	v_and_b32_e32 v6, v2, v24
	v_cmp_eq_u64_e32 vcc_lo, v[6:7], v[22:23]
	s_and_b32 exec_lo, exec_lo, vcc_lo
	s_cbranch_execz .LBB186_296
; %bb.301:                              ;   in Loop: Header=BB186_299 Depth=2
	v_mov_b32_e32 v2, v19
	ds_write_b128 v19, v[2:5] offset:3072
	s_branch .LBB186_296
.LBB186_302:                            ;   in Loop: Header=BB186_299 Depth=2
	s_mov_b32 s63, -1
	s_mov_b32 s62, -1
                                        ; implicit-def: $vgpr8_vgpr9
                                        ; implicit-def: $vgpr10
	s_branch .LBB186_298
.LBB186_303:                            ;   in Loop: Header=BB186_18 Depth=1
	v_mov_b32_e32 v23, v15
	v_mov_b32_e32 v25, v13
	v_mov_b32_e32 v6, v10
	v_mov_b32_e32 v22, v14
	v_mov_b32_e32 v24, v12
	v_mov_b32_e32 v7, v11
	s_mov_b32 s78, 0
	s_and_saveexec_b32 s6, s75
	s_cbranch_execnz .LBB186_487
	s_branch .LBB186_488
.LBB186_304:                            ;   in Loop: Header=BB186_18 Depth=1
	s_or_b32 exec_lo, exec_lo, s44
	s_and_b32 s44, s47, exec_lo
.LBB186_305:                            ;   in Loop: Header=BB186_18 Depth=1
	s_or_b32 exec_lo, exec_lo, s46
.LBB186_306:                            ;   in Loop: Header=BB186_18 Depth=1
	s_and_b32 vcc_lo, exec_lo, s45
	s_cbranch_vccz .LBB186_321
; %bb.307:                              ;   in Loop: Header=BB186_18 Depth=1
	s_mov_b32 s68, s67
	s_cmp_lg_u64 s[68:69], 0
	s_cbranch_scc0 .LBB186_350
; %bb.308:                              ;   in Loop: Header=BB186_18 Depth=1
	v_cvt_f32_u32_e32 v2, s35
	s_sub_u32 s9, 0, s35
	s_subb_u32 s22, 0, 0
	v_fmac_f32_e64 v2, 0x4f800000, 0
	v_rcp_f32_e32 v2, v2
	v_mul_f32_e32 v2, 0x5f7ffffc, v2
	v_mul_f32_e32 v4, 0x2f800000, v2
	v_trunc_f32_e32 v4, v4
	v_fmac_f32_e32 v2, 0xcf800000, v4
	v_cvt_u32_f32_e32 v4, v4
	v_cvt_u32_f32_e32 v2, v2
	v_readfirstlane_b32 s6, v4
	v_readfirstlane_b32 s7, v2
	s_mul_i32 s23, s9, s6
	s_mul_hi_u32 s46, s9, s7
	s_mul_i32 s45, s22, s7
	s_add_i32 s23, s46, s23
	s_mul_i32 s47, s9, s7
	s_add_i32 s23, s23, s45
	s_mul_hi_u32 s46, s7, s47
	s_mul_i32 s63, s7, s23
	s_mul_hi_u32 s62, s6, s47
	s_mul_i32 s45, s6, s47
	s_mul_hi_u32 s47, s7, s23
	s_add_u32 s46, s46, s63
	s_addc_u32 s47, 0, s47
	s_mul_hi_u32 s66, s6, s23
	s_add_u32 s45, s46, s45
	s_mul_i32 s23, s6, s23
	s_addc_u32 s45, s47, s62
	s_addc_u32 s46, s66, 0
	s_add_u32 s23, s45, s23
	s_addc_u32 s45, 0, s46
	s_add_u32 s7, s7, s23
	s_cselect_b32 s23, -1, 0
	s_mul_hi_u32 s46, s9, s7
	s_cmp_lg_u32 s23, 0
	s_mul_i32 s23, s9, s7
	s_addc_u32 s6, s6, s45
	s_mul_i32 s22, s22, s7
	s_mul_i32 s9, s9, s6
	s_mul_hi_u32 s45, s7, s23
	s_add_i32 s9, s46, s9
	s_mul_hi_u32 s46, s6, s23
	s_add_i32 s9, s9, s22
	s_mul_i32 s22, s6, s23
	s_mul_i32 s62, s7, s9
	s_mul_hi_u32 s47, s7, s9
	s_add_u32 s45, s45, s62
	s_addc_u32 s47, 0, s47
	s_mul_hi_u32 s23, s6, s9
	s_add_u32 s22, s45, s22
	s_mul_i32 s9, s6, s9
	s_addc_u32 s22, s47, s46
	s_addc_u32 s23, s23, 0
	s_add_u32 s9, s22, s9
	s_addc_u32 s22, 0, s23
	s_add_u32 s7, s7, s9
	s_cselect_b32 s9, -1, 0
	s_mul_hi_u32 s23, s92, s7
	s_cmp_lg_u32 s9, 0
	s_mul_hi_u32 s9, s69, s7
	s_addc_u32 s6, s6, s22
	s_mul_i32 s7, s69, s7
	s_mul_i32 s45, s92, s6
	s_mul_hi_u32 s22, s92, s6
	s_add_u32 s23, s23, s45
	s_addc_u32 s22, 0, s22
	s_mul_hi_u32 s46, s69, s6
	s_add_u32 s7, s23, s7
	s_mul_i32 s6, s69, s6
	s_addc_u32 s7, s22, s9
	s_addc_u32 s9, s46, 0
	s_add_u32 s6, s7, s6
	s_addc_u32 s7, 0, s9
	s_mul_hi_u32 s9, s35, s6
	s_mul_i32 s7, s35, s7
	s_mul_i32 s6, s35, s6
	s_add_i32 s9, s9, s7
	s_sub_u32 s6, s92, s6
	s_cselect_b32 s7, -1, 0
	s_cmp_lg_u32 s7, 0
	s_subb_u32 s7, s69, s9
	s_sub_u32 s9, s6, s35
	s_cselect_b32 s22, -1, 0
	s_cmp_lg_u32 s22, 0
	s_subb_u32 s22, s7, 0
	;; [unrolled: 4-line block ×3, first 2 shown]
	s_cmp_ge_u32 s9, s35
	s_cselect_b32 s46, -1, 0
	s_cmp_eq_u32 s22, 0
	s_cselect_b32 s46, s46, -1
	s_cmp_lg_u32 s46, 0
	s_cselect_b32 s22, s45, s22
	s_cselect_b32 s9, s23, s9
	s_cmp_ge_u32 s6, s35
	s_cselect_b32 s23, -1, 0
	s_cmp_eq_u32 s7, 0
	s_cselect_b32 s23, s23, -1
	s_cmp_lg_u32 s23, 0
	s_cselect_b32 s7, s22, s7
	s_cselect_b32 s6, s9, s6
	s_cbranch_execnz .LBB186_310
.LBB186_309:                            ;   in Loop: Header=BB186_18 Depth=1
	v_cvt_f32_u32_e32 v2, s35
	s_sub_i32 s7, 0, s35
	v_rcp_iflag_f32_e32 v2, v2
	v_mul_f32_e32 v2, 0x4f7ffffe, v2
	v_cvt_u32_f32_e32 v2, v2
	v_readfirstlane_b32 s6, v2
	s_mul_i32 s7, s7, s6
	s_mul_hi_u32 s7, s6, s7
	s_add_i32 s6, s6, s7
	s_mul_hi_u32 s6, s92, s6
	s_mul_i32 s6, s6, s35
	s_sub_i32 s6, s92, s6
	s_sub_i32 s7, s6, s35
	s_cmp_ge_u32 s6, s35
	s_cselect_b32 s6, s7, s6
	s_sub_i32 s7, s6, s35
	s_cmp_ge_u32 s6, s35
	s_cselect_b32 s66, s7, s6
	s_mov_b64 s[6:7], s[66:67]
.LBB186_310:                            ;   in Loop: Header=BB186_18 Depth=1
	s_sub_u32 s6, s92, s6
	s_subb_u32 s7, s69, s7
	s_mov_b32 s9, exec_lo
                                        ; implicit-def: $vgpr6_vgpr7
	v_cmpx_gt_u64_e64 s[6:7], v[0:1]
	s_cbranch_execz .LBB186_320
; %bb.311:                              ;   in Loop: Header=BB186_18 Depth=1
	v_mov_b32_e32 v9, v1
	v_mov_b32_e32 v8, v0
	s_mov_b32 s23, 0
                                        ; implicit-def: $sgpr22
	s_branch .LBB186_315
.LBB186_312:                            ;   in Loop: Header=BB186_315 Depth=2
	s_or_b32 exec_lo, exec_lo, s45
	s_waitcnt lgkmcnt(0)
	s_barrier
	buffer_gl0_inv
	ds_read_b128 v[4:7], v19 offset:3072
	s_waitcnt lgkmcnt(0)
	s_barrier
	buffer_gl0_inv
	v_cmp_neq_f64_e32 vcc_lo, 0, v[4:5]
	s_cbranch_vccnz .LBB186_318
; %bb.313:                              ;   in Loop: Header=BB186_315 Depth=2
	v_add_co_u32 v8, vcc_lo, v8, s35
	v_add_co_ci_u32_e64 v9, null, 0, v9, vcc_lo
	s_mov_b32 s45, 0
	v_cmp_le_u64_e32 vcc_lo, s[6:7], v[8:9]
	s_orn2_b32 s46, vcc_lo, exec_lo
.LBB186_314:                            ;   in Loop: Header=BB186_315 Depth=2
	s_and_b32 s2, exec_lo, s46
	s_or_b32 s23, s2, s23
	s_andn2_b32 s2, s22, exec_lo
	s_and_b32 s22, s45, exec_lo
	s_or_b32 s22, s2, s22
	s_andn2_b32 exec_lo, exec_lo, s23
	s_cbranch_execz .LBB186_319
.LBB186_315:                            ;   Parent Loop BB186_18 Depth=1
                                        ; =>  This Inner Loop Header: Depth=2
	s_mov_b32 s45, exec_lo
	v_cmpx_gt_u64_e64 s[28:29], v[8:9]
	s_cbranch_execz .LBB186_312
; %bb.316:                              ;   in Loop: Header=BB186_315 Depth=2
	v_mul_lo_u32 v2, v9, s26
	v_mul_lo_u32 v6, v8, s27
	v_mad_u64_u32 v[4:5], null, v8, s26, 0
	v_add3_u32 v5, v5, v6, v2
	v_lshlrev_b64 v[4:5], 3, v[4:5]
	v_add_co_u32 v4, vcc_lo, s25, v4
	v_add_co_ci_u32_e64 v5, null, s33, v5, vcc_lo
	global_load_dwordx2 v[4:5], v[4:5], off
	s_waitcnt vmcnt(0)
	v_cmp_o_f64_e32 vcc_lo, v[4:5], v[4:5]
	v_ashrrev_i32_e32 v2, 31, v5
	v_or_b32_e32 v6, 0x80000000, v2
	v_xor_b32_e32 v2, v2, v4
	v_xor_b32_e32 v6, v6, v5
	v_cndmask_b32_e32 v6, -1, v6, vcc_lo
	v_cndmask_b32_e32 v2, -1, v2, vcc_lo
	v_and_b32_e32 v7, v6, v25
	v_and_b32_e32 v6, v2, v24
	v_cmp_eq_u64_e32 vcc_lo, v[6:7], v[22:23]
	s_and_b32 exec_lo, exec_lo, vcc_lo
	s_cbranch_execz .LBB186_312
; %bb.317:                              ;   in Loop: Header=BB186_315 Depth=2
	v_mov_b32_e32 v2, v19
	ds_write_b128 v19, v[2:5] offset:3072
	s_branch .LBB186_312
.LBB186_318:                            ;   in Loop: Header=BB186_315 Depth=2
	s_mov_b32 s46, -1
	s_mov_b32 s45, -1
                                        ; implicit-def: $vgpr8_vgpr9
	s_branch .LBB186_314
.LBB186_319:                            ;   in Loop: Header=BB186_18 Depth=1
	s_or_b32 exec_lo, exec_lo, s23
	s_andn2_b32 s2, s44, exec_lo
	s_and_b32 s6, s22, exec_lo
	s_or_b32 s44, s2, s6
.LBB186_320:                            ;   in Loop: Header=BB186_18 Depth=1
	s_or_b32 exec_lo, exec_lo, s9
	s_mov_b32 s9, 0
	s_mov_b32 s78, -1
.LBB186_321:                            ;   in Loop: Header=BB186_18 Depth=1
	s_orn2_b32 s6, s44, exec_lo
.LBB186_322:                            ;   in Loop: Header=BB186_18 Depth=1
	s_or_b32 exec_lo, exec_lo, s57
                                        ; implicit-def: $vgpr28_vgpr29
                                        ; implicit-def: $vgpr39
	s_and_saveexec_b32 s72, s6
	s_cbranch_execz .LBB186_486
; %bb.323:                              ;   in Loop: Header=BB186_18 Depth=1
	v_mov_b32_e32 v28, 1
	v_mov_b32_e32 v29, 0
	v_mov_b32_e32 v39, 1
	s_xor_b32 s22, s56, -1
	s_mov_b32 s7, 0
	s_and_saveexec_b32 s6, s22
	s_cbranch_execz .LBB186_332
; %bb.324:                              ;   in Loop: Header=BB186_18 Depth=1
	s_mov_b32 s7, exec_lo
	v_cmpx_ge_u64_e64 s[20:21], v[26:27]
	s_xor_b32 s7, exec_lo, s7
	s_cbranch_execz .LBB186_329
; %bb.325:                              ;   in Loop: Header=BB186_18 Depth=1
	ds_read_b64 v[4:5], v19 offset:5120
	v_or_b32_e32 v23, s13, v23
	v_or_b32_e32 v22, s12, v22
	;; [unrolled: 1-line block ×4, first 2 shown]
	s_waitcnt lgkmcnt(0)
	v_cmp_ne_u64_e32 vcc_lo, 0, v[4:5]
	s_cbranch_vccnz .LBB186_329
; %bb.326:                              ;   in Loop: Header=BB186_18 Depth=1
	s_and_saveexec_b32 s22, s3
; %bb.327:                              ;   in Loop: Header=BB186_18 Depth=1
	v_mov_b32_e32 v4, s20
	v_mov_b32_e32 v5, s21
	ds_write_b64 v19, v[4:5] offset:5128
; %bb.328:                              ;   in Loop: Header=BB186_18 Depth=1
	s_or_b32 exec_lo, exec_lo, s22
	s_waitcnt lgkmcnt(0)
	s_barrier
	buffer_gl0_inv
.LBB186_329:                            ;   in Loop: Header=BB186_18 Depth=1
	s_or_saveexec_b32 s7, s7
	v_mov_b32_e32 v39, 5
	s_mov_b32 s22, 0
	s_xor_b32 exec_lo, exec_lo, s7
; %bb.330:                              ;   in Loop: Header=BB186_18 Depth=1
	v_sub_co_u32 v26, vcc_lo, v26, s20
	v_subrev_co_ci_u32_e64 v27, null, s21, v27, vcc_lo
	v_mov_b32_e32 v39, 0
	s_mov_b32 s22, exec_lo
; %bb.331:                              ;   in Loop: Header=BB186_18 Depth=1
	s_or_b32 exec_lo, exec_lo, s7
	v_mov_b32_e32 v29, v27
	v_mov_b32_e32 v28, v26
	s_and_b32 s7, s22, exec_lo
.LBB186_332:                            ;   in Loop: Header=BB186_18 Depth=1
	s_or_b32 exec_lo, exec_lo, s6
	s_mov_b32 s6, -1
                                        ; implicit-def: $sgpr76
                                        ; implicit-def: $sgpr77
	s_and_saveexec_b32 s20, s7
	s_xor_b32 s73, exec_lo, s20
	s_cbranch_execz .LBB186_483
; %bb.333:                              ;   in Loop: Header=BB186_18 Depth=1
	v_cmp_eq_u64_e32 vcc_lo, 1, v[28:29]
	s_cmp_eq_u64 s[18:19], 1
                                        ; implicit-def: $sgpr77
                                        ; implicit-def: $sgpr76
	s_cselect_b32 s6, -1, 0
	s_and_b32 s62, s6, vcc_lo
	s_mov_b32 s6, -1
	s_and_saveexec_b32 s56, s62
	s_cbranch_execz .LBB186_369
; %bb.334:                              ;   in Loop: Header=BB186_18 Depth=1
	ds_read_b64 v[4:5], v19 offset:5120
	s_waitcnt lgkmcnt(0)
	s_barrier
	buffer_gl0_inv
	v_readfirstlane_b32 s6, v4
	v_readfirstlane_b32 s7, v5
	s_and_saveexec_b32 s20, s8
; %bb.335:                              ;   in Loop: Header=BB186_18 Depth=1
	v_mov_b32_e32 v18, v19
	ds_write_b64 v35, v[18:19]
; %bb.336:                              ;   in Loop: Header=BB186_18 Depth=1
	s_or_b32 exec_lo, exec_lo, s20
	v_and_b32_e32 v2, s15, v23
	v_and_b32_e32 v4, s14, v22
	s_lshl_b64 s[20:21], 2, s65
	v_or_b32_e32 v25, s13, v25
	v_or_b32_e32 v24, s12, v24
	;; [unrolled: 1-line block ×4, first 2 shown]
	s_mov_b32 s76, -1
	s_mov_b32 s77, 0
	s_cmp_eq_u64 s[6:7], 0
	s_mov_b32 s22, 0
	s_mov_b32 s23, -1
	s_waitcnt lgkmcnt(0)
	s_barrier
	buffer_gl0_inv
                                        ; implicit-def: $vgpr6_vgpr7
	s_cbranch_scc1 .LBB186_353
; %bb.337:                              ;   in Loop: Header=BB186_18 Depth=1
	s_add_u32 s44, s6, s90
	s_addc_u32 s21, s7, s91
	s_mov_b32 s20, s67
	s_cmp_lg_u64 s[20:21], 0
	s_cbranch_scc0 .LBB186_396
; %bb.338:                              ;   in Loop: Header=BB186_18 Depth=1
	v_cvt_f32_u32_e32 v2, s35
	s_sub_u32 s23, 0, s35
	s_subb_u32 s45, 0, 0
	v_fmac_f32_e64 v2, 0x4f800000, 0
	v_rcp_f32_e32 v2, v2
	v_mul_f32_e32 v2, 0x5f7ffffc, v2
	v_mul_f32_e32 v4, 0x2f800000, v2
	v_trunc_f32_e32 v4, v4
	v_fmac_f32_e32 v2, 0xcf800000, v4
	v_cvt_u32_f32_e32 v4, v4
	v_cvt_u32_f32_e32 v2, v2
	v_readfirstlane_b32 s20, v4
	v_readfirstlane_b32 s22, v2
	s_mul_i32 s46, s23, s20
	s_mul_hi_u32 s57, s23, s22
	s_mul_i32 s47, s45, s22
	s_add_i32 s46, s57, s46
	s_mul_i32 s63, s23, s22
	s_add_i32 s46, s46, s47
	s_mul_hi_u32 s57, s22, s63
	s_mul_i32 s68, s22, s46
	s_mul_hi_u32 s66, s20, s63
	s_mul_i32 s47, s20, s63
	s_mul_hi_u32 s63, s22, s46
	s_add_u32 s57, s57, s68
	s_addc_u32 s63, 0, s63
	s_mul_hi_u32 s79, s20, s46
	s_add_u32 s47, s57, s47
	s_mul_i32 s46, s20, s46
	s_addc_u32 s47, s63, s66
	s_addc_u32 s57, s79, 0
	s_add_u32 s46, s47, s46
	s_addc_u32 s47, 0, s57
	s_add_u32 s22, s22, s46
	s_cselect_b32 s46, -1, 0
	s_mul_hi_u32 s57, s23, s22
	s_cmp_lg_u32 s46, 0
	s_mul_i32 s46, s23, s22
	s_addc_u32 s20, s20, s47
	s_mul_i32 s45, s45, s22
	s_mul_i32 s23, s23, s20
	s_mul_hi_u32 s47, s22, s46
	s_add_i32 s23, s57, s23
	s_mul_hi_u32 s57, s20, s46
	s_add_i32 s23, s23, s45
	s_mul_i32 s45, s20, s46
	s_mul_i32 s66, s22, s23
	s_mul_hi_u32 s63, s22, s23
	s_add_u32 s47, s47, s66
	s_addc_u32 s63, 0, s63
	s_mul_hi_u32 s46, s20, s23
	s_add_u32 s45, s47, s45
	s_mul_i32 s23, s20, s23
	s_addc_u32 s45, s63, s57
	s_addc_u32 s46, s46, 0
	s_add_u32 s23, s45, s23
	s_addc_u32 s45, 0, s46
	s_add_u32 s22, s22, s23
	s_cselect_b32 s23, -1, 0
	s_mul_hi_u32 s46, s44, s22
	s_cmp_lg_u32 s23, 0
	s_mul_hi_u32 s23, s21, s22
	s_addc_u32 s20, s20, s45
	s_mul_i32 s22, s21, s22
	s_mul_i32 s47, s44, s20
	s_mul_hi_u32 s45, s44, s20
	s_add_u32 s46, s46, s47
	s_addc_u32 s45, 0, s45
	s_mul_hi_u32 s57, s21, s20
	s_add_u32 s22, s46, s22
	s_mul_i32 s20, s21, s20
	s_addc_u32 s22, s45, s23
	s_addc_u32 s23, s57, 0
	s_add_u32 s20, s22, s20
	s_addc_u32 s22, 0, s23
	s_mul_hi_u32 s23, s35, s20
	s_mul_i32 s22, s35, s22
	s_mul_i32 s20, s35, s20
	s_add_i32 s23, s23, s22
	s_sub_u32 s20, s44, s20
	s_cselect_b32 s22, -1, 0
	s_cmp_lg_u32 s22, 0
	s_subb_u32 s22, s21, s23
	s_sub_u32 s23, s20, s35
	s_cselect_b32 s45, -1, 0
	s_cmp_lg_u32 s45, 0
	s_subb_u32 s45, s22, 0
	;; [unrolled: 4-line block ×3, first 2 shown]
	s_cmp_ge_u32 s23, s35
	s_cselect_b32 s57, -1, 0
	s_cmp_eq_u32 s45, 0
	s_cselect_b32 s57, s57, -1
	s_cmp_lg_u32 s57, 0
	s_cselect_b32 s45, s47, s45
	s_cselect_b32 s46, s46, s23
	s_cmp_ge_u32 s20, s35
	s_cselect_b32 s23, -1, 0
	s_cmp_eq_u32 s22, 0
	s_cselect_b32 s23, s23, -1
	s_cmp_lg_u32 s23, 0
	s_cselect_b32 s23, s45, s22
	s_cselect_b32 s22, s46, s20
	s_cbranch_execnz .LBB186_340
.LBB186_339:                            ;   in Loop: Header=BB186_18 Depth=1
	v_cvt_f32_u32_e32 v2, s35
	s_sub_i32 s22, 0, s35
	v_rcp_iflag_f32_e32 v2, v2
	v_mul_f32_e32 v2, 0x4f7ffffe, v2
	v_cvt_u32_f32_e32 v2, v2
	v_readfirstlane_b32 s20, v2
	s_mul_i32 s22, s22, s20
	s_mul_hi_u32 s22, s20, s22
	s_add_i32 s20, s20, s22
	s_mul_hi_u32 s20, s44, s20
	s_mul_i32 s20, s20, s35
	s_sub_i32 s20, s44, s20
	s_sub_i32 s22, s20, s35
	s_cmp_ge_u32 s20, s35
	s_cselect_b32 s20, s22, s20
	s_sub_i32 s22, s20, s35
	s_cmp_ge_u32 s20, s35
	s_cselect_b32 s66, s22, s20
	s_mov_b64 s[22:23], s[66:67]
.LBB186_340:                            ;   in Loop: Header=BB186_18 Depth=1
	s_sub_u32 s20, s44, s22
	s_subb_u32 s21, s21, s23
	s_mov_b32 s23, 0
	s_mov_b32 s22, 0
	s_mov_b32 s44, exec_lo
                                        ; implicit-def: $vgpr6_vgpr7
	v_cmpx_gt_u64_e64 s[20:21], v[0:1]
	s_cbranch_execz .LBB186_352
; %bb.341:                              ;   in Loop: Header=BB186_18 Depth=1
	v_mov_b32_e32 v9, v1
	v_mov_b32_e32 v10, v34
	;; [unrolled: 1-line block ×3, first 2 shown]
                                        ; implicit-def: $sgpr45
	s_branch .LBB186_345
.LBB186_342:                            ;   in Loop: Header=BB186_345 Depth=2
	s_or_b32 exec_lo, exec_lo, s46
	s_waitcnt lgkmcnt(0)
	s_barrier
	buffer_gl0_inv
	ds_read_b128 v[4:7], v19 offset:3072
	s_waitcnt lgkmcnt(0)
	s_barrier
	buffer_gl0_inv
	v_cmp_neq_f64_e32 vcc_lo, 0, v[4:5]
	s_cbranch_vccnz .LBB186_348
; %bb.343:                              ;   in Loop: Header=BB186_345 Depth=2
	v_add_co_u32 v8, vcc_lo, v8, s35
	v_add_co_ci_u32_e64 v9, null, 0, v9, vcc_lo
	v_add_nc_u32_e32 v10, s96, v10
	s_mov_b32 s46, 0
	v_cmp_le_u64_e32 vcc_lo, s[20:21], v[8:9]
	s_orn2_b32 s47, vcc_lo, exec_lo
.LBB186_344:                            ;   in Loop: Header=BB186_345 Depth=2
	s_and_b32 s2, exec_lo, s47
	s_or_b32 s22, s2, s22
	s_andn2_b32 s2, s45, exec_lo
	s_and_b32 s24, s46, exec_lo
	s_or_b32 s45, s2, s24
	s_andn2_b32 exec_lo, exec_lo, s22
	s_cbranch_execz .LBB186_351
.LBB186_345:                            ;   Parent Loop BB186_18 Depth=1
                                        ; =>  This Inner Loop Header: Depth=2
	s_mov_b32 s46, exec_lo
	v_cmpx_gt_u64_e64 s[6:7], v[8:9]
	s_cbranch_execz .LBB186_342
; %bb.346:                              ;   in Loop: Header=BB186_345 Depth=2
	ds_read_b64 v[4:5], v10
	s_waitcnt lgkmcnt(0)
	v_cmp_o_f64_e32 vcc_lo, v[4:5], v[4:5]
	v_ashrrev_i32_e32 v2, 31, v5
	v_or_b32_e32 v6, 0x80000000, v2
	v_xor_b32_e32 v2, v2, v4
	v_xor_b32_e32 v6, v6, v5
	v_cndmask_b32_e32 v6, -1, v6, vcc_lo
	v_cndmask_b32_e32 v2, -1, v2, vcc_lo
	v_and_b32_e32 v7, v6, v25
	v_and_b32_e32 v6, v2, v24
	v_cmp_eq_u64_e32 vcc_lo, v[6:7], v[22:23]
	s_and_b32 exec_lo, exec_lo, vcc_lo
	s_cbranch_execz .LBB186_342
; %bb.347:                              ;   in Loop: Header=BB186_345 Depth=2
	v_mov_b32_e32 v2, v19
	ds_write_b128 v19, v[2:5] offset:3072
	s_branch .LBB186_342
.LBB186_348:                            ;   in Loop: Header=BB186_345 Depth=2
	s_mov_b32 s47, -1
	s_mov_b32 s46, -1
                                        ; implicit-def: $vgpr8_vgpr9
                                        ; implicit-def: $vgpr10
	s_branch .LBB186_344
.LBB186_349:                            ;   in Loop: Header=BB186_18 Depth=1
                                        ; implicit-def: $sgpr72_sgpr73
	s_branch .LBB186_293
.LBB186_350:                            ;   in Loop: Header=BB186_18 Depth=1
                                        ; implicit-def: $sgpr6_sgpr7
	s_branch .LBB186_309
.LBB186_351:                            ;   in Loop: Header=BB186_18 Depth=1
	s_or_b32 exec_lo, exec_lo, s22
	s_and_b32 s22, s45, exec_lo
.LBB186_352:                            ;   in Loop: Header=BB186_18 Depth=1
	s_or_b32 exec_lo, exec_lo, s44
.LBB186_353:                            ;   in Loop: Header=BB186_18 Depth=1
	s_and_b32 vcc_lo, exec_lo, s23
	s_cbranch_vccz .LBB186_368
; %bb.354:                              ;   in Loop: Header=BB186_18 Depth=1
	s_mov_b32 s68, s67
	s_cmp_lg_u64 s[68:69], 0
	s_cbranch_scc0 .LBB186_397
; %bb.355:                              ;   in Loop: Header=BB186_18 Depth=1
	v_cvt_f32_u32_e32 v2, s35
	s_sub_u32 s20, 0, s35
	s_subb_u32 s21, 0, 0
	v_fmac_f32_e64 v2, 0x4f800000, 0
	v_rcp_f32_e32 v2, v2
	v_mul_f32_e32 v2, 0x5f7ffffc, v2
	v_mul_f32_e32 v4, 0x2f800000, v2
	v_trunc_f32_e32 v4, v4
	v_fmac_f32_e32 v2, 0xcf800000, v4
	v_cvt_u32_f32_e32 v4, v4
	v_cvt_u32_f32_e32 v2, v2
	v_readfirstlane_b32 s6, v4
	v_readfirstlane_b32 s7, v2
	s_mul_i32 s23, s20, s6
	s_mul_hi_u32 s45, s20, s7
	s_mul_i32 s44, s21, s7
	s_add_i32 s23, s45, s23
	s_mul_i32 s46, s20, s7
	s_add_i32 s23, s23, s44
	s_mul_hi_u32 s45, s7, s46
	s_mul_i32 s57, s7, s23
	s_mul_hi_u32 s47, s6, s46
	s_mul_i32 s44, s6, s46
	s_mul_hi_u32 s46, s7, s23
	s_add_u32 s45, s45, s57
	s_addc_u32 s46, 0, s46
	s_mul_hi_u32 s63, s6, s23
	s_add_u32 s44, s45, s44
	s_mul_i32 s23, s6, s23
	s_addc_u32 s44, s46, s47
	s_addc_u32 s45, s63, 0
	s_add_u32 s23, s44, s23
	s_addc_u32 s44, 0, s45
	s_add_u32 s7, s7, s23
	s_cselect_b32 s23, -1, 0
	s_mul_hi_u32 s45, s20, s7
	s_cmp_lg_u32 s23, 0
	s_mul_i32 s23, s20, s7
	s_addc_u32 s6, s6, s44
	s_mul_i32 s21, s21, s7
	s_mul_i32 s20, s20, s6
	s_mul_hi_u32 s44, s7, s23
	s_add_i32 s20, s45, s20
	s_mul_hi_u32 s45, s6, s23
	s_add_i32 s20, s20, s21
	s_mul_i32 s21, s6, s23
	s_mul_i32 s47, s7, s20
	s_mul_hi_u32 s46, s7, s20
	s_add_u32 s44, s44, s47
	s_addc_u32 s46, 0, s46
	s_mul_hi_u32 s23, s6, s20
	s_add_u32 s21, s44, s21
	s_mul_i32 s20, s6, s20
	s_addc_u32 s21, s46, s45
	s_addc_u32 s23, s23, 0
	s_add_u32 s20, s21, s20
	s_addc_u32 s21, 0, s23
	s_add_u32 s7, s7, s20
	s_cselect_b32 s20, -1, 0
	s_mul_hi_u32 s23, s92, s7
	s_cmp_lg_u32 s20, 0
	s_mul_hi_u32 s20, s69, s7
	s_addc_u32 s6, s6, s21
	s_mul_i32 s7, s69, s7
	s_mul_i32 s44, s92, s6
	s_mul_hi_u32 s21, s92, s6
	s_add_u32 s23, s23, s44
	s_addc_u32 s21, 0, s21
	s_mul_hi_u32 s45, s69, s6
	s_add_u32 s7, s23, s7
	s_mul_i32 s6, s69, s6
	s_addc_u32 s7, s21, s20
	s_addc_u32 s20, s45, 0
	s_add_u32 s6, s7, s6
	s_addc_u32 s7, 0, s20
	s_mul_hi_u32 s20, s35, s6
	s_mul_i32 s7, s35, s7
	s_mul_i32 s6, s35, s6
	s_add_i32 s20, s20, s7
	s_sub_u32 s6, s92, s6
	s_cselect_b32 s7, -1, 0
	s_cmp_lg_u32 s7, 0
	s_subb_u32 s7, s69, s20
	s_sub_u32 s20, s6, s35
	s_cselect_b32 s21, -1, 0
	s_cmp_lg_u32 s21, 0
	s_subb_u32 s21, s7, 0
	;; [unrolled: 4-line block ×3, first 2 shown]
	s_cmp_ge_u32 s20, s35
	s_cselect_b32 s45, -1, 0
	s_cmp_eq_u32 s21, 0
	s_cselect_b32 s45, s45, -1
	s_cmp_lg_u32 s45, 0
	s_cselect_b32 s21, s44, s21
	s_cselect_b32 s20, s23, s20
	s_cmp_ge_u32 s6, s35
	s_cselect_b32 s23, -1, 0
	s_cmp_eq_u32 s7, 0
	s_cselect_b32 s23, s23, -1
	s_cmp_lg_u32 s23, 0
	s_cselect_b32 s7, s21, s7
	s_cselect_b32 s6, s20, s6
	s_cbranch_execnz .LBB186_357
.LBB186_356:                            ;   in Loop: Header=BB186_18 Depth=1
	v_cvt_f32_u32_e32 v2, s35
	s_sub_i32 s7, 0, s35
	v_rcp_iflag_f32_e32 v2, v2
	v_mul_f32_e32 v2, 0x4f7ffffe, v2
	v_cvt_u32_f32_e32 v2, v2
	v_readfirstlane_b32 s6, v2
	s_mul_i32 s7, s7, s6
	s_mul_hi_u32 s7, s6, s7
	s_add_i32 s6, s6, s7
	s_mul_hi_u32 s6, s92, s6
	s_mul_i32 s6, s6, s35
	s_sub_i32 s6, s92, s6
	s_sub_i32 s7, s6, s35
	s_cmp_ge_u32 s6, s35
	s_cselect_b32 s6, s7, s6
	s_sub_i32 s7, s6, s35
	s_cmp_ge_u32 s6, s35
	s_cselect_b32 s66, s7, s6
	s_mov_b64 s[6:7], s[66:67]
.LBB186_357:                            ;   in Loop: Header=BB186_18 Depth=1
	s_sub_u32 s6, s92, s6
	s_subb_u32 s7, s69, s7
	s_mov_b32 s20, exec_lo
                                        ; implicit-def: $vgpr6_vgpr7
	v_cmpx_gt_u64_e64 s[6:7], v[0:1]
	s_cbranch_execz .LBB186_367
; %bb.358:                              ;   in Loop: Header=BB186_18 Depth=1
	v_mov_b32_e32 v9, v1
	v_mov_b32_e32 v8, v0
	s_mov_b32 s21, 0
                                        ; implicit-def: $sgpr23
	s_branch .LBB186_362
.LBB186_359:                            ;   in Loop: Header=BB186_362 Depth=2
	s_or_b32 exec_lo, exec_lo, s44
	s_waitcnt lgkmcnt(0)
	s_barrier
	buffer_gl0_inv
	ds_read_b128 v[4:7], v19 offset:3072
	s_waitcnt lgkmcnt(0)
	s_barrier
	buffer_gl0_inv
	v_cmp_eq_f64_e32 vcc_lo, 0, v[4:5]
	s_cbranch_vccz .LBB186_365
; %bb.360:                              ;   in Loop: Header=BB186_362 Depth=2
	v_add_co_u32 v8, vcc_lo, v8, s35
	v_add_co_ci_u32_e64 v9, null, 0, v9, vcc_lo
	s_mov_b32 s44, 0
	v_cmp_le_u64_e32 vcc_lo, s[6:7], v[8:9]
	s_orn2_b32 s45, vcc_lo, exec_lo
.LBB186_361:                            ;   in Loop: Header=BB186_362 Depth=2
	s_and_b32 s2, exec_lo, s45
	s_or_b32 s21, s2, s21
	s_andn2_b32 s2, s23, exec_lo
	s_and_b32 s23, s44, exec_lo
	s_or_b32 s23, s2, s23
	s_andn2_b32 exec_lo, exec_lo, s21
	s_cbranch_execz .LBB186_366
.LBB186_362:                            ;   Parent Loop BB186_18 Depth=1
                                        ; =>  This Inner Loop Header: Depth=2
	s_mov_b32 s44, exec_lo
	v_cmpx_gt_u64_e64 s[28:29], v[8:9]
	s_cbranch_execz .LBB186_359
; %bb.363:                              ;   in Loop: Header=BB186_362 Depth=2
	v_mul_lo_u32 v2, v9, s26
	v_mul_lo_u32 v6, v8, s27
	v_mad_u64_u32 v[4:5], null, v8, s26, 0
	v_add3_u32 v5, v5, v6, v2
	v_lshlrev_b64 v[4:5], 3, v[4:5]
	v_add_co_u32 v4, vcc_lo, s25, v4
	v_add_co_ci_u32_e64 v5, null, s33, v5, vcc_lo
	global_load_dwordx2 v[4:5], v[4:5], off
	s_waitcnt vmcnt(0)
	v_cmp_o_f64_e32 vcc_lo, v[4:5], v[4:5]
	v_ashrrev_i32_e32 v2, 31, v5
	v_or_b32_e32 v6, 0x80000000, v2
	v_xor_b32_e32 v2, v2, v4
	v_xor_b32_e32 v6, v6, v5
	v_cndmask_b32_e32 v6, -1, v6, vcc_lo
	v_cndmask_b32_e32 v2, -1, v2, vcc_lo
	v_and_b32_e32 v7, v6, v25
	v_and_b32_e32 v6, v2, v24
	v_cmp_eq_u64_e32 vcc_lo, v[6:7], v[22:23]
	s_and_b32 exec_lo, exec_lo, vcc_lo
	s_cbranch_execz .LBB186_359
; %bb.364:                              ;   in Loop: Header=BB186_362 Depth=2
	v_mov_b32_e32 v2, v19
	ds_write_b128 v19, v[2:5] offset:3072
	s_branch .LBB186_359
.LBB186_365:                            ;   in Loop: Header=BB186_362 Depth=2
	s_mov_b32 s45, -1
	s_mov_b32 s44, -1
                                        ; implicit-def: $vgpr8_vgpr9
	s_branch .LBB186_361
.LBB186_366:                            ;   in Loop: Header=BB186_18 Depth=1
	s_or_b32 exec_lo, exec_lo, s21
	s_andn2_b32 s2, s22, exec_lo
	s_and_b32 s6, s23, exec_lo
	s_or_b32 s22, s2, s6
.LBB186_367:                            ;   in Loop: Header=BB186_18 Depth=1
	s_or_b32 exec_lo, exec_lo, s20
	s_mov_b32 s76, 0
	s_mov_b32 s77, -1
.LBB186_368:                            ;   in Loop: Header=BB186_18 Depth=1
	s_orn2_b32 s6, s22, exec_lo
.LBB186_369:                            ;   in Loop: Header=BB186_18 Depth=1
	s_or_b32 exec_lo, exec_lo, s56
	s_mov_b32 s7, 0
	s_and_saveexec_b32 s22, s6
	s_cbranch_execz .LBB186_482
; %bb.370:                              ;   in Loop: Header=BB186_18 Depth=1
	v_mov_b32_e32 v8, 1
	v_mov_b32_e32 v9, 0
	;; [unrolled: 1-line block ×3, first 2 shown]
	s_xor_b32 s20, s62, -1
	s_and_saveexec_b32 s6, s20
	s_cbranch_execz .LBB186_379
; %bb.371:                              ;   in Loop: Header=BB186_18 Depth=1
	s_mov_b32 s7, exec_lo
	v_cmpx_ge_u64_e64 s[18:19], v[28:29]
	s_xor_b32 s7, exec_lo, s7
	s_cbranch_execz .LBB186_376
; %bb.372:                              ;   in Loop: Header=BB186_18 Depth=1
	ds_read_b64 v[4:5], v19 offset:5120
	v_and_b32_e32 v2, s15, v23
	v_and_b32_e32 v8, s14, v22
	s_lshl_b64 s[20:21], 2, s65
	v_or_b32_e32 v25, s13, v25
	v_or_b32_e32 v24, s12, v24
	v_or_b32_e32 v23, s21, v2
	v_or_b32_e32 v22, s20, v8
	s_waitcnt lgkmcnt(0)
	v_cmp_ne_u64_e32 vcc_lo, 0, v[4:5]
	s_cbranch_vccnz .LBB186_376
; %bb.373:                              ;   in Loop: Header=BB186_18 Depth=1
	s_and_saveexec_b32 s20, s3
; %bb.374:                              ;   in Loop: Header=BB186_18 Depth=1
	v_mov_b32_e32 v4, s18
	v_mov_b32_e32 v5, s19
	ds_write_b64 v19, v[4:5] offset:5128
; %bb.375:                              ;   in Loop: Header=BB186_18 Depth=1
	s_or_b32 exec_lo, exec_lo, s20
	s_waitcnt lgkmcnt(0)
	s_barrier
	buffer_gl0_inv
.LBB186_376:                            ;   in Loop: Header=BB186_18 Depth=1
	s_or_saveexec_b32 s7, s7
	v_mov_b32_e32 v39, 5
	s_mov_b32 s20, 0
	s_xor_b32 exec_lo, exec_lo, s7
; %bb.377:                              ;   in Loop: Header=BB186_18 Depth=1
	v_sub_co_u32 v28, vcc_lo, v28, s18
	v_subrev_co_ci_u32_e64 v29, null, s19, v29, vcc_lo
	v_mov_b32_e32 v39, 0
	s_mov_b32 s20, exec_lo
; %bb.378:                              ;   in Loop: Header=BB186_18 Depth=1
	s_or_b32 exec_lo, exec_lo, s7
	v_mov_b32_e32 v8, v28
	v_mov_b32_e32 v9, v29
	s_and_b32 s7, s20, exec_lo
.LBB186_379:                            ;   in Loop: Header=BB186_18 Depth=1
	s_or_b32 exec_lo, exec_lo, s6
	s_mov_b32 s6, -1
                                        ; implicit-def: $sgpr79
                                        ; implicit-def: $sgpr80
	s_and_saveexec_b32 s23, s7
	s_cbranch_execz .LBB186_481
; %bb.380:                              ;   in Loop: Header=BB186_18 Depth=1
	v_cmp_eq_u64_e32 vcc_lo, 1, v[8:9]
	s_cmp_eq_u64 s[16:17], 1
                                        ; implicit-def: $sgpr80
                                        ; implicit-def: $sgpr79
	s_cselect_b32 s6, -1, 0
	s_and_b32 s62, s6, vcc_lo
	s_mov_b32 s6, -1
	s_and_saveexec_b32 s56, s62
	s_cbranch_execz .LBB186_416
; %bb.381:                              ;   in Loop: Header=BB186_18 Depth=1
	ds_read_b64 v[4:5], v19 offset:5120
	s_waitcnt lgkmcnt(0)
	s_barrier
	buffer_gl0_inv
	v_readfirstlane_b32 s6, v4
	v_readfirstlane_b32 s7, v5
	s_and_saveexec_b32 s18, s8
; %bb.382:                              ;   in Loop: Header=BB186_18 Depth=1
	v_mov_b32_e32 v18, v19
	ds_write_b64 v35, v[18:19]
; %bb.383:                              ;   in Loop: Header=BB186_18 Depth=1
	s_or_b32 exec_lo, exec_lo, s18
	v_and_b32_e32 v2, s15, v23
	v_and_b32_e32 v4, s14, v22
	s_lshl_b64 s[18:19], 1, s65
	v_or_b32_e32 v25, s13, v25
	v_or_b32_e32 v24, s12, v24
	;; [unrolled: 1-line block ×4, first 2 shown]
	s_mov_b32 s79, -1
	s_mov_b32 s80, 0
	s_cmp_eq_u64 s[6:7], 0
	s_mov_b32 s20, 0
	s_mov_b32 s21, -1
	s_waitcnt lgkmcnt(0)
	s_barrier
	buffer_gl0_inv
                                        ; implicit-def: $vgpr6_vgpr7
	s_cbranch_scc1 .LBB186_400
; %bb.384:                              ;   in Loop: Header=BB186_18 Depth=1
	s_add_u32 s44, s6, s90
	s_addc_u32 s19, s7, s91
	s_mov_b32 s18, s67
	s_cmp_lg_u64 s[18:19], 0
	s_cbranch_scc0 .LBB186_433
; %bb.385:                              ;   in Loop: Header=BB186_18 Depth=1
	v_cvt_f32_u32_e32 v2, s35
	s_sub_u32 s21, 0, s35
	s_subb_u32 s45, 0, 0
	v_fmac_f32_e64 v2, 0x4f800000, 0
	v_rcp_f32_e32 v2, v2
	v_mul_f32_e32 v2, 0x5f7ffffc, v2
	v_mul_f32_e32 v4, 0x2f800000, v2
	v_trunc_f32_e32 v4, v4
	v_fmac_f32_e32 v2, 0xcf800000, v4
	v_cvt_u32_f32_e32 v4, v4
	v_cvt_u32_f32_e32 v2, v2
	v_readfirstlane_b32 s18, v4
	v_readfirstlane_b32 s20, v2
	s_mul_i32 s46, s21, s18
	s_mul_hi_u32 s57, s21, s20
	s_mul_i32 s47, s45, s20
	s_add_i32 s46, s57, s46
	s_mul_i32 s63, s21, s20
	s_add_i32 s46, s46, s47
	s_mul_hi_u32 s57, s20, s63
	s_mul_i32 s68, s20, s46
	s_mul_hi_u32 s66, s18, s63
	s_mul_i32 s47, s18, s63
	s_mul_hi_u32 s63, s20, s46
	s_add_u32 s57, s57, s68
	s_addc_u32 s63, 0, s63
	s_mul_hi_u32 s81, s18, s46
	s_add_u32 s47, s57, s47
	s_mul_i32 s46, s18, s46
	s_addc_u32 s47, s63, s66
	s_addc_u32 s57, s81, 0
	s_add_u32 s46, s47, s46
	s_addc_u32 s47, 0, s57
	s_add_u32 s20, s20, s46
	s_cselect_b32 s46, -1, 0
	s_mul_hi_u32 s57, s21, s20
	s_cmp_lg_u32 s46, 0
	s_mul_i32 s46, s21, s20
	s_addc_u32 s18, s18, s47
	s_mul_i32 s45, s45, s20
	s_mul_i32 s21, s21, s18
	s_mul_hi_u32 s47, s20, s46
	s_add_i32 s21, s57, s21
	s_mul_hi_u32 s57, s18, s46
	s_add_i32 s21, s21, s45
	s_mul_i32 s45, s18, s46
	s_mul_i32 s66, s20, s21
	s_mul_hi_u32 s63, s20, s21
	s_add_u32 s47, s47, s66
	s_addc_u32 s63, 0, s63
	s_mul_hi_u32 s46, s18, s21
	s_add_u32 s45, s47, s45
	s_mul_i32 s21, s18, s21
	s_addc_u32 s45, s63, s57
	s_addc_u32 s46, s46, 0
	s_add_u32 s21, s45, s21
	s_addc_u32 s45, 0, s46
	s_add_u32 s20, s20, s21
	s_cselect_b32 s21, -1, 0
	s_mul_hi_u32 s46, s44, s20
	s_cmp_lg_u32 s21, 0
	s_mul_hi_u32 s21, s19, s20
	s_addc_u32 s18, s18, s45
	s_mul_i32 s20, s19, s20
	s_mul_i32 s47, s44, s18
	s_mul_hi_u32 s45, s44, s18
	s_add_u32 s46, s46, s47
	s_addc_u32 s45, 0, s45
	s_mul_hi_u32 s57, s19, s18
	s_add_u32 s20, s46, s20
	s_mul_i32 s18, s19, s18
	s_addc_u32 s20, s45, s21
	s_addc_u32 s21, s57, 0
	s_add_u32 s18, s20, s18
	s_addc_u32 s20, 0, s21
	s_mul_hi_u32 s21, s35, s18
	s_mul_i32 s20, s35, s20
	s_mul_i32 s18, s35, s18
	s_add_i32 s21, s21, s20
	s_sub_u32 s18, s44, s18
	s_cselect_b32 s20, -1, 0
	s_cmp_lg_u32 s20, 0
	s_subb_u32 s20, s19, s21
	s_sub_u32 s21, s18, s35
	s_cselect_b32 s45, -1, 0
	s_cmp_lg_u32 s45, 0
	s_subb_u32 s45, s20, 0
	;; [unrolled: 4-line block ×3, first 2 shown]
	s_cmp_ge_u32 s21, s35
	s_cselect_b32 s57, -1, 0
	s_cmp_eq_u32 s45, 0
	s_cselect_b32 s57, s57, -1
	s_cmp_lg_u32 s57, 0
	s_cselect_b32 s45, s47, s45
	s_cselect_b32 s46, s46, s21
	s_cmp_ge_u32 s18, s35
	s_cselect_b32 s21, -1, 0
	s_cmp_eq_u32 s20, 0
	s_cselect_b32 s21, s21, -1
	s_cmp_lg_u32 s21, 0
	s_cselect_b32 s21, s45, s20
	s_cselect_b32 s20, s46, s18
	s_cbranch_execnz .LBB186_387
.LBB186_386:                            ;   in Loop: Header=BB186_18 Depth=1
	v_cvt_f32_u32_e32 v2, s35
	s_sub_i32 s20, 0, s35
	v_rcp_iflag_f32_e32 v2, v2
	v_mul_f32_e32 v2, 0x4f7ffffe, v2
	v_cvt_u32_f32_e32 v2, v2
	v_readfirstlane_b32 s18, v2
	s_mul_i32 s20, s20, s18
	s_mul_hi_u32 s20, s18, s20
	s_add_i32 s18, s18, s20
	s_mul_hi_u32 s18, s44, s18
	s_mul_i32 s18, s18, s35
	s_sub_i32 s18, s44, s18
	s_sub_i32 s20, s18, s35
	s_cmp_ge_u32 s18, s35
	s_cselect_b32 s18, s20, s18
	s_sub_i32 s20, s18, s35
	s_cmp_ge_u32 s18, s35
	s_cselect_b32 s66, s20, s18
	s_mov_b64 s[20:21], s[66:67]
.LBB186_387:                            ;   in Loop: Header=BB186_18 Depth=1
	s_sub_u32 s18, s44, s20
	s_subb_u32 s19, s19, s21
	s_mov_b32 s21, 0
	s_mov_b32 s20, 0
	s_mov_b32 s44, exec_lo
                                        ; implicit-def: $vgpr6_vgpr7
	v_cmpx_gt_u64_e64 s[18:19], v[0:1]
	s_cbranch_execz .LBB186_399
; %bb.388:                              ;   in Loop: Header=BB186_18 Depth=1
	v_mov_b32_e32 v11, v1
	v_mov_b32_e32 v12, v34
	;; [unrolled: 1-line block ×3, first 2 shown]
                                        ; implicit-def: $sgpr45
	s_branch .LBB186_392
.LBB186_389:                            ;   in Loop: Header=BB186_392 Depth=2
	s_or_b32 exec_lo, exec_lo, s46
	s_waitcnt lgkmcnt(0)
	s_barrier
	buffer_gl0_inv
	ds_read_b128 v[4:7], v19 offset:3072
	s_waitcnt lgkmcnt(0)
	s_barrier
	buffer_gl0_inv
	v_cmp_neq_f64_e32 vcc_lo, 0, v[4:5]
	s_cbranch_vccnz .LBB186_395
; %bb.390:                              ;   in Loop: Header=BB186_392 Depth=2
	v_add_co_u32 v10, vcc_lo, v10, s35
	v_add_co_ci_u32_e64 v11, null, 0, v11, vcc_lo
	v_add_nc_u32_e32 v12, s96, v12
	s_mov_b32 s46, 0
	v_cmp_le_u64_e32 vcc_lo, s[18:19], v[10:11]
	s_orn2_b32 s47, vcc_lo, exec_lo
.LBB186_391:                            ;   in Loop: Header=BB186_392 Depth=2
	s_and_b32 s2, exec_lo, s47
	s_or_b32 s20, s2, s20
	s_andn2_b32 s2, s45, exec_lo
	s_and_b32 s24, s46, exec_lo
	s_or_b32 s45, s2, s24
	s_andn2_b32 exec_lo, exec_lo, s20
	s_cbranch_execz .LBB186_398
.LBB186_392:                            ;   Parent Loop BB186_18 Depth=1
                                        ; =>  This Inner Loop Header: Depth=2
	s_mov_b32 s46, exec_lo
	v_cmpx_gt_u64_e64 s[6:7], v[10:11]
	s_cbranch_execz .LBB186_389
; %bb.393:                              ;   in Loop: Header=BB186_392 Depth=2
	ds_read_b64 v[4:5], v12
	s_waitcnt lgkmcnt(0)
	v_cmp_o_f64_e32 vcc_lo, v[4:5], v[4:5]
	v_ashrrev_i32_e32 v2, 31, v5
	v_or_b32_e32 v6, 0x80000000, v2
	v_xor_b32_e32 v2, v2, v4
	v_xor_b32_e32 v6, v6, v5
	v_cndmask_b32_e32 v6, -1, v6, vcc_lo
	v_cndmask_b32_e32 v2, -1, v2, vcc_lo
	v_and_b32_e32 v7, v6, v25
	v_and_b32_e32 v6, v2, v24
	v_cmp_eq_u64_e32 vcc_lo, v[6:7], v[22:23]
	s_and_b32 exec_lo, exec_lo, vcc_lo
	s_cbranch_execz .LBB186_389
; %bb.394:                              ;   in Loop: Header=BB186_392 Depth=2
	v_mov_b32_e32 v2, v19
	ds_write_b128 v19, v[2:5] offset:3072
	s_branch .LBB186_389
.LBB186_395:                            ;   in Loop: Header=BB186_392 Depth=2
	s_mov_b32 s47, -1
	s_mov_b32 s46, -1
                                        ; implicit-def: $vgpr10_vgpr11
                                        ; implicit-def: $vgpr12
	s_branch .LBB186_391
.LBB186_396:                            ;   in Loop: Header=BB186_18 Depth=1
                                        ; implicit-def: $sgpr22_sgpr23
	s_branch .LBB186_339
.LBB186_397:                            ;   in Loop: Header=BB186_18 Depth=1
                                        ; implicit-def: $sgpr6_sgpr7
	s_branch .LBB186_356
.LBB186_398:                            ;   in Loop: Header=BB186_18 Depth=1
	s_or_b32 exec_lo, exec_lo, s20
	s_and_b32 s20, s45, exec_lo
.LBB186_399:                            ;   in Loop: Header=BB186_18 Depth=1
	s_or_b32 exec_lo, exec_lo, s44
.LBB186_400:                            ;   in Loop: Header=BB186_18 Depth=1
	s_and_b32 vcc_lo, exec_lo, s21
	s_cbranch_vccz .LBB186_415
; %bb.401:                              ;   in Loop: Header=BB186_18 Depth=1
	s_mov_b32 s68, s67
	s_cmp_lg_u64 s[68:69], 0
	s_cbranch_scc0 .LBB186_434
; %bb.402:                              ;   in Loop: Header=BB186_18 Depth=1
	v_cvt_f32_u32_e32 v2, s35
	s_sub_u32 s18, 0, s35
	s_subb_u32 s19, 0, 0
	v_fmac_f32_e64 v2, 0x4f800000, 0
	v_rcp_f32_e32 v2, v2
	v_mul_f32_e32 v2, 0x5f7ffffc, v2
	v_mul_f32_e32 v4, 0x2f800000, v2
	v_trunc_f32_e32 v4, v4
	v_fmac_f32_e32 v2, 0xcf800000, v4
	v_cvt_u32_f32_e32 v4, v4
	v_cvt_u32_f32_e32 v2, v2
	v_readfirstlane_b32 s6, v4
	v_readfirstlane_b32 s7, v2
	s_mul_i32 s21, s18, s6
	s_mul_hi_u32 s45, s18, s7
	s_mul_i32 s44, s19, s7
	s_add_i32 s21, s45, s21
	s_mul_i32 s46, s18, s7
	s_add_i32 s21, s21, s44
	s_mul_hi_u32 s45, s7, s46
	s_mul_i32 s57, s7, s21
	s_mul_hi_u32 s47, s6, s46
	s_mul_i32 s44, s6, s46
	s_mul_hi_u32 s46, s7, s21
	s_add_u32 s45, s45, s57
	s_addc_u32 s46, 0, s46
	s_mul_hi_u32 s63, s6, s21
	s_add_u32 s44, s45, s44
	s_mul_i32 s21, s6, s21
	s_addc_u32 s44, s46, s47
	s_addc_u32 s45, s63, 0
	s_add_u32 s21, s44, s21
	s_addc_u32 s44, 0, s45
	s_add_u32 s7, s7, s21
	s_cselect_b32 s21, -1, 0
	s_mul_hi_u32 s45, s18, s7
	s_cmp_lg_u32 s21, 0
	s_mul_i32 s21, s18, s7
	s_addc_u32 s6, s6, s44
	s_mul_i32 s19, s19, s7
	s_mul_i32 s18, s18, s6
	s_mul_hi_u32 s44, s7, s21
	s_add_i32 s18, s45, s18
	s_mul_hi_u32 s45, s6, s21
	s_add_i32 s18, s18, s19
	s_mul_i32 s19, s6, s21
	s_mul_i32 s47, s7, s18
	s_mul_hi_u32 s46, s7, s18
	s_add_u32 s44, s44, s47
	s_addc_u32 s46, 0, s46
	s_mul_hi_u32 s21, s6, s18
	s_add_u32 s19, s44, s19
	s_mul_i32 s18, s6, s18
	s_addc_u32 s19, s46, s45
	s_addc_u32 s21, s21, 0
	s_add_u32 s18, s19, s18
	s_addc_u32 s19, 0, s21
	s_add_u32 s7, s7, s18
	s_cselect_b32 s18, -1, 0
	s_mul_hi_u32 s21, s92, s7
	s_cmp_lg_u32 s18, 0
	s_mul_hi_u32 s18, s69, s7
	s_addc_u32 s6, s6, s19
	s_mul_i32 s7, s69, s7
	s_mul_i32 s44, s92, s6
	s_mul_hi_u32 s19, s92, s6
	s_add_u32 s21, s21, s44
	s_addc_u32 s19, 0, s19
	s_mul_hi_u32 s45, s69, s6
	s_add_u32 s7, s21, s7
	s_mul_i32 s6, s69, s6
	s_addc_u32 s7, s19, s18
	s_addc_u32 s18, s45, 0
	s_add_u32 s6, s7, s6
	s_addc_u32 s7, 0, s18
	s_mul_hi_u32 s18, s35, s6
	s_mul_i32 s7, s35, s7
	s_mul_i32 s6, s35, s6
	s_add_i32 s18, s18, s7
	s_sub_u32 s6, s92, s6
	s_cselect_b32 s7, -1, 0
	s_cmp_lg_u32 s7, 0
	s_subb_u32 s7, s69, s18
	s_sub_u32 s18, s6, s35
	s_cselect_b32 s19, -1, 0
	s_cmp_lg_u32 s19, 0
	s_subb_u32 s19, s7, 0
	;; [unrolled: 4-line block ×3, first 2 shown]
	s_cmp_ge_u32 s18, s35
	s_cselect_b32 s45, -1, 0
	s_cmp_eq_u32 s19, 0
	s_cselect_b32 s45, s45, -1
	s_cmp_lg_u32 s45, 0
	s_cselect_b32 s19, s44, s19
	s_cselect_b32 s18, s21, s18
	s_cmp_ge_u32 s6, s35
	s_cselect_b32 s21, -1, 0
	s_cmp_eq_u32 s7, 0
	s_cselect_b32 s21, s21, -1
	s_cmp_lg_u32 s21, 0
	s_cselect_b32 s7, s19, s7
	s_cselect_b32 s6, s18, s6
	s_cbranch_execnz .LBB186_404
.LBB186_403:                            ;   in Loop: Header=BB186_18 Depth=1
	v_cvt_f32_u32_e32 v2, s35
	s_sub_i32 s7, 0, s35
	v_rcp_iflag_f32_e32 v2, v2
	v_mul_f32_e32 v2, 0x4f7ffffe, v2
	v_cvt_u32_f32_e32 v2, v2
	v_readfirstlane_b32 s6, v2
	s_mul_i32 s7, s7, s6
	s_mul_hi_u32 s7, s6, s7
	s_add_i32 s6, s6, s7
	s_mul_hi_u32 s6, s92, s6
	s_mul_i32 s6, s6, s35
	s_sub_i32 s6, s92, s6
	s_sub_i32 s7, s6, s35
	s_cmp_ge_u32 s6, s35
	s_cselect_b32 s6, s7, s6
	s_sub_i32 s7, s6, s35
	s_cmp_ge_u32 s6, s35
	s_cselect_b32 s66, s7, s6
	s_mov_b64 s[6:7], s[66:67]
.LBB186_404:                            ;   in Loop: Header=BB186_18 Depth=1
	s_sub_u32 s6, s92, s6
	s_subb_u32 s7, s69, s7
	s_mov_b32 s18, exec_lo
                                        ; implicit-def: $vgpr6_vgpr7
	v_cmpx_gt_u64_e64 s[6:7], v[0:1]
	s_cbranch_execz .LBB186_414
; %bb.405:                              ;   in Loop: Header=BB186_18 Depth=1
	v_mov_b32_e32 v11, v1
	v_mov_b32_e32 v10, v0
	s_mov_b32 s19, 0
                                        ; implicit-def: $sgpr21
	s_branch .LBB186_409
.LBB186_406:                            ;   in Loop: Header=BB186_409 Depth=2
	s_or_b32 exec_lo, exec_lo, s44
	s_waitcnt lgkmcnt(0)
	s_barrier
	buffer_gl0_inv
	ds_read_b128 v[4:7], v19 offset:3072
	s_waitcnt lgkmcnt(0)
	s_barrier
	buffer_gl0_inv
	v_cmp_eq_f64_e32 vcc_lo, 0, v[4:5]
	s_cbranch_vccz .LBB186_412
; %bb.407:                              ;   in Loop: Header=BB186_409 Depth=2
	v_add_co_u32 v10, vcc_lo, v10, s35
	v_add_co_ci_u32_e64 v11, null, 0, v11, vcc_lo
	s_mov_b32 s44, 0
	v_cmp_le_u64_e32 vcc_lo, s[6:7], v[10:11]
	s_orn2_b32 s45, vcc_lo, exec_lo
.LBB186_408:                            ;   in Loop: Header=BB186_409 Depth=2
	s_and_b32 s2, exec_lo, s45
	s_or_b32 s19, s2, s19
	s_andn2_b32 s2, s21, exec_lo
	s_and_b32 s21, s44, exec_lo
	s_or_b32 s21, s2, s21
	s_andn2_b32 exec_lo, exec_lo, s19
	s_cbranch_execz .LBB186_413
.LBB186_409:                            ;   Parent Loop BB186_18 Depth=1
                                        ; =>  This Inner Loop Header: Depth=2
	s_mov_b32 s44, exec_lo
	v_cmpx_gt_u64_e64 s[28:29], v[10:11]
	s_cbranch_execz .LBB186_406
; %bb.410:                              ;   in Loop: Header=BB186_409 Depth=2
	v_mul_lo_u32 v2, v11, s26
	v_mul_lo_u32 v6, v10, s27
	v_mad_u64_u32 v[4:5], null, v10, s26, 0
	v_add3_u32 v5, v5, v6, v2
	v_lshlrev_b64 v[4:5], 3, v[4:5]
	v_add_co_u32 v4, vcc_lo, s25, v4
	v_add_co_ci_u32_e64 v5, null, s33, v5, vcc_lo
	global_load_dwordx2 v[4:5], v[4:5], off
	s_waitcnt vmcnt(0)
	v_cmp_o_f64_e32 vcc_lo, v[4:5], v[4:5]
	v_ashrrev_i32_e32 v2, 31, v5
	v_or_b32_e32 v6, 0x80000000, v2
	v_xor_b32_e32 v2, v2, v4
	v_xor_b32_e32 v6, v6, v5
	v_cndmask_b32_e32 v6, -1, v6, vcc_lo
	v_cndmask_b32_e32 v2, -1, v2, vcc_lo
	v_and_b32_e32 v7, v6, v25
	v_and_b32_e32 v6, v2, v24
	v_cmp_eq_u64_e32 vcc_lo, v[6:7], v[22:23]
	s_and_b32 exec_lo, exec_lo, vcc_lo
	s_cbranch_execz .LBB186_406
; %bb.411:                              ;   in Loop: Header=BB186_409 Depth=2
	v_mov_b32_e32 v2, v19
	ds_write_b128 v19, v[2:5] offset:3072
	s_branch .LBB186_406
.LBB186_412:                            ;   in Loop: Header=BB186_409 Depth=2
	s_mov_b32 s45, -1
	s_mov_b32 s44, -1
                                        ; implicit-def: $vgpr10_vgpr11
	s_branch .LBB186_408
.LBB186_413:                            ;   in Loop: Header=BB186_18 Depth=1
	s_or_b32 exec_lo, exec_lo, s19
	s_andn2_b32 s2, s20, exec_lo
	s_and_b32 s6, s21, exec_lo
	s_or_b32 s20, s2, s6
.LBB186_414:                            ;   in Loop: Header=BB186_18 Depth=1
	s_or_b32 exec_lo, exec_lo, s18
	s_mov_b32 s79, 0
	s_mov_b32 s80, -1
.LBB186_415:                            ;   in Loop: Header=BB186_18 Depth=1
	s_orn2_b32 s6, s20, exec_lo
.LBB186_416:                            ;   in Loop: Header=BB186_18 Depth=1
	s_or_b32 exec_lo, exec_lo, s56
	s_mov_b32 s7, 0
	s_and_saveexec_b32 s20, s6
	s_cbranch_execz .LBB186_480
; %bb.417:                              ;   in Loop: Header=BB186_18 Depth=1
	v_mov_b32_e32 v10, 1
	v_mov_b32_e32 v11, 0
	;; [unrolled: 1-line block ×3, first 2 shown]
	s_xor_b32 s18, s62, -1
	s_and_saveexec_b32 s6, s18
	s_cbranch_execz .LBB186_426
; %bb.418:                              ;   in Loop: Header=BB186_18 Depth=1
	s_mov_b32 s7, exec_lo
	v_cmpx_ge_u64_e64 s[16:17], v[8:9]
	s_xor_b32 s7, exec_lo, s7
	s_cbranch_execz .LBB186_423
; %bb.419:                              ;   in Loop: Header=BB186_18 Depth=1
	ds_read_b64 v[4:5], v19 offset:5120
	v_and_b32_e32 v2, s15, v23
	v_and_b32_e32 v10, s14, v22
	s_lshl_b64 s[18:19], 1, s65
	v_or_b32_e32 v25, s13, v25
	v_or_b32_e32 v24, s12, v24
	;; [unrolled: 1-line block ×4, first 2 shown]
	s_waitcnt lgkmcnt(0)
	v_cmp_ne_u64_e32 vcc_lo, 0, v[4:5]
	s_cbranch_vccnz .LBB186_423
; %bb.420:                              ;   in Loop: Header=BB186_18 Depth=1
	s_and_saveexec_b32 s18, s3
; %bb.421:                              ;   in Loop: Header=BB186_18 Depth=1
	v_mov_b32_e32 v4, s16
	v_mov_b32_e32 v5, s17
	ds_write_b64 v19, v[4:5] offset:5128
; %bb.422:                              ;   in Loop: Header=BB186_18 Depth=1
	s_or_b32 exec_lo, exec_lo, s18
	s_waitcnt lgkmcnt(0)
	s_barrier
	buffer_gl0_inv
.LBB186_423:                            ;   in Loop: Header=BB186_18 Depth=1
	s_or_saveexec_b32 s7, s7
	v_mov_b32_e32 v39, 5
	s_mov_b32 s18, 0
	s_xor_b32 exec_lo, exec_lo, s7
; %bb.424:                              ;   in Loop: Header=BB186_18 Depth=1
	v_sub_co_u32 v8, vcc_lo, v8, s16
	v_subrev_co_ci_u32_e64 v9, null, s17, v9, vcc_lo
	v_mov_b32_e32 v39, 0
	s_mov_b32 s18, exec_lo
; %bb.425:                              ;   in Loop: Header=BB186_18 Depth=1
	s_or_b32 exec_lo, exec_lo, s7
	v_mov_b32_e32 v11, v9
	v_mov_b32_e32 v10, v8
	s_and_b32 s7, s18, exec_lo
.LBB186_426:                            ;   in Loop: Header=BB186_18 Depth=1
	s_or_b32 exec_lo, exec_lo, s6
	s_mov_b32 s6, -1
                                        ; implicit-def: $sgpr63
                                        ; implicit-def: $sgpr62
	s_and_saveexec_b32 s21, s7
	s_cbranch_execz .LBB186_479
; %bb.427:                              ;   in Loop: Header=BB186_18 Depth=1
	v_cmp_eq_u64_e32 vcc_lo, 1, v[10:11]
	s_cmp_eq_u64 s[10:11], 1
	s_mov_b32 s7, -1
	s_cselect_b32 s6, -1, 0
                                        ; implicit-def: $sgpr63
                                        ; implicit-def: $sgpr62
	s_and_b32 s56, s6, vcc_lo
	s_and_saveexec_b32 s57, s56
	s_cbranch_execz .LBB186_467
; %bb.428:                              ;   in Loop: Header=BB186_18 Depth=1
	ds_read_b64 v[4:5], v19 offset:5120
	s_waitcnt lgkmcnt(0)
	s_barrier
	buffer_gl0_inv
	v_readfirstlane_b32 s6, v4
	v_readfirstlane_b32 s7, v5
	s_and_saveexec_b32 s16, s8
; %bb.429:                              ;   in Loop: Header=BB186_18 Depth=1
	v_mov_b32_e32 v18, v19
	ds_write_b64 v35, v[18:19]
; %bb.430:                              ;   in Loop: Header=BB186_18 Depth=1
	s_or_b32 exec_lo, exec_lo, s16
	v_and_b32_e32 v23, s15, v23
	v_and_b32_e32 v22, s14, v22
	v_or_b32_e32 v25, s13, v25
	v_or_b32_e32 v24, s12, v24
	s_mov_b32 s62, -1
	s_mov_b32 s63, 0
	s_cmp_eq_u64 s[6:7], 0
	s_mov_b32 s18, 0
	s_mov_b32 s19, -1
	s_waitcnt lgkmcnt(0)
	s_barrier
	buffer_gl0_inv
                                        ; implicit-def: $vgpr6_vgpr7
	s_cbranch_scc1 .LBB186_449
; %bb.431:                              ;   in Loop: Header=BB186_18 Depth=1
	s_add_u32 s44, s6, s90
	s_addc_u32 s17, s7, s91
	s_mov_b32 s16, s67
	s_cmp_lg_u64 s[16:17], 0
	s_cbranch_scc0 .LBB186_435
; %bb.432:                              ;   in Loop: Header=BB186_18 Depth=1
	v_cvt_f32_u32_e32 v2, s35
	s_sub_u32 s19, 0, s35
	s_subb_u32 s45, 0, 0
	v_fmac_f32_e64 v2, 0x4f800000, 0
	v_rcp_f32_e32 v2, v2
	v_mul_f32_e32 v2, 0x5f7ffffc, v2
	v_mul_f32_e32 v4, 0x2f800000, v2
	v_trunc_f32_e32 v4, v4
	v_fmac_f32_e32 v2, 0xcf800000, v4
	v_cvt_u32_f32_e32 v4, v4
	v_cvt_u32_f32_e32 v2, v2
	v_readfirstlane_b32 s16, v4
	v_readfirstlane_b32 s18, v2
	s_mul_i32 s46, s19, s16
	s_mul_hi_u32 s66, s19, s18
	s_mul_i32 s47, s45, s18
	s_add_i32 s46, s66, s46
	s_mul_i32 s68, s19, s18
	s_add_i32 s46, s46, s47
	s_mul_hi_u32 s66, s18, s68
	s_mul_i32 s82, s18, s46
	s_mul_hi_u32 s81, s16, s68
	s_mul_i32 s47, s16, s68
	s_mul_hi_u32 s68, s18, s46
	s_add_u32 s66, s66, s82
	s_addc_u32 s68, 0, s68
	s_mul_hi_u32 s83, s16, s46
	s_add_u32 s47, s66, s47
	s_mul_i32 s46, s16, s46
	s_addc_u32 s47, s68, s81
	s_addc_u32 s66, s83, 0
	s_add_u32 s46, s47, s46
	s_addc_u32 s47, 0, s66
	s_add_u32 s18, s18, s46
	s_cselect_b32 s46, -1, 0
	s_mul_hi_u32 s66, s19, s18
	s_cmp_lg_u32 s46, 0
	s_mul_i32 s46, s19, s18
	s_addc_u32 s16, s16, s47
	s_mul_i32 s45, s45, s18
	s_mul_i32 s19, s19, s16
	s_mul_hi_u32 s47, s18, s46
	s_add_i32 s19, s66, s19
	s_mul_hi_u32 s66, s16, s46
	s_add_i32 s19, s19, s45
	s_mul_i32 s45, s16, s46
	s_mul_i32 s81, s18, s19
	s_mul_hi_u32 s68, s18, s19
	s_add_u32 s47, s47, s81
	s_addc_u32 s68, 0, s68
	s_mul_hi_u32 s46, s16, s19
	s_add_u32 s45, s47, s45
	s_mul_i32 s19, s16, s19
	s_addc_u32 s45, s68, s66
	s_addc_u32 s46, s46, 0
	s_add_u32 s19, s45, s19
	s_addc_u32 s45, 0, s46
	s_add_u32 s18, s18, s19
	s_cselect_b32 s19, -1, 0
	s_mul_hi_u32 s46, s44, s18
	s_cmp_lg_u32 s19, 0
	s_mul_hi_u32 s19, s17, s18
	s_addc_u32 s16, s16, s45
	s_mul_i32 s18, s17, s18
	s_mul_i32 s47, s44, s16
	s_mul_hi_u32 s45, s44, s16
	s_add_u32 s46, s46, s47
	s_addc_u32 s45, 0, s45
	s_mul_hi_u32 s66, s17, s16
	s_add_u32 s18, s46, s18
	s_mul_i32 s16, s17, s16
	s_addc_u32 s18, s45, s19
	s_addc_u32 s19, s66, 0
	s_add_u32 s16, s18, s16
	s_addc_u32 s18, 0, s19
	s_mul_hi_u32 s19, s35, s16
	s_mul_i32 s18, s35, s18
	s_mul_i32 s16, s35, s16
	s_add_i32 s19, s19, s18
	s_sub_u32 s16, s44, s16
	s_cselect_b32 s18, -1, 0
	s_cmp_lg_u32 s18, 0
	s_subb_u32 s18, s17, s19
	s_sub_u32 s19, s16, s35
	s_cselect_b32 s45, -1, 0
	s_cmp_lg_u32 s45, 0
	s_subb_u32 s45, s18, 0
	;; [unrolled: 4-line block ×3, first 2 shown]
	s_cmp_ge_u32 s19, s35
	s_cselect_b32 s66, -1, 0
	s_cmp_eq_u32 s45, 0
	s_cselect_b32 s66, s66, -1
	s_cmp_lg_u32 s66, 0
	s_cselect_b32 s45, s47, s45
	s_cselect_b32 s46, s46, s19
	s_cmp_ge_u32 s16, s35
	s_cselect_b32 s19, -1, 0
	s_cmp_eq_u32 s18, 0
	s_cselect_b32 s19, s19, -1
	s_cmp_lg_u32 s19, 0
	s_cselect_b32 s19, s45, s18
	s_cselect_b32 s18, s46, s16
	s_mov_b32 s16, 0
	s_branch .LBB186_436
.LBB186_433:                            ;   in Loop: Header=BB186_18 Depth=1
                                        ; implicit-def: $sgpr20_sgpr21
	s_branch .LBB186_386
.LBB186_434:                            ;   in Loop: Header=BB186_18 Depth=1
                                        ; implicit-def: $sgpr6_sgpr7
	s_branch .LBB186_403
.LBB186_435:                            ;   in Loop: Header=BB186_18 Depth=1
	s_mov_b32 s16, -1
                                        ; implicit-def: $sgpr18_sgpr19
.LBB186_436:                            ;   in Loop: Header=BB186_18 Depth=1
	s_andn2_b32 vcc_lo, exec_lo, s16
	s_cbranch_vccnz .LBB186_438
; %bb.437:                              ;   in Loop: Header=BB186_18 Depth=1
	v_cvt_f32_u32_e32 v2, s35
	s_sub_i32 s18, 0, s35
	v_rcp_iflag_f32_e32 v2, v2
	v_mul_f32_e32 v2, 0x4f7ffffe, v2
	v_cvt_u32_f32_e32 v2, v2
	v_readfirstlane_b32 s16, v2
	s_mul_i32 s18, s18, s16
	s_mul_hi_u32 s18, s16, s18
	s_add_i32 s16, s16, s18
	s_mul_hi_u32 s16, s44, s16
	s_mul_i32 s16, s16, s35
	s_sub_i32 s16, s44, s16
	s_sub_i32 s18, s16, s35
	s_cmp_ge_u32 s16, s35
	s_cselect_b32 s16, s18, s16
	s_sub_i32 s18, s16, s35
	s_cmp_ge_u32 s16, s35
	s_cselect_b32 s66, s18, s16
	s_mov_b64 s[18:19], s[66:67]
.LBB186_438:                            ;   in Loop: Header=BB186_18 Depth=1
	s_sub_u32 s16, s44, s18
	s_subb_u32 s17, s17, s19
	s_mov_b32 s19, 0
	s_mov_b32 s18, 0
	s_mov_b32 s44, exec_lo
                                        ; implicit-def: $vgpr6_vgpr7
	v_cmpx_gt_u64_e64 s[16:17], v[0:1]
	s_cbranch_execz .LBB186_448
; %bb.439:                              ;   in Loop: Header=BB186_18 Depth=1
	v_mov_b32_e32 v9, v1
	v_mov_b32_e32 v12, v34
	v_mov_b32_e32 v8, v0
                                        ; implicit-def: $sgpr45
	s_branch .LBB186_443
.LBB186_440:                            ;   in Loop: Header=BB186_443 Depth=2
	s_or_b32 exec_lo, exec_lo, s46
	s_waitcnt lgkmcnt(0)
	s_barrier
	buffer_gl0_inv
	ds_read_b128 v[4:7], v19 offset:3072
	s_waitcnt lgkmcnt(0)
	s_barrier
	buffer_gl0_inv
	v_cmp_neq_f64_e32 vcc_lo, 0, v[4:5]
	s_cbranch_vccnz .LBB186_446
; %bb.441:                              ;   in Loop: Header=BB186_443 Depth=2
	v_add_co_u32 v8, vcc_lo, v8, s35
	v_add_co_ci_u32_e64 v9, null, 0, v9, vcc_lo
	v_add_nc_u32_e32 v12, s96, v12
	s_mov_b32 s46, 0
	v_cmp_le_u64_e32 vcc_lo, s[16:17], v[8:9]
	s_orn2_b32 s47, vcc_lo, exec_lo
.LBB186_442:                            ;   in Loop: Header=BB186_443 Depth=2
	s_and_b32 s2, exec_lo, s47
	s_or_b32 s18, s2, s18
	s_andn2_b32 s2, s45, exec_lo
	s_and_b32 s24, s46, exec_lo
	s_or_b32 s45, s2, s24
	s_andn2_b32 exec_lo, exec_lo, s18
	s_cbranch_execz .LBB186_447
.LBB186_443:                            ;   Parent Loop BB186_18 Depth=1
                                        ; =>  This Inner Loop Header: Depth=2
	s_mov_b32 s46, exec_lo
	v_cmpx_gt_u64_e64 s[6:7], v[8:9]
	s_cbranch_execz .LBB186_440
; %bb.444:                              ;   in Loop: Header=BB186_443 Depth=2
	ds_read_b64 v[4:5], v12
	s_waitcnt lgkmcnt(0)
	v_cmp_o_f64_e32 vcc_lo, v[4:5], v[4:5]
	v_ashrrev_i32_e32 v2, 31, v5
	v_or_b32_e32 v6, 0x80000000, v2
	v_xor_b32_e32 v2, v2, v4
	v_xor_b32_e32 v6, v6, v5
	v_cndmask_b32_e32 v6, -1, v6, vcc_lo
	v_cndmask_b32_e32 v2, -1, v2, vcc_lo
	v_and_b32_e32 v7, v6, v25
	v_and_b32_e32 v6, v2, v24
	v_cmp_eq_u64_e32 vcc_lo, v[6:7], v[22:23]
	s_and_b32 exec_lo, exec_lo, vcc_lo
	s_cbranch_execz .LBB186_440
; %bb.445:                              ;   in Loop: Header=BB186_443 Depth=2
	v_mov_b32_e32 v2, v19
	ds_write_b128 v19, v[2:5] offset:3072
	s_branch .LBB186_440
.LBB186_446:                            ;   in Loop: Header=BB186_443 Depth=2
	s_mov_b32 s47, -1
	s_mov_b32 s46, -1
                                        ; implicit-def: $vgpr8_vgpr9
                                        ; implicit-def: $vgpr12
	s_branch .LBB186_442
.LBB186_447:                            ;   in Loop: Header=BB186_18 Depth=1
	s_or_b32 exec_lo, exec_lo, s18
	s_and_b32 s18, s45, exec_lo
.LBB186_448:                            ;   in Loop: Header=BB186_18 Depth=1
	s_or_b32 exec_lo, exec_lo, s44
.LBB186_449:                            ;   in Loop: Header=BB186_18 Depth=1
	s_and_b32 vcc_lo, exec_lo, s19
	s_cbranch_vccz .LBB186_466
; %bb.450:                              ;   in Loop: Header=BB186_18 Depth=1
	s_mov_b32 s68, s67
	s_cmp_lg_u64 s[68:69], 0
	s_cbranch_scc0 .LBB186_452
; %bb.451:                              ;   in Loop: Header=BB186_18 Depth=1
	v_cvt_f32_u32_e32 v2, s35
	s_sub_u32 s16, 0, s35
	s_subb_u32 s17, 0, 0
	v_fmac_f32_e64 v2, 0x4f800000, 0
	v_rcp_f32_e32 v2, v2
	v_mul_f32_e32 v2, 0x5f7ffffc, v2
	v_mul_f32_e32 v4, 0x2f800000, v2
	v_trunc_f32_e32 v4, v4
	v_fmac_f32_e32 v2, 0xcf800000, v4
	v_cvt_u32_f32_e32 v4, v4
	v_cvt_u32_f32_e32 v2, v2
	v_readfirstlane_b32 s6, v4
	v_readfirstlane_b32 s7, v2
	s_mul_i32 s19, s16, s6
	s_mul_hi_u32 s45, s16, s7
	s_mul_i32 s44, s17, s7
	s_add_i32 s19, s45, s19
	s_mul_i32 s46, s16, s7
	s_add_i32 s19, s19, s44
	s_mul_hi_u32 s45, s7, s46
	s_mul_i32 s62, s7, s19
	s_mul_hi_u32 s47, s6, s46
	s_mul_i32 s44, s6, s46
	s_mul_hi_u32 s46, s7, s19
	s_add_u32 s45, s45, s62
	s_addc_u32 s46, 0, s46
	s_mul_hi_u32 s63, s6, s19
	s_add_u32 s44, s45, s44
	s_mul_i32 s19, s6, s19
	s_addc_u32 s44, s46, s47
	s_addc_u32 s45, s63, 0
	s_add_u32 s19, s44, s19
	s_addc_u32 s44, 0, s45
	s_add_u32 s7, s7, s19
	s_cselect_b32 s19, -1, 0
	s_mul_hi_u32 s45, s16, s7
	s_cmp_lg_u32 s19, 0
	s_mul_i32 s19, s16, s7
	s_addc_u32 s6, s6, s44
	s_mul_i32 s17, s17, s7
	s_mul_i32 s16, s16, s6
	s_mul_hi_u32 s44, s7, s19
	s_add_i32 s16, s45, s16
	s_mul_hi_u32 s45, s6, s19
	s_add_i32 s16, s16, s17
	s_mul_i32 s17, s6, s19
	s_mul_i32 s47, s7, s16
	s_mul_hi_u32 s46, s7, s16
	s_add_u32 s44, s44, s47
	s_addc_u32 s46, 0, s46
	s_mul_hi_u32 s19, s6, s16
	s_add_u32 s17, s44, s17
	s_mul_i32 s16, s6, s16
	s_addc_u32 s17, s46, s45
	s_addc_u32 s19, s19, 0
	s_add_u32 s16, s17, s16
	s_addc_u32 s17, 0, s19
	s_add_u32 s7, s7, s16
	s_cselect_b32 s16, -1, 0
	s_mul_hi_u32 s19, s92, s7
	s_cmp_lg_u32 s16, 0
	s_mul_hi_u32 s16, s69, s7
	s_addc_u32 s6, s6, s17
	s_mul_i32 s7, s69, s7
	s_mul_i32 s44, s92, s6
	s_mul_hi_u32 s17, s92, s6
	s_add_u32 s19, s19, s44
	s_addc_u32 s17, 0, s17
	s_mul_hi_u32 s45, s69, s6
	s_add_u32 s7, s19, s7
	s_mul_i32 s6, s69, s6
	s_addc_u32 s7, s17, s16
	s_addc_u32 s16, s45, 0
	s_add_u32 s6, s7, s6
	s_addc_u32 s7, 0, s16
	s_mul_hi_u32 s16, s35, s6
	s_mul_i32 s7, s35, s7
	s_mul_i32 s6, s35, s6
	s_add_i32 s16, s16, s7
	s_sub_u32 s6, s92, s6
	s_cselect_b32 s7, -1, 0
	s_cmp_lg_u32 s7, 0
	s_subb_u32 s7, s69, s16
	s_sub_u32 s16, s6, s35
	s_cselect_b32 s17, -1, 0
	s_cmp_lg_u32 s17, 0
	s_subb_u32 s17, s7, 0
	;; [unrolled: 4-line block ×3, first 2 shown]
	s_cmp_ge_u32 s16, s35
	s_cselect_b32 s45, -1, 0
	s_cmp_eq_u32 s17, 0
	s_cselect_b32 s45, s45, -1
	s_cmp_lg_u32 s45, 0
	s_cselect_b32 s17, s44, s17
	s_cselect_b32 s16, s19, s16
	s_cmp_ge_u32 s6, s35
	s_cselect_b32 s19, -1, 0
	s_cmp_eq_u32 s7, 0
	s_cselect_b32 s19, s19, -1
	s_cmp_lg_u32 s19, 0
	s_cselect_b32 s7, s17, s7
	s_cselect_b32 s6, s16, s6
	s_mov_b32 s16, 0
	s_branch .LBB186_453
.LBB186_452:                            ;   in Loop: Header=BB186_18 Depth=1
	s_mov_b32 s16, -1
                                        ; implicit-def: $sgpr6_sgpr7
.LBB186_453:                            ;   in Loop: Header=BB186_18 Depth=1
	s_andn2_b32 vcc_lo, exec_lo, s16
	s_cbranch_vccnz .LBB186_455
; %bb.454:                              ;   in Loop: Header=BB186_18 Depth=1
	v_cvt_f32_u32_e32 v2, s35
	s_sub_i32 s7, 0, s35
	v_rcp_iflag_f32_e32 v2, v2
	v_mul_f32_e32 v2, 0x4f7ffffe, v2
	v_cvt_u32_f32_e32 v2, v2
	v_readfirstlane_b32 s6, v2
	s_mul_i32 s7, s7, s6
	s_mul_hi_u32 s7, s6, s7
	s_add_i32 s6, s6, s7
	s_mul_hi_u32 s6, s92, s6
	s_mul_i32 s6, s6, s35
	s_sub_i32 s6, s92, s6
	s_sub_i32 s7, s6, s35
	s_cmp_ge_u32 s6, s35
	s_cselect_b32 s6, s7, s6
	s_sub_i32 s7, s6, s35
	s_cmp_ge_u32 s6, s35
	s_cselect_b32 s66, s7, s6
	s_mov_b64 s[6:7], s[66:67]
.LBB186_455:                            ;   in Loop: Header=BB186_18 Depth=1
	s_sub_u32 s6, s92, s6
	s_subb_u32 s7, s69, s7
	s_mov_b32 s16, exec_lo
                                        ; implicit-def: $vgpr6_vgpr7
	v_cmpx_gt_u64_e64 s[6:7], v[0:1]
	s_cbranch_execz .LBB186_465
; %bb.456:                              ;   in Loop: Header=BB186_18 Depth=1
	v_mov_b32_e32 v9, v1
	v_mov_b32_e32 v8, v0
	s_mov_b32 s17, 0
                                        ; implicit-def: $sgpr19
	s_branch .LBB186_460
.LBB186_457:                            ;   in Loop: Header=BB186_460 Depth=2
	s_or_b32 exec_lo, exec_lo, s44
	s_waitcnt lgkmcnt(0)
	s_barrier
	buffer_gl0_inv
	ds_read_b128 v[4:7], v19 offset:3072
	s_waitcnt lgkmcnt(0)
	s_barrier
	buffer_gl0_inv
	v_cmp_eq_f64_e32 vcc_lo, 0, v[4:5]
	s_cbranch_vccz .LBB186_463
; %bb.458:                              ;   in Loop: Header=BB186_460 Depth=2
	v_add_co_u32 v8, vcc_lo, v8, s35
	v_add_co_ci_u32_e64 v9, null, 0, v9, vcc_lo
	s_mov_b32 s44, 0
	v_cmp_le_u64_e32 vcc_lo, s[6:7], v[8:9]
	s_orn2_b32 s45, vcc_lo, exec_lo
.LBB186_459:                            ;   in Loop: Header=BB186_460 Depth=2
	s_and_b32 s2, exec_lo, s45
	s_or_b32 s17, s2, s17
	s_andn2_b32 s2, s19, exec_lo
	s_and_b32 s19, s44, exec_lo
	s_or_b32 s19, s2, s19
	s_andn2_b32 exec_lo, exec_lo, s17
	s_cbranch_execz .LBB186_464
.LBB186_460:                            ;   Parent Loop BB186_18 Depth=1
                                        ; =>  This Inner Loop Header: Depth=2
	s_mov_b32 s44, exec_lo
	v_cmpx_gt_u64_e64 s[28:29], v[8:9]
	s_cbranch_execz .LBB186_457
; %bb.461:                              ;   in Loop: Header=BB186_460 Depth=2
	v_mul_lo_u32 v2, v9, s26
	v_mul_lo_u32 v6, v8, s27
	v_mad_u64_u32 v[4:5], null, v8, s26, 0
	v_add3_u32 v5, v5, v6, v2
	v_lshlrev_b64 v[4:5], 3, v[4:5]
	v_add_co_u32 v4, vcc_lo, s25, v4
	v_add_co_ci_u32_e64 v5, null, s33, v5, vcc_lo
	global_load_dwordx2 v[4:5], v[4:5], off
	s_waitcnt vmcnt(0)
	v_cmp_o_f64_e32 vcc_lo, v[4:5], v[4:5]
	v_ashrrev_i32_e32 v2, 31, v5
	v_or_b32_e32 v6, 0x80000000, v2
	v_xor_b32_e32 v2, v2, v4
	v_xor_b32_e32 v6, v6, v5
	v_cndmask_b32_e32 v6, -1, v6, vcc_lo
	v_cndmask_b32_e32 v2, -1, v2, vcc_lo
	v_and_b32_e32 v7, v6, v25
	v_and_b32_e32 v6, v2, v24
	v_cmp_eq_u64_e32 vcc_lo, v[6:7], v[22:23]
	s_and_b32 exec_lo, exec_lo, vcc_lo
	s_cbranch_execz .LBB186_457
; %bb.462:                              ;   in Loop: Header=BB186_460 Depth=2
	v_mov_b32_e32 v2, v19
	ds_write_b128 v19, v[2:5] offset:3072
	s_branch .LBB186_457
.LBB186_463:                            ;   in Loop: Header=BB186_460 Depth=2
	s_mov_b32 s45, -1
	s_mov_b32 s44, -1
                                        ; implicit-def: $vgpr8_vgpr9
	s_branch .LBB186_459
.LBB186_464:                            ;   in Loop: Header=BB186_18 Depth=1
	s_or_b32 exec_lo, exec_lo, s17
	s_andn2_b32 s2, s18, exec_lo
	s_and_b32 s6, s19, exec_lo
	s_or_b32 s18, s2, s6
.LBB186_465:                            ;   in Loop: Header=BB186_18 Depth=1
	s_or_b32 exec_lo, exec_lo, s16
	s_mov_b32 s62, 0
	s_mov_b32 s63, -1
.LBB186_466:                            ;   in Loop: Header=BB186_18 Depth=1
	s_orn2_b32 s7, s18, exec_lo
.LBB186_467:                            ;   in Loop: Header=BB186_18 Depth=1
	s_or_b32 exec_lo, exec_lo, s57
	s_mov_b32 s16, 0
	s_and_saveexec_b32 s6, s7
	s_cbranch_execz .LBB186_478
; %bb.468:                              ;   in Loop: Header=BB186_18 Depth=1
	v_mov_b32_e32 v4, 1
	v_mov_b32_e32 v5, 0
	;; [unrolled: 1-line block ×3, first 2 shown]
	s_xor_b32 s16, s56, -1
	s_and_saveexec_b32 s7, s16
	s_cbranch_execz .LBB186_477
; %bb.469:                              ;   in Loop: Header=BB186_18 Depth=1
	s_mov_b32 s16, exec_lo
	v_cmpx_ge_u64_e64 s[10:11], v[10:11]
	s_xor_b32 s16, exec_lo, s16
	s_cbranch_execz .LBB186_474
; %bb.470:                              ;   in Loop: Header=BB186_18 Depth=1
	ds_read_b64 v[4:5], v19 offset:5120
	v_and_b32_e32 v23, s15, v23
	v_and_b32_e32 v22, s14, v22
	v_or_b32_e32 v25, s13, v25
	v_or_b32_e32 v24, s12, v24
	s_waitcnt lgkmcnt(0)
	v_cmp_ne_u64_e32 vcc_lo, 0, v[4:5]
	s_cbranch_vccnz .LBB186_474
; %bb.471:                              ;   in Loop: Header=BB186_18 Depth=1
	s_and_saveexec_b32 s12, s3
; %bb.472:                              ;   in Loop: Header=BB186_18 Depth=1
	v_mov_b32_e32 v4, s10
	v_mov_b32_e32 v5, s11
	ds_write_b64 v19, v[4:5] offset:5128
; %bb.473:                              ;   in Loop: Header=BB186_18 Depth=1
	s_or_b32 exec_lo, exec_lo, s12
	s_waitcnt lgkmcnt(0)
	s_barrier
	buffer_gl0_inv
.LBB186_474:                            ;   in Loop: Header=BB186_18 Depth=1
	s_andn2_saveexec_b32 s12, s16
; %bb.475:                              ;   in Loop: Header=BB186_18 Depth=1
	v_sub_co_u32 v10, vcc_lo, v10, s10
	v_subrev_co_ci_u32_e64 v11, null, s11, v11, vcc_lo
; %bb.476:                              ;   in Loop: Header=BB186_18 Depth=1
	s_or_b32 exec_lo, exec_lo, s12
	v_mov_b32_e32 v4, v10
	v_mov_b32_e32 v39, 5
	;; [unrolled: 1-line block ×3, first 2 shown]
.LBB186_477:                            ;   in Loop: Header=BB186_18 Depth=1
	s_or_b32 exec_lo, exec_lo, s7
	v_mov_b32_e32 v11, v5
	v_mov_b32_e32 v10, v4
	s_mov_b32 s16, exec_lo
.LBB186_478:                            ;   in Loop: Header=BB186_18 Depth=1
	s_or_b32 exec_lo, exec_lo, s6
	s_orn2_b32 s6, s16, exec_lo
.LBB186_479:                            ;   in Loop: Header=BB186_18 Depth=1
	s_or_b32 exec_lo, exec_lo, s21
	s_andn2_b32 s7, s80, exec_lo
	s_and_b32 s10, s63, exec_lo
	s_andn2_b32 s11, s79, exec_lo
	s_and_b32 s12, s62, exec_lo
	v_mov_b32_e32 v8, v10
	v_mov_b32_e32 v9, v11
	s_or_b32 s80, s7, s10
	s_or_b32 s79, s11, s12
	s_and_b32 s7, s6, exec_lo
.LBB186_480:                            ;   in Loop: Header=BB186_18 Depth=1
	s_or_b32 exec_lo, exec_lo, s20
	s_orn2_b32 s6, s7, exec_lo
.LBB186_481:                            ;   in Loop: Header=BB186_18 Depth=1
	s_or_b32 exec_lo, exec_lo, s23
	s_andn2_b32 s7, s77, exec_lo
	s_and_b32 s10, s80, exec_lo
	s_andn2_b32 s11, s76, exec_lo
	s_and_b32 s12, s79, exec_lo
	v_mov_b32_e32 v29, v9
	v_mov_b32_e32 v28, v8
	s_or_b32 s77, s7, s10
	s_or_b32 s76, s11, s12
	s_and_b32 s7, s6, exec_lo
.LBB186_482:                            ;   in Loop: Header=BB186_18 Depth=1
	s_or_b32 exec_lo, exec_lo, s22
	s_orn2_b32 s6, s7, exec_lo
.LBB186_483:                            ;   in Loop: Header=BB186_18 Depth=1
	s_or_b32 exec_lo, exec_lo, s73
	s_mov_b32 s7, s75
	s_mov_b32 s10, s74
	s_and_saveexec_b32 s11, s6
; %bb.484:                              ;   in Loop: Header=BB186_18 Depth=1
	v_cmp_ne_u32_e32 vcc_lo, 5, v39
	v_cmp_eq_u32_e64 s6, 5, v39
	s_andn2_b32 s7, s74, exec_lo
	s_andn2_b32 s12, s75, exec_lo
	s_and_b32 s10, vcc_lo, exec_lo
	s_and_b32 s6, s6, exec_lo
	s_or_b32 s10, s7, s10
	s_or_b32 s7, s12, s6
; %bb.485:                              ;   in Loop: Header=BB186_18 Depth=1
	s_or_b32 exec_lo, exec_lo, s11
	s_andn2_b32 s2, s78, exec_lo
	s_and_b32 s6, s77, exec_lo
	s_andn2_b32 s9, s9, exec_lo
	s_and_b32 s11, s76, exec_lo
	s_or_b32 s78, s2, s6
	s_andn2_b32 s2, s74, exec_lo
	s_and_b32 s6, s10, exec_lo
	s_andn2_b32 s10, s75, exec_lo
	s_and_b32 s7, s7, exec_lo
	s_or_b32 s9, s9, s11
	s_or_b32 s74, s2, s6
	;; [unrolled: 1-line block ×3, first 2 shown]
.LBB186_486:                            ;   in Loop: Header=BB186_18 Depth=1
	s_or_b32 exec_lo, exec_lo, s72
	s_mov_b32 s76, 0
	s_mov_b32 s77, 0
	s_and_saveexec_b32 s6, s75
.LBB186_487:                            ;   in Loop: Header=BB186_18 Depth=1
	v_mov_b32_e32 v39, 0
	s_or_b32 s74, s74, exec_lo
.LBB186_488:                            ;   in Loop: Header=BB186_18 Depth=1
	s_or_b32 exec_lo, exec_lo, s6
	s_andn2_b32 s2, s49, exec_lo
	s_and_b32 s6, s78, exec_lo
	s_andn2_b32 s10, s59, exec_lo
	s_and_b32 s9, s9, exec_lo
	v_mov_b32_e32 v26, v28
	v_mov_b32_e32 v27, v29
	s_or_b32 s49, s2, s6
	s_or_b32 s59, s10, s9
	s_andn2_b32 s2, s51, exec_lo
	s_and_b32 s6, s77, exec_lo
	s_andn2_b32 s9, s50, exec_lo
	s_and_b32 s10, s76, exec_lo
	s_mov_b32 s7, -1
	s_andn2_b32 s48, s48, exec_lo
	s_or_b32 s51, s2, s6
	s_or_b32 s50, s9, s10
	s_and_saveexec_b32 s2, s74
	s_xor_b32 s6, exec_lo, s2
	s_cbranch_execz .LBB186_17
; %bb.489:                              ;   in Loop: Header=BB186_18 Depth=1
	s_mov_b32 s9, -1
	s_mov_b32 s10, exec_lo
	v_cmpx_eq_u32_e32 0, v39
	s_cbranch_execz .LBB186_16
; %bb.490:                              ;   in Loop: Header=BB186_18 Depth=1
	s_xor_b32 s99, s99, 1
	s_add_i32 s11, s65, -2
	s_cmp_eq_u32 s65, 0
	s_mov_b32 s65, s11
	s_cselect_b32 s7, -1, 0
	s_xor_b32 s9, exec_lo, -1
	s_orn2_b32 s7, s7, exec_lo
	s_branch .LBB186_16
.LBB186_491:
	s_or_b32 exec_lo, exec_lo, s97
	s_xor_b32 s7, s58, -1
	s_xor_b32 s9, vcc_hi, -1
	s_xor_b32 s10, s64, -1
	s_xor_b32 s2, s98, -1
	;; [unrolled: 1-line block ×3, first 2 shown]
	s_mov_b32 s8, 0
	s_and_saveexec_b32 s11, s2
	s_xor_b32 s14, exec_lo, s11
	s_cbranch_execnz .LBB186_496
; %bb.492:
	s_andn2_saveexec_b32 s0, s14
	s_cbranch_execnz .LBB186_515
.LBB186_493:
	s_or_b32 exec_lo, exec_lo, s0
	s_and_saveexec_b32 s0, s8
.LBB186_494:
	; divergent unreachable
.LBB186_495:
	s_endpgm
.LBB186_496:
	s_and_saveexec_b32 s2, s10
	s_xor_b32 s15, exec_lo, s2
	s_cbranch_execz .LBB186_513
; %bb.497:
	s_and_saveexec_b32 s2, s9
	s_xor_b32 s16, exec_lo, s2
	s_cbranch_execz .LBB186_511
; %bb.498:
	;; [unrolled: 4-line block ×3, first 2 shown]
	s_and_saveexec_b32 s2, s6
	s_xor_b32 s6, exec_lo, s2
; %bb.500:
	v_lshrrev_b32_e32 v2, 31, v23
	v_add_co_u32 v2, s2, v2, -1
	v_add_co_ci_u32_e64 v3, null, 0, -1, s2
	v_xor_b32_e32 v6, v2, v22
	v_or_b32_e32 v3, 0x80000000, v3
	v_xor_b32_e32 v7, v3, v23
; %bb.501:
	s_or_b32 exec_lo, exec_lo, s6
	s_and_saveexec_b32 s6, s3
	v_readlane_b32 s38, v41, 6
; %bb.502:
	v_mov_b32_e32 v2, 0
	v_mov_b32_e32 v3, v2
	ds_write_b64 v2, v[2:3] offset:5136
; %bb.503:
	s_or_b32 exec_lo, exec_lo, s6
	v_mov_b32_e32 v4, 0
	v_mov_b32_e32 v5, 0
	s_waitcnt lgkmcnt(0)
	s_barrier
	buffer_gl0_inv
	s_and_saveexec_b32 s3, s1
	s_cbranch_execz .LBB186_505
; %bb.504:
	global_load_dwordx2 v[4:5], v[16:17], off
.LBB186_505:
	s_or_b32 exec_lo, exec_lo, s3
	s_mul_i32 s3, s60, s43
	s_mul_hi_u32 s8, s60, s42
	s_mul_i32 s9, s60, s42
	s_clause 0x3
	s_load_dwordx2 s[42:43], s[4:5], 0x450
	s_load_dwordx2 s[36:37], s[4:5], 0x2a8
	s_load_dwordx4 s[20:23], s[4:5], 0x1d8
	s_load_dwordx4 s[48:51], s[4:5], 0x298
	s_add_u32 s2, s28, 31
	s_addc_u32 s7, s29, 0
	s_and_b32 s6, s2, 0xffffffe0
	s_add_i32 s8, s8, s3
	s_sub_u32 s2, s34, s9
	s_subb_u32 s8, 0, s8
	s_load_dwordx4 s[44:47], s[4:5], 0x440
	v_cmp_o_f64_e32 vcc_lo, v[6:7], v[6:7]
	v_ashrrev_i32_e32 v2, 31, v7
	v_or_b32_e32 v3, 0x80000000, v2
	v_xor_b32_e32 v2, v2, v6
	s_waitcnt lgkmcnt(0)
	s_mul_i32 s3, s2, s43
	s_mul_hi_u32 s9, s2, s42
	s_mul_i32 s8, s8, s42
	s_add_i32 s3, s9, s3
	s_mul_i32 s12, s52, s22
	s_add_i32 s13, s3, s8
	v_readlane_b32 s8, v41, 0
	v_readlane_b32 s9, v41, 1
	v_xor_b32_e32 v3, v3, v7
	s_mov_b32 s24, s8
	s_mul_i32 s3, s8, s21
	s_mul_hi_u32 s8, s8, s20
	s_mul_i32 s9, s24, s20
	s_add_i32 s8, s8, s3
	s_sub_u32 s3, s52, s9
	s_subb_u32 s8, s53, s8
	s_mul_i32 s9, s3, s51
	s_mul_hi_u32 s10, s3, s50
	s_mul_i32 s8, s8, s50
	s_add_i32 s9, s10, s9
	s_mul_i32 s10, s24, s49
	s_mul_hi_u32 s11, s24, s48
	s_add_i32 s9, s9, s8
	s_add_i32 s11, s11, s10
	s_mul_i32 s8, s52, s23
	s_mul_hi_u32 s10, s52, s22
	v_readlane_b32 s22, v41, 2
	s_add_i32 s10, s10, s8
	s_sub_u32 s12, s34, s12
	s_subb_u32 s10, 0, s10
	s_mul_i32 s8, s12, s37
	s_mul_hi_u32 s18, s12, s36
	s_mul_i32 s10, s10, s36
	s_add_i32 s8, s18, s8
	s_mul_i32 s18, s22, s40
	s_add_i32 s19, s8, s10
	s_mul_i32 s8, s22, s41
	s_mul_hi_u32 s10, s22, s40
	s_load_dwordx2 s[40:41], s[4:5], 0x1c8
	s_add_i32 s10, s10, s8
	s_sub_u32 s20, s60, s18
	s_mul_i32 s8, s3, s50
	s_mul_i32 s3, s20, s47
	s_mul_hi_u32 s18, s20, s46
	s_subb_u32 s10, s61, s10
	s_add_i32 s3, s18, s3
	s_mul_i32 s18, s10, s46
	v_readlane_b32 s23, v41, 3
	s_mul_i32 s10, s24, s48
	s_add_i32 s23, s3, s18
	s_mul_i32 s3, s22, s45
	s_mul_hi_u32 s18, s22, s44
	s_lshl_b64 s[10:11], s[10:11], 3
	s_add_i32 s37, s18, s3
	s_mul_i32 s18, s12, s36
	s_mul_i32 s36, s22, s44
	;; [unrolled: 1-line block ×3, first 2 shown]
	v_cndmask_b32_e32 v3, -1, v3, vcc_lo
	s_waitcnt lgkmcnt(0)
	s_add_u32 s3, s40, s10
	s_addc_u32 s10, s41, s11
	s_lshl_b64 s[8:9], s[8:9], 3
	v_readlane_b32 s40, v41, 4
	s_add_u32 s3, s3, s8
	s_addc_u32 s12, s10, s9
	s_clause 0x1
	s_load_dwordx2 s[8:9], s[4:5], 0x368
	s_load_dwordx2 s[10:11], s[4:5], 0x510
	s_lshl_b64 s[18:19], s[18:19], 3
	v_readlane_b32 s41, v41, 5
	s_add_u32 s5, s3, s18
	s_addc_u32 s18, s12, s19
	s_lshl_b64 s[36:37], s[36:37], 3
	s_mul_i32 s12, s2, s42
	s_add_u32 s3, s40, s36
	s_addc_u32 s4, s41, s37
	s_lshl_b64 s[22:23], s[22:23], 3
	v_cndmask_b32_e32 v2, -1, v2, vcc_lo
	s_add_u32 s2, s3, s22
	v_cmp_gt_u64_e32 vcc_lo, s[6:7], v[0:1]
	s_addc_u32 s3, s4, s23
	s_lshl_b64 s[12:13], s[12:13], 3
	s_mov_b32 s21, -1
	s_add_u32 s12, s2, s12
	s_addc_u32 s13, s3, s13
	s_mov_b32 s19, 0
	s_mov_b32 s3, 0
	s_and_saveexec_b32 s20, vcc_lo
	s_cbranch_execnz .LBB186_516
; %bb.506:
	s_or_b32 exec_lo, exec_lo, s20
	s_and_saveexec_b32 s2, s21
	s_cbranch_execnz .LBB186_533
.LBB186_507:
	s_or_b32 exec_lo, exec_lo, s2
	s_and_saveexec_b32 s0, s3
	s_xor_b32 s0, exec_lo, s0
	s_cbranch_execnz .LBB186_558
.LBB186_508:
	s_or_b32 exec_lo, exec_lo, s0
	s_waitcnt lgkmcnt(0)
	s_and_b32 s8, s19, exec_lo
.LBB186_509:
	s_andn2_saveexec_b32 s0, s17
	s_cbranch_execnz .LBB186_560
.LBB186_510:
	s_or_b32 exec_lo, exec_lo, s0
	s_and_b32 s8, s8, exec_lo
.LBB186_511:
	s_andn2_saveexec_b32 s0, s16
	s_cbranch_execnz .LBB186_559
.LBB186_512:
	s_or_b32 exec_lo, exec_lo, s0
	s_and_b32 s8, s8, exec_lo
.LBB186_513:
	s_andn2_saveexec_b32 s0, s15
	s_cbranch_execnz .LBB186_554
.LBB186_514:
	s_or_b32 exec_lo, exec_lo, s0
	s_and_b32 s8, s8, exec_lo
	s_andn2_saveexec_b32 s0, s14
	s_cbranch_execz .LBB186_493
.LBB186_515:
	s_or_b32 s8, s8, exec_lo
	s_trap 2
	s_or_b32 exec_lo, exec_lo, s0
	s_and_saveexec_b32 s0, s8
	s_cbranch_execnz .LBB186_494
	s_branch .LBB186_495
.LBB186_516:
	v_mov_b32_e32 v15, v1
	v_mov_b32_e32 v7, 0
	v_mov_b32_e32 v14, v0
	s_mov_b32 s21, 0
                                        ; implicit-def: $sgpr22
                                        ; implicit-def: $vgpr10_vgpr11
	s_branch .LBB186_518
.LBB186_517:                            ;   in Loop: Header=BB186_518 Depth=1
	s_or_b32 exec_lo, exec_lo, s24
	s_xor_b32 s2, s23, -1
	s_and_b32 s3, exec_lo, s4
	s_waitcnt vmcnt(0)
	v_mov_b32_e32 v4, v12
	v_mov_b32_e32 v15, v9
	v_mov_b32_e32 v5, v13
	s_or_b32 s21, s3, s21
	v_mov_b32_e32 v14, v8
	s_andn2_b32 s3, s22, exec_lo
	s_and_b32 s2, s2, exec_lo
	s_or_b32 s22, s3, s2
	s_andn2_b32 exec_lo, exec_lo, s21
	s_cbranch_execz .LBB186_532
.LBB186_518:                            ; =>This Inner Loop Header: Depth=1
	v_add_co_u32 v8, s3, v14, s35
	v_mov_b32_e32 v12, 0
	v_add_co_ci_u32_e64 v9, null, 0, v15, s3
	v_mov_b32_e32 v13, 0
	s_mov_b32 s4, exec_lo
	v_cmpx_gt_u64_e64 s[28:29], v[8:9]
	s_cbranch_execz .LBB186_520
; %bb.519:                              ;   in Loop: Header=BB186_518 Depth=1
	v_mul_lo_u32 v6, v9, s26
	v_mul_lo_u32 v18, v8, s27
	v_mad_u64_u32 v[12:13], null, v8, s26, 0
	v_add3_u32 v13, v13, v18, v6
	v_lshlrev_b64 v[12:13], 3, v[12:13]
	v_add_co_u32 v12, s3, s25, v12
	v_add_co_ci_u32_e64 v13, null, s33, v13, s3
	global_load_dwordx2 v[12:13], v[12:13], off
.LBB186_520:                            ;   in Loop: Header=BB186_518 Depth=1
	s_or_b32 exec_lo, exec_lo, s4
	s_mov_b32 s23, 0
	s_mov_b32 s4, exec_lo
	v_cmpx_gt_u64_e64 s[28:29], v[14:15]
	s_cbranch_execz .LBB186_522
; %bb.521:                              ;   in Loop: Header=BB186_518 Depth=1
	s_waitcnt vmcnt(0)
	v_cmp_o_f64_e64 s3, v[4:5], v[4:5]
	v_ashrrev_i32_e32 v6, 31, v5
	v_or_b32_e32 v18, 0x80000000, v6
	v_xor_b32_e32 v6, v6, v4
	v_xor_b32_e32 v18, v18, v5
	v_cndmask_b32_e64 v19, -1, v18, s3
	v_cndmask_b32_e64 v18, -1, v6, s3
	v_cmp_gt_u64_e64 s3, v[18:19], v[2:3]
	v_cndmask_b32_e64 v6, 0, 1, s3
	v_cmp_lt_u64_e64 s3, v[18:19], v[2:3]
	v_cndmask_b32_e64 v18, 0, 1, s3
	v_cndmask_b32_e64 v6, v18, v6, s38
	v_and_b32_e32 v6, 1, v6
	v_cmp_eq_u32_e64 s3, 1, v6
	s_and_b32 s23, s3, exec_lo
.LBB186_522:                            ;   in Loop: Header=BB186_518 Depth=1
	s_or_b32 exec_lo, exec_lo, s4
	v_cndmask_b32_e64 v6, 0, 1, s23
	v_cmp_ne_u32_e64 s3, 0, v6
	s_cmp_lg_u32 s3, 0
	s_cselect_b32 s2, -1, 0
	s_and_b32 s2, s0, s2
	s_and_saveexec_b32 s24, s2
	s_cbranch_execz .LBB186_526
; %bb.523:                              ;   in Loop: Header=BB186_518 Depth=1
	s_mov_b32 s37, exec_lo
	s_bcnt1_i32_b32 s34, s3
	v_mbcnt_lo_u32_b32 v18, s37, 0
	s_mov_b32 s36, exec_lo
                                        ; implicit-def: $vgpr10_vgpr11
	v_cmpx_eq_u32_e32 0, v18
	s_cbranch_execz .LBB186_525
; %bb.524:                              ;   in Loop: Header=BB186_518 Depth=1
	s_bcnt1_i32_b32 s2, s37
	s_mul_i32 s2, s34, s2
	v_mov_b32_e32 v6, s2
	s_waitcnt lgkmcnt(0)
	ds_add_rtn_u64 v[10:11], v7, v[6:7] offset:5136
.LBB186_525:                            ;   in Loop: Header=BB186_518 Depth=1
	s_or_b32 exec_lo, exec_lo, s36
	s_waitcnt lgkmcnt(0)
	v_readfirstlane_b32 s37, v11
	v_readfirstlane_b32 s36, v10
	v_mad_u64_u32 v[10:11], null, s34, v18, s[36:37]
.LBB186_526:                            ;   in Loop: Header=BB186_518 Depth=1
	s_or_b32 exec_lo, exec_lo, s24
	s_waitcnt lgkmcnt(0)
	ds_bpermute_b32 v10, v7, v10
	ds_bpermute_b32 v11, v7, v11
	s_mov_b32 s4, -1
	s_mov_b32 s34, -1
	s_and_saveexec_b32 s24, s23
	s_cbranch_execz .LBB186_530
; %bb.527:                              ;   in Loop: Header=BB186_518 Depth=1
	v_and_b32_e32 v6, s3, v32
	s_mov_b32 s23, 0
	s_mov_b32 s34, exec_lo
	v_bcnt_u32_b32 v6, v6, 0
	s_waitcnt lgkmcnt(0)
	v_add_co_u32 v18, s3, v10, v6
	v_add_co_ci_u32_e64 v19, null, 0, v11, s3
	v_cmpx_gt_u64_e64 s[30:31], v[18:19]
	s_cbranch_execz .LBB186_529
; %bb.528:                              ;   in Loop: Header=BB186_518 Depth=1
	v_mul_lo_u32 v6, v19, s8
	v_mul_lo_u32 v22, v18, s9
	v_mad_u64_u32 v[20:21], null, v18, s8, 0
	v_mul_lo_u32 v23, v19, s10
	v_mul_lo_u32 v24, v18, s11
	v_mad_u64_u32 v[18:19], null, v18, s10, 0
	s_mov_b32 s23, exec_lo
	v_add3_u32 v21, v21, v22, v6
	v_add3_u32 v19, v19, v24, v23
	v_lshlrev_b64 v[20:21], 3, v[20:21]
	v_lshlrev_b64 v[18:19], 3, v[18:19]
	v_add_co_u32 v20, s3, s5, v20
	v_add_co_ci_u32_e64 v21, null, s18, v21, s3
	v_add_co_u32 v18, s3, s12, v18
	v_add_co_ci_u32_e64 v19, null, s13, v19, s3
	s_waitcnt vmcnt(0)
	global_store_dwordx2 v[20:21], v[4:5], off
	global_store_dwordx2 v[18:19], v[14:15], off
.LBB186_529:                            ;   in Loop: Header=BB186_518 Depth=1
	s_or_b32 exec_lo, exec_lo, s34
	s_orn2_b32 s34, s23, exec_lo
.LBB186_530:                            ;   in Loop: Header=BB186_518 Depth=1
	s_or_b32 exec_lo, exec_lo, s24
	s_mov_b32 s23, -1
	s_and_saveexec_b32 s24, s34
	s_cbranch_execz .LBB186_517
; %bb.531:                              ;   in Loop: Header=BB186_518 Depth=1
	v_cmp_le_u64_e64 s3, s[6:7], v[8:9]
	s_xor_b32 s23, exec_lo, -1
	s_orn2_b32 s4, s3, exec_lo
	s_branch .LBB186_517
.LBB186_532:
	s_or_b32 exec_lo, exec_lo, s21
	s_mov_b32 s3, exec_lo
	s_orn2_b32 s21, s22, exec_lo
	s_or_b32 exec_lo, exec_lo, s20
	s_and_saveexec_b32 s2, s21
	s_cbranch_execz .LBB186_507
.LBB186_533:
	v_mov_b32_e32 v8, 0
	v_mov_b32_e32 v9, 0
	s_waitcnt vmcnt(0) lgkmcnt(0)
	s_waitcnt_vscnt null, 0x0
	s_barrier
	buffer_gl0_inv
	s_and_saveexec_b32 s4, s1
	s_cbranch_execz .LBB186_535
; %bb.534:
	global_load_dwordx2 v[8:9], v[16:17], off
.LBB186_535:
	s_or_b32 exec_lo, exec_lo, s4
	s_mov_b32 s1, 0
	s_and_saveexec_b32 s4, vcc_lo
	s_cbranch_execz .LBB186_557
; %bb.536:
	v_mov_b32_e32 v5, 0
	s_mov_b32 s19, 0
                                        ; implicit-def: $sgpr20
                                        ; implicit-def: $vgpr10_vgpr11
	s_branch .LBB186_539
.LBB186_537:                            ;   in Loop: Header=BB186_539 Depth=1
	s_or_b32 exec_lo, exec_lo, s21
	s_orn2_b32 s23, s24, exec_lo
	s_orn2_b32 s22, s22, exec_lo
.LBB186_538:                            ;   in Loop: Header=BB186_539 Depth=1
	s_or_b32 exec_lo, exec_lo, s1
	s_xor_b32 s1, s23, -1
	s_and_b32 s21, exec_lo, s22
	v_mov_b32_e32 v0, v6
	s_waitcnt vmcnt(0)
	v_mov_b32_e32 v8, v12
	v_mov_b32_e32 v1, v7
	s_or_b32 s19, s21, s19
	v_mov_b32_e32 v9, v13
	s_andn2_b32 s20, s20, exec_lo
	s_and_b32 s1, s1, exec_lo
	s_or_b32 s20, s20, s1
	s_andn2_b32 exec_lo, exec_lo, s19
	s_cbranch_execz .LBB186_555
.LBB186_539:                            ; =>This Inner Loop Header: Depth=1
	v_add_co_u32 v6, vcc_lo, v0, s35
	v_mov_b32_e32 v12, 0
	v_add_co_ci_u32_e64 v7, null, 0, v1, vcc_lo
	v_mov_b32_e32 v13, 0
	s_mov_b32 s1, exec_lo
	v_cmpx_gt_u64_e64 s[28:29], v[6:7]
	s_cbranch_execz .LBB186_541
; %bb.540:                              ;   in Loop: Header=BB186_539 Depth=1
	v_mul_lo_u32 v4, v7, s26
	v_mul_lo_u32 v14, v6, s27
	v_mad_u64_u32 v[12:13], null, v6, s26, 0
	v_add3_u32 v13, v13, v14, v4
	v_lshlrev_b64 v[12:13], 3, v[12:13]
	v_add_co_u32 v12, vcc_lo, s25, v12
	v_add_co_ci_u32_e64 v13, null, s33, v13, vcc_lo
	global_load_dwordx2 v[12:13], v[12:13], off
.LBB186_541:                            ;   in Loop: Header=BB186_539 Depth=1
	s_or_b32 exec_lo, exec_lo, s1
	s_mov_b32 s21, 0
	s_mov_b32 s1, exec_lo
	v_cmpx_gt_u64_e64 s[28:29], v[0:1]
	s_cbranch_execz .LBB186_543
; %bb.542:                              ;   in Loop: Header=BB186_539 Depth=1
	s_waitcnt vmcnt(0)
	v_cmp_o_f64_e32 vcc_lo, v[8:9], v[8:9]
	v_ashrrev_i32_e32 v4, 31, v9
	v_or_b32_e32 v14, 0x80000000, v4
	v_xor_b32_e32 v4, v4, v8
	v_xor_b32_e32 v14, v14, v9
	v_cndmask_b32_e32 v15, -1, v14, vcc_lo
	v_cndmask_b32_e32 v14, -1, v4, vcc_lo
	v_cmp_eq_u64_e32 vcc_lo, v[14:15], v[2:3]
	s_and_b32 s21, vcc_lo, exec_lo
.LBB186_543:                            ;   in Loop: Header=BB186_539 Depth=1
	s_or_b32 exec_lo, exec_lo, s1
	v_cndmask_b32_e64 v4, 0, 1, s21
	v_cmp_ne_u32_e32 vcc_lo, 0, v4
	s_cmp_lg_u32 vcc_lo, 0
	s_cselect_b32 s1, -1, 0
	s_and_b32 s1, s0, s1
	s_and_saveexec_b32 s22, s1
	s_cbranch_execz .LBB186_547
; %bb.544:                              ;   in Loop: Header=BB186_539 Depth=1
	s_mov_b32 s34, exec_lo
	s_bcnt1_i32_b32 s23, vcc_lo
	v_mbcnt_lo_u32_b32 v14, s34, 0
	s_mov_b32 s24, exec_lo
                                        ; implicit-def: $vgpr10_vgpr11
	v_cmpx_eq_u32_e32 0, v14
; %bb.545:                              ;   in Loop: Header=BB186_539 Depth=1
	s_bcnt1_i32_b32 s1, s34
	s_mul_i32 s1, s23, s1
	v_mov_b32_e32 v4, s1
	ds_add_rtn_u64 v[10:11], v5, v[4:5] offset:5136
; %bb.546:                              ;   in Loop: Header=BB186_539 Depth=1
	s_or_b32 exec_lo, exec_lo, s24
	s_waitcnt lgkmcnt(0)
	v_readfirstlane_b32 s37, v11
	v_readfirstlane_b32 s36, v10
	v_mad_u64_u32 v[10:11], null, s23, v14, s[36:37]
.LBB186_547:                            ;   in Loop: Header=BB186_539 Depth=1
	s_or_b32 exec_lo, exec_lo, s22
	ds_bpermute_b32 v10, v5, v10
	ds_bpermute_b32 v11, v5, v11
	s_cmp_eq_u32 vcc_lo, 0
	s_mov_b32 s22, -1
	s_cselect_b32 s23, -1, 0
	s_waitcnt lgkmcnt(0)
	v_cmp_gt_u64_e64 s1, s[30:31], v[10:11]
	s_or_b32 s24, s23, s1
	s_mov_b32 s23, -1
	s_and_saveexec_b32 s1, s24
	s_cbranch_execz .LBB186_538
; %bb.548:                              ;   in Loop: Header=BB186_539 Depth=1
	v_and_b32_e32 v4, vcc_lo, v32
	v_sub_co_u32 v14, vcc_lo, s30, v10
	v_sub_co_ci_u32_e64 v15, null, s31, v11, vcc_lo
	v_bcnt_u32_b32 v4, v4, 0
	s_mov_b32 s24, -1
	v_bcnt_u32_b32 v4, 0, v4
	v_cmp_gt_u64_e32 vcc_lo, v[14:15], v[4:5]
	s_and_b32 s34, s21, vcc_lo
	s_and_saveexec_b32 s21, s34
	s_cbranch_execz .LBB186_552
; %bb.549:                              ;   in Loop: Header=BB186_539 Depth=1
	v_add_co_u32 v14, vcc_lo, v10, v4
	v_add_co_ci_u32_e64 v15, null, 0, v11, vcc_lo
	s_mov_b32 s23, 0
	s_mov_b32 s24, exec_lo
	v_cmpx_gt_u64_e64 s[30:31], v[14:15]
	s_cbranch_execz .LBB186_551
; %bb.550:                              ;   in Loop: Header=BB186_539 Depth=1
	v_mul_lo_u32 v4, v15, s8
	v_mul_lo_u32 v18, v14, s9
	v_mad_u64_u32 v[16:17], null, v14, s8, 0
	v_mul_lo_u32 v19, v15, s10
	v_mul_lo_u32 v20, v14, s11
	v_mad_u64_u32 v[14:15], null, v14, s10, 0
	s_mov_b32 s23, exec_lo
	v_add3_u32 v17, v17, v18, v4
	v_add3_u32 v15, v15, v20, v19
	v_lshlrev_b64 v[16:17], 3, v[16:17]
	v_lshlrev_b64 v[14:15], 3, v[14:15]
	v_add_co_u32 v16, vcc_lo, s5, v16
	v_add_co_ci_u32_e64 v17, null, s18, v17, vcc_lo
	v_add_co_u32 v14, vcc_lo, s12, v14
	v_add_co_ci_u32_e64 v15, null, s13, v15, vcc_lo
	s_waitcnt vmcnt(0)
	global_store_dwordx2 v[16:17], v[8:9], off
	global_store_dwordx2 v[14:15], v[0:1], off
.LBB186_551:                            ;   in Loop: Header=BB186_539 Depth=1
	s_or_b32 exec_lo, exec_lo, s24
	s_xor_b32 s24, exec_lo, -1
	s_orn2_b32 s23, s23, exec_lo
.LBB186_552:                            ;   in Loop: Header=BB186_539 Depth=1
	s_or_b32 exec_lo, exec_lo, s21
	s_and_saveexec_b32 s21, s23
	s_cbranch_execz .LBB186_537
; %bb.553:                              ;   in Loop: Header=BB186_539 Depth=1
	v_cmp_le_u64_e32 vcc_lo, s[6:7], v[6:7]
	s_or_b32 s24, s24, exec_lo
	s_orn2_b32 s22, vcc_lo, exec_lo
	s_branch .LBB186_537
.LBB186_554:
	s_or_b32 s8, s8, exec_lo
	s_trap 2
	s_branch .LBB186_514
.LBB186_555:
	s_or_b32 exec_lo, exec_lo, s19
	s_mov_b32 s0, 0
	s_and_saveexec_b32 s1, s20
	s_xor_b32 s1, exec_lo, s1
	s_cbranch_execnz .LBB186_561
.LBB186_556:
	s_or_b32 exec_lo, exec_lo, s1
	s_and_b32 s1, s0, exec_lo
.LBB186_557:
	s_or_b32 exec_lo, exec_lo, s4
	s_and_b32 s19, s1, exec_lo
	s_andn2_b32 s3, s3, exec_lo
	s_or_b32 exec_lo, exec_lo, s2
	s_and_saveexec_b32 s0, s3
	s_xor_b32 s0, exec_lo, s0
	s_cbranch_execz .LBB186_508
.LBB186_558:
	s_or_b32 s19, s19, exec_lo
	s_trap 2
	s_branch .LBB186_508
.LBB186_559:
	s_or_b32 s8, s8, exec_lo
	s_trap 2
	s_branch .LBB186_512
.LBB186_560:
	s_or_b32 s8, s8, exec_lo
	s_trap 2
	s_branch .LBB186_510
.LBB186_561:
	s_mov_b32 s0, exec_lo
	s_trap 2
	s_branch .LBB186_556
	.section	.rodata,"a",@progbits
	.p2align	6, 0x0
	.amdhsa_kernel _ZN2at6native6sbtopk10gatherTopKIdmLi3ELb0EEEvNS_4cuda6detail10TensorInfoIKT_T0_EES8_S8_bS8_S8_NS5_IS6_S8_EES8_NS5_IlS8_EES8_PS6_
		.amdhsa_group_segment_fixed_size 5152
		.amdhsa_private_segment_fixed_size 0
		.amdhsa_kernarg_size 1568
		.amdhsa_user_sgpr_count 6
		.amdhsa_user_sgpr_private_segment_buffer 1
		.amdhsa_user_sgpr_dispatch_ptr 0
		.amdhsa_user_sgpr_queue_ptr 0
		.amdhsa_user_sgpr_kernarg_segment_ptr 1
		.amdhsa_user_sgpr_dispatch_id 0
		.amdhsa_user_sgpr_flat_scratch_init 0
		.amdhsa_user_sgpr_private_segment_size 0
		.amdhsa_wavefront_size32 1
		.amdhsa_uses_dynamic_stack 0
		.amdhsa_system_sgpr_private_segment_wavefront_offset 0
		.amdhsa_system_sgpr_workgroup_id_x 1
		.amdhsa_system_sgpr_workgroup_id_y 1
		.amdhsa_system_sgpr_workgroup_id_z 1
		.amdhsa_system_sgpr_workgroup_info 0
		.amdhsa_system_vgpr_workitem_id 0
		.amdhsa_next_free_vgpr 42
		.amdhsa_next_free_sgpr 105
		.amdhsa_reserve_vcc 1
		.amdhsa_reserve_flat_scratch 0
		.amdhsa_float_round_mode_32 0
		.amdhsa_float_round_mode_16_64 0
		.amdhsa_float_denorm_mode_32 3
		.amdhsa_float_denorm_mode_16_64 3
		.amdhsa_dx10_clamp 1
		.amdhsa_ieee_mode 1
		.amdhsa_fp16_overflow 0
		.amdhsa_workgroup_processor_mode 1
		.amdhsa_memory_ordered 1
		.amdhsa_forward_progress 1
		.amdhsa_shared_vgpr_count 0
		.amdhsa_exception_fp_ieee_invalid_op 0
		.amdhsa_exception_fp_denorm_src 0
		.amdhsa_exception_fp_ieee_div_zero 0
		.amdhsa_exception_fp_ieee_overflow 0
		.amdhsa_exception_fp_ieee_underflow 0
		.amdhsa_exception_fp_ieee_inexact 0
		.amdhsa_exception_int_div_zero 0
	.end_amdhsa_kernel
	.section	.text._ZN2at6native6sbtopk10gatherTopKIdmLi3ELb0EEEvNS_4cuda6detail10TensorInfoIKT_T0_EES8_S8_bS8_S8_NS5_IS6_S8_EES8_NS5_IlS8_EES8_PS6_,"axG",@progbits,_ZN2at6native6sbtopk10gatherTopKIdmLi3ELb0EEEvNS_4cuda6detail10TensorInfoIKT_T0_EES8_S8_bS8_S8_NS5_IS6_S8_EES8_NS5_IlS8_EES8_PS6_,comdat
.Lfunc_end186:
	.size	_ZN2at6native6sbtopk10gatherTopKIdmLi3ELb0EEEvNS_4cuda6detail10TensorInfoIKT_T0_EES8_S8_bS8_S8_NS5_IS6_S8_EES8_NS5_IlS8_EES8_PS6_, .Lfunc_end186-_ZN2at6native6sbtopk10gatherTopKIdmLi3ELb0EEEvNS_4cuda6detail10TensorInfoIKT_T0_EES8_S8_bS8_S8_NS5_IS6_S8_EES8_NS5_IlS8_EES8_PS6_
                                        ; -- End function
	.set _ZN2at6native6sbtopk10gatherTopKIdmLi3ELb0EEEvNS_4cuda6detail10TensorInfoIKT_T0_EES8_S8_bS8_S8_NS5_IS6_S8_EES8_NS5_IlS8_EES8_PS6_.num_vgpr, 42
	.set _ZN2at6native6sbtopk10gatherTopKIdmLi3ELb0EEEvNS_4cuda6detail10TensorInfoIKT_T0_EES8_S8_bS8_S8_NS5_IS6_S8_EES8_NS5_IlS8_EES8_PS6_.num_agpr, 0
	.set _ZN2at6native6sbtopk10gatherTopKIdmLi3ELb0EEEvNS_4cuda6detail10TensorInfoIKT_T0_EES8_S8_bS8_S8_NS5_IS6_S8_EES8_NS5_IlS8_EES8_PS6_.numbered_sgpr, 105
	.set _ZN2at6native6sbtopk10gatherTopKIdmLi3ELb0EEEvNS_4cuda6detail10TensorInfoIKT_T0_EES8_S8_bS8_S8_NS5_IS6_S8_EES8_NS5_IlS8_EES8_PS6_.num_named_barrier, 0
	.set _ZN2at6native6sbtopk10gatherTopKIdmLi3ELb0EEEvNS_4cuda6detail10TensorInfoIKT_T0_EES8_S8_bS8_S8_NS5_IS6_S8_EES8_NS5_IlS8_EES8_PS6_.private_seg_size, 0
	.set _ZN2at6native6sbtopk10gatherTopKIdmLi3ELb0EEEvNS_4cuda6detail10TensorInfoIKT_T0_EES8_S8_bS8_S8_NS5_IS6_S8_EES8_NS5_IlS8_EES8_PS6_.uses_vcc, 1
	.set _ZN2at6native6sbtopk10gatherTopKIdmLi3ELb0EEEvNS_4cuda6detail10TensorInfoIKT_T0_EES8_S8_bS8_S8_NS5_IS6_S8_EES8_NS5_IlS8_EES8_PS6_.uses_flat_scratch, 0
	.set _ZN2at6native6sbtopk10gatherTopKIdmLi3ELb0EEEvNS_4cuda6detail10TensorInfoIKT_T0_EES8_S8_bS8_S8_NS5_IS6_S8_EES8_NS5_IlS8_EES8_PS6_.has_dyn_sized_stack, 0
	.set _ZN2at6native6sbtopk10gatherTopKIdmLi3ELb0EEEvNS_4cuda6detail10TensorInfoIKT_T0_EES8_S8_bS8_S8_NS5_IS6_S8_EES8_NS5_IlS8_EES8_PS6_.has_recursion, 0
	.set _ZN2at6native6sbtopk10gatherTopKIdmLi3ELb0EEEvNS_4cuda6detail10TensorInfoIKT_T0_EES8_S8_bS8_S8_NS5_IS6_S8_EES8_NS5_IlS8_EES8_PS6_.has_indirect_call, 0
	.section	.AMDGPU.csdata,"",@progbits
; Kernel info:
; codeLenInByte = 26688
; TotalNumSgprs: 107
; NumVgprs: 42
; ScratchSize: 0
; MemoryBound: 0
; FloatMode: 240
; IeeeMode: 1
; LDSByteSize: 5152 bytes/workgroup (compile time only)
; SGPRBlocks: 0
; VGPRBlocks: 5
; NumSGPRsForWavesPerEU: 107
; NumVGPRsForWavesPerEU: 42
; Occupancy: 16
; WaveLimiterHint : 1
; COMPUTE_PGM_RSRC2:SCRATCH_EN: 0
; COMPUTE_PGM_RSRC2:USER_SGPR: 6
; COMPUTE_PGM_RSRC2:TRAP_HANDLER: 0
; COMPUTE_PGM_RSRC2:TGID_X_EN: 1
; COMPUTE_PGM_RSRC2:TGID_Y_EN: 1
; COMPUTE_PGM_RSRC2:TGID_Z_EN: 1
; COMPUTE_PGM_RSRC2:TIDIG_COMP_CNT: 0
	.section	.text._ZN2at6native6mbtopk23computeBlockDigitCountsIdmmLin1EEEvNS_4cuda6detail10TensorInfoIKT_T0_EEjPjjS8_iijT1_PSB_Ps,"axG",@progbits,_ZN2at6native6mbtopk23computeBlockDigitCountsIdmmLin1EEEvNS_4cuda6detail10TensorInfoIKT_T0_EEjPjjS8_iijT1_PSB_Ps,comdat
	.protected	_ZN2at6native6mbtopk23computeBlockDigitCountsIdmmLin1EEEvNS_4cuda6detail10TensorInfoIKT_T0_EEjPjjS8_iijT1_PSB_Ps ; -- Begin function _ZN2at6native6mbtopk23computeBlockDigitCountsIdmmLin1EEEvNS_4cuda6detail10TensorInfoIKT_T0_EEjPjjS8_iijT1_PSB_Ps
	.globl	_ZN2at6native6mbtopk23computeBlockDigitCountsIdmmLin1EEEvNS_4cuda6detail10TensorInfoIKT_T0_EEjPjjS8_iijT1_PSB_Ps
	.p2align	8
	.type	_ZN2at6native6mbtopk23computeBlockDigitCountsIdmmLin1EEEvNS_4cuda6detail10TensorInfoIKT_T0_EEjPjjS8_iijT1_PSB_Ps,@function
_ZN2at6native6mbtopk23computeBlockDigitCountsIdmmLin1EEEvNS_4cuda6detail10TensorInfoIKT_T0_EEjPjjS8_iijT1_PSB_Ps: ; @_ZN2at6native6mbtopk23computeBlockDigitCountsIdmmLin1EEEvNS_4cuda6detail10TensorInfoIKT_T0_EEjPjjS8_iijT1_PSB_Ps
; %bb.0:
	s_clause 0x2
	s_load_dwordx4 s[0:3], s[4:5], 0x1c0
	s_load_dword s9, s[4:5], 0x1b0
	s_load_dwordx2 s[10:11], s[4:5], 0x1e8
	s_mov_b32 s15, 0
	s_waitcnt lgkmcnt(0)
	v_cvt_f32_u32_e32 v1, s2
	s_mul_i32 s8, s11, s8
	s_sub_i32 s11, 0, s2
	s_add_i32 s7, s8, s7
	v_rcp_iflag_f32_e32 v1, v1
	s_mul_i32 s26, s7, s10
	s_add_i32 s26, s26, s6
	v_mul_f32_e32 v1, 0x4f7ffffe, v1
	v_cvt_u32_f32_e32 v1, v1
	v_readfirstlane_b32 s3, v1
	s_mul_i32 s11, s11, s3
	s_mul_hi_u32 s7, s3, s11
	s_add_i32 s3, s3, s7
	s_mul_hi_u32 s3, s26, s3
	s_mul_i32 s6, s3, s2
	s_add_i32 s7, s3, 1
	s_sub_i32 s6, s26, s6
	s_sub_i32 s8, s6, s2
	s_cmp_ge_u32 s6, s2
	s_cselect_b32 s3, s7, s3
	s_cselect_b32 s6, s8, s6
	s_add_i32 s7, s3, 1
	s_cmp_ge_u32 s6, s2
	s_cselect_b32 s14, s7, s3
	s_cmp_ge_u32 s14, s9
	s_cbranch_scc1 .LBB187_28
; %bb.1:
	s_clause 0x1
	s_load_dwordx4 s[8:11], s[4:5], 0x1d0
	s_load_dword s3, s[4:5], 0x198
	s_lshl_b64 s[6:7], s[14:15], 3
	s_mov_b64 s[22:23], s[14:15]
	s_mov_b64 s[12:13], 0
	s_waitcnt lgkmcnt(0)
	s_add_u32 s10, s10, s6
	s_addc_u32 s11, s11, s7
	s_load_dwordx2 s[6:7], s[4:5], 0x1e0
	s_load_dwordx2 s[10:11], s[10:11], 0x0
	s_cmp_lt_i32 s3, 2
	s_cbranch_scc1 .LBB187_7
; %bb.2:
	s_add_i32 s18, s3, -1
	s_mov_b32 s19, 0
	s_add_i32 s3, s3, 1
	s_lshl_b64 s[12:13], s[18:19], 3
	s_add_u32 s12, s4, s12
	s_addc_u32 s13, s5, s13
	s_add_u32 s20, s12, 8
	s_addc_u32 s21, s13, 0
	s_mov_b64 s[12:13], 0
.LBB187_3:                              ; =>This Inner Loop Header: Depth=1
	s_load_dwordx2 s[24:25], s[20:21], 0x0
	s_mov_b64 s[16:17], 0
	s_waitcnt lgkmcnt(0)
	v_cmp_lt_u64_e64 s15, s[22:23], s[24:25]
	s_and_b32 vcc_lo, exec_lo, s15
	s_cbranch_vccnz .LBB187_5
; %bb.4:                                ;   in Loop: Header=BB187_3 Depth=1
	v_cvt_f32_u32_e32 v1, s24
	s_sub_i32 s16, 0, s24
	v_rcp_iflag_f32_e32 v1, v1
	v_mul_f32_e32 v1, 0x4f7ffffe, v1
	v_cvt_u32_f32_e32 v1, v1
	v_readfirstlane_b32 s15, v1
	s_mul_i32 s16, s16, s15
	s_mul_hi_u32 s16, s15, s16
	s_add_i32 s15, s15, s16
	s_mul_hi_u32 s15, s22, s15
	s_mul_i32 s16, s15, s24
	s_add_i32 s17, s15, 1
	s_sub_i32 s16, s22, s16
	s_sub_i32 s18, s16, s24
	s_cmp_ge_u32 s16, s24
	s_cselect_b32 s15, s17, s15
	s_cselect_b32 s16, s18, s16
	s_add_i32 s17, s15, 1
	s_cmp_ge_u32 s16, s24
	s_cselect_b32 s18, s17, s15
	s_mov_b64 s[16:17], s[18:19]
.LBB187_5:                              ;   in Loop: Header=BB187_3 Depth=1
	s_load_dwordx2 s[28:29], s[20:21], 0xc8
	s_mul_i32 s15, s16, s25
	s_mul_hi_u32 s18, s16, s24
	s_mul_i32 s24, s16, s24
	s_add_i32 s18, s18, s15
	s_sub_u32 s15, s22, s24
	s_subb_u32 s18, s23, s18
	s_waitcnt lgkmcnt(0)
	s_mul_i32 s18, s28, s18
	s_mul_hi_u32 s22, s28, s15
	s_mul_i32 s23, s29, s15
	s_add_i32 s18, s22, s18
	s_mul_i32 s15, s28, s15
	s_add_i32 s18, s18, s23
	s_add_u32 s12, s15, s12
	s_addc_u32 s13, s18, s13
	s_add_i32 s3, s3, -1
	s_add_u32 s20, s20, -8
	s_addc_u32 s21, s21, -1
	s_cmp_gt_u32 s3, 2
	s_cbranch_scc0 .LBB187_8
; %bb.6:                                ;   in Loop: Header=BB187_3 Depth=1
	s_mov_b64 s[22:23], s[16:17]
	s_branch .LBB187_3
.LBB187_7:
	s_mov_b64 s[16:17], s[22:23]
.LBB187_8:
	v_cmp_gt_u32_e32 vcc_lo, 0x100, v0
	v_lshlrev_b32_e32 v3, 2, v0
	s_and_saveexec_b32 s3, vcc_lo
; %bb.9:
	v_mov_b32_e32 v1, 0
	ds_write_b32 v3, v1
; %bb.10:
	s_or_b32 exec_lo, exec_lo, s3
	s_load_dword s15, s[4:5], 0x1a0
	s_mul_i32 s3, s14, s2
	s_mov_b32 s17, 0
	s_sub_i32 s3, s26, s3
	s_waitcnt lgkmcnt(0)
	s_mul_i32 s14, s1, s3
	s_add_i32 s3, s3, 1
	s_lshl_b32 s18, s14, 8
	s_barrier
	buffer_gl0_inv
	s_sub_i32 s14, s15, s18
	s_add_u32 s20, s14, 0xff
	s_addc_u32 s21, 0, 0
	s_lshr_b64 s[20:21], s[20:21], 8
	s_cmp_lt_u32 s3, s2
	s_cselect_b32 s14, s1, s20
	s_cmp_lt_i32 s14, 1
	s_cbranch_scc1 .LBB187_26
; %bb.11:
	s_clause 0x2
	s_load_dwordx2 s[20:21], s[4:5], 0xd0
	s_load_dwordx2 s[2:3], s[4:5], 0x1b8
	;; [unrolled: 1-line block ×3, first 2 shown]
	v_add_nc_u32_e32 v4, s18, v0
	s_waitcnt lgkmcnt(0)
	s_mul_i32 s1, s21, s16
	s_mul_hi_u32 s19, s20, s16
	s_mul_i32 s20, s20, s16
	s_add_i32 s21, s19, s1
	s_lshl_b64 s[20:21], s[20:21], 3
	s_add_u32 s1, s4, s20
	s_addc_u32 s16, s5, s21
	s_lshl_b64 s[4:5], s[12:13], 3
	s_add_u32 s4, s1, s4
	s_addc_u32 s5, s16, s5
	s_and_b32 s1, s0, 0xff
	s_cmp_eq_u32 s14, 1
	s_cbranch_scc1 .LBB187_21
; %bb.12:
	v_mov_b32_e32 v5, 1
	v_mov_b32_e32 v6, 2
	;; [unrolled: 1-line block ×3, first 2 shown]
	s_and_b32 s12, s14, 0x7ffffffe
	s_mov_b32 s13, 0
	s_branch .LBB187_14
.LBB187_13:                             ;   in Loop: Header=BB187_14 Depth=1
	s_or_b32 exec_lo, exec_lo, s16
	v_add_nc_u32_e32 v7, 0x200, v7
	s_add_i32 s13, s13, 2
	s_cmp_eq_u32 s12, s13
	s_cbranch_scc1 .LBB187_20
.LBB187_14:                             ; =>This Inner Loop Header: Depth=1
	s_mov_b32 s16, exec_lo
	v_cmpx_gt_u32_e64 s15, v7
	s_cbranch_execz .LBB187_17
; %bb.15:                               ;   in Loop: Header=BB187_14 Depth=1
	v_mad_u64_u32 v[1:2], null, s2, v7, 0
	v_mad_u64_u32 v[8:9], null, s3, v7, v[2:3]
	v_mov_b32_e32 v2, v8
	v_lshlrev_b64 v[1:2], 3, v[1:2]
	v_add_co_u32 v1, s0, s4, v1
	v_add_co_ci_u32_e64 v2, null, s5, v2, s0
	global_load_dwordx2 v[1:2], v[1:2], off
	s_waitcnt vmcnt(0)
	v_cmp_o_f64_e64 s0, v[1:2], v[1:2]
	v_ashrrev_i32_e32 v8, 31, v2
	v_or_b32_e32 v9, 0x80000000, v8
	v_xor_b32_e32 v1, v8, v1
	v_xor_b32_e32 v9, v9, v2
	v_cndmask_b32_e64 v2, -1, v9, s0
	v_cndmask_b32_e64 v1, -1, v1, s0
	v_xor_b32_e32 v8, s11, v2
	v_xor_b32_e32 v10, s10, v1
	v_and_b32_e32 v9, s9, v8
	v_and_b32_e32 v8, s8, v10
	v_cmp_eq_u64_e64 s0, 0, v[8:9]
	s_and_b32 exec_lo, exec_lo, s0
; %bb.16:                               ;   in Loop: Header=BB187_14 Depth=1
	v_lshrrev_b64 v[1:2], s1, v[1:2]
	v_lshlrev_b32_sdwa v1, v6, v1 dst_sel:DWORD dst_unused:UNUSED_PAD src0_sel:DWORD src1_sel:BYTE_0
	ds_add_u32 v1, v5
.LBB187_17:                             ;   in Loop: Header=BB187_14 Depth=1
	s_or_b32 exec_lo, exec_lo, s16
	v_add_nc_u32_e32 v1, 0x100, v7
	s_mov_b32 s16, exec_lo
	v_cmpx_gt_u32_e64 s15, v1
	s_cbranch_execz .LBB187_13
; %bb.18:                               ;   in Loop: Header=BB187_14 Depth=1
	v_mad_u64_u32 v[8:9], null, s2, v1, 0
	v_mov_b32_e32 v2, v9
	v_mad_u64_u32 v[1:2], null, s3, v1, v[2:3]
	v_mov_b32_e32 v9, v1
	v_lshlrev_b64 v[1:2], 3, v[8:9]
	v_add_co_u32 v1, s0, s4, v1
	v_add_co_ci_u32_e64 v2, null, s5, v2, s0
	global_load_dwordx2 v[1:2], v[1:2], off
	s_waitcnt vmcnt(0)
	v_cmp_o_f64_e64 s0, v[1:2], v[1:2]
	v_ashrrev_i32_e32 v8, 31, v2
	v_or_b32_e32 v9, 0x80000000, v8
	v_xor_b32_e32 v1, v8, v1
	v_xor_b32_e32 v9, v9, v2
	v_cndmask_b32_e64 v2, -1, v9, s0
	v_cndmask_b32_e64 v1, -1, v1, s0
	v_xor_b32_e32 v8, s11, v2
	v_xor_b32_e32 v10, s10, v1
	v_and_b32_e32 v9, s9, v8
	v_and_b32_e32 v8, s8, v10
	v_cmp_eq_u64_e64 s0, 0, v[8:9]
	s_and_b32 exec_lo, exec_lo, s0
	s_cbranch_execz .LBB187_13
; %bb.19:                               ;   in Loop: Header=BB187_14 Depth=1
	v_lshrrev_b64 v[1:2], s1, v[1:2]
	v_lshlrev_b32_sdwa v1, v6, v1 dst_sel:DWORD dst_unused:UNUSED_PAD src0_sel:DWORD src1_sel:BYTE_0
	ds_add_u32 v1, v5
	s_branch .LBB187_13
.LBB187_20:
	s_lshl_b32 s17, s12, 8
.LBB187_21:
	s_bitcmp0_b32 s14, 0
	s_cbranch_scc1 .LBB187_26
; %bb.22:
	v_add_nc_u32_e32 v1, s17, v4
	s_mov_b32 s12, exec_lo
	v_cmpx_gt_u32_e64 s15, v1
	s_cbranch_execz .LBB187_25
; %bb.23:
	v_mad_u64_u32 v[4:5], null, s2, v1, 0
	v_mov_b32_e32 v2, v5
	v_mad_u64_u32 v[1:2], null, s3, v1, v[2:3]
	v_mov_b32_e32 v5, v1
	v_lshlrev_b64 v[1:2], 3, v[4:5]
	v_add_co_u32 v1, s0, s4, v1
	v_add_co_ci_u32_e64 v2, null, s5, v2, s0
	global_load_dwordx2 v[1:2], v[1:2], off
	s_waitcnt vmcnt(0)
	v_cmp_o_f64_e64 s0, v[1:2], v[1:2]
	v_ashrrev_i32_e32 v4, 31, v2
	v_or_b32_e32 v5, 0x80000000, v4
	v_xor_b32_e32 v1, v4, v1
	v_xor_b32_e32 v5, v5, v2
	v_cndmask_b32_e64 v2, -1, v5, s0
	v_cndmask_b32_e64 v1, -1, v1, s0
	v_xor_b32_e32 v4, s11, v2
	v_xor_b32_e32 v6, s10, v1
	v_and_b32_e32 v5, s9, v4
	v_and_b32_e32 v4, s8, v6
	v_cmp_eq_u64_e64 s0, 0, v[4:5]
	s_and_b32 exec_lo, exec_lo, s0
	s_cbranch_execz .LBB187_25
; %bb.24:
	v_lshrrev_b64 v[1:2], s1, v[1:2]
	v_mov_b32_e32 v2, 2
	v_lshlrev_b32_sdwa v1, v2, v1 dst_sel:DWORD dst_unused:UNUSED_PAD src0_sel:DWORD src1_sel:BYTE_0
	v_mov_b32_e32 v2, 1
	ds_add_u32 v1, v2
.LBB187_25:
	s_or_b32 exec_lo, exec_lo, s12
.LBB187_26:
	s_waitcnt lgkmcnt(0)
	s_barrier
	buffer_gl0_inv
	s_and_saveexec_b32 s0, vcc_lo
	s_cbranch_execz .LBB187_28
; %bb.27:
	ds_read_b32 v2, v3
	v_lshl_or_b32 v0, s26, 8, v0
	v_mov_b32_e32 v1, 0
	v_lshlrev_b64 v[0:1], 1, v[0:1]
	v_add_co_u32 v0, vcc_lo, s6, v0
	v_add_co_ci_u32_e64 v1, null, s7, v1, vcc_lo
	s_waitcnt lgkmcnt(0)
	global_store_short v[0:1], v2, off
.LBB187_28:
	s_endpgm
	.section	.rodata,"a",@progbits
	.p2align	6, 0x0
	.amdhsa_kernel _ZN2at6native6mbtopk23computeBlockDigitCountsIdmmLin1EEEvNS_4cuda6detail10TensorInfoIKT_T0_EEjPjjS8_iijT1_PSB_Ps
		.amdhsa_group_segment_fixed_size 1024
		.amdhsa_private_segment_fixed_size 0
		.amdhsa_kernarg_size 744
		.amdhsa_user_sgpr_count 6
		.amdhsa_user_sgpr_private_segment_buffer 1
		.amdhsa_user_sgpr_dispatch_ptr 0
		.amdhsa_user_sgpr_queue_ptr 0
		.amdhsa_user_sgpr_kernarg_segment_ptr 1
		.amdhsa_user_sgpr_dispatch_id 0
		.amdhsa_user_sgpr_flat_scratch_init 0
		.amdhsa_user_sgpr_private_segment_size 0
		.amdhsa_wavefront_size32 1
		.amdhsa_uses_dynamic_stack 0
		.amdhsa_system_sgpr_private_segment_wavefront_offset 0
		.amdhsa_system_sgpr_workgroup_id_x 1
		.amdhsa_system_sgpr_workgroup_id_y 1
		.amdhsa_system_sgpr_workgroup_id_z 1
		.amdhsa_system_sgpr_workgroup_info 0
		.amdhsa_system_vgpr_workitem_id 0
		.amdhsa_next_free_vgpr 11
		.amdhsa_next_free_sgpr 30
		.amdhsa_reserve_vcc 1
		.amdhsa_reserve_flat_scratch 0
		.amdhsa_float_round_mode_32 0
		.amdhsa_float_round_mode_16_64 0
		.amdhsa_float_denorm_mode_32 3
		.amdhsa_float_denorm_mode_16_64 3
		.amdhsa_dx10_clamp 1
		.amdhsa_ieee_mode 1
		.amdhsa_fp16_overflow 0
		.amdhsa_workgroup_processor_mode 1
		.amdhsa_memory_ordered 1
		.amdhsa_forward_progress 1
		.amdhsa_shared_vgpr_count 0
		.amdhsa_exception_fp_ieee_invalid_op 0
		.amdhsa_exception_fp_denorm_src 0
		.amdhsa_exception_fp_ieee_div_zero 0
		.amdhsa_exception_fp_ieee_overflow 0
		.amdhsa_exception_fp_ieee_underflow 0
		.amdhsa_exception_fp_ieee_inexact 0
		.amdhsa_exception_int_div_zero 0
	.end_amdhsa_kernel
	.section	.text._ZN2at6native6mbtopk23computeBlockDigitCountsIdmmLin1EEEvNS_4cuda6detail10TensorInfoIKT_T0_EEjPjjS8_iijT1_PSB_Ps,"axG",@progbits,_ZN2at6native6mbtopk23computeBlockDigitCountsIdmmLin1EEEvNS_4cuda6detail10TensorInfoIKT_T0_EEjPjjS8_iijT1_PSB_Ps,comdat
.Lfunc_end187:
	.size	_ZN2at6native6mbtopk23computeBlockDigitCountsIdmmLin1EEEvNS_4cuda6detail10TensorInfoIKT_T0_EEjPjjS8_iijT1_PSB_Ps, .Lfunc_end187-_ZN2at6native6mbtopk23computeBlockDigitCountsIdmmLin1EEEvNS_4cuda6detail10TensorInfoIKT_T0_EEjPjjS8_iijT1_PSB_Ps
                                        ; -- End function
	.set _ZN2at6native6mbtopk23computeBlockDigitCountsIdmmLin1EEEvNS_4cuda6detail10TensorInfoIKT_T0_EEjPjjS8_iijT1_PSB_Ps.num_vgpr, 11
	.set _ZN2at6native6mbtopk23computeBlockDigitCountsIdmmLin1EEEvNS_4cuda6detail10TensorInfoIKT_T0_EEjPjjS8_iijT1_PSB_Ps.num_agpr, 0
	.set _ZN2at6native6mbtopk23computeBlockDigitCountsIdmmLin1EEEvNS_4cuda6detail10TensorInfoIKT_T0_EEjPjjS8_iijT1_PSB_Ps.numbered_sgpr, 30
	.set _ZN2at6native6mbtopk23computeBlockDigitCountsIdmmLin1EEEvNS_4cuda6detail10TensorInfoIKT_T0_EEjPjjS8_iijT1_PSB_Ps.num_named_barrier, 0
	.set _ZN2at6native6mbtopk23computeBlockDigitCountsIdmmLin1EEEvNS_4cuda6detail10TensorInfoIKT_T0_EEjPjjS8_iijT1_PSB_Ps.private_seg_size, 0
	.set _ZN2at6native6mbtopk23computeBlockDigitCountsIdmmLin1EEEvNS_4cuda6detail10TensorInfoIKT_T0_EEjPjjS8_iijT1_PSB_Ps.uses_vcc, 1
	.set _ZN2at6native6mbtopk23computeBlockDigitCountsIdmmLin1EEEvNS_4cuda6detail10TensorInfoIKT_T0_EEjPjjS8_iijT1_PSB_Ps.uses_flat_scratch, 0
	.set _ZN2at6native6mbtopk23computeBlockDigitCountsIdmmLin1EEEvNS_4cuda6detail10TensorInfoIKT_T0_EEjPjjS8_iijT1_PSB_Ps.has_dyn_sized_stack, 0
	.set _ZN2at6native6mbtopk23computeBlockDigitCountsIdmmLin1EEEvNS_4cuda6detail10TensorInfoIKT_T0_EEjPjjS8_iijT1_PSB_Ps.has_recursion, 0
	.set _ZN2at6native6mbtopk23computeBlockDigitCountsIdmmLin1EEEvNS_4cuda6detail10TensorInfoIKT_T0_EEjPjjS8_iijT1_PSB_Ps.has_indirect_call, 0
	.section	.AMDGPU.csdata,"",@progbits
; Kernel info:
; codeLenInByte = 1376
; TotalNumSgprs: 32
; NumVgprs: 11
; ScratchSize: 0
; MemoryBound: 0
; FloatMode: 240
; IeeeMode: 1
; LDSByteSize: 1024 bytes/workgroup (compile time only)
; SGPRBlocks: 0
; VGPRBlocks: 1
; NumSGPRsForWavesPerEU: 32
; NumVGPRsForWavesPerEU: 11
; Occupancy: 16
; WaveLimiterHint : 0
; COMPUTE_PGM_RSRC2:SCRATCH_EN: 0
; COMPUTE_PGM_RSRC2:USER_SGPR: 6
; COMPUTE_PGM_RSRC2:TRAP_HANDLER: 0
; COMPUTE_PGM_RSRC2:TGID_X_EN: 1
; COMPUTE_PGM_RSRC2:TGID_Y_EN: 1
; COMPUTE_PGM_RSRC2:TGID_Z_EN: 1
; COMPUTE_PGM_RSRC2:TIDIG_COMP_CNT: 0
	.section	.text._ZN2at6native6mbtopk10gatherTopKIdmLin1EEEvNS_4cuda6detail10TensorInfoIKT_T0_EES8_S8_bjS8_NS5_IS6_S8_EES8_NS5_IlS8_EES8_jjPS6_PjSD_j,"axG",@progbits,_ZN2at6native6mbtopk10gatherTopKIdmLin1EEEvNS_4cuda6detail10TensorInfoIKT_T0_EES8_S8_bjS8_NS5_IS6_S8_EES8_NS5_IlS8_EES8_jjPS6_PjSD_j,comdat
	.protected	_ZN2at6native6mbtopk10gatherTopKIdmLin1EEEvNS_4cuda6detail10TensorInfoIKT_T0_EES8_S8_bjS8_NS5_IS6_S8_EES8_NS5_IlS8_EES8_jjPS6_PjSD_j ; -- Begin function _ZN2at6native6mbtopk10gatherTopKIdmLin1EEEvNS_4cuda6detail10TensorInfoIKT_T0_EES8_S8_bjS8_NS5_IS6_S8_EES8_NS5_IlS8_EES8_jjPS6_PjSD_j
	.globl	_ZN2at6native6mbtopk10gatherTopKIdmLin1EEEvNS_4cuda6detail10TensorInfoIKT_T0_EES8_S8_bjS8_NS5_IS6_S8_EES8_NS5_IlS8_EES8_jjPS6_PjSD_j
	.p2align	8
	.type	_ZN2at6native6mbtopk10gatherTopKIdmLin1EEEvNS_4cuda6detail10TensorInfoIKT_T0_EES8_S8_bjS8_NS5_IS6_S8_EES8_NS5_IlS8_EES8_jjPS6_PjSD_j,@function
_ZN2at6native6mbtopk10gatherTopKIdmLin1EEEvNS_4cuda6detail10TensorInfoIKT_T0_EES8_S8_bjS8_NS5_IS6_S8_EES8_NS5_IlS8_EES8_jjPS6_PjSD_j: ; @_ZN2at6native6mbtopk10gatherTopKIdmLin1EEEvNS_4cuda6detail10TensorInfoIKT_T0_EES8_S8_bjS8_NS5_IS6_S8_EES8_NS5_IlS8_EES8_jjPS6_PjSD_j
; %bb.0:
	s_clause 0x1
	s_load_dwordx2 s[0:1], s[4:5], 0x538
	s_load_dword s2, s[4:5], 0x530
	s_waitcnt lgkmcnt(0)
	s_mul_i32 s1, s1, s8
	s_add_i32 s1, s1, s7
	s_mul_i32 s0, s1, s0
	s_add_i32 s0, s0, s6
	s_cmp_ge_u32 s0, s2
	s_cbranch_scc1 .LBB188_61
; %bb.1:
	s_clause 0x1
	s_load_dwordx2 s[6:7], s[4:5], 0x510
	s_load_dwordx4 s[8:11], s[4:5], 0x1a0
	s_mov_b32 s13, 0
	s_waitcnt lgkmcnt(0)
	v_cvt_f32_u32_e32 v1, s7
	s_sub_i32 s2, 0, s7
	s_lshl_b32 s33, s6, 8
	v_rcp_iflag_f32_e32 v1, v1
	v_mul_f32_e32 v1, 0x4f7ffffe, v1
	v_cvt_u32_f32_e32 v1, v1
	v_readfirstlane_b32 s1, v1
	s_mul_i32 s2, s2, s1
	s_mul_hi_u32 s2, s1, s2
	s_add_i32 s1, s1, s2
	s_mul_hi_u32 s1, s0, s1
	s_mul_i32 s2, s1, s7
	s_add_i32 s3, s1, 1
	s_sub_i32 s2, s0, s2
	s_sub_i32 s12, s2, s7
	s_cmp_ge_u32 s2, s7
	s_cselect_b32 s1, s3, s1
	s_cselect_b32 s2, s12, s2
	s_add_i32 s3, s1, 1
	s_cmp_ge_u32 s2, s7
	s_cselect_b32 s12, s3, s1
	s_mul_i32 s18, s12, s7
	s_sub_i32 s52, s0, s18
	s_add_i32 s0, s52, 1
	s_cmp_lt_u32 s0, s7
	s_cbranch_scc1 .LBB188_3
; %bb.2:
	s_mul_i32 s0, s52, s33
	s_sub_u32 s0, s8, s0
	s_subb_u32 s1, s9, 0
	s_add_u32 s0, s0, 0xff
	s_addc_u32 s1, s1, 0
	s_ashr_i32 s2, s1, 31
	s_lshr_b32 s2, s2, 24
	s_add_u32 s0, s0, s2
	s_addc_u32 s1, s1, 0
	s_lshr_b64 s[0:1], s[0:1], 8
	s_mov_b32 s6, s0
.LBB188_3:
	s_load_dword s2, s[4:5], 0x198
	s_mov_b64 s[16:17], 0
	s_mov_b64 s[20:21], s[12:13]
	s_waitcnt lgkmcnt(0)
	s_cmp_lt_i32 s2, 2
	s_cbranch_scc1 .LBB188_9
; %bb.4:
	s_add_i32 s0, s2, -1
	s_mov_b32 s1, 0
	s_add_i32 s19, s2, 1
	s_lshl_b64 s[14:15], s[0:1], 3
	s_add_u32 s0, s4, s14
	s_addc_u32 s3, s5, s15
	s_add_u32 s2, s0, 8
	s_addc_u32 s3, s3, 0
	s_mov_b64 s[14:15], s[12:13]
.LBB188_5:                              ; =>This Inner Loop Header: Depth=1
	s_load_dwordx2 s[22:23], s[2:3], 0x0
	s_mov_b64 s[20:21], 0
	s_waitcnt lgkmcnt(0)
	v_cmp_lt_u64_e64 s0, s[14:15], s[22:23]
	s_and_b32 vcc_lo, exec_lo, s0
	s_cbranch_vccnz .LBB188_7
; %bb.6:                                ;   in Loop: Header=BB188_5 Depth=1
	v_cvt_f32_u32_e32 v1, s22
	s_sub_i32 s20, 0, s22
	v_rcp_iflag_f32_e32 v1, v1
	v_mul_f32_e32 v1, 0x4f7ffffe, v1
	v_cvt_u32_f32_e32 v1, v1
	v_readfirstlane_b32 s0, v1
	s_mul_i32 s20, s20, s0
	s_mul_hi_u32 s20, s0, s20
	s_add_i32 s0, s0, s20
	s_mul_hi_u32 s0, s14, s0
	s_mul_i32 s20, s0, s22
	s_add_i32 s21, s0, 1
	s_sub_i32 s20, s14, s20
	s_sub_i32 s24, s20, s22
	s_cmp_ge_u32 s20, s22
	s_cselect_b32 s0, s21, s0
	s_cselect_b32 s20, s24, s20
	s_add_i32 s21, s0, 1
	s_cmp_ge_u32 s20, s22
	s_cselect_b32 s0, s21, s0
	s_mov_b64 s[20:21], s[0:1]
.LBB188_7:                              ;   in Loop: Header=BB188_5 Depth=1
	s_load_dwordx2 s[24:25], s[2:3], 0xc8
	s_mul_i32 s0, s20, s23
	s_mul_hi_u32 s23, s20, s22
	s_mul_i32 s22, s20, s22
	s_add_i32 s23, s23, s0
	s_sub_u32 s0, s14, s22
	s_subb_u32 s14, s15, s23
	s_waitcnt lgkmcnt(0)
	s_mul_i32 s14, s24, s14
	s_mul_hi_u32 s15, s24, s0
	s_mul_i32 s22, s25, s0
	s_add_i32 s14, s15, s14
	s_mul_i32 s0, s24, s0
	s_add_i32 s14, s14, s22
	s_add_u32 s16, s0, s16
	s_addc_u32 s17, s14, s17
	s_add_i32 s19, s19, -1
	s_add_u32 s2, s2, -8
	s_addc_u32 s3, s3, -1
	s_cmp_gt_u32 s19, 2
	s_cbranch_scc0 .LBB188_9
; %bb.8:                                ;   in Loop: Header=BB188_5 Depth=1
	s_mov_b64 s[14:15], s[20:21]
	s_branch .LBB188_5
.LBB188_9:
	s_clause 0x1
	s_load_dword s14, s[4:5], 0x358
	s_load_dwordx2 s[24:25], s[4:5], 0xd0
	s_add_u32 s0, s4, 0x1c0
	s_addc_u32 s1, s5, 0
	s_mov_b64 s[22:23], 0
	s_mov_b64 s[26:27], s[12:13]
	s_waitcnt lgkmcnt(0)
	s_cmp_lt_i32 s14, 2
	s_cbranch_scc1 .LBB188_15
; %bb.10:
	s_add_i32 s2, s14, -1
	s_mov_b32 s3, 0
	s_add_i32 s19, s14, 1
	s_lshl_b64 s[22:23], s[2:3], 3
	s_mov_b64 s[28:29], s[12:13]
	s_add_u32 s2, s0, s22
	s_addc_u32 s15, s1, s23
	s_add_u32 s14, s2, 8
	s_addc_u32 s15, s15, 0
	s_mov_b64 s[22:23], 0
.LBB188_11:                             ; =>This Inner Loop Header: Depth=1
	s_load_dwordx2 s[30:31], s[14:15], 0x0
	s_mov_b64 s[26:27], 0
	s_waitcnt lgkmcnt(0)
	v_cmp_lt_u64_e64 s2, s[28:29], s[30:31]
	s_and_b32 vcc_lo, exec_lo, s2
	s_cbranch_vccnz .LBB188_13
; %bb.12:                               ;   in Loop: Header=BB188_11 Depth=1
	v_cvt_f32_u32_e32 v1, s30
	s_sub_i32 s21, 0, s30
	v_rcp_iflag_f32_e32 v1, v1
	v_mul_f32_e32 v1, 0x4f7ffffe, v1
	v_cvt_u32_f32_e32 v1, v1
	v_readfirstlane_b32 s2, v1
	s_mul_i32 s21, s21, s2
	s_mul_hi_u32 s21, s2, s21
	s_add_i32 s2, s2, s21
	s_mul_hi_u32 s2, s28, s2
	s_mul_i32 s21, s2, s30
	s_add_i32 s26, s2, 1
	s_sub_i32 s21, s28, s21
	s_sub_i32 s27, s21, s30
	s_cmp_ge_u32 s21, s30
	s_cselect_b32 s2, s26, s2
	s_cselect_b32 s21, s27, s21
	s_add_i32 s26, s2, 1
	s_cmp_ge_u32 s21, s30
	s_cselect_b32 s2, s26, s2
	s_mov_b64 s[26:27], s[2:3]
.LBB188_13:                             ;   in Loop: Header=BB188_11 Depth=1
	s_load_dwordx2 s[34:35], s[14:15], 0xc8
	s_mul_i32 s2, s26, s31
	s_mul_hi_u32 s21, s26, s30
	s_mul_i32 s30, s26, s30
	s_add_i32 s21, s21, s2
	s_sub_u32 s2, s28, s30
	s_subb_u32 s21, s29, s21
	s_waitcnt lgkmcnt(0)
	s_mul_i32 s21, s34, s21
	s_mul_hi_u32 s28, s34, s2
	s_mul_i32 s29, s35, s2
	s_add_i32 s21, s28, s21
	s_mul_i32 s2, s34, s2
	s_add_i32 s21, s21, s29
	s_add_u32 s22, s2, s22
	s_addc_u32 s23, s21, s23
	s_add_i32 s19, s19, -1
	s_add_u32 s14, s14, -8
	s_addc_u32 s15, s15, -1
	s_cmp_gt_u32 s19, 2
	s_cbranch_scc0 .LBB188_15
; %bb.14:                               ;   in Loop: Header=BB188_11 Depth=1
	s_mov_b64 s[28:29], s[26:27]
	s_branch .LBB188_11
.LBB188_15:
	s_clause 0x1
	s_load_dword s2, s[4:5], 0x500
	s_load_dwordx2 s[30:31], s[0:1], 0xd0
	s_add_u32 s3, s4, 0x368
	s_addc_u32 s14, s5, 0
	s_mov_b64 s[28:29], 0
	s_waitcnt lgkmcnt(0)
	s_cmp_lt_i32 s2, 2
	s_cbranch_scc1 .LBB188_21
; %bb.16:
	s_add_i32 s0, s2, -1
	s_mov_b32 s1, 0
	s_add_i32 s19, s2, 1
	s_lshl_b64 s[28:29], s[0:1], 3
	s_add_u32 s0, s3, s28
	s_addc_u32 s3, s14, s29
	s_add_u32 s2, s0, 8
	s_addc_u32 s3, s3, 0
	s_mov_b64 s[28:29], 0
	s_mov_b64 s[14:15], s[12:13]
.LBB188_17:                             ; =>This Inner Loop Header: Depth=1
	s_load_dwordx2 s[36:37], s[2:3], 0x0
	s_mov_b64 s[34:35], 0
	s_waitcnt lgkmcnt(0)
	v_cmp_lt_u64_e64 s0, s[14:15], s[36:37]
	s_and_b32 vcc_lo, exec_lo, s0
	s_cbranch_vccnz .LBB188_19
; %bb.18:                               ;   in Loop: Header=BB188_17 Depth=1
	v_cvt_f32_u32_e32 v1, s36
	s_sub_i32 s21, 0, s36
	v_rcp_iflag_f32_e32 v1, v1
	v_mul_f32_e32 v1, 0x4f7ffffe, v1
	v_cvt_u32_f32_e32 v1, v1
	v_readfirstlane_b32 s0, v1
	s_mul_i32 s21, s21, s0
	s_mul_hi_u32 s21, s0, s21
	s_add_i32 s0, s0, s21
	s_mul_hi_u32 s0, s14, s0
	s_mul_i32 s21, s0, s36
	s_add_i32 s27, s0, 1
	s_sub_i32 s21, s14, s21
	s_sub_i32 s34, s21, s36
	s_cmp_ge_u32 s21, s36
	s_cselect_b32 s0, s27, s0
	s_cselect_b32 s21, s34, s21
	s_add_i32 s27, s0, 1
	s_cmp_ge_u32 s21, s36
	s_cselect_b32 s0, s27, s0
	s_mov_b64 s[34:35], s[0:1]
.LBB188_19:                             ;   in Loop: Header=BB188_17 Depth=1
	s_load_dwordx2 s[38:39], s[2:3], 0xc8
	s_mul_i32 s0, s34, s37
	s_mul_hi_u32 s21, s34, s36
	s_mul_i32 s27, s34, s36
	s_add_i32 s21, s21, s0
	s_sub_u32 s0, s14, s27
	s_subb_u32 s14, s15, s21
	s_waitcnt lgkmcnt(0)
	s_mul_i32 s14, s38, s14
	s_mul_hi_u32 s15, s38, s0
	s_mul_i32 s21, s39, s0
	s_add_i32 s14, s15, s14
	s_mul_i32 s0, s38, s0
	s_add_i32 s14, s14, s21
	s_add_u32 s28, s0, s28
	s_addc_u32 s29, s14, s29
	s_add_i32 s19, s19, -1
	s_add_u32 s2, s2, -8
	s_addc_u32 s3, s3, -1
	s_cmp_gt_u32 s19, 2
	s_cbranch_scc0 .LBB188_22
; %bb.20:                               ;   in Loop: Header=BB188_17 Depth=1
	s_mov_b64 s[14:15], s[34:35]
	s_branch .LBB188_17
.LBB188_21:
	s_mov_b64 s[34:35], s[12:13]
.LBB188_22:
	s_load_dwordx4 s[0:3], s[4:5], 0x518
	s_lshl_b64 s[12:13], s[12:13], 3
	s_mov_b32 s19, 0
	s_waitcnt lgkmcnt(0)
	s_add_u32 s0, s0, s12
	s_addc_u32 s1, s1, s13
	s_clause 0x3
	s_load_dwordx2 s[40:41], s[4:5], 0x438
	s_load_dwordx2 s[44:45], s[4:5], 0x0
	;; [unrolled: 1-line block ×5, first 2 shown]
	v_cmp_ne_u32_e64 s0, 0, v0
	v_cmp_eq_u32_e64 s1, 0, v0
	s_and_saveexec_b32 s21, s1
	s_cbranch_execz .LBB188_38
; %bb.23:
	s_load_dwordx2 s[46:47], s[4:5], 0x528
	s_lshl_b64 s[48:49], s[18:19], 2
	s_mov_b32 s18, 0
	s_add_u32 s12, s2, s48
	s_addc_u32 s13, s3, s49
	s_mov_b32 s27, 0
	s_waitcnt lgkmcnt(0)
	s_add_u32 s14, s46, s48
	s_addc_u32 s15, s47, s49
	s_cmp_lt_u32 s7, 4
	s_cbranch_scc1 .LBB188_35
; %bb.24:
	s_mov_b32 s35, 0
.LBB188_25:                             ; =>This Inner Loop Header: Depth=1
	s_add_u32 s12, s2, s48
	s_addc_u32 s13, s3, s49
	s_add_u32 s50, s46, s48
	s_load_dwordx4 s[12:15], s[12:13], 0x0
	s_addc_u32 s51, s47, s49
	s_cmp_ge_u32 s35, s52
	s_cbranch_scc0 .LBB188_32
; %bb.26:                               ;   in Loop: Header=BB188_25 Depth=1
	s_add_i32 s53, s35, 1
	s_cmp_ge_u32 s53, s52
	s_cbranch_scc0 .LBB188_33
.LBB188_27:                             ;   in Loop: Header=BB188_25 Depth=1
	s_add_i32 s53, s53, 1
	s_cmp_ge_u32 s53, s52
	s_cbranch_scc0 .LBB188_34
.LBB188_28:                             ;   in Loop: Header=BB188_25 Depth=1
	s_add_i32 s53, s53, 1
	s_cmp_ge_u32 s53, s52
	s_cbranch_scc1 .LBB188_30
.LBB188_29:                             ;   in Loop: Header=BB188_25 Depth=1
	s_load_dword s50, s[50:51], 0xc
	s_waitcnt lgkmcnt(0)
	s_add_i32 s19, s19, s15
	s_add_i32 s18, s50, s18
.LBB188_30:                             ;   in Loop: Header=BB188_25 Depth=1
	s_waitcnt lgkmcnt(0)
	s_add_i32 s12, s12, s27
	s_add_i32 s12, s12, s13
	s_add_i32 s12, s12, s14
	s_add_i32 s27, s12, s15
	s_add_u32 s2, s2, 16
	s_addc_u32 s3, s3, 0
	s_add_u32 s46, s46, 16
	s_addc_u32 s47, s47, 0
	s_add_i32 s51, s53, 4
	s_add_u32 s14, s46, s48
	s_addc_u32 s15, s47, s49
	s_add_u32 s12, s2, s48
	s_addc_u32 s13, s3, s49
	s_add_i32 s50, s53, 1
	s_cmp_ge_u32 s51, s7
	s_cbranch_scc1 .LBB188_36
; %bb.31:                               ;   in Loop: Header=BB188_25 Depth=1
	s_mov_b32 s35, s50
	s_branch .LBB188_25
.LBB188_32:                             ;   in Loop: Header=BB188_25 Depth=1
	s_load_dword s53, s[50:51], 0x0
	s_waitcnt lgkmcnt(0)
	s_add_i32 s19, s12, s19
	s_add_i32 s18, s53, s18
	s_add_i32 s53, s35, 1
	s_cmp_ge_u32 s53, s52
	s_cbranch_scc1 .LBB188_27
.LBB188_33:                             ;   in Loop: Header=BB188_25 Depth=1
	s_load_dword s54, s[50:51], 0x4
	s_waitcnt lgkmcnt(0)
	s_add_i32 s19, s19, s13
	s_add_i32 s18, s54, s18
	;; [unrolled: 1-line block ×3, first 2 shown]
	s_cmp_ge_u32 s53, s52
	s_cbranch_scc1 .LBB188_28
.LBB188_34:                             ;   in Loop: Header=BB188_25 Depth=1
	s_load_dword s54, s[50:51], 0x8
	s_waitcnt lgkmcnt(0)
	s_add_i32 s19, s19, s14
	s_add_i32 s18, s54, s18
	;; [unrolled: 1-line block ×3, first 2 shown]
	s_cmp_ge_u32 s53, s52
	s_cbranch_scc0 .LBB188_29
	s_branch .LBB188_30
.LBB188_35:
	s_mov_b32 s2, 0
	s_cmp_ge_u32 s2, s7
	s_cbranch_scc0 .LBB188_59
	s_branch .LBB188_37
.LBB188_36:
	s_add_i32 s2, s35, 4
	s_cmp_ge_u32 s2, s7
	s_cbranch_scc0 .LBB188_59
.LBB188_37:
	v_mov_b32_e32 v1, s18
	v_mov_b32_e32 v2, s27
	;; [unrolled: 1-line block ×4, first 2 shown]
	ds_write_b96 v4, v[1:3] offset:1056
.LBB188_38:
	s_or_b32 exec_lo, exec_lo, s21
	s_cmp_eq_u32 s6, 0
	s_waitcnt lgkmcnt(0)
	s_barrier
	buffer_gl0_inv
	s_cbranch_scc1 .LBB188_61
; %bb.39:
	s_mul_i32 s7, s25, s20
	s_mul_hi_u32 s12, s24, s20
	s_mul_i32 s2, s31, s26
	s_mul_hi_u32 s3, s30, s26
	s_add_i32 s13, s12, s7
	s_mul_i32 s12, s24, s20
	s_add_i32 s3, s3, s2
	s_mul_i32 s2, s41, s34
	s_mul_hi_u32 s7, s40, s34
	s_lshl_b64 s[12:13], s[12:13], 3
	s_add_i32 s15, s7, s2
	s_add_u32 s7, s44, s12
	s_addc_u32 s14, s45, s13
	s_lshl_b64 s[12:13], s[16:17], 3
	v_mov_b32_e32 v5, 0
	s_add_u32 s7, s7, s12
	v_cmp_o_f64_e64 s12, s[36:37], s[36:37]
	s_mul_i32 s2, s30, s26
	s_addc_u32 s18, s14, s13
	s_lshl_b64 s[2:3], s[2:3], 3
	ds_read_b96 v[1:3], v5 offset:1056
	s_add_u32 s13, s42, s2
	s_addc_u32 s16, s43, s3
	s_lshl_b64 s[2:3], s[22:23], 3
	s_mul_i32 s14, s40, s34
	s_add_u32 s19, s13, s2
	s_addc_u32 s20, s16, s3
	s_lshl_b64 s[2:3], s[14:15], 3
	v_add_nc_u32_e32 v8, -1, v0
	s_add_u32 s13, s38, s2
	s_addc_u32 s14, s39, s3
	s_lshl_b64 s[2:3], s[28:29], 3
	v_lshrrev_b32_e32 v4, 3, v0
	s_add_u32 s21, s13, s2
	s_addc_u32 s22, s14, s3
	s_ashr_i32 s2, s37, 31
	v_lshrrev_b32_e32 v6, 3, v8
	s_or_b32 s3, s2, 0x80000000
	v_lshlrev_b32_e32 v9, 5, v0
	s_xor_b64 s[2:3], s[2:3], s[36:37]
	s_and_b32 s12, s12, exec_lo
	s_cselect_b32 s13, s3, -1
	s_clause 0x3
	s_load_dword s3, s[4:5], 0x1b0
	s_load_dwordx2 s[14:15], s[4:5], 0x1b8
	s_load_dwordx2 s[16:17], s[4:5], 0x360
	;; [unrolled: 1-line block ×3, first 2 shown]
	s_waitcnt lgkmcnt(0)
	v_add_nc_u32_e32 v1, v1, v2
	v_and_b32_e32 v12, 0x1ffffffc, v6
	v_and_b32_e32 v2, 28, v4
	;; [unrolled: 1-line block ×3, first 2 shown]
	v_mbcnt_lo_u32_b32 v10, -1, 0
	v_mad_u64_u32 v[6:7], null, s52, s33, v[0:1]
	s_cselect_b32 s12, s2, -1
	v_lshl_add_u32 v11, v0, 2, v2
	v_cmp_gt_u32_e64 s2, 32, v0
	v_lshl_add_u32 v0, v8, 2, v12
	v_add_nc_u32_e32 v12, v4, v9
	v_and_b32_e32 v13, 15, v10
	v_bfe_i32 v14, v10, 4, 1
	v_add_nc_u32_e32 v15, -1, v10
	v_mov_b32_e32 v4, v6
	s_bitcmp1_b32 s3, 0
                                        ; implicit-def: $vgpr6_vgpr7
	s_cselect_b32 s3, -1, 0
	s_branch .LBB188_42
.LBB188_40:                             ;   in Loop: Header=BB188_42 Depth=1
	s_or_b32 exec_lo, exec_lo, s23
	v_add_nc_u32_e32 v1, v2, v1
.LBB188_41:                             ;   in Loop: Header=BB188_42 Depth=1
	v_add_nc_u32_e32 v3, v16, v3
	v_add_nc_u32_e32 v4, 0x100, v4
	s_add_i32 s6, s6, -1
	s_cmp_lg_u32 s6, 0
	s_cbranch_scc0 .LBB188_61
.LBB188_42:                             ; =>This Inner Loop Header: Depth=1
	v_mov_b32_e32 v2, v5
	v_mov_b32_e32 v8, v5
	s_mov_b32 s23, exec_lo
	v_cmpx_gt_u64_e64 s[8:9], v[4:5]
	s_cbranch_execz .LBB188_44
; %bb.43:                               ;   in Loop: Header=BB188_42 Depth=1
	v_mad_u64_u32 v[6:7], null, s14, v4, 0
	v_mov_b32_e32 v2, v7
	v_mad_u64_u32 v[7:8], null, s15, v4, v[2:3]
	v_lshlrev_b64 v[6:7], 3, v[6:7]
	v_add_co_u32 v6, vcc_lo, s7, v6
	v_add_co_ci_u32_e64 v7, null, s18, v7, vcc_lo
	global_load_dwordx2 v[6:7], v[6:7], off
	s_waitcnt vmcnt(0)
	v_cmp_o_f64_e32 vcc_lo, v[6:7], v[6:7]
	v_ashrrev_i32_e32 v2, 31, v7
	v_or_b32_e32 v8, 0x80000000, v2
	v_xor_b32_e32 v2, v2, v6
	v_xor_b32_e32 v8, v8, v7
	v_cndmask_b32_e32 v9, -1, v8, vcc_lo
	v_cndmask_b32_e32 v8, -1, v2, vcc_lo
	v_cmp_lt_u64_e32 vcc_lo, s[12:13], v[8:9]
	v_cndmask_b32_e64 v2, 0, 1, vcc_lo
	v_cmp_gt_u64_e32 vcc_lo, s[12:13], v[8:9]
	v_cndmask_b32_e64 v16, 0, 1, vcc_lo
	v_cmp_eq_u64_e32 vcc_lo, s[12:13], v[8:9]
	v_cndmask_b32_e64 v2, v16, v2, s3
	v_cndmask_b32_e64 v8, 0, 1, vcc_lo
	v_and_b32_e32 v2, 1, v2
.LBB188_44:                             ;   in Loop: Header=BB188_42 Depth=1
	s_or_b32 exec_lo, exec_lo, s23
	ds_write_b32 v11, v2
	s_waitcnt lgkmcnt(0)
	s_barrier
	buffer_gl0_inv
	s_and_saveexec_b32 s23, s2
	s_cbranch_execz .LBB188_46
; %bb.45:                               ;   in Loop: Header=BB188_42 Depth=1
	ds_read2_b32 v[16:17], v12 offset1:1
	ds_read2_b32 v[18:19], v12 offset0:2 offset1:3
	ds_read2_b32 v[20:21], v12 offset0:4 offset1:5
	;; [unrolled: 1-line block ×3, first 2 shown]
	v_cmp_ne_u32_e32 vcc_lo, 0, v13
	; wave barrier
	s_waitcnt lgkmcnt(3)
	v_add_nc_u32_e32 v9, v17, v16
	s_waitcnt lgkmcnt(2)
	v_add3_u32 v9, v9, v18, v19
	s_waitcnt lgkmcnt(1)
	v_add3_u32 v9, v9, v20, v21
	;; [unrolled: 2-line block ×3, first 2 shown]
	v_mov_b32_dpp v17, v9 row_shr:1 row_mask:0xf bank_mask:0xf
	v_cndmask_b32_e32 v17, 0, v17, vcc_lo
	v_cmp_lt_u32_e32 vcc_lo, 1, v13
	v_add_nc_u32_e32 v9, v17, v9
	v_mov_b32_dpp v17, v9 row_shr:2 row_mask:0xf bank_mask:0xf
	v_cndmask_b32_e32 v17, 0, v17, vcc_lo
	v_cmp_lt_u32_e32 vcc_lo, 3, v13
	v_add_nc_u32_e32 v9, v9, v17
	v_mov_b32_dpp v17, v9 row_shr:4 row_mask:0xf bank_mask:0xf
	v_cndmask_b32_e32 v17, 0, v17, vcc_lo
	v_cmp_lt_u32_e32 vcc_lo, 7, v13
	v_add_nc_u32_e32 v9, v9, v17
	v_mov_b32_dpp v17, v9 row_shr:8 row_mask:0xf bank_mask:0xf
	v_cndmask_b32_e32 v17, 0, v17, vcc_lo
	v_cmp_gt_i32_e32 vcc_lo, 0, v15
	v_add_nc_u32_e32 v9, v9, v17
	v_cndmask_b32_e32 v18, v15, v10, vcc_lo
	ds_swizzle_b32 v17, v9 offset:swizzle(BROADCAST,32,15)
	v_lshlrev_b32_e32 v18, 2, v18
	s_waitcnt lgkmcnt(0)
	v_and_b32_e32 v17, v14, v17
	v_add_nc_u32_e32 v9, v9, v17
	ds_bpermute_b32 v9, v18, v9
	s_waitcnt lgkmcnt(0)
	v_add_nc_u32_e32 v9, v9, v16
	v_cndmask_b32_e64 v9, v9, v2, s1
	ds_write_b32 v12, v9
	; wave barrier
	ds_read2_b32 v[16:17], v12 offset0:1 offset1:2
	ds_read2_b32 v[18:19], v12 offset0:3 offset1:4
	;; [unrolled: 1-line block ×3, first 2 shown]
	ds_read_b32 v22, v12 offset:28
	s_waitcnt lgkmcnt(3)
	v_add_nc_u32_e32 v9, v16, v9
	v_add_nc_u32_e32 v16, v17, v9
	s_waitcnt lgkmcnt(2)
	v_add_nc_u32_e32 v17, v18, v16
	v_add_nc_u32_e32 v18, v19, v17
	;; [unrolled: 3-line block ×3, first 2 shown]
	s_waitcnt lgkmcnt(0)
	v_add_nc_u32_e32 v21, v22, v20
	ds_write2_b32 v12, v9, v16 offset0:1 offset1:2
	ds_write2_b32 v12, v17, v18 offset0:3 offset1:4
	;; [unrolled: 1-line block ×3, first 2 shown]
	ds_write_b32 v12, v21 offset:28
.LBB188_46:                             ;   in Loop: Header=BB188_42 Depth=1
	s_or_b32 exec_lo, exec_lo, s23
	v_mov_b32_e32 v9, 0
	s_waitcnt lgkmcnt(0)
	s_barrier
	buffer_gl0_inv
	s_and_saveexec_b32 s23, s0
; %bb.47:                               ;   in Loop: Header=BB188_42 Depth=1
	ds_read_b32 v9, v0
; %bb.48:                               ;   in Loop: Header=BB188_42 Depth=1
	s_or_b32 exec_lo, exec_lo, s23
	ds_read_b32 v16, v5 offset:1048
	s_mov_b32 s23, exec_lo
	s_waitcnt lgkmcnt(0)
	s_barrier
	buffer_gl0_inv
	v_cmpx_ne_u32_e32 0, v2
	s_cbranch_execz .LBB188_50
; %bb.49:                               ;   in Loop: Header=BB188_42 Depth=1
	v_add_nc_u32_e32 v22, v9, v3
	v_mad_u64_u32 v[17:18], null, s16, v22, 0
	v_mad_u64_u32 v[19:20], null, s4, v22, 0
	v_mov_b32_e32 v2, v18
	v_mov_b32_e32 v9, v20
	v_mad_u64_u32 v[20:21], null, s17, v22, v[2:3]
	v_mad_u64_u32 v[21:22], null, s5, v22, v[9:10]
	v_mov_b32_e32 v18, v20
	v_mov_b32_e32 v20, v21
	v_lshlrev_b64 v[17:18], 3, v[17:18]
	v_lshlrev_b64 v[19:20], 3, v[19:20]
	v_add_co_u32 v17, vcc_lo, s19, v17
	v_add_co_ci_u32_e64 v18, null, s20, v18, vcc_lo
	v_add_co_u32 v19, vcc_lo, s21, v19
	v_add_co_ci_u32_e64 v20, null, s22, v20, vcc_lo
	global_store_dwordx2 v[17:18], v[6:7], off
	global_store_dwordx2 v[19:20], v[4:5], off
.LBB188_50:                             ;   in Loop: Header=BB188_42 Depth=1
	s_or_b32 exec_lo, exec_lo, s23
	v_mov_b32_e32 v2, v5
	v_cmp_le_u64_e32 vcc_lo, s[10:11], v[1:2]
	s_cbranch_vccnz .LBB188_41
; %bb.51:                               ;   in Loop: Header=BB188_42 Depth=1
	ds_write_b32 v11, v8
	s_waitcnt lgkmcnt(0)
	s_waitcnt_vscnt null, 0x0
	s_barrier
	buffer_gl0_inv
	s_and_saveexec_b32 s23, s2
	s_cbranch_execz .LBB188_53
; %bb.52:                               ;   in Loop: Header=BB188_42 Depth=1
	ds_read2_b32 v[17:18], v12 offset1:1
	ds_read2_b32 v[19:20], v12 offset0:2 offset1:3
	ds_read2_b32 v[21:22], v12 offset0:4 offset1:5
	;; [unrolled: 1-line block ×3, first 2 shown]
	v_cmp_ne_u32_e32 vcc_lo, 0, v13
	; wave barrier
	s_waitcnt lgkmcnt(3)
	v_add_nc_u32_e32 v2, v18, v17
	s_waitcnt lgkmcnt(2)
	v_add3_u32 v2, v2, v19, v20
	s_waitcnt lgkmcnt(1)
	v_add3_u32 v2, v2, v21, v22
	s_waitcnt lgkmcnt(0)
	v_add3_u32 v2, v2, v23, v24
	v_mov_b32_dpp v9, v2 row_shr:1 row_mask:0xf bank_mask:0xf
	v_cndmask_b32_e32 v9, 0, v9, vcc_lo
	v_cmp_lt_u32_e32 vcc_lo, 1, v13
	v_add_nc_u32_e32 v2, v9, v2
	v_mov_b32_dpp v9, v2 row_shr:2 row_mask:0xf bank_mask:0xf
	v_cndmask_b32_e32 v9, 0, v9, vcc_lo
	v_cmp_lt_u32_e32 vcc_lo, 3, v13
	v_add_nc_u32_e32 v2, v2, v9
	;; [unrolled: 4-line block ×3, first 2 shown]
	v_mov_b32_dpp v9, v2 row_shr:8 row_mask:0xf bank_mask:0xf
	v_cndmask_b32_e32 v9, 0, v9, vcc_lo
	v_cmp_gt_i32_e32 vcc_lo, 0, v15
	v_add_nc_u32_e32 v2, v2, v9
	v_cndmask_b32_e32 v18, v15, v10, vcc_lo
	ds_swizzle_b32 v9, v2 offset:swizzle(BROADCAST,32,15)
	v_lshlrev_b32_e32 v18, 2, v18
	s_waitcnt lgkmcnt(0)
	v_and_b32_e32 v9, v14, v9
	v_add_nc_u32_e32 v2, v2, v9
	ds_bpermute_b32 v2, v18, v2
	s_waitcnt lgkmcnt(0)
	v_add_nc_u32_e32 v2, v2, v17
	v_cndmask_b32_e64 v2, v2, v8, s1
	ds_write_b32 v12, v2
	; wave barrier
	ds_read2_b32 v[17:18], v12 offset0:1 offset1:2
	ds_read2_b32 v[19:20], v12 offset0:3 offset1:4
	;; [unrolled: 1-line block ×3, first 2 shown]
	ds_read_b32 v9, v12 offset:28
	s_waitcnt lgkmcnt(3)
	v_add_nc_u32_e32 v2, v17, v2
	v_add_nc_u32_e32 v17, v18, v2
	s_waitcnt lgkmcnt(2)
	v_add_nc_u32_e32 v18, v19, v17
	v_add_nc_u32_e32 v19, v20, v18
	;; [unrolled: 3-line block ×3, first 2 shown]
	s_waitcnt lgkmcnt(0)
	v_add_nc_u32_e32 v9, v9, v21
	ds_write2_b32 v12, v2, v17 offset0:1 offset1:2
	ds_write2_b32 v12, v18, v19 offset0:3 offset1:4
	;; [unrolled: 1-line block ×3, first 2 shown]
	ds_write_b32 v12, v9 offset:28
.LBB188_53:                             ;   in Loop: Header=BB188_42 Depth=1
	s_or_b32 exec_lo, exec_lo, s23
	v_mov_b32_e32 v9, 0
	s_waitcnt lgkmcnt(0)
	s_barrier
	buffer_gl0_inv
	s_and_saveexec_b32 s23, s0
; %bb.54:                               ;   in Loop: Header=BB188_42 Depth=1
	ds_read_b32 v9, v0
; %bb.55:                               ;   in Loop: Header=BB188_42 Depth=1
	s_or_b32 exec_lo, exec_lo, s23
	ds_read_b32 v2, v5 offset:1048
	s_mov_b32 s23, exec_lo
	s_waitcnt lgkmcnt(0)
	s_barrier
	buffer_gl0_inv
	v_cmpx_ne_u32_e32 0, v8
	s_cbranch_execz .LBB188_40
; %bb.56:                               ;   in Loop: Header=BB188_42 Depth=1
	v_add_nc_u32_e32 v8, v9, v1
	v_mov_b32_e32 v9, v5
	v_cmp_gt_u64_e32 vcc_lo, s[10:11], v[8:9]
	s_and_b32 exec_lo, exec_lo, vcc_lo
	s_cbranch_execz .LBB188_40
; %bb.57:                               ;   in Loop: Header=BB188_42 Depth=1
	v_mad_u64_u32 v[17:18], null, s16, v8, 0
	v_mad_u64_u32 v[19:20], null, s4, v8, 0
	v_mov_b32_e32 v9, v18
	v_mov_b32_e32 v18, v20
	v_mad_u64_u32 v[20:21], null, s17, v8, v[9:10]
	v_mad_u64_u32 v[8:9], null, s5, v8, v[18:19]
	v_mov_b32_e32 v18, v20
	v_mov_b32_e32 v20, v8
	v_lshlrev_b64 v[8:9], 3, v[17:18]
	v_lshlrev_b64 v[17:18], 3, v[19:20]
	v_add_co_u32 v8, vcc_lo, s19, v8
	v_add_co_ci_u32_e64 v9, null, s20, v9, vcc_lo
	v_add_co_u32 v17, vcc_lo, s21, v17
	v_add_co_ci_u32_e64 v18, null, s22, v18, vcc_lo
	global_store_dwordx2 v[8:9], v[6:7], off
	global_store_dwordx2 v[17:18], v[4:5], off
	s_branch .LBB188_40
	.p2align	6
.LBB188_58:                             ;   in Loop: Header=BB188_59 Depth=1
	s_add_u32 s12, s12, 4
	s_addc_u32 s13, s13, 0
	s_waitcnt lgkmcnt(0)
	s_add_i32 s27, s3, s27
	s_add_u32 s14, s14, 4
	s_addc_u32 s15, s15, 0
	s_add_i32 s2, s2, 1
	s_cmp_lt_u32 s2, s7
	s_cbranch_scc0 .LBB188_37
.LBB188_59:                             ; =>This Inner Loop Header: Depth=1
	s_load_dword s3, s[12:13], 0x0
	s_cmp_ge_u32 s2, s52
	s_cbranch_scc1 .LBB188_58
; %bb.60:                               ;   in Loop: Header=BB188_59 Depth=1
	s_load_dword s35, s[14:15], 0x0
	s_waitcnt lgkmcnt(0)
	s_add_i32 s19, s3, s19
	s_add_i32 s18, s35, s18
	s_branch .LBB188_58
.LBB188_61:
	s_endpgm
	.section	.rodata,"a",@progbits
	.p2align	6, 0x0
	.amdhsa_kernel _ZN2at6native6mbtopk10gatherTopKIdmLin1EEEvNS_4cuda6detail10TensorInfoIKT_T0_EES8_S8_bjS8_NS5_IS6_S8_EES8_NS5_IlS8_EES8_jjPS6_PjSD_j
		.amdhsa_group_segment_fixed_size 1068
		.amdhsa_private_segment_fixed_size 0
		.amdhsa_kernarg_size 1592
		.amdhsa_user_sgpr_count 6
		.amdhsa_user_sgpr_private_segment_buffer 1
		.amdhsa_user_sgpr_dispatch_ptr 0
		.amdhsa_user_sgpr_queue_ptr 0
		.amdhsa_user_sgpr_kernarg_segment_ptr 1
		.amdhsa_user_sgpr_dispatch_id 0
		.amdhsa_user_sgpr_flat_scratch_init 0
		.amdhsa_user_sgpr_private_segment_size 0
		.amdhsa_wavefront_size32 1
		.amdhsa_uses_dynamic_stack 0
		.amdhsa_system_sgpr_private_segment_wavefront_offset 0
		.amdhsa_system_sgpr_workgroup_id_x 1
		.amdhsa_system_sgpr_workgroup_id_y 1
		.amdhsa_system_sgpr_workgroup_id_z 1
		.amdhsa_system_sgpr_workgroup_info 0
		.amdhsa_system_vgpr_workitem_id 0
		.amdhsa_next_free_vgpr 25
		.amdhsa_next_free_sgpr 55
		.amdhsa_reserve_vcc 1
		.amdhsa_reserve_flat_scratch 0
		.amdhsa_float_round_mode_32 0
		.amdhsa_float_round_mode_16_64 0
		.amdhsa_float_denorm_mode_32 3
		.amdhsa_float_denorm_mode_16_64 3
		.amdhsa_dx10_clamp 1
		.amdhsa_ieee_mode 1
		.amdhsa_fp16_overflow 0
		.amdhsa_workgroup_processor_mode 1
		.amdhsa_memory_ordered 1
		.amdhsa_forward_progress 1
		.amdhsa_shared_vgpr_count 0
		.amdhsa_exception_fp_ieee_invalid_op 0
		.amdhsa_exception_fp_denorm_src 0
		.amdhsa_exception_fp_ieee_div_zero 0
		.amdhsa_exception_fp_ieee_overflow 0
		.amdhsa_exception_fp_ieee_underflow 0
		.amdhsa_exception_fp_ieee_inexact 0
		.amdhsa_exception_int_div_zero 0
	.end_amdhsa_kernel
	.section	.text._ZN2at6native6mbtopk10gatherTopKIdmLin1EEEvNS_4cuda6detail10TensorInfoIKT_T0_EES8_S8_bjS8_NS5_IS6_S8_EES8_NS5_IlS8_EES8_jjPS6_PjSD_j,"axG",@progbits,_ZN2at6native6mbtopk10gatherTopKIdmLin1EEEvNS_4cuda6detail10TensorInfoIKT_T0_EES8_S8_bjS8_NS5_IS6_S8_EES8_NS5_IlS8_EES8_jjPS6_PjSD_j,comdat
.Lfunc_end188:
	.size	_ZN2at6native6mbtopk10gatherTopKIdmLin1EEEvNS_4cuda6detail10TensorInfoIKT_T0_EES8_S8_bjS8_NS5_IS6_S8_EES8_NS5_IlS8_EES8_jjPS6_PjSD_j, .Lfunc_end188-_ZN2at6native6mbtopk10gatherTopKIdmLin1EEEvNS_4cuda6detail10TensorInfoIKT_T0_EES8_S8_bjS8_NS5_IS6_S8_EES8_NS5_IlS8_EES8_jjPS6_PjSD_j
                                        ; -- End function
	.set _ZN2at6native6mbtopk10gatherTopKIdmLin1EEEvNS_4cuda6detail10TensorInfoIKT_T0_EES8_S8_bjS8_NS5_IS6_S8_EES8_NS5_IlS8_EES8_jjPS6_PjSD_j.num_vgpr, 25
	.set _ZN2at6native6mbtopk10gatherTopKIdmLin1EEEvNS_4cuda6detail10TensorInfoIKT_T0_EES8_S8_bjS8_NS5_IS6_S8_EES8_NS5_IlS8_EES8_jjPS6_PjSD_j.num_agpr, 0
	.set _ZN2at6native6mbtopk10gatherTopKIdmLin1EEEvNS_4cuda6detail10TensorInfoIKT_T0_EES8_S8_bjS8_NS5_IS6_S8_EES8_NS5_IlS8_EES8_jjPS6_PjSD_j.numbered_sgpr, 55
	.set _ZN2at6native6mbtopk10gatherTopKIdmLin1EEEvNS_4cuda6detail10TensorInfoIKT_T0_EES8_S8_bjS8_NS5_IS6_S8_EES8_NS5_IlS8_EES8_jjPS6_PjSD_j.num_named_barrier, 0
	.set _ZN2at6native6mbtopk10gatherTopKIdmLin1EEEvNS_4cuda6detail10TensorInfoIKT_T0_EES8_S8_bjS8_NS5_IS6_S8_EES8_NS5_IlS8_EES8_jjPS6_PjSD_j.private_seg_size, 0
	.set _ZN2at6native6mbtopk10gatherTopKIdmLin1EEEvNS_4cuda6detail10TensorInfoIKT_T0_EES8_S8_bjS8_NS5_IS6_S8_EES8_NS5_IlS8_EES8_jjPS6_PjSD_j.uses_vcc, 1
	.set _ZN2at6native6mbtopk10gatherTopKIdmLin1EEEvNS_4cuda6detail10TensorInfoIKT_T0_EES8_S8_bjS8_NS5_IS6_S8_EES8_NS5_IlS8_EES8_jjPS6_PjSD_j.uses_flat_scratch, 0
	.set _ZN2at6native6mbtopk10gatherTopKIdmLin1EEEvNS_4cuda6detail10TensorInfoIKT_T0_EES8_S8_bjS8_NS5_IS6_S8_EES8_NS5_IlS8_EES8_jjPS6_PjSD_j.has_dyn_sized_stack, 0
	.set _ZN2at6native6mbtopk10gatherTopKIdmLin1EEEvNS_4cuda6detail10TensorInfoIKT_T0_EES8_S8_bjS8_NS5_IS6_S8_EES8_NS5_IlS8_EES8_jjPS6_PjSD_j.has_recursion, 0
	.set _ZN2at6native6mbtopk10gatherTopKIdmLin1EEEvNS_4cuda6detail10TensorInfoIKT_T0_EES8_S8_bjS8_NS5_IS6_S8_EES8_NS5_IlS8_EES8_jjPS6_PjSD_j.has_indirect_call, 0
	.section	.AMDGPU.csdata,"",@progbits
; Kernel info:
; codeLenInByte = 3408
; TotalNumSgprs: 57
; NumVgprs: 25
; ScratchSize: 0
; MemoryBound: 0
; FloatMode: 240
; IeeeMode: 1
; LDSByteSize: 1068 bytes/workgroup (compile time only)
; SGPRBlocks: 0
; VGPRBlocks: 3
; NumSGPRsForWavesPerEU: 57
; NumVGPRsForWavesPerEU: 25
; Occupancy: 16
; WaveLimiterHint : 1
; COMPUTE_PGM_RSRC2:SCRATCH_EN: 0
; COMPUTE_PGM_RSRC2:USER_SGPR: 6
; COMPUTE_PGM_RSRC2:TRAP_HANDLER: 0
; COMPUTE_PGM_RSRC2:TGID_X_EN: 1
; COMPUTE_PGM_RSRC2:TGID_Y_EN: 1
; COMPUTE_PGM_RSRC2:TGID_Z_EN: 1
; COMPUTE_PGM_RSRC2:TIDIG_COMP_CNT: 0
	.section	.text._ZN2at6native6sbtopk10gatherTopKIdmLin1ELb0EEEvNS_4cuda6detail10TensorInfoIKT_T0_EES8_S8_bS8_S8_NS5_IS6_S8_EES8_NS5_IlS8_EES8_PS6_,"axG",@progbits,_ZN2at6native6sbtopk10gatherTopKIdmLin1ELb0EEEvNS_4cuda6detail10TensorInfoIKT_T0_EES8_S8_bS8_S8_NS5_IS6_S8_EES8_NS5_IlS8_EES8_PS6_,comdat
	.protected	_ZN2at6native6sbtopk10gatherTopKIdmLin1ELb0EEEvNS_4cuda6detail10TensorInfoIKT_T0_EES8_S8_bS8_S8_NS5_IS6_S8_EES8_NS5_IlS8_EES8_PS6_ ; -- Begin function _ZN2at6native6sbtopk10gatherTopKIdmLin1ELb0EEEvNS_4cuda6detail10TensorInfoIKT_T0_EES8_S8_bS8_S8_NS5_IS6_S8_EES8_NS5_IlS8_EES8_PS6_
	.globl	_ZN2at6native6sbtopk10gatherTopKIdmLin1ELb0EEEvNS_4cuda6detail10TensorInfoIKT_T0_EES8_S8_bS8_S8_NS5_IS6_S8_EES8_NS5_IlS8_EES8_PS6_
	.p2align	8
	.type	_ZN2at6native6sbtopk10gatherTopKIdmLin1ELb0EEEvNS_4cuda6detail10TensorInfoIKT_T0_EES8_S8_bS8_S8_NS5_IS6_S8_EES8_NS5_IlS8_EES8_PS6_,@function
_ZN2at6native6sbtopk10gatherTopKIdmLin1ELb0EEEvNS_4cuda6detail10TensorInfoIKT_T0_EES8_S8_bS8_S8_NS5_IS6_S8_EES8_NS5_IlS8_EES8_PS6_: ; @_ZN2at6native6sbtopk10gatherTopKIdmLin1ELb0EEEvNS_4cuda6detail10TensorInfoIKT_T0_EES8_S8_bS8_S8_NS5_IS6_S8_EES8_NS5_IlS8_EES8_PS6_
; %bb.0:
	s_clause 0x1
	s_load_dwordx2 s[12:13], s[4:5], 0x520
	s_load_dwordx4 s[24:27], s[4:5], 0x1b8
	s_add_u32 s10, s4, 0x520
	s_addc_u32 s11, s5, 0
	s_mov_b32 s3, 0
	s_waitcnt lgkmcnt(0)
	s_mul_i32 s0, s13, s8
	s_add_i32 s0, s0, s7
	s_mul_i32 s0, s0, s12
	s_add_i32 s2, s0, s6
	v_cmp_le_u64_e64 s0, s[24:25], s[2:3]
	s_and_b32 vcc_lo, exec_lo, s0
	s_cbranch_vccnz .LBB189_509
; %bb.1:
	s_load_dword s7, s[4:5], 0x198
	s_mov_b64 s[0:1], 0
	s_mov_b64 s[8:9], s[2:3]
	s_waitcnt lgkmcnt(0)
	s_cmp_lt_i32 s7, 2
	s_cbranch_scc1 .LBB189_9
; %bb.2:
	s_mov_b32 s14, 0
	s_add_i32 s0, s7, -1
	s_mov_b32 s1, s14
	s_add_i32 s7, s7, 1
	s_lshl_b64 s[8:9], s[0:1], 3
	s_mov_b64 s[0:1], 0
	s_add_u32 s8, s4, s8
	s_addc_u32 s9, s5, s9
	s_add_u32 s16, s8, 8
	s_addc_u32 s17, s9, 0
	s_mov_b64 s[18:19], s[2:3]
.LBB189_3:                              ; =>This Inner Loop Header: Depth=1
	s_load_dwordx2 s[20:21], s[16:17], 0x0
	s_mov_b32 s13, -1
	s_waitcnt lgkmcnt(0)
	s_or_b64 s[8:9], s[18:19], s[20:21]
	s_mov_b32 s15, s9
                                        ; implicit-def: $sgpr8_sgpr9
	s_cmp_lg_u64 s[14:15], 0
	s_cbranch_scc0 .LBB189_5
; %bb.4:                                ;   in Loop: Header=BB189_3 Depth=1
	v_cvt_f32_u32_e32 v1, s20
	v_cvt_f32_u32_e32 v2, s21
	s_sub_u32 s13, 0, s20
	s_subb_u32 s15, 0, s21
	v_fmac_f32_e32 v1, 0x4f800000, v2
	v_rcp_f32_e32 v1, v1
	v_mul_f32_e32 v1, 0x5f7ffffc, v1
	v_mul_f32_e32 v2, 0x2f800000, v1
	v_trunc_f32_e32 v2, v2
	v_fmac_f32_e32 v1, 0xcf800000, v2
	v_cvt_u32_f32_e32 v2, v2
	v_cvt_u32_f32_e32 v1, v1
	v_readfirstlane_b32 s8, v2
	v_readfirstlane_b32 s9, v1
	s_mul_i32 s22, s13, s8
	s_mul_hi_u32 s24, s13, s9
	s_mul_i32 s23, s15, s9
	s_add_i32 s22, s24, s22
	s_mul_i32 s25, s13, s9
	s_add_i32 s22, s22, s23
	s_mul_hi_u32 s24, s9, s25
	s_mul_i32 s29, s9, s22
	s_mul_hi_u32 s28, s8, s25
	s_mul_i32 s23, s8, s25
	s_mul_hi_u32 s25, s9, s22
	s_add_u32 s24, s24, s29
	s_addc_u32 s25, 0, s25
	s_mul_hi_u32 s30, s8, s22
	s_add_u32 s23, s24, s23
	s_mul_i32 s22, s8, s22
	s_addc_u32 s23, s25, s28
	s_addc_u32 s24, s30, 0
	s_add_u32 s22, s23, s22
	s_addc_u32 s23, 0, s24
	s_add_u32 s9, s9, s22
	s_cselect_b32 s22, -1, 0
	s_mul_hi_u32 s24, s13, s9
	s_cmp_lg_u32 s22, 0
	s_mul_i32 s22, s13, s9
	s_addc_u32 s8, s8, s23
	s_mul_i32 s15, s15, s9
	s_mul_i32 s13, s13, s8
	s_mul_hi_u32 s23, s9, s22
	s_add_i32 s13, s24, s13
	s_mul_hi_u32 s24, s8, s22
	s_add_i32 s13, s13, s15
	s_mul_i32 s15, s8, s22
	s_mul_i32 s28, s9, s13
	s_mul_hi_u32 s25, s9, s13
	s_add_u32 s23, s23, s28
	s_addc_u32 s25, 0, s25
	s_mul_hi_u32 s22, s8, s13
	s_add_u32 s15, s23, s15
	s_mul_i32 s13, s8, s13
	s_addc_u32 s15, s25, s24
	s_addc_u32 s22, s22, 0
	s_add_u32 s13, s15, s13
	s_addc_u32 s15, 0, s22
	s_add_u32 s9, s9, s13
	s_cselect_b32 s13, -1, 0
	s_mul_hi_u32 s22, s18, s9
	s_cmp_lg_u32 s13, 0
	s_mul_hi_u32 s13, s19, s9
	s_addc_u32 s8, s8, s15
	s_mul_i32 s9, s19, s9
	s_mul_i32 s23, s18, s8
	s_mul_hi_u32 s15, s18, s8
	s_add_u32 s22, s22, s23
	s_addc_u32 s15, 0, s15
	s_mul_hi_u32 s24, s19, s8
	s_add_u32 s9, s22, s9
	s_mul_i32 s8, s19, s8
	s_addc_u32 s9, s15, s13
	s_addc_u32 s13, s24, 0
	s_add_u32 s8, s9, s8
	s_addc_u32 s9, 0, s13
	s_mul_hi_u32 s13, s20, s8
	s_mul_i32 s15, s20, s9
	s_mul_i32 s22, s21, s8
	s_add_i32 s13, s13, s15
	s_mul_i32 s15, s20, s8
	s_add_i32 s13, s13, s22
	s_sub_i32 s22, s19, s13
	s_sub_u32 s15, s18, s15
	s_cselect_b32 s23, -1, 0
	s_cmp_lg_u32 s23, 0
	s_subb_u32 s22, s22, s21
	s_sub_u32 s24, s15, s20
	s_cselect_b32 s25, -1, 0
	s_cmp_lg_u32 s25, 0
	s_subb_u32 s22, s22, 0
	s_cmp_ge_u32 s22, s21
	s_cselect_b32 s25, -1, 0
	s_cmp_ge_u32 s24, s20
	s_cselect_b32 s24, -1, 0
	s_cmp_eq_u32 s22, s21
	s_cselect_b32 s22, s24, s25
	s_add_u32 s24, s8, 1
	s_addc_u32 s25, s9, 0
	s_add_u32 s28, s8, 2
	s_addc_u32 s29, s9, 0
	s_cmp_lg_u32 s22, 0
	s_cselect_b32 s22, s28, s24
	s_cselect_b32 s24, s29, s25
	s_cmp_lg_u32 s23, 0
	s_subb_u32 s13, s19, s13
	s_cmp_ge_u32 s13, s21
	s_cselect_b32 s23, -1, 0
	s_cmp_ge_u32 s15, s20
	s_cselect_b32 s15, -1, 0
	s_cmp_eq_u32 s13, s21
	s_cselect_b32 s13, s15, s23
	s_cmp_lg_u32 s13, 0
	s_mov_b32 s13, 0
	s_cselect_b32 s9, s24, s9
	s_cselect_b32 s8, s22, s8
.LBB189_5:                              ;   in Loop: Header=BB189_3 Depth=1
	s_andn2_b32 vcc_lo, exec_lo, s13
	s_cbranch_vccnz .LBB189_7
; %bb.6:                                ;   in Loop: Header=BB189_3 Depth=1
	v_cvt_f32_u32_e32 v1, s20
	s_sub_i32 s9, 0, s20
	v_rcp_iflag_f32_e32 v1, v1
	v_mul_f32_e32 v1, 0x4f7ffffe, v1
	v_cvt_u32_f32_e32 v1, v1
	v_readfirstlane_b32 s8, v1
	s_mul_i32 s9, s9, s8
	s_mul_hi_u32 s9, s8, s9
	s_add_i32 s8, s8, s9
	s_mul_hi_u32 s8, s18, s8
	s_mul_i32 s9, s8, s20
	s_add_i32 s13, s8, 1
	s_sub_i32 s9, s18, s9
	s_sub_i32 s15, s9, s20
	s_cmp_ge_u32 s9, s20
	s_cselect_b32 s8, s13, s8
	s_cselect_b32 s9, s15, s9
	s_add_i32 s13, s8, 1
	s_cmp_ge_u32 s9, s20
	s_mov_b32 s9, s14
	s_cselect_b32 s8, s13, s8
.LBB189_7:                              ;   in Loop: Header=BB189_3 Depth=1
	s_load_dwordx2 s[22:23], s[16:17], 0xc8
	s_mul_i32 s13, s8, s21
	s_mul_hi_u32 s15, s8, s20
	s_mul_i32 s21, s9, s20
	s_add_i32 s13, s15, s13
	s_mul_i32 s15, s8, s20
	s_add_i32 s13, s13, s21
	s_sub_u32 s15, s18, s15
	s_subb_u32 s13, s19, s13
	s_waitcnt lgkmcnt(0)
	s_mul_i32 s13, s22, s13
	s_mul_hi_u32 s18, s22, s15
	s_mul_i32 s19, s23, s15
	s_add_i32 s13, s18, s13
	s_mul_i32 s15, s22, s15
	s_add_i32 s13, s13, s19
	s_add_u32 s0, s15, s0
	s_addc_u32 s1, s13, s1
	s_add_i32 s7, s7, -1
	s_add_u32 s16, s16, -8
	s_addc_u32 s17, s17, -1
	s_cmp_gt_u32 s7, 2
	s_cbranch_scc0 .LBB189_9
; %bb.8:                                ;   in Loop: Header=BB189_3 Depth=1
	s_mov_b64 s[18:19], s[8:9]
	s_branch .LBB189_3
.LBB189_9:
	s_clause 0x1
	s_load_dword s7, s[4:5], 0x360
	s_load_dwordx2 s[14:15], s[4:5], 0xd0
	s_add_u32 s16, s4, 0x1c8
	s_addc_u32 s17, s5, 0
	s_mov_b64 s[24:25], 0
	s_mov_b64 s[36:37], s[2:3]
	s_waitcnt lgkmcnt(0)
	s_cmp_lt_i32 s7, 2
	s_cbranch_scc1 .LBB189_17
; %bb.10:
	s_mov_b32 s18, 0
	s_add_i32 s20, s7, -1
	s_mov_b32 s21, s18
	s_add_i32 s7, s7, 1
	s_lshl_b64 s[20:21], s[20:21], 3
	s_mov_b64 s[22:23], s[2:3]
	s_add_u32 s13, s16, s20
	s_addc_u32 s19, s17, s21
	s_add_u32 s20, s13, 8
	s_addc_u32 s21, s19, 0
.LBB189_11:                             ; =>This Inner Loop Header: Depth=1
	s_load_dwordx2 s[28:29], s[20:21], 0x0
	s_mov_b32 s13, -1
                                        ; implicit-def: $sgpr36_sgpr37
	s_waitcnt lgkmcnt(0)
	s_or_b64 s[30:31], s[22:23], s[28:29]
	s_mov_b32 s19, s31
	s_cmp_lg_u64 s[18:19], 0
	s_cbranch_scc0 .LBB189_13
; %bb.12:                               ;   in Loop: Header=BB189_11 Depth=1
	v_cvt_f32_u32_e32 v1, s28
	v_cvt_f32_u32_e32 v2, s29
	s_sub_u32 s30, 0, s28
	s_subb_u32 s31, 0, s29
	v_fmac_f32_e32 v1, 0x4f800000, v2
	v_rcp_f32_e32 v1, v1
	v_mul_f32_e32 v1, 0x5f7ffffc, v1
	v_mul_f32_e32 v2, 0x2f800000, v1
	v_trunc_f32_e32 v2, v2
	v_fmac_f32_e32 v1, 0xcf800000, v2
	v_cvt_u32_f32_e32 v2, v2
	v_cvt_u32_f32_e32 v1, v1
	v_readfirstlane_b32 s13, v2
	v_readfirstlane_b32 s19, v1
	s_mul_i32 s33, s30, s13
	s_mul_hi_u32 s35, s30, s19
	s_mul_i32 s34, s31, s19
	s_add_i32 s33, s35, s33
	s_mul_i32 s36, s30, s19
	s_add_i32 s33, s33, s34
	s_mul_hi_u32 s35, s19, s36
	s_mul_i32 s38, s19, s33
	s_mul_hi_u32 s37, s13, s36
	s_mul_i32 s34, s13, s36
	s_mul_hi_u32 s36, s19, s33
	s_add_u32 s35, s35, s38
	s_addc_u32 s36, 0, s36
	s_mul_hi_u32 s39, s13, s33
	s_add_u32 s34, s35, s34
	s_mul_i32 s33, s13, s33
	s_addc_u32 s34, s36, s37
	s_addc_u32 s35, s39, 0
	s_add_u32 s33, s34, s33
	s_addc_u32 s34, 0, s35
	s_add_u32 s19, s19, s33
	s_cselect_b32 s33, -1, 0
	s_mul_hi_u32 s35, s30, s19
	s_cmp_lg_u32 s33, 0
	s_mul_i32 s33, s30, s19
	s_addc_u32 s13, s13, s34
	s_mul_i32 s31, s31, s19
	s_mul_i32 s30, s30, s13
	s_mul_hi_u32 s34, s19, s33
	s_add_i32 s30, s35, s30
	s_mul_hi_u32 s35, s13, s33
	s_add_i32 s30, s30, s31
	s_mul_i32 s31, s13, s33
	s_mul_i32 s37, s19, s30
	s_mul_hi_u32 s36, s19, s30
	s_add_u32 s34, s34, s37
	s_addc_u32 s36, 0, s36
	s_mul_hi_u32 s33, s13, s30
	s_add_u32 s31, s34, s31
	s_mul_i32 s30, s13, s30
	s_addc_u32 s31, s36, s35
	s_addc_u32 s33, s33, 0
	s_add_u32 s30, s31, s30
	s_addc_u32 s31, 0, s33
	s_add_u32 s19, s19, s30
	s_cselect_b32 s30, -1, 0
	s_mul_hi_u32 s33, s22, s19
	s_cmp_lg_u32 s30, 0
	s_mul_hi_u32 s30, s23, s19
	s_addc_u32 s13, s13, s31
	s_mul_i32 s19, s23, s19
	s_mul_i32 s34, s22, s13
	s_mul_hi_u32 s31, s22, s13
	s_add_u32 s33, s33, s34
	s_addc_u32 s31, 0, s31
	s_mul_hi_u32 s35, s23, s13
	s_add_u32 s19, s33, s19
	s_mul_i32 s13, s23, s13
	s_addc_u32 s19, s31, s30
	s_addc_u32 s30, s35, 0
	s_add_u32 s13, s19, s13
	s_addc_u32 s19, 0, s30
	s_mul_hi_u32 s30, s28, s13
	s_mul_i32 s31, s28, s19
	s_mul_i32 s33, s29, s13
	s_add_i32 s30, s30, s31
	s_mul_i32 s31, s28, s13
	s_add_i32 s30, s30, s33
	s_sub_i32 s33, s23, s30
	s_sub_u32 s31, s22, s31
	s_cselect_b32 s34, -1, 0
	s_cmp_lg_u32 s34, 0
	s_subb_u32 s33, s33, s29
	s_sub_u32 s35, s31, s28
	s_cselect_b32 s36, -1, 0
	s_cmp_lg_u32 s36, 0
	s_subb_u32 s33, s33, 0
	s_cmp_ge_u32 s33, s29
	s_cselect_b32 s36, -1, 0
	s_cmp_ge_u32 s35, s28
	s_cselect_b32 s35, -1, 0
	s_cmp_eq_u32 s33, s29
	s_cselect_b32 s33, s35, s36
	s_add_u32 s35, s13, 1
	s_addc_u32 s36, s19, 0
	s_add_u32 s37, s13, 2
	s_addc_u32 s38, s19, 0
	s_cmp_lg_u32 s33, 0
	s_cselect_b32 s33, s37, s35
	s_cselect_b32 s35, s38, s36
	s_cmp_lg_u32 s34, 0
	s_subb_u32 s30, s23, s30
	s_cmp_ge_u32 s30, s29
	s_cselect_b32 s34, -1, 0
	s_cmp_ge_u32 s31, s28
	s_cselect_b32 s31, -1, 0
	s_cmp_eq_u32 s30, s29
	s_cselect_b32 s30, s31, s34
	s_cmp_lg_u32 s30, 0
	s_cselect_b32 s37, s35, s19
	s_cselect_b32 s36, s33, s13
	s_mov_b32 s13, 0
.LBB189_13:                             ;   in Loop: Header=BB189_11 Depth=1
	s_andn2_b32 vcc_lo, exec_lo, s13
	s_cbranch_vccnz .LBB189_15
; %bb.14:                               ;   in Loop: Header=BB189_11 Depth=1
	v_cvt_f32_u32_e32 v1, s28
	s_sub_i32 s19, 0, s28
	s_mov_b32 s37, s18
	v_rcp_iflag_f32_e32 v1, v1
	v_mul_f32_e32 v1, 0x4f7ffffe, v1
	v_cvt_u32_f32_e32 v1, v1
	v_readfirstlane_b32 s13, v1
	s_mul_i32 s19, s19, s13
	s_mul_hi_u32 s19, s13, s19
	s_add_i32 s13, s13, s19
	s_mul_hi_u32 s13, s22, s13
	s_mul_i32 s19, s13, s28
	s_add_i32 s30, s13, 1
	s_sub_i32 s19, s22, s19
	s_sub_i32 s31, s19, s28
	s_cmp_ge_u32 s19, s28
	s_cselect_b32 s13, s30, s13
	s_cselect_b32 s19, s31, s19
	s_add_i32 s30, s13, 1
	s_cmp_ge_u32 s19, s28
	s_cselect_b32 s36, s30, s13
.LBB189_15:                             ;   in Loop: Header=BB189_11 Depth=1
	s_load_dwordx2 s[30:31], s[20:21], 0xc8
	s_mul_i32 s13, s36, s29
	s_mul_hi_u32 s19, s36, s28
	s_mul_i32 s29, s37, s28
	s_add_i32 s13, s19, s13
	s_mul_i32 s19, s36, s28
	s_add_i32 s13, s13, s29
	s_sub_u32 s19, s22, s19
	s_subb_u32 s13, s23, s13
	s_waitcnt lgkmcnt(0)
	s_mul_i32 s13, s30, s13
	s_mul_hi_u32 s22, s30, s19
	s_mul_i32 s23, s31, s19
	s_add_i32 s13, s22, s13
	s_mul_i32 s19, s30, s19
	s_add_i32 s13, s13, s23
	s_add_u32 s24, s19, s24
	s_addc_u32 s25, s13, s25
	s_add_i32 s7, s7, -1
	s_add_u32 s20, s20, -8
	s_addc_u32 s21, s21, -1
	s_cmp_gt_u32 s7, 2
	s_cbranch_scc0 .LBB189_17
; %bb.16:                               ;   in Loop: Header=BB189_11 Depth=1
	s_mov_b64 s[22:23], s[36:37]
	s_branch .LBB189_11
.LBB189_17:
	s_clause 0x1
	s_load_dword s7, s[4:5], 0x508
	s_load_dwordx2 s[16:17], s[16:17], 0xd0
                                        ; implicit-def: $vgpr55 : SGPR spill to VGPR lane
	s_add_u32 s13, s4, 0x370
	s_mov_b64 s[40:41], 0
	s_waitcnt lgkmcnt(0)
	v_writelane_b32 v55, s16, 0
	v_writelane_b32 v55, s17, 1
	s_addc_u32 s17, s5, 0
	s_cmp_lt_i32 s7, 2
	s_cbranch_scc1 .LBB189_25
; %bb.18:
	s_mov_b32 s16, 0
	s_add_i32 s18, s7, -1
	s_mov_b32 s19, s16
	s_add_i32 s7, s7, 1
	s_lshl_b64 s[18:19], s[18:19], 3
	s_add_u32 s13, s13, s18
	s_addc_u32 s17, s17, s19
	s_add_u32 s18, s13, 8
	s_addc_u32 s19, s17, 0
.LBB189_19:                             ; =>This Inner Loop Header: Depth=1
	s_load_dwordx2 s[20:21], s[18:19], 0x0
	s_mov_b32 s13, -1
                                        ; implicit-def: $sgpr48_sgpr49
	s_waitcnt lgkmcnt(0)
	s_or_b64 s[22:23], s[2:3], s[20:21]
	s_mov_b32 s17, s23
	s_cmp_lg_u64 s[16:17], 0
	s_cbranch_scc0 .LBB189_21
; %bb.20:                               ;   in Loop: Header=BB189_19 Depth=1
	v_cvt_f32_u32_e32 v1, s20
	v_cvt_f32_u32_e32 v2, s21
	s_sub_u32 s22, 0, s20
	s_subb_u32 s23, 0, s21
	v_fmac_f32_e32 v1, 0x4f800000, v2
	v_rcp_f32_e32 v1, v1
	v_mul_f32_e32 v1, 0x5f7ffffc, v1
	v_mul_f32_e32 v2, 0x2f800000, v1
	v_trunc_f32_e32 v2, v2
	v_fmac_f32_e32 v1, 0xcf800000, v2
	v_cvt_u32_f32_e32 v2, v2
	v_cvt_u32_f32_e32 v1, v1
	v_readfirstlane_b32 s13, v2
	v_readfirstlane_b32 s17, v1
	s_mul_i32 s28, s22, s13
	s_mul_hi_u32 s30, s22, s17
	s_mul_i32 s29, s23, s17
	s_add_i32 s28, s30, s28
	s_mul_i32 s31, s22, s17
	s_add_i32 s28, s28, s29
	s_mul_hi_u32 s30, s17, s31
	s_mul_i32 s34, s17, s28
	s_mul_hi_u32 s33, s13, s31
	s_mul_i32 s29, s13, s31
	s_mul_hi_u32 s31, s17, s28
	s_add_u32 s30, s30, s34
	s_addc_u32 s31, 0, s31
	s_mul_hi_u32 s35, s13, s28
	s_add_u32 s29, s30, s29
	s_mul_i32 s28, s13, s28
	s_addc_u32 s29, s31, s33
	s_addc_u32 s30, s35, 0
	s_add_u32 s28, s29, s28
	s_addc_u32 s29, 0, s30
	s_add_u32 s17, s17, s28
	s_cselect_b32 s28, -1, 0
	s_mul_hi_u32 s30, s22, s17
	s_cmp_lg_u32 s28, 0
	s_mul_i32 s28, s22, s17
	s_addc_u32 s13, s13, s29
	s_mul_i32 s23, s23, s17
	s_mul_i32 s22, s22, s13
	s_mul_hi_u32 s29, s17, s28
	s_add_i32 s22, s30, s22
	s_mul_hi_u32 s30, s13, s28
	s_add_i32 s22, s22, s23
	s_mul_i32 s23, s13, s28
	s_mul_i32 s33, s17, s22
	s_mul_hi_u32 s31, s17, s22
	s_add_u32 s29, s29, s33
	s_addc_u32 s31, 0, s31
	s_mul_hi_u32 s28, s13, s22
	s_add_u32 s23, s29, s23
	s_mul_i32 s22, s13, s22
	s_addc_u32 s23, s31, s30
	s_addc_u32 s28, s28, 0
	s_add_u32 s22, s23, s22
	s_addc_u32 s23, 0, s28
	s_add_u32 s17, s17, s22
	s_cselect_b32 s22, -1, 0
	s_mul_hi_u32 s28, s2, s17
	s_cmp_lg_u32 s22, 0
	s_mul_hi_u32 s22, s3, s17
	s_addc_u32 s13, s13, s23
	s_mul_i32 s17, s3, s17
	s_mul_i32 s29, s2, s13
	s_mul_hi_u32 s23, s2, s13
	s_add_u32 s28, s28, s29
	s_addc_u32 s23, 0, s23
	s_mul_hi_u32 s30, s3, s13
	s_add_u32 s17, s28, s17
	s_mul_i32 s13, s3, s13
	s_addc_u32 s17, s23, s22
	s_addc_u32 s22, s30, 0
	s_add_u32 s13, s17, s13
	s_addc_u32 s17, 0, s22
	s_mul_hi_u32 s22, s20, s13
	s_mul_i32 s23, s20, s17
	s_mul_i32 s28, s21, s13
	s_add_i32 s22, s22, s23
	s_mul_i32 s23, s20, s13
	s_add_i32 s22, s22, s28
	s_sub_i32 s28, s3, s22
	s_sub_u32 s23, s2, s23
	s_cselect_b32 s29, -1, 0
	s_cmp_lg_u32 s29, 0
	s_subb_u32 s28, s28, s21
	s_sub_u32 s30, s23, s20
	s_cselect_b32 s31, -1, 0
	s_cmp_lg_u32 s31, 0
	s_subb_u32 s28, s28, 0
	s_cmp_ge_u32 s28, s21
	s_cselect_b32 s31, -1, 0
	s_cmp_ge_u32 s30, s20
	s_cselect_b32 s30, -1, 0
	s_cmp_eq_u32 s28, s21
	s_cselect_b32 s28, s30, s31
	s_add_u32 s30, s13, 1
	s_addc_u32 s31, s17, 0
	s_add_u32 s33, s13, 2
	s_addc_u32 s34, s17, 0
	s_cmp_lg_u32 s28, 0
	s_cselect_b32 s28, s33, s30
	s_cselect_b32 s30, s34, s31
	s_cmp_lg_u32 s29, 0
	s_subb_u32 s22, s3, s22
	s_cmp_ge_u32 s22, s21
	s_cselect_b32 s29, -1, 0
	s_cmp_ge_u32 s23, s20
	s_cselect_b32 s23, -1, 0
	s_cmp_eq_u32 s22, s21
	s_cselect_b32 s22, s23, s29
	s_cmp_lg_u32 s22, 0
	s_cselect_b32 s49, s30, s17
	s_cselect_b32 s48, s28, s13
	s_mov_b32 s13, 0
.LBB189_21:                             ;   in Loop: Header=BB189_19 Depth=1
	s_andn2_b32 vcc_lo, exec_lo, s13
	s_cbranch_vccnz .LBB189_23
; %bb.22:                               ;   in Loop: Header=BB189_19 Depth=1
	v_cvt_f32_u32_e32 v1, s20
	s_sub_i32 s17, 0, s20
	s_mov_b32 s49, s16
	v_rcp_iflag_f32_e32 v1, v1
	v_mul_f32_e32 v1, 0x4f7ffffe, v1
	v_cvt_u32_f32_e32 v1, v1
	v_readfirstlane_b32 s13, v1
	s_mul_i32 s17, s17, s13
	s_mul_hi_u32 s17, s13, s17
	s_add_i32 s13, s13, s17
	s_mul_hi_u32 s13, s2, s13
	s_mul_i32 s17, s13, s20
	s_add_i32 s22, s13, 1
	s_sub_i32 s17, s2, s17
	s_sub_i32 s23, s17, s20
	s_cmp_ge_u32 s17, s20
	s_cselect_b32 s13, s22, s13
	s_cselect_b32 s17, s23, s17
	s_add_i32 s22, s13, 1
	s_cmp_ge_u32 s17, s20
	s_cselect_b32 s48, s22, s13
.LBB189_23:                             ;   in Loop: Header=BB189_19 Depth=1
	s_load_dwordx2 s[22:23], s[18:19], 0xc8
	s_mul_i32 s13, s48, s21
	s_mul_hi_u32 s17, s48, s20
	s_mul_i32 s21, s49, s20
	s_add_i32 s13, s17, s13
	s_mul_i32 s17, s48, s20
	s_add_i32 s13, s13, s21
	s_sub_u32 s2, s2, s17
	s_subb_u32 s3, s3, s13
	s_waitcnt lgkmcnt(0)
	s_mul_i32 s3, s22, s3
	s_mul_hi_u32 s13, s22, s2
	s_mul_i32 s17, s23, s2
	s_add_i32 s3, s13, s3
	s_mul_i32 s2, s22, s2
	s_add_i32 s3, s3, s17
	s_add_u32 s40, s2, s40
	s_addc_u32 s41, s3, s41
	s_add_i32 s7, s7, -1
	s_add_u32 s18, s18, -8
	s_addc_u32 s19, s19, -1
	s_cmp_gt_u32 s7, 2
	s_cbranch_scc0 .LBB189_26
; %bb.24:                               ;   in Loop: Header=BB189_19 Depth=1
	s_mov_b64 s[2:3], s[48:49]
	s_branch .LBB189_19
.LBB189_25:
	s_mov_b64 s[48:49], s[2:3]
.LBB189_26:
	s_clause 0x2
	s_load_dwordx4 s[28:31], s[4:5], 0x1a0
	s_load_dwordx2 s[92:93], s[4:5], 0x0
	s_load_dwordx2 s[2:3], s[4:5], 0x1c8
	s_mov_b32 s57, 0
	s_waitcnt lgkmcnt(0)
	v_writelane_b32 v55, s2, 2
	v_writelane_b32 v55, s3, 3
	s_load_dwordx2 s[2:3], s[4:5], 0x370
	s_waitcnt lgkmcnt(0)
	v_writelane_b32 v55, s2, 4
	v_writelane_b32 v55, s3, 5
	v_cmp_eq_u32_e64 s3, 0, v0
	s_and_saveexec_b32 s2, s3
	s_cbranch_execz .LBB189_28
; %bb.27:
	v_mov_b32_e32 v1, 0
	v_mov_b32_e32 v3, s28
	;; [unrolled: 1-line block ×4, first 2 shown]
	ds_write_b32 v1, v1 offset:5144
	ds_write_b128 v1, v[1:4] offset:5120
.LBB189_28:
	s_or_b32 exec_lo, exec_lo, s2
	s_mul_i32 s2, s14, s9
	s_mul_hi_u32 s7, s14, s8
	s_load_dword s13, s[4:5], 0x1b0
	s_add_i32 s2, s7, s2
	s_mul_i32 s7, s15, s8
	s_waitcnt lgkmcnt(0)
	s_add_i32 s9, s2, s7
	s_barrier
	buffer_gl0_inv
	s_load_dword s2, s[10:11], 0xc
	s_mul_i32 s8, s14, s8
	v_mbcnt_lo_u32_b32 v47, -1, 0
	s_lshl_b64 s[16:17], s[8:9], 3
	v_cmp_gt_u32_e32 vcc_lo, 32, v0
	s_add_u32 s14, s92, s16
	s_addc_u32 s15, s93, s17
	s_lshl_b64 s[46:47], s[0:1], 3
	v_cmp_gt_i32_e64 s1, 4, v47
	s_add_u32 s82, s14, s46
	s_addc_u32 s83, s15, s47
	v_lshlrev_b32_e32 v50, 5, v0
	v_mad_u64_u32 v[2:3], null, s26, v0, 0
	s_bitcmp1_b32 s13, 0
	v_lshlrev_b64 v[6:7], v47, -1
	s_cselect_b32 s94, -1, 0
	s_and_b32 s85, vcc_lo, s1
	s_xor_b32 s84, s94, -1
	v_or_b32_e32 v9, 24, v50
	s_waitcnt lgkmcnt(0)
	s_and_b32 s33, s2, 0xffff
	s_bfe_u32 s2, s2, 0xb0005
	s_bfe_u32 s7, s33, 0x80008
	v_or_b32_e32 v11, 16, v50
	s_lshl_b32 s87, s7, 3
	s_cmp_gt_u32 s33, 31
	v_mad_u64_u32 v[22:23], null, s26, v9, s[14:15]
	s_cselect_b32 s88, -1, 0
	s_add_u32 s89, s33, -1
	s_addc_u32 s90, 0, -1
	s_add_u32 s91, s89, s28
	s_addc_u32 s59, s90, s29
	s_cmp_lt_u32 s6, s12
	v_mad_u64_u32 v[24:25], null, s26, v11, s[14:15]
	s_cselect_b32 s6, 12, 18
	v_or_b32_e32 v12, 8, v50
	s_add_u32 s60, s10, s6
	s_addc_u32 s61, s11, 0
	s_add_i32 s2, s2, -1
	s_bfe_u32 s7, s33, 0x30005
	s_and_b32 s2, s2, 0xffff
	v_mov_b32_e32 v1, v3
	s_cmp_gt_u32 s2, 6
	v_mad_u64_u32 v[26:27], null, s26, v12, s[14:15]
	s_cselect_b32 s2, -1, 0
	v_not_b32_e32 v46, v6
	v_writelane_b32 v55, s2, 6
	v_mov_b32_e32 v6, v23
	v_mov_b32_e32 v7, v25
	s_cmp_lg_u32 s7, 0
	v_mad_u64_u32 v[3:4], null, s27, v0, v[1:2]
	v_writelane_b32 v55, s7, 7
	s_cselect_b32 s2, -1, 0
	s_movk_i32 s6, 0x3e0
	v_mad_u64_u32 v[9:10], null, s27, v9, v[6:7]
	v_writelane_b32 v55, s2, 8
	s_add_u32 s2, s16, s46
	v_and_or_b32 v51, v0, s6, 0xc00
	s_addc_u32 s6, s17, s47
	v_mov_b32_e32 v8, v27
	s_add_u32 s10, s92, s2
	s_addc_u32 s11, s93, s6
	v_lshlrev_b64 v[4:5], 3, v[2:3]
	v_writelane_b32 v55, s10, 9
	v_mov_b32_e32 v19, 0
	v_mad_u64_u32 v[6:7], null, s27, v11, v[7:8]
	v_lshlrev_b64 v[2:3], 5, v[2:3]
	v_mad_u64_u32 v[7:8], null, s27, v12, v[8:9]
	v_writelane_b32 v55, s11, 10
	s_lshl_b64 s[64:65], s[26:27], 3
	s_lshl_b64 s[66:67], s[26:27], 5
	s_lshl_b32 s95, s33, 3
	v_mov_b32_e32 v1, v19
	v_add_co_u32 v16, vcc_lo, s82, v4
	s_add_u32 s2, s92, s46
	v_lshlrev_b32_e32 v48, 3, v0
	s_addc_u32 s6, s93, s47
	v_add_co_ci_u32_e64 v17, null, s83, v5, vcc_lo
	v_add_co_u32 v30, vcc_lo, s14, v2
	s_add_u32 s2, s2, s16
	v_add_co_ci_u32_e64 v31, null, s15, v3, vcc_lo
	v_writelane_b32 v55, s16, 11
	s_addc_u32 s10, s6, s17
	v_add_co_u32 v32, vcc_lo, s2, v4
	v_cmp_lt_u64_e64 s86, 0x180, s[28:29]
	v_cmp_gt_u64_e64 s1, s[28:29], v[0:1]
	v_mov_b32_e32 v25, v6
	v_mov_b32_e32 v27, v7
	s_mul_i32 s7, s27, s33
	s_mul_hi_u32 s9, s26, s33
	v_mov_b32_e32 v28, 0
	v_mov_b32_e32 v6, 0
	;; [unrolled: 1-line block ×4, first 2 shown]
	v_cmp_eq_u32_e64 s0, 0, v47
	v_lshlrev_b32_e32 v20, 2, v0
	v_mov_b32_e32 v21, v19
	v_cmp_gt_u32_e64 s8, 2, v0
	v_add_nc_u32_e32 v49, 0xc00, v48
	v_mov_b32_e32 v23, v9
	v_lshl_or_b32 v52, v47, 3, 0xc00
	v_add_co_ci_u32_e64 v33, null, s10, v5, vcc_lo
	v_mov_b32_e32 v29, 0
	v_mov_b32_e32 v7, 0
	;; [unrolled: 1-line block ×5, first 2 shown]
	s_add_i32 s7, s9, s7
	s_mul_i32 s6, s26, s33
	s_mov_b32 s54, 62
	s_lshl_b64 s[34:35], s[6:7], 3
	s_mov_b32 s96, 0
	s_mov_b32 s98, 0
	v_writelane_b32 v55, s17, 12
                                        ; implicit-def: $sgpr97
                                        ; implicit-def: $vcc_hi
                                        ; implicit-def: $sgpr104
                                        ; implicit-def: $sgpr55
                                        ; implicit-def: $sgpr99
                                        ; implicit-def: $sgpr53
                                        ; implicit-def: $sgpr42
                                        ; implicit-def: $sgpr50
                                        ; implicit-def: $sgpr52
                                        ; implicit-def: $sgpr51
	s_branch .LBB189_31
.LBB189_29:                             ;   in Loop: Header=BB189_31 Depth=1
	s_or_b32 exec_lo, exec_lo, s9
	v_mov_b32_e32 v36, v38
	v_mov_b32_e32 v37, v39
	s_andn2_b32 s9, s51, exec_lo
	s_and_b32 s7, s7, exec_lo
	s_andn2_b32 s52, s52, exec_lo
	s_or_b32 s51, s9, s7
	s_andn2_b32 s50, s50, exec_lo
	s_andn2_b32 s42, s42, exec_lo
	;; [unrolled: 1-line block ×3, first 2 shown]
	s_orn2_b32 s6, s6, exec_lo
.LBB189_30:                             ;   in Loop: Header=BB189_31 Depth=1
	s_or_b32 exec_lo, exec_lo, s2
	s_and_b32 s2, exec_lo, s6
	s_or_b32 s96, s2, s96
	s_andn2_b32 s2, s99, exec_lo
	s_and_b32 s6, s51, exec_lo
	s_andn2_b32 s7, s55, exec_lo
	s_or_b32 s99, s2, s6
	s_and_b32 s2, s52, exec_lo
	s_andn2_b32 s6, s104, exec_lo
	s_and_b32 s9, s50, exec_lo
	s_or_b32 s55, s7, s2
	s_or_b32 s104, s6, s9
	s_andn2_b32 s2, vcc_hi, exec_lo
	s_and_b32 s6, s42, exec_lo
	s_andn2_b32 s7, s97, exec_lo
	s_and_b32 s9, s53, exec_lo
	s_or_b32 vcc_hi, s2, s6
	s_or_b32 s97, s7, s9
	s_andn2_b32 exec_lo, exec_lo, s96
	s_cbranch_execz .LBB189_505
.LBB189_31:                             ; =>This Loop Header: Depth=1
                                        ;     Child Loop BB189_37 Depth 2
                                        ;     Child Loop BB189_50 Depth 2
                                        ;     Child Loop BB189_84 Depth 2
                                        ;     Child Loop BB189_88 Depth 2
                                        ;     Child Loop BB189_73 Depth 2
                                        ;     Child Loop BB189_78 Depth 2
                                        ;     Child Loop BB189_66 Depth 2
                                        ;     Child Loop BB189_95 Depth 2
                                        ;     Child Loop BB189_110 Depth 2
                                        ;     Child Loop BB189_128 Depth 2
                                        ;     Child Loop BB189_158 Depth 2
                                        ;     Child Loop BB189_175 Depth 2
                                        ;     Child Loop BB189_205 Depth 2
                                        ;     Child Loop BB189_222 Depth 2
                                        ;     Child Loop BB189_256 Depth 2
                                        ;     Child Loop BB189_273 Depth 2
                                        ;     Child Loop BB189_313 Depth 2
                                        ;     Child Loop BB189_329 Depth 2
                                        ;     Child Loop BB189_359 Depth 2
                                        ;     Child Loop BB189_376 Depth 2
                                        ;     Child Loop BB189_406 Depth 2
                                        ;     Child Loop BB189_423 Depth 2
                                        ;     Child Loop BB189_457 Depth 2
                                        ;     Child Loop BB189_474 Depth 2
	ds_read_b128 v[8:11], v19 offset:5120
	s_waitcnt lgkmcnt(0)
	v_readfirstlane_b32 s69, v9
	v_readfirstlane_b32 s68, v8
	s_cmp_lg_u64 s[68:69], 0
	s_cbranch_scc1 .LBB189_58
; %bb.32:                               ;   in Loop: Header=BB189_31 Depth=1
	s_and_b32 vcc_lo, exec_lo, s86
	s_cbranch_vccz .LBB189_45
; %bb.33:                               ;   in Loop: Header=BB189_31 Depth=1
	v_cmp_gt_u64_e32 vcc_lo, 0x181, v[10:11]
	s_mov_b32 s2, 0
	s_mov_b32 s6, 0
	s_cbranch_vccz .LBB189_46
; %bb.34:                               ;   in Loop: Header=BB189_31 Depth=1
	s_and_saveexec_b32 s9, s1
	s_cbranch_execz .LBB189_114
; %bb.35:                               ;   in Loop: Header=BB189_31 Depth=1
	global_load_ushort v12, v19, s[60:61]
	global_load_dwordx2 v[8:9], v[16:17], off
	v_readlane_b32 s10, v55, 9
	v_readlane_b32 s11, v55, 10
	s_mov_b32 s12, 0
	s_waitcnt vmcnt(1)
	v_readfirstlane_b32 s6, v12
	s_and_b32 s6, 0xffff, s6
	v_add_nc_u32_e32 v10, s6, v0
	s_mul_i32 s7, s65, s6
	v_mad_u64_u32 v[4:5], null, s64, v10, s[10:11]
	s_mul_hi_u32 s10, s64, s6
	s_mul_i32 s11, s64, s6
	s_add_i32 s10, s10, s7
	v_mov_b32_e32 v2, v5
	v_mad_u64_u32 v[10:11], null, s65, v10, v[2:3]
	v_and_b32_e32 v2, 0xffff, v12
	v_mov_b32_e32 v5, v10
	v_mov_b32_e32 v11, v1
	;; [unrolled: 1-line block ×3, first 2 shown]
	s_branch .LBB189_37
.LBB189_36:                             ;   in Loop: Header=BB189_37 Depth=2
	s_or_b32 exec_lo, exec_lo, s7
	v_add_co_u32 v4, vcc_lo, v4, s11
	v_mov_b32_e32 v8, v12
	v_add_co_ci_u32_e64 v5, null, s10, v5, vcc_lo
	v_mov_b32_e32 v9, v13
	s_andn2_b32 exec_lo, exec_lo, s12
	s_cbranch_execz .LBB189_114
.LBB189_37:                             ;   Parent Loop BB189_31 Depth=1
                                        ; =>  This Inner Loop Header: Depth=2
	v_add_co_u32 v10, vcc_lo, v10, v2
	v_mov_b32_e32 v12, 0
	v_add_co_ci_u32_e64 v11, null, 0, v11, vcc_lo
	v_mov_b32_e32 v13, 0
	s_mov_b32 s7, exec_lo
	v_cmp_le_u64_e32 vcc_lo, s[28:29], v[10:11]
	v_cmpx_gt_u64_e64 s[28:29], v[10:11]
	s_cbranch_execz .LBB189_39
; %bb.38:                               ;   in Loop: Header=BB189_37 Depth=2
	global_load_dwordx2 v[12:13], v[4:5], off
.LBB189_39:                             ;   in Loop: Header=BB189_37 Depth=2
	s_or_b32 exec_lo, exec_lo, s7
	s_waitcnt vmcnt(0)
	v_cmp_o_f64_e64 s6, v[8:9], v[8:9]
	s_waitcnt lgkmcnt(0)
	v_ashrrev_i32_e32 v14, 31, v9
	v_or_b32_e32 v15, 0x80000000, v14
	v_xor_b32_e32 v14, v14, v8
	v_xor_b32_e32 v15, v15, v9
	v_cndmask_b32_e64 v15, -1, v15, s6
	v_cndmask_b32_e64 v14, -1, v14, s6
	v_and_b32_e32 v15, v15, v35
	v_and_b32_e32 v14, v14, v34
	v_cmp_eq_u64_e64 s6, v[14:15], v[28:29]
	v_mov_b32_e32 v14, 0
	s_cmp_lg_u32 s6, 0
	s_cselect_b32 s7, -1, 0
	s_and_b32 s7, s0, s7
	s_and_saveexec_b32 s13, s7
	s_cbranch_execz .LBB189_43
; %bb.40:                               ;   in Loop: Header=BB189_37 Depth=2
	s_mov_b32 s16, exec_lo
	s_bcnt1_i32_b32 s14, s6
	v_mbcnt_lo_u32_b32 v14, s16, 0
	s_mov_b32 s15, exec_lo
                                        ; implicit-def: $vgpr15
	v_cmpx_eq_u32_e32 0, v14
; %bb.41:                               ;   in Loop: Header=BB189_37 Depth=2
	s_bcnt1_i32_b32 s7, s16
	s_mul_i32 s7, s14, s7
	v_mov_b32_e32 v15, s7
	ds_add_rtn_u32 v15, v19, v15 offset:5144
; %bb.42:                               ;   in Loop: Header=BB189_37 Depth=2
	s_or_b32 exec_lo, exec_lo, s15
	s_waitcnt lgkmcnt(0)
	v_readfirstlane_b32 s7, v15
	v_mad_u32_u24 v14, s14, v14, s7
.LBB189_43:                             ;   in Loop: Header=BB189_37 Depth=2
	s_or_b32 exec_lo, exec_lo, s13
	ds_bpermute_b32 v14, v19, v14
	s_and_b32 s7, exec_lo, vcc_lo
	s_or_b32 s12, s7, s12
	s_and_saveexec_b32 s7, s6
	s_cbranch_execz .LBB189_36
; %bb.44:                               ;   in Loop: Header=BB189_37 Depth=2
	v_and_b32_e32 v15, s6, v46
	v_bcnt_u32_b32 v15, v15, 0
	v_lshlrev_b32_e32 v15, 3, v15
	s_waitcnt lgkmcnt(0)
	v_lshl_add_u32 v14, v14, 3, v15
	ds_write_b64 v14, v[8:9]
	s_branch .LBB189_36
.LBB189_45:                             ;   in Loop: Header=BB189_31 Depth=1
	s_mov_b32 s2, -1
	s_mov_b32 s6, 0
.LBB189_46:                             ;   in Loop: Header=BB189_31 Depth=1
	s_and_b32 vcc_lo, exec_lo, s2
	s_cbranch_vccz .LBB189_56
.LBB189_47:                             ;   in Loop: Header=BB189_31 Depth=1
	s_and_saveexec_b32 s2, s1
	s_cbranch_execz .LBB189_53
; %bb.48:                               ;   in Loop: Header=BB189_31 Depth=1
	global_load_ushort v2, v19, s[60:61]
	global_load_dwordx2 v[4:5], v[16:17], off
	s_mov_b32 s7, exec_lo
	s_waitcnt vmcnt(1)
	v_add_nc_u32_sdwa v18, v2, v0 dst_sel:DWORD dst_unused:UNUSED_PAD src0_sel:WORD_0 src1_sel:DWORD
	v_readfirstlane_b32 s6, v2
	v_mov_b32_e32 v2, v0
	v_cmpx_gt_u64_e64 s[28:29], v[18:19]
	s_cbranch_execz .LBB189_52
; %bb.49:                               ;   in Loop: Header=BB189_31 Depth=1
	v_readlane_b32 s10, v55, 9
	v_readlane_b32 s11, v55, 10
	s_and_b32 s9, s6, 0xffff
	v_mov_b32_e32 v15, v1
	v_mov_b32_e32 v14, v0
	s_mul_i32 s6, s65, s9
	v_mad_u64_u32 v[8:9], null, s64, v18, s[10:11]
	s_mul_hi_u32 s10, s64, s9
	s_mul_i32 s12, s64, s9
	s_add_i32 s10, s10, s6
	s_mov_b32 s11, 0
	v_mov_b32_e32 v2, v9
	v_mad_u64_u32 v[9:10], null, s65, v18, v[2:3]
	v_mov_b32_e32 v10, v18
	v_mov_b32_e32 v11, v19
	.p2align	6
.LBB189_50:                             ;   Parent Loop BB189_31 Depth=1
                                        ; =>  This Inner Loop Header: Depth=2
	global_load_dwordx2 v[12:13], v[8:9], off
	v_mov_b32_e32 v39, v11
	v_mov_b32_e32 v38, v10
	v_lshlrev_b32_e32 v2, 3, v14
	v_add_co_u32 v10, vcc_lo, v38, s9
	v_add_co_ci_u32_e64 v11, null, 0, v39, vcc_lo
	v_add_co_u32 v8, vcc_lo, v8, s12
	s_waitcnt vmcnt(1)
	ds_write_b64 v2, v[4:5]
	v_cmp_le_u64_e64 s6, s[28:29], v[10:11]
	v_add_co_ci_u32_e64 v9, null, s10, v9, vcc_lo
	v_mov_b32_e32 v14, v38
	v_mov_b32_e32 v15, v39
	s_or_b32 s11, s6, s11
	s_waitcnt vmcnt(0)
	v_mov_b32_e32 v4, v12
	v_mov_b32_e32 v5, v13
	s_andn2_b32 exec_lo, exec_lo, s11
	s_cbranch_execnz .LBB189_50
; %bb.51:                               ;   in Loop: Header=BB189_31 Depth=1
	s_or_b32 exec_lo, exec_lo, s11
	v_mov_b32_e32 v4, v12
	v_subrev_nc_u32_e32 v2, s9, v10
	v_mov_b32_e32 v5, v13
.LBB189_52:                             ;   in Loop: Header=BB189_31 Depth=1
	s_or_b32 exec_lo, exec_lo, s7
	v_lshlrev_b32_e32 v2, 3, v2
	s_waitcnt vmcnt(0)
	ds_write_b64 v2, v[4:5]
.LBB189_53:                             ;   in Loop: Header=BB189_31 Depth=1
	s_or_b32 exec_lo, exec_lo, s2
	s_waitcnt lgkmcnt(0)
	s_barrier
	buffer_gl0_inv
	s_and_saveexec_b32 s2, s3
; %bb.54:                               ;   in Loop: Header=BB189_31 Depth=1
	v_mov_b32_e32 v4, s28
	v_mov_b32_e32 v5, s29
	ds_write_b64 v19, v[4:5] offset:5120
; %bb.55:                               ;   in Loop: Header=BB189_31 Depth=1
	s_or_b32 exec_lo, exec_lo, s2
	s_waitcnt lgkmcnt(0)
	s_mov_b32 s6, -1
	s_barrier
.LBB189_56:                             ;   in Loop: Header=BB189_31 Depth=1
	s_and_b32 vcc_lo, exec_lo, s6
	s_mov_b64 s[68:69], 0
	s_cbranch_vccz .LBB189_58
; %bb.57:                               ;   in Loop: Header=BB189_31 Depth=1
	buffer_gl0_inv
	ds_read_b64 v[4:5], v19 offset:5120
	s_waitcnt lgkmcnt(0)
	v_readfirstlane_b32 s68, v4
.LBB189_58:                             ;   in Loop: Header=BB189_31 Depth=1
	s_cmp_lt_i32 s68, 1
	s_mov_b32 s2, -1
                                        ; implicit-def: $vgpr8_vgpr9
                                        ; implicit-def: $vgpr12_vgpr13
	s_cbranch_scc1 .LBB189_68
; %bb.59:                               ;   in Loop: Header=BB189_31 Depth=1
	s_and_b32 vcc_lo, exec_lo, s2
	s_cbranch_vccnz .LBB189_82
.LBB189_60:                             ;   in Loop: Header=BB189_31 Depth=1
	s_lshl_b32 s2, s98, 7
	s_and_saveexec_b32 s6, s0
	s_cbranch_execz .LBB189_62
.LBB189_61:                             ;   in Loop: Header=BB189_31 Depth=1
	v_lshl_add_u32 v2, s2, 3, v51
	ds_write_b128 v2, v[8:11]
	ds_write_b128 v2, v[12:15] offset:16
.LBB189_62:                             ;   in Loop: Header=BB189_31 Depth=1
	s_or_b32 exec_lo, exec_lo, s6
	s_waitcnt lgkmcnt(0)
	s_barrier
	buffer_gl0_inv
	s_and_saveexec_b32 s6, s85
	s_cbranch_execz .LBB189_97
; %bb.63:                               ;   in Loop: Header=BB189_31 Depth=1
	v_mov_b32_e32 v4, 0
	v_mov_b32_e32 v5, 0
	s_andn2_b32 vcc_lo, exec_lo, s88
	s_cbranch_vccnz .LBB189_96
; %bb.64:                               ;   in Loop: Header=BB189_31 Depth=1
	v_readlane_b32 s7, v55, 6
	v_mov_b32_e32 v4, 0
	v_mov_b32_e32 v5, 0
	s_andn2_b32 vcc_lo, exec_lo, s7
	s_cbranch_vccnz .LBB189_92
; %bb.65:                               ;   in Loop: Header=BB189_31 Depth=1
	v_lshl_add_u32 v2, s98, 10, v52
	s_mov_b32 s7, 0
	s_inst_prefetch 0x1
	.p2align	6
.LBB189_66:                             ;   Parent Loop BB189_31 Depth=1
                                        ; =>  This Inner Loop Header: Depth=2
	ds_read2_b64 v[8:11], v2 offset1:4
	ds_read2_b64 v[12:15], v2 offset0:8 offset1:12
	ds_read2_b64 v[38:41], v2 offset0:16 offset1:20
	s_add_i32 s7, s7, 8
	s_cmp_eq_u32 s87, s7
	s_waitcnt lgkmcnt(2)
	v_add_co_u32 v4, vcc_lo, v8, v4
	v_add_co_ci_u32_e64 v5, null, v9, v5, vcc_lo
	v_add_co_u32 v4, vcc_lo, v10, v4
	v_add_co_ci_u32_e64 v5, null, v11, v5, vcc_lo
	ds_read2_b64 v[8:11], v2 offset0:24 offset1:28
	s_waitcnt lgkmcnt(2)
	v_add_co_u32 v4, vcc_lo, v12, v4
	v_add_co_ci_u32_e64 v5, null, v13, v5, vcc_lo
	v_add_nc_u32_e32 v2, 0x100, v2
	v_add_co_u32 v4, vcc_lo, v14, v4
	v_add_co_ci_u32_e64 v5, null, v15, v5, vcc_lo
	s_waitcnt lgkmcnt(1)
	v_add_co_u32 v4, vcc_lo, v38, v4
	v_add_co_ci_u32_e64 v5, null, v39, v5, vcc_lo
	v_add_co_u32 v4, vcc_lo, v40, v4
	v_add_co_ci_u32_e64 v5, null, v41, v5, vcc_lo
	s_waitcnt lgkmcnt(0)
	v_add_co_u32 v4, vcc_lo, v8, v4
	v_add_co_ci_u32_e64 v5, null, v9, v5, vcc_lo
	v_add_co_u32 v4, vcc_lo, v10, v4
	v_add_co_ci_u32_e64 v5, null, v11, v5, vcc_lo
	s_cbranch_scc0 .LBB189_66
; %bb.67:                               ;   in Loop: Header=BB189_31 Depth=1
	s_inst_prefetch 0x2
	s_mov_b32 s7, s87
	s_branch .LBB189_93
.LBB189_68:                             ;   in Loop: Header=BB189_31 Depth=1
	global_load_ushort v2, v19, s[60:61]
	s_mov_b32 s6, s57
	s_mov_b32 s7, s29
	s_waitcnt vmcnt(0)
	v_readfirstlane_b32 s2, v2
	s_and_b32 s2, s2, 0xffff
	s_lshl_b32 s38, s2, 2
	s_cmp_lg_u64 s[6:7], 0
	s_cbranch_scc0 .LBB189_91
; %bb.69:                               ;   in Loop: Header=BB189_31 Depth=1
	v_cvt_f32_u32_e32 v2, s38
	s_sub_u32 s9, 0, s38
	s_subb_u32 s10, 0, 0
	v_fmac_f32_e64 v2, 0x4f800000, 0
	v_rcp_f32_e32 v2, v2
	v_mul_f32_e32 v2, 0x5f7ffffc, v2
	v_mul_f32_e32 v4, 0x2f800000, v2
	v_trunc_f32_e32 v4, v4
	v_fmac_f32_e32 v2, 0xcf800000, v4
	v_cvt_u32_f32_e32 v4, v4
	v_cvt_u32_f32_e32 v2, v2
	v_readfirstlane_b32 s6, v4
	v_readfirstlane_b32 s7, v2
	s_mul_i32 s11, s9, s6
	s_mul_hi_u32 s13, s9, s7
	s_mul_i32 s12, s10, s7
	s_add_i32 s11, s13, s11
	s_mul_i32 s14, s9, s7
	s_add_i32 s11, s11, s12
	s_mul_hi_u32 s13, s7, s14
	s_mul_i32 s16, s7, s11
	s_mul_hi_u32 s15, s6, s14
	s_mul_i32 s12, s6, s14
	s_mul_hi_u32 s14, s7, s11
	s_add_u32 s13, s13, s16
	s_addc_u32 s14, 0, s14
	s_mul_hi_u32 s17, s6, s11
	s_add_u32 s12, s13, s12
	s_mul_i32 s11, s6, s11
	s_addc_u32 s12, s14, s15
	s_addc_u32 s13, s17, 0
	s_add_u32 s11, s12, s11
	s_addc_u32 s12, 0, s13
	s_add_u32 s7, s7, s11
	s_cselect_b32 s11, -1, 0
	s_mul_hi_u32 s13, s9, s7
	s_cmp_lg_u32 s11, 0
	s_mul_i32 s11, s9, s7
	s_addc_u32 s6, s6, s12
	s_mul_i32 s10, s10, s7
	s_mul_i32 s9, s9, s6
	s_mul_hi_u32 s12, s7, s11
	s_add_i32 s9, s13, s9
	s_mul_hi_u32 s13, s6, s11
	s_add_i32 s9, s9, s10
	s_mul_i32 s10, s6, s11
	s_mul_i32 s15, s7, s9
	s_mul_hi_u32 s14, s7, s9
	s_add_u32 s12, s12, s15
	s_addc_u32 s14, 0, s14
	s_mul_hi_u32 s11, s6, s9
	s_add_u32 s10, s12, s10
	s_mul_i32 s9, s6, s9
	s_addc_u32 s10, s14, s13
	s_addc_u32 s11, s11, 0
	s_add_u32 s9, s10, s9
	s_addc_u32 s10, 0, s11
	s_add_u32 s7, s7, s9
	s_cselect_b32 s9, -1, 0
	s_mul_hi_u32 s11, s28, s7
	s_cmp_lg_u32 s9, 0
	s_mul_hi_u32 s9, s29, s7
	s_addc_u32 s6, s6, s10
	s_mul_i32 s7, s29, s7
	s_mul_i32 s12, s28, s6
	s_mul_hi_u32 s10, s28, s6
	s_add_u32 s11, s11, s12
	s_addc_u32 s10, 0, s10
	s_mul_hi_u32 s13, s29, s6
	s_add_u32 s7, s11, s7
	s_mul_i32 s6, s29, s6
	s_addc_u32 s7, s10, s9
	s_addc_u32 s9, s13, 0
	s_add_u32 s6, s7, s6
	s_addc_u32 s7, 0, s9
	s_mul_hi_u32 s9, s38, s6
	s_mul_i32 s7, s38, s7
	s_mul_i32 s6, s38, s6
	s_add_i32 s9, s9, s7
	s_sub_u32 s6, s28, s6
	s_cselect_b32 s7, -1, 0
	s_cmp_lg_u32 s7, 0
	s_subb_u32 s7, s29, s9
	s_sub_u32 s9, s6, s38
	s_cselect_b32 s10, -1, 0
	s_cmp_lg_u32 s10, 0
	s_subb_u32 s10, s7, 0
	;; [unrolled: 4-line block ×3, first 2 shown]
	s_cmp_ge_u32 s9, s38
	s_cselect_b32 s13, -1, 0
	s_cmp_eq_u32 s10, 0
	s_cselect_b32 s13, s13, -1
	s_cmp_lg_u32 s13, 0
	s_cselect_b32 s10, s12, s10
	s_cselect_b32 s9, s11, s9
	s_cmp_ge_u32 s6, s38
	s_cselect_b32 s11, -1, 0
	s_cmp_eq_u32 s7, 0
	s_cselect_b32 s11, s11, -1
	s_cmp_lg_u32 s11, 0
	s_cselect_b32 s7, s10, s7
	s_cselect_b32 s6, s9, s6
	s_cbranch_execnz .LBB189_71
.LBB189_70:                             ;   in Loop: Header=BB189_31 Depth=1
	v_cvt_f32_u32_e32 v2, s38
	s_sub_i32 s7, 0, s38
	v_rcp_iflag_f32_e32 v2, v2
	v_mul_f32_e32 v2, 0x4f7ffffe, v2
	v_cvt_u32_f32_e32 v2, v2
	v_readfirstlane_b32 s6, v2
	s_mul_i32 s7, s7, s6
	s_mul_hi_u32 s7, s6, s7
	s_add_i32 s6, s6, s7
	s_mul_hi_u32 s6, s28, s6
	s_mul_i32 s6, s6, s38
	s_sub_i32 s6, s28, s6
	s_sub_i32 s7, s6, s38
	s_cmp_ge_u32 s6, s38
	s_cselect_b32 s6, s7, s6
	s_sub_i32 s7, s6, s38
	s_cmp_ge_u32 s6, s38
	s_cselect_b32 s56, s7, s6
	s_mov_b64 s[6:7], s[56:57]
.LBB189_71:                             ;   in Loop: Header=BB189_31 Depth=1
	v_mov_b32_e32 v8, 0
	v_mov_b32_e32 v10, 0
	;; [unrolled: 1-line block ×8, first 2 shown]
	s_sub_u32 s70, s28, s6
	s_subb_u32 s71, s29, s7
	s_mov_b32 s39, exec_lo
	v_cmpx_gt_u64_e64 s[70:71], v[20:21]
	s_cbranch_execz .LBB189_75
; %bb.72:                               ;   in Loop: Header=BB189_31 Depth=1
	v_mov_b32_e32 v4, v30
	v_mov_b32_e32 v39, v27
	;; [unrolled: 1-line block ×10, first 2 shown]
	s_mul_i32 s6, s67, s2
	s_mul_hi_u32 s7, s66, s2
	s_mul_i32 s56, s66, s2
	s_add_i32 s43, s7, s6
	s_mov_b64 s[72:73], 0
	s_mov_b32 s58, 0
	s_mov_b64 s[74:75], 0
	s_mov_b64 s[76:77], 0
	;; [unrolled: 1-line block ×3, first 2 shown]
.LBB189_73:                             ;   Parent Loop BB189_31 Depth=1
                                        ; =>  This Inner Loop Header: Depth=2
	v_add_co_u32 v8, vcc_lo, v4, s46
	v_add_co_ci_u32_e64 v9, null, s47, v5, vcc_lo
	global_load_dwordx2 v[8:9], v[8:9], off
	s_waitcnt vmcnt(0)
	v_ashrrev_i32_e32 v2, 31, v9
	v_cmp_o_f64_e32 vcc_lo, v[8:9], v[8:9]
	v_or_b32_e32 v10, 0x80000000, v2
	v_xor_b32_e32 v2, v2, v8
	v_add_co_u32 v8, s6, v38, s46
	v_xor_b32_e32 v10, v10, v9
	v_add_co_ci_u32_e64 v9, null, s47, v39, s6
	global_load_dwordx2 v[8:9], v[8:9], off
	s_waitcnt vmcnt(0)
	v_ashrrev_i32_e32 v11, 31, v9
	v_cmp_o_f64_e64 s6, v[8:9], v[8:9]
	v_or_b32_e32 v12, 0x80000000, v11
	v_xor_b32_e32 v13, v11, v8
	v_add_co_u32 v8, s7, v40, s46
	v_xor_b32_e32 v12, v12, v9
	v_add_co_ci_u32_e64 v9, null, s47, v41, s7
	global_load_dwordx2 v[8:9], v[8:9], off
	s_waitcnt vmcnt(0)
	v_ashrrev_i32_e32 v11, 31, v9
	v_cmp_o_f64_e64 s7, v[8:9], v[8:9]
	v_or_b32_e32 v14, 0x80000000, v11
	v_xor_b32_e32 v15, v11, v8
	v_add_co_u32 v8, s9, v42, s46
	v_xor_b32_e32 v14, v14, v9
	v_add_co_ci_u32_e64 v9, null, s47, v43, s9
	global_load_dwordx2 v[8:9], v[8:9], off
	s_waitcnt vmcnt(0)
	v_ashrrev_i32_e32 v11, 31, v9
	v_cmp_o_f64_e64 s9, v[8:9], v[8:9]
	v_or_b32_e32 v18, 0x80000000, v11
	v_xor_b32_e32 v53, v11, v8
	v_cndmask_b32_e32 v8, -1, v2, vcc_lo
	v_xor_b32_e32 v18, v18, v9
	v_cndmask_b32_e32 v9, -1, v10, vcc_lo
	v_and_b32_e32 v10, v8, v34
	v_and_b32_e32 v11, v9, v35
	v_lshrrev_b64 v[8:9], s54, v[8:9]
	v_cmp_eq_u64_e32 vcc_lo, v[10:11], v[28:29]
	v_cndmask_b32_e64 v11, -1, v12, s6
	v_cndmask_b32_e64 v10, -1, v13, s6
	v_and_b32_e32 v13, v11, v35
	v_and_b32_e32 v12, v10, v34
	v_cmp_eq_u64_e64 s6, v[12:13], v[28:29]
	v_cndmask_b32_e64 v13, -1, v14, s7
	v_cndmask_b32_e64 v12, -1, v15, s7
	v_and_b32_e32 v15, v13, v35
	v_and_b32_e32 v14, v12, v34
	v_cmp_eq_u64_e64 s7, v[14:15], v[28:29]
	v_cndmask_b32_e64 v15, -1, v18, s9
	v_and_b32_e32 v18, 3, v8
	v_lshrrev_b64 v[8:9], s54, v[10:11]
	v_mov_b32_e32 v9, v19
	v_cndmask_b32_e64 v14, -1, v53, s9
	v_and_b32_e32 v54, v15, v35
	v_cmp_eq_u64_e64 s22, 0, v[18:19]
	v_cmp_eq_u64_e64 s23, 1, v[18:19]
	v_and_b32_e32 v8, 3, v8
	v_and_b32_e32 v53, v14, v34
	s_and_b32 s22, vcc_lo, s22
	v_cmp_eq_u64_e64 s10, 0, v[8:9]
	v_cmp_eq_u64_e64 s11, 1, v[8:9]
	;; [unrolled: 1-line block ×4, first 2 shown]
	v_lshrrev_b64 v[8:9], s54, v[12:13]
	v_mov_b32_e32 v9, v19
	v_cndmask_b32_e64 v2, 0, 1, s22
	s_and_b32 s10, s6, s10
	v_cmp_eq_u64_e64 s9, v[53:54], v[28:29]
	v_and_b32_e32 v8, 3, v8
	v_cmp_ne_u32_e64 s22, 0, v2
	v_cndmask_b32_e64 v2, 0, 1, s10
	v_cmp_eq_u64_e64 s14, 0, v[8:9]
	v_cmp_eq_u64_e64 s15, 1, v[8:9]
	;; [unrolled: 1-line block ×4, first 2 shown]
	v_lshrrev_b64 v[8:9], s54, v[14:15]
	v_mov_b32_e32 v9, v19
	s_and_b32 s14, s7, s14
	v_cmp_ne_u32_e64 s10, 0, v2
	v_cndmask_b32_e64 v2, 0, 1, s14
	s_bcnt1_i32_b32 s22, s22
	v_and_b32_e32 v8, 3, v8
	s_bcnt1_i32_b32 s10, s10
	v_cmp_ne_u32_e64 s14, 0, v2
	s_add_i32 s10, s10, s22
	v_cmp_eq_u64_e64 s18, 0, v[8:9]
	v_cmp_eq_u64_e64 s19, 1, v[8:9]
	;; [unrolled: 1-line block ×3, first 2 shown]
	s_bcnt1_i32_b32 s14, s14
	v_cmp_eq_u64_e64 s21, 3, v[8:9]
	s_add_i32 s10, s10, s14
	s_and_b32 s18, s9, s18
	v_cndmask_b32_e64 v2, 0, 1, s18
	v_cmp_ne_u32_e64 s18, 0, v2
	s_bcnt1_i32_b32 s18, s18
	s_add_i32 s10, s10, s18
	v_cmp_eq_u64_e64 s18, 2, v[18:19]
	s_add_u32 s78, s78, s10
	s_addc_u32 s79, s79, 0
	s_and_b32 s10, vcc_lo, s23
	s_and_b32 s11, s6, s11
	v_cndmask_b32_e64 v2, 0, 1, s10
	s_and_b32 s14, s7, s15
	s_and_b32 s15, s9, s19
	v_mov_b32_e32 v8, s78
	v_mov_b32_e32 v9, s79
	v_cmp_ne_u32_e64 s10, 0, v2
	v_cndmask_b32_e64 v2, 0, 1, s11
	s_bcnt1_i32_b32 s10, s10
	v_cmp_ne_u32_e64 s11, 0, v2
	v_cndmask_b32_e64 v2, 0, 1, s14
	s_bcnt1_i32_b32 s11, s11
	v_cmp_ne_u32_e64 s14, 0, v2
	v_cndmask_b32_e64 v2, 0, 1, s15
	s_add_i32 s10, s11, s10
	s_bcnt1_i32_b32 s14, s14
	v_cmp_ne_u32_e64 s15, 0, v2
	s_add_i32 s10, s10, s14
	s_bcnt1_i32_b32 s15, s15
	s_add_i32 s10, s10, s15
	v_cmp_eq_u64_e64 s15, 3, v[18:19]
	s_add_u32 s76, s76, s10
	s_addc_u32 s77, s77, 0
	s_and_b32 s10, vcc_lo, s18
	s_and_b32 s11, s6, s12
	v_cndmask_b32_e64 v2, 0, 1, s10
	s_and_b32 s12, s7, s16
	s_and_b32 s14, s9, s20
	v_mov_b32_e32 v10, s76
	v_mov_b32_e32 v11, s77
	v_cmp_ne_u32_e64 s10, 0, v2
	v_cndmask_b32_e64 v2, 0, 1, s11
	s_bcnt1_i32_b32 s10, s10
	v_cmp_ne_u32_e64 s11, 0, v2
	v_cndmask_b32_e64 v2, 0, 1, s12
	s_bcnt1_i32_b32 s11, s11
	v_cmp_ne_u32_e64 s12, 0, v2
	v_cndmask_b32_e64 v2, 0, 1, s14
	s_add_i32 s10, s11, s10
	v_add_co_u32 v42, s11, v42, s56
	s_bcnt1_i32_b32 s12, s12
	v_cmp_ne_u32_e64 s14, 0, v2
	s_add_i32 s10, s10, s12
	v_add_co_ci_u32_e64 v43, null, s43, v43, s11
	v_add_co_u32 v40, s12, v40, s56
	s_bcnt1_i32_b32 s14, s14
	v_add_co_ci_u32_e64 v41, null, s43, v41, s12
	s_add_i32 s10, s10, s14
	v_add_co_u32 v4, s14, v4, s56
	s_add_u32 s74, s74, s10
	s_addc_u32 s75, s75, 0
	s_and_b32 s10, vcc_lo, s15
	s_and_b32 s6, s6, s13
	v_cndmask_b32_e64 v2, 0, 1, s10
	s_and_b32 s7, s7, s17
	s_and_b32 s9, s9, s21
	v_add_co_u32 v44, s10, v44, s38
	v_cmp_ne_u32_e32 vcc_lo, 0, v2
	v_cndmask_b32_e64 v2, 0, 1, s6
	v_add_co_ci_u32_e64 v45, null, 0, v45, s10
	v_add_co_u32 v38, s13, v38, s56
	v_cmp_ne_u32_e64 s6, 0, v2
	v_cndmask_b32_e64 v2, 0, 1, s7
	s_bcnt1_i32_b32 s11, vcc_lo
	v_cmp_le_u64_e64 s10, s[70:71], v[44:45]
	v_mov_b32_e32 v12, s74
	s_bcnt1_i32_b32 s6, s6
	v_cmp_ne_u32_e64 s7, 0, v2
	v_cndmask_b32_e64 v2, 0, 1, s9
	s_add_i32 s6, s6, s11
	v_add_co_ci_u32_e64 v39, null, s43, v39, s13
	s_bcnt1_i32_b32 s7, s7
	v_cmp_ne_u32_e64 s9, 0, v2
	s_add_i32 s6, s6, s7
	v_add_co_ci_u32_e64 v5, null, s43, v5, s14
	v_mov_b32_e32 v13, s75
	s_bcnt1_i32_b32 s9, s9
	s_add_i32 s6, s6, s9
	s_add_u32 s72, s72, s6
	s_addc_u32 s73, s73, 0
	v_mov_b32_e32 v14, s72
	v_mov_b32_e32 v15, s73
	s_or_b32 s58, s10, s58
	s_andn2_b32 exec_lo, exec_lo, s58
	s_cbranch_execnz .LBB189_73
; %bb.74:                               ;   in Loop: Header=BB189_31 Depth=1
	s_or_b32 exec_lo, exec_lo, s58
.LBB189_75:                             ;   in Loop: Header=BB189_31 Depth=1
	s_or_b32 exec_lo, exec_lo, s39
	v_add_co_u32 v4, s6, s70, v0
	v_add_co_ci_u32_e64 v5, null, s71, 0, s6
	s_mov_b32 s11, exec_lo
	v_cmpx_gt_u64_e64 s[28:29], v[4:5]
	s_cbranch_execz .LBB189_81
; %bb.76:                               ;   in Loop: Header=BB189_31 Depth=1
	v_mul_lo_u32 v2, v5, s26
	v_mul_lo_u32 v18, v4, s27
	v_mad_u64_u32 v[38:39], null, v4, s26, 0
	s_mov_b32 s12, 0
	v_add3_u32 v39, v39, v18, v2
	v_lshlrev_b64 v[38:39], 3, v[38:39]
	v_add_co_u32 v38, vcc_lo, s82, v38
	v_add_co_ci_u32_e64 v39, null, s83, v39, vcc_lo
	global_load_dwordx2 v[40:41], v[38:39], off
	s_branch .LBB189_78
.LBB189_77:                             ;   in Loop: Header=BB189_78 Depth=2
	s_or_b32 exec_lo, exec_lo, s7
	s_waitcnt vmcnt(0)
	v_cmp_o_f64_e64 s6, v[40:41], v[40:41]
	v_ashrrev_i32_e32 v2, 31, v41
	s_and_b32 s9, exec_lo, vcc_lo
	s_or_b32 s12, s9, s12
	v_or_b32_e32 v18, 0x80000000, v2
	v_xor_b32_e32 v2, v2, v40
	v_xor_b32_e32 v18, v18, v41
	v_cndmask_b32_e64 v41, -1, v18, s6
	v_cndmask_b32_e64 v40, -1, v2, s6
	v_lshrrev_b64 v[42:43], s54, v[40:41]
	v_and_b32_e32 v41, v41, v35
	v_and_b32_e32 v40, v40, v34
	v_and_b32_e32 v18, 3, v42
	v_cmp_eq_u64_e64 s6, v[40:41], v[28:29]
	v_cmp_eq_u64_e64 s7, 0, v[18:19]
	v_cmp_eq_u64_e32 vcc_lo, 1, v[18:19]
	v_cmp_eq_u64_e64 s9, 2, v[18:19]
	v_cmp_eq_u64_e64 s10, 3, v[18:19]
	s_and_b32 s7, s6, s7
	v_cndmask_b32_e64 v2, 0, 1, s7
	s_and_b32 s7, s6, vcc_lo
	v_cndmask_b32_e64 v18, 0, 1, s7
	s_and_b32 s7, s6, s9
	s_and_b32 s6, s6, s10
	v_cndmask_b32_e64 v40, 0, 1, s7
	v_cmp_ne_u32_e32 vcc_lo, 0, v2
	v_cndmask_b32_e64 v41, 0, 1, s6
	v_cmp_ne_u32_e64 s6, 0, v18
	v_cmp_ne_u32_e64 s7, 0, v40
	s_bcnt1_i32_b32 s10, vcc_lo
	v_cmp_ne_u32_e64 s9, 0, v41
	s_bcnt1_i32_b32 s6, s6
	v_add_co_u32 v8, vcc_lo, v8, s10
	s_bcnt1_i32_b32 s7, s7
	v_add_co_ci_u32_e64 v9, null, 0, v9, vcc_lo
	v_add_co_u32 v10, vcc_lo, v10, s6
	s_bcnt1_i32_b32 s9, s9
	v_add_co_ci_u32_e64 v11, null, 0, v11, vcc_lo
	v_add_co_u32 v12, vcc_lo, v12, s7
	v_add_co_ci_u32_e64 v13, null, 0, v13, vcc_lo
	v_add_co_u32 v14, vcc_lo, v14, s9
	v_mov_b32_e32 v41, v39
	v_add_co_ci_u32_e64 v15, null, 0, v15, vcc_lo
	v_mov_b32_e32 v40, v38
	s_andn2_b32 exec_lo, exec_lo, s12
	s_cbranch_execz .LBB189_80
.LBB189_78:                             ;   Parent Loop BB189_31 Depth=1
                                        ; =>  This Inner Loop Header: Depth=2
	v_add_co_u32 v4, vcc_lo, v4, s2
	v_mov_b32_e32 v38, 0
	v_add_co_ci_u32_e64 v5, null, 0, v5, vcc_lo
	v_mov_b32_e32 v39, 0
	s_mov_b32 s7, exec_lo
	v_cmp_le_u64_e32 vcc_lo, s[28:29], v[4:5]
	v_cmpx_gt_u64_e64 s[28:29], v[4:5]
	s_cbranch_execz .LBB189_77
; %bb.79:                               ;   in Loop: Header=BB189_78 Depth=2
	v_mul_lo_u32 v2, v5, s26
	v_mul_lo_u32 v18, v4, s27
	v_mad_u64_u32 v[38:39], null, v4, s26, 0
	v_add3_u32 v39, v39, v18, v2
	v_lshlrev_b64 v[38:39], 3, v[38:39]
	v_add_co_u32 v38, s6, s82, v38
	v_add_co_ci_u32_e64 v39, null, s83, v39, s6
	global_load_dwordx2 v[38:39], v[38:39], off
	s_branch .LBB189_77
.LBB189_80:                             ;   in Loop: Header=BB189_31 Depth=1
	s_or_b32 exec_lo, exec_lo, s12
.LBB189_81:                             ;   in Loop: Header=BB189_31 Depth=1
	s_or_b32 exec_lo, exec_lo, s11
	s_branch .LBB189_60
.LBB189_82:                             ;   in Loop: Header=BB189_31 Depth=1
	global_load_ushort v2, v19, s[60:61]
	v_mov_b32_e32 v8, 0
	v_mov_b32_e32 v10, 0
	;; [unrolled: 1-line block ×8, first 2 shown]
	s_mov_b32 s39, exec_lo
	s_waitcnt vmcnt(0)
	v_readfirstlane_b32 s2, v2
	s_and_b32 s2, 0xffff, s2
	s_lshl_b32 s38, s2, 2
	v_cvt_f32_u32_e32 v4, s38
	s_sub_i32 s7, 0, s38
	v_rcp_iflag_f32_e32 v4, v4
	v_mul_f32_e32 v4, 0x4f7ffffe, v4
	v_cvt_u32_f32_e32 v4, v4
	v_readfirstlane_b32 s6, v4
	s_mul_i32 s7, s7, s6
	s_mul_hi_u32 s7, s6, s7
	s_add_i32 s6, s6, s7
	s_mul_hi_u32 s6, s68, s6
	s_mul_i32 s7, s6, s38
	s_add_i32 s9, s6, 1
	s_sub_i32 s7, s68, s7
	s_sub_i32 s10, s7, s38
	s_cmp_ge_u32 s7, s38
	s_cselect_b32 s6, s9, s6
	s_cselect_b32 s7, s10, s7
	s_add_i32 s9, s6, 1
	s_cmp_ge_u32 s7, s38
	s_cselect_b32 s6, s9, s6
	s_mul_hi_u32 s71, s2, s6
	s_mul_i32 s70, s2, s6
	s_lshl_b64 s[72:73], s[70:71], 2
	v_cmpx_gt_u64_e64 s[72:73], v[20:21]
	s_cbranch_execz .LBB189_86
; %bb.83:                               ;   in Loop: Header=BB189_31 Depth=1
	v_mov_b32_e32 v4, v20
	v_mov_b32_e32 v38, v50
	;; [unrolled: 1-line block ×3, first 2 shown]
	s_lshl_b32 s43, s2, 5
	s_mov_b64 s[74:75], 0
	s_mov_b32 s56, 0
	s_mov_b64 s[76:77], 0
	s_mov_b64 s[78:79], 0
	;; [unrolled: 1-line block ×3, first 2 shown]
.LBB189_84:                             ;   Parent Loop BB189_31 Depth=1
                                        ; =>  This Inner Loop Header: Depth=2
	ds_read_b128 v[8:11], v38
	s_waitcnt lgkmcnt(0)
	v_ashrrev_i32_e32 v12, 31, v9
	v_cmp_o_f64_e32 vcc_lo, v[8:9], v[8:9]
	v_cmp_o_f64_e64 s6, v[10:11], v[10:11]
	v_or_b32_e32 v13, 0x80000000, v12
	v_xor_b32_e32 v12, v12, v8
	v_ashrrev_i32_e32 v8, 31, v11
	v_xor_b32_e32 v13, v13, v9
	v_or_b32_e32 v14, 0x80000000, v8
	v_xor_b32_e32 v15, v8, v10
	v_xor_b32_e32 v14, v14, v11
	ds_read_b128 v[8:11], v38 offset:16
	v_add_nc_u32_e32 v38, s43, v38
	s_waitcnt lgkmcnt(0)
	v_ashrrev_i32_e32 v18, 31, v9
	v_cmp_o_f64_e64 s7, v[8:9], v[8:9]
	v_cmp_o_f64_e64 s9, v[10:11], v[10:11]
	v_or_b32_e32 v39, 0x80000000, v18
	v_xor_b32_e32 v18, v18, v8
	v_ashrrev_i32_e32 v8, 31, v11
	v_xor_b32_e32 v39, v39, v9
	v_cndmask_b32_e32 v9, -1, v13, vcc_lo
	v_or_b32_e32 v40, 0x80000000, v8
	v_xor_b32_e32 v41, v8, v10
	v_cndmask_b32_e32 v8, -1, v12, vcc_lo
	v_xor_b32_e32 v40, v40, v11
	v_and_b32_e32 v11, v9, v35
	v_and_b32_e32 v10, v8, v34
	v_lshrrev_b64 v[8:9], s54, v[8:9]
	v_cmp_eq_u64_e32 vcc_lo, v[10:11], v[28:29]
	v_cndmask_b32_e64 v11, -1, v14, s6
	v_cndmask_b32_e64 v10, -1, v15, s6
	v_and_b32_e32 v13, v11, v35
	v_and_b32_e32 v12, v10, v34
	v_cmp_eq_u64_e64 s6, v[12:13], v[28:29]
	v_cndmask_b32_e64 v12, -1, v18, s7
	v_and_b32_e32 v18, 3, v8
	v_lshrrev_b64 v[8:9], s54, v[10:11]
	v_cndmask_b32_e64 v13, -1, v39, s7
	v_mov_b32_e32 v9, v19
	v_and_b32_e32 v14, v12, v34
	v_cmp_eq_u64_e64 s22, 0, v[18:19]
	v_cmp_eq_u64_e64 s23, 1, v[18:19]
	v_and_b32_e32 v8, 3, v8
	v_and_b32_e32 v15, v13, v35
	s_and_b32 s22, vcc_lo, s22
	v_cmp_eq_u64_e64 s10, 0, v[8:9]
	v_cmp_eq_u64_e64 s11, 1, v[8:9]
	;; [unrolled: 1-line block ×4, first 2 shown]
	v_lshrrev_b64 v[8:9], s54, v[12:13]
	v_cmp_eq_u64_e64 s7, v[14:15], v[28:29]
	v_cndmask_b32_e64 v15, -1, v40, s9
	v_cndmask_b32_e64 v14, -1, v41, s9
	v_mov_b32_e32 v9, v19
	s_and_b32 s10, s6, s10
	v_and_b32_e32 v8, 3, v8
	v_and_b32_e32 v40, v15, v35
	;; [unrolled: 1-line block ×3, first 2 shown]
	v_cmp_eq_u64_e64 s14, 0, v[8:9]
	v_cmp_eq_u64_e64 s15, 1, v[8:9]
	;; [unrolled: 1-line block ×4, first 2 shown]
	v_lshrrev_b64 v[8:9], s54, v[14:15]
	v_mov_b32_e32 v9, v19
	v_cmp_eq_u64_e64 s9, v[39:40], v[28:29]
	s_and_b32 s14, s7, s14
	v_and_b32_e32 v8, 3, v8
	v_cmp_eq_u64_e64 s18, 0, v[8:9]
	v_cmp_eq_u64_e64 s19, 1, v[8:9]
	v_cmp_eq_u64_e64 s20, 2, v[8:9]
	v_cmp_eq_u64_e64 s21, 3, v[8:9]
	v_cndmask_b32_e64 v8, 0, 1, s22
	s_and_b32 s18, s9, s18
	v_cmp_ne_u32_e64 s22, 0, v8
	v_cndmask_b32_e64 v8, 0, 1, s10
	s_bcnt1_i32_b32 s22, s22
	v_cmp_ne_u32_e64 s10, 0, v8
	v_cndmask_b32_e64 v8, 0, 1, s14
	s_bcnt1_i32_b32 s10, s10
	v_cmp_ne_u32_e64 s14, 0, v8
	v_cndmask_b32_e64 v8, 0, 1, s18
	s_add_i32 s10, s10, s22
	s_bcnt1_i32_b32 s14, s14
	v_cmp_ne_u32_e64 s18, 0, v8
	s_add_i32 s10, s10, s14
	s_bcnt1_i32_b32 s18, s18
	s_add_i32 s10, s10, s18
	v_cmp_eq_u64_e64 s18, 2, v[18:19]
	s_add_u32 s80, s80, s10
	s_addc_u32 s81, s81, 0
	s_and_b32 s10, vcc_lo, s23
	s_and_b32 s11, s6, s11
	v_cndmask_b32_e64 v8, 0, 1, s10
	s_and_b32 s14, s7, s15
	s_and_b32 s15, s9, s19
	v_cmp_ne_u32_e64 s10, 0, v8
	v_cndmask_b32_e64 v8, 0, 1, s11
	s_bcnt1_i32_b32 s10, s10
	v_cmp_ne_u32_e64 s11, 0, v8
	v_cndmask_b32_e64 v8, 0, 1, s14
	s_bcnt1_i32_b32 s11, s11
	v_cmp_ne_u32_e64 s14, 0, v8
	v_cndmask_b32_e64 v8, 0, 1, s15
	s_add_i32 s10, s11, s10
	s_bcnt1_i32_b32 s14, s14
	v_cmp_ne_u32_e64 s15, 0, v8
	s_add_i32 s10, s10, s14
	s_bcnt1_i32_b32 s15, s15
	s_add_i32 s10, s10, s15
	v_cmp_eq_u64_e64 s15, 3, v[18:19]
	s_add_u32 s78, s78, s10
	s_addc_u32 s79, s79, 0
	s_and_b32 s10, vcc_lo, s18
	s_and_b32 s11, s6, s12
	v_cndmask_b32_e64 v8, 0, 1, s10
	s_and_b32 s12, s7, s16
	s_and_b32 s14, s9, s20
	v_mov_b32_e32 v10, s78
	v_mov_b32_e32 v11, s79
	v_cmp_ne_u32_e64 s10, 0, v8
	v_cndmask_b32_e64 v8, 0, 1, s11
	s_bcnt1_i32_b32 s10, s10
	v_cmp_ne_u32_e64 s11, 0, v8
	v_cndmask_b32_e64 v8, 0, 1, s12
	s_bcnt1_i32_b32 s11, s11
	v_cmp_ne_u32_e64 s12, 0, v8
	v_cndmask_b32_e64 v8, 0, 1, s14
	s_add_i32 s10, s11, s10
	s_bcnt1_i32_b32 s12, s12
	v_cmp_ne_u32_e64 s14, 0, v8
	s_add_i32 s10, s10, s12
	s_bcnt1_i32_b32 s14, s14
	s_add_i32 s10, s10, s14
	s_add_u32 s76, s76, s10
	s_addc_u32 s77, s77, 0
	s_and_b32 s10, vcc_lo, s15
	s_and_b32 s6, s6, s13
	v_cndmask_b32_e64 v8, 0, 1, s10
	s_and_b32 s7, s7, s17
	s_and_b32 s9, s9, s21
	v_add_co_u32 v4, s10, v4, s38
	v_cmp_ne_u32_e32 vcc_lo, 0, v8
	v_cndmask_b32_e64 v8, 0, 1, s6
	v_add_co_ci_u32_e64 v5, null, 0, v5, s10
	v_mov_b32_e32 v12, s76
	s_bcnt1_i32_b32 s11, vcc_lo
	v_cmp_ne_u32_e64 s6, 0, v8
	v_cndmask_b32_e64 v8, 0, 1, s7
	v_cmp_le_u64_e64 s10, s[72:73], v[4:5]
	v_mov_b32_e32 v13, s77
	s_bcnt1_i32_b32 s6, s6
	v_cmp_ne_u32_e64 s7, 0, v8
	v_cndmask_b32_e64 v8, 0, 1, s9
	s_add_i32 s6, s6, s11
	s_bcnt1_i32_b32 s7, s7
	v_cmp_ne_u32_e64 s9, 0, v8
	s_add_i32 s6, s6, s7
	v_mov_b32_e32 v8, s80
	v_mov_b32_e32 v9, s81
	s_bcnt1_i32_b32 s9, s9
	s_add_i32 s6, s6, s9
	s_add_u32 s74, s74, s6
	s_addc_u32 s75, s75, 0
	v_mov_b32_e32 v14, s74
	v_mov_b32_e32 v15, s75
	s_or_b32 s56, s10, s56
	s_andn2_b32 exec_lo, exec_lo, s56
	s_cbranch_execnz .LBB189_84
; %bb.85:                               ;   in Loop: Header=BB189_31 Depth=1
	s_or_b32 exec_lo, exec_lo, s56
.LBB189_86:                             ;   in Loop: Header=BB189_31 Depth=1
	s_or_b32 exec_lo, exec_lo, s39
	v_add_co_u32 v4, s6, s72, v0
	v_and_b32_e32 v2, 0xffff, v2
	v_add_co_ci_u32_e64 v5, null, s73, 0, s6
	s_and_b32 s56, s68, 0x7fffffff
	s_mov_b32 s12, exec_lo
	v_cmpx_gt_u64_e64 s[56:57], v[4:5]
	s_cbranch_execz .LBB189_90
; %bb.87:                               ;   in Loop: Header=BB189_31 Depth=1
	v_lshl_add_u32 v38, s70, 5, v48
	s_lshl_b32 s13, s2, 3
	s_mov_b32 s2, 0
.LBB189_88:                             ;   Parent Loop BB189_31 Depth=1
                                        ; =>  This Inner Loop Header: Depth=2
	ds_read_b64 v[39:40], v38
	v_add_co_u32 v4, vcc_lo, v4, v2
	v_add_co_ci_u32_e64 v5, null, 0, v5, vcc_lo
	v_add_nc_u32_e32 v38, s13, v38
	v_cmp_le_u64_e32 vcc_lo, s[56:57], v[4:5]
	s_waitcnt lgkmcnt(0)
	v_cmp_o_f64_e64 s6, v[39:40], v[39:40]
	v_ashrrev_i32_e32 v18, 31, v40
	v_or_b32_e32 v41, 0x80000000, v18
	v_xor_b32_e32 v18, v18, v39
	v_xor_b32_e32 v41, v41, v40
	v_cndmask_b32_e64 v40, -1, v41, s6
	v_cndmask_b32_e64 v39, -1, v18, s6
	v_and_b32_e32 v42, v40, v35
	v_and_b32_e32 v41, v39, v34
	v_lshrrev_b64 v[39:40], s54, v[39:40]
	v_cmp_eq_u64_e64 s6, v[41:42], v[28:29]
	v_and_b32_e32 v18, 3, v39
	v_cmp_eq_u64_e64 s7, 0, v[18:19]
	v_cmp_eq_u64_e64 s9, 1, v[18:19]
	;; [unrolled: 1-line block ×4, first 2 shown]
	s_and_b32 s7, s6, s7
	v_cndmask_b32_e64 v18, 0, 1, s7
	s_and_b32 s7, s6, s9
	v_cndmask_b32_e64 v39, 0, 1, s7
	s_and_b32 s7, s6, s10
	s_and_b32 s6, s6, s11
	v_cndmask_b32_e64 v40, 0, 1, s7
	v_cndmask_b32_e64 v41, 0, 1, s6
	v_cmp_ne_u32_e64 s6, 0, v18
	v_cmp_ne_u32_e64 s7, 0, v39
	v_cmp_ne_u32_e64 s9, 0, v40
	v_cmp_ne_u32_e64 s10, 0, v41
	s_bcnt1_i32_b32 s6, s6
	s_bcnt1_i32_b32 s7, s7
	v_add_co_u32 v8, s6, v8, s6
	s_bcnt1_i32_b32 s9, s9
	v_add_co_ci_u32_e64 v9, null, 0, v9, s6
	v_add_co_u32 v10, s6, v10, s7
	s_bcnt1_i32_b32 s10, s10
	v_add_co_ci_u32_e64 v11, null, 0, v11, s6
	v_add_co_u32 v12, s6, v12, s9
	v_add_co_ci_u32_e64 v13, null, 0, v13, s6
	v_add_co_u32 v14, s6, v14, s10
	v_add_co_ci_u32_e64 v15, null, 0, v15, s6
	s_or_b32 s2, vcc_lo, s2
	s_andn2_b32 exec_lo, exec_lo, s2
	s_cbranch_execnz .LBB189_88
; %bb.89:                               ;   in Loop: Header=BB189_31 Depth=1
	s_or_b32 exec_lo, exec_lo, s2
.LBB189_90:                             ;   in Loop: Header=BB189_31 Depth=1
	s_or_b32 exec_lo, exec_lo, s12
	s_lshl_b32 s2, s98, 7
	s_and_saveexec_b32 s6, s0
	s_cbranch_execnz .LBB189_61
	s_branch .LBB189_62
.LBB189_91:                             ;   in Loop: Header=BB189_31 Depth=1
                                        ; implicit-def: $sgpr6_sgpr7
	s_branch .LBB189_70
.LBB189_92:                             ;   in Loop: Header=BB189_31 Depth=1
	s_mov_b32 s7, 0
.LBB189_93:                             ;   in Loop: Header=BB189_31 Depth=1
	v_readlane_b32 s9, v55, 8
	s_andn2_b32 vcc_lo, exec_lo, s9
	s_cbranch_vccnz .LBB189_96
; %bb.94:                               ;   in Loop: Header=BB189_31 Depth=1
	s_lshl_b32 s9, s98, 10
	s_lshl_b32 s7, s7, 5
	v_add3_u32 v2, s9, s7, v52
	v_readlane_b32 s7, v55, 7
.LBB189_95:                             ;   Parent Loop BB189_31 Depth=1
                                        ; =>  This Inner Loop Header: Depth=2
	ds_read_b64 v[8:9], v2
	v_add_nc_u32_e32 v2, 32, v2
	s_add_i32 s7, s7, -1
	s_cmp_lg_u32 s7, 0
	s_waitcnt lgkmcnt(0)
	v_add_co_u32 v4, vcc_lo, v8, v4
	v_add_co_ci_u32_e64 v5, null, v9, v5, vcc_lo
	s_cbranch_scc1 .LBB189_95
.LBB189_96:                             ;   in Loop: Header=BB189_31 Depth=1
	v_add_lshl_u32 v2, s2, v47, 3
	ds_write_b64 v2, v[4:5] offset:3072
.LBB189_97:                             ;   in Loop: Header=BB189_31 Depth=1
	s_or_b32 exec_lo, exec_lo, s6
	s_lshl_b32 s2, s2, 3
	s_waitcnt lgkmcnt(0)
	v_mov_b32_e32 v2, s2
	s_barrier
	buffer_gl0_inv
	v_cmp_eq_u64_e64 s7, 1, v[36:37]
	s_lshl_b64 s[12:13], 3, s54
	ds_read_b128 v[8:11], v2 offset:3072
	ds_read_b128 v[12:15], v2 offset:3088
	s_mov_b32 s74, -1
	s_not_b64 s[14:15], s[12:13]
	s_mov_b32 s9, 0
	s_andn2_b32 vcc_lo, exec_lo, s84
	s_mov_b32 s70, 0
	s_mov_b32 s43, 0
                                        ; implicit-def: $sgpr72
                                        ; implicit-def: $sgpr73
                                        ; implicit-def: $vgpr38_vgpr39
                                        ; implicit-def: $vgpr44
	s_waitcnt lgkmcnt(1)
	v_readfirstlane_b32 s11, v9
	v_readfirstlane_b32 s10, v8
	;; [unrolled: 1-line block ×4, first 2 shown]
	s_waitcnt lgkmcnt(0)
	v_readfirstlane_b32 s19, v13
	v_readfirstlane_b32 s18, v12
	;; [unrolled: 1-line block ×4, first 2 shown]
                                        ; implicit-def: $vgpr14_vgpr15
                                        ; implicit-def: $vgpr12_vgpr13
                                        ; implicit-def: $vgpr10_vgpr11
	s_cbranch_vccnz .LBB189_300
; %bb.98:                               ;   in Loop: Header=BB189_31 Depth=1
	s_cmp_eq_u64 s[10:11], 1
	v_mov_b32_e32 v14, v28
	v_mov_b32_e32 v12, v34
	;; [unrolled: 1-line block ×6, first 2 shown]
	s_cselect_b32 s2, -1, 0
	s_mov_b32 s6, -1
	s_and_b32 s2, s2, s7
                                        ; implicit-def: $sgpr73
                                        ; implicit-def: $sgpr72
	s_and_saveexec_b32 s38, s2
	s_cbranch_execz .LBB189_135
; %bb.99:                               ;   in Loop: Header=BB189_31 Depth=1
	ds_read_b64 v[4:5], v19 offset:5120
	s_waitcnt lgkmcnt(0)
	s_barrier
	buffer_gl0_inv
	v_readfirstlane_b32 s22, v4
	v_readfirstlane_b32 s23, v5
	s_and_saveexec_b32 s6, s8
; %bb.100:                              ;   in Loop: Header=BB189_31 Depth=1
	v_mov_b32_e32 v18, v19
	ds_write_b64 v49, v[18:19]
; %bb.101:                              ;   in Loop: Header=BB189_31 Depth=1
	s_or_b32 exec_lo, exec_lo, s6
	v_and_b32_e32 v15, s15, v29
	v_and_b32_e32 v14, s14, v28
	v_or_b32_e32 v13, s13, v35
	v_or_b32_e32 v12, s12, v34
	s_mov_b32 s72, -1
	s_mov_b32 s73, 0
	s_cmp_eq_u64 s[22:23], 0
	s_mov_b32 s39, 0
	s_mov_b32 s6, -1
	s_waitcnt lgkmcnt(0)
	s_barrier
	buffer_gl0_inv
                                        ; implicit-def: $vgpr10_vgpr11
	s_cbranch_scc1 .LBB189_119
; %bb.102:                              ;   in Loop: Header=BB189_31 Depth=1
	s_add_u32 s6, s22, s89
	s_addc_u32 s69, s23, s90
	s_mov_b32 s68, s57
	s_cmp_lg_u64 s[68:69], 0
	s_cbranch_scc0 .LBB189_162
; %bb.103:                              ;   in Loop: Header=BB189_31 Depth=1
	v_cvt_f32_u32_e32 v2, s33
	s_sub_u32 s44, 0, s33
	s_subb_u32 s45, 0, 0
	v_fmac_f32_e64 v2, 0x4f800000, 0
	v_rcp_f32_e32 v2, v2
	v_mul_f32_e32 v2, 0x5f7ffffc, v2
	v_mul_f32_e32 v4, 0x2f800000, v2
	v_trunc_f32_e32 v4, v4
	v_fmac_f32_e32 v2, 0xcf800000, v4
	v_cvt_u32_f32_e32 v4, v4
	v_cvt_u32_f32_e32 v2, v2
	v_readfirstlane_b32 s39, v4
	v_readfirstlane_b32 s43, v2
	s_mul_i32 s56, s44, s39
	s_mul_hi_u32 s62, s44, s43
	s_mul_i32 s58, s45, s43
	s_add_i32 s56, s62, s56
	s_mul_i32 s63, s44, s43
	s_add_i32 s56, s56, s58
	s_mul_hi_u32 s62, s43, s63
	s_mul_i32 s70, s43, s56
	s_mul_hi_u32 s68, s39, s63
	s_mul_i32 s58, s39, s63
	s_mul_hi_u32 s63, s43, s56
	s_add_u32 s62, s62, s70
	s_addc_u32 s63, 0, s63
	s_mul_hi_u32 s71, s39, s56
	s_add_u32 s58, s62, s58
	s_mul_i32 s56, s39, s56
	s_addc_u32 s58, s63, s68
	s_addc_u32 s62, s71, 0
	s_add_u32 s56, s58, s56
	s_addc_u32 s58, 0, s62
	s_add_u32 s43, s43, s56
	s_cselect_b32 s56, -1, 0
	s_mul_hi_u32 s62, s44, s43
	s_cmp_lg_u32 s56, 0
	s_mul_i32 s56, s44, s43
	s_addc_u32 s39, s39, s58
	s_mul_i32 s45, s45, s43
	s_mul_i32 s44, s44, s39
	s_mul_hi_u32 s58, s43, s56
	s_add_i32 s44, s62, s44
	s_mul_hi_u32 s62, s39, s56
	s_add_i32 s44, s44, s45
	s_mul_i32 s45, s39, s56
	s_mul_i32 s68, s43, s44
	s_mul_hi_u32 s63, s43, s44
	s_add_u32 s58, s58, s68
	s_addc_u32 s63, 0, s63
	s_mul_hi_u32 s56, s39, s44
	s_add_u32 s45, s58, s45
	s_mul_i32 s44, s39, s44
	s_addc_u32 s45, s63, s62
	s_addc_u32 s56, s56, 0
	s_add_u32 s44, s45, s44
	s_addc_u32 s45, 0, s56
	s_add_u32 s43, s43, s44
	s_cselect_b32 s44, -1, 0
	s_mul_hi_u32 s56, s6, s43
	s_cmp_lg_u32 s44, 0
	s_mul_hi_u32 s44, s69, s43
	s_addc_u32 s39, s39, s45
	s_mul_i32 s43, s69, s43
	s_mul_i32 s58, s6, s39
	s_mul_hi_u32 s45, s6, s39
	s_add_u32 s56, s56, s58
	s_addc_u32 s45, 0, s45
	s_mul_hi_u32 s62, s69, s39
	s_add_u32 s43, s56, s43
	s_mul_i32 s39, s69, s39
	s_addc_u32 s43, s45, s44
	s_addc_u32 s44, s62, 0
	s_add_u32 s39, s43, s39
	s_addc_u32 s43, 0, s44
	s_mul_hi_u32 s44, s33, s39
	s_mul_i32 s43, s33, s43
	s_mul_i32 s39, s33, s39
	s_add_i32 s44, s44, s43
	s_sub_u32 s39, s6, s39
	s_cselect_b32 s43, -1, 0
	s_cmp_lg_u32 s43, 0
	s_subb_u32 s43, s69, s44
	s_sub_u32 s44, s39, s33
	s_cselect_b32 s45, -1, 0
	s_cmp_lg_u32 s45, 0
	s_subb_u32 s45, s43, 0
	;; [unrolled: 4-line block ×3, first 2 shown]
	s_cmp_ge_u32 s44, s33
	s_cselect_b32 s62, -1, 0
	s_cmp_eq_u32 s45, 0
	s_cselect_b32 s62, s62, -1
	s_cmp_lg_u32 s62, 0
	s_cselect_b32 s45, s58, s45
	s_cselect_b32 s44, s56, s44
	s_cmp_ge_u32 s39, s33
	s_cselect_b32 s56, -1, 0
	s_cmp_eq_u32 s43, 0
	s_cselect_b32 s56, s56, -1
	s_cmp_lg_u32 s56, 0
	s_cselect_b32 s71, s45, s43
	s_cselect_b32 s70, s44, s39
	s_cbranch_execnz .LBB189_105
.LBB189_104:                            ;   in Loop: Header=BB189_31 Depth=1
	v_cvt_f32_u32_e32 v2, s33
	s_sub_i32 s43, 0, s33
	v_rcp_iflag_f32_e32 v2, v2
	v_mul_f32_e32 v2, 0x4f7ffffe, v2
	v_cvt_u32_f32_e32 v2, v2
	v_readfirstlane_b32 s39, v2
	s_mul_i32 s43, s43, s39
	s_mul_hi_u32 s43, s39, s43
	s_add_i32 s39, s39, s43
	s_mul_hi_u32 s39, s6, s39
	s_mul_i32 s39, s39, s33
	s_sub_i32 s39, s6, s39
	s_sub_i32 s43, s39, s33
	s_cmp_ge_u32 s39, s33
	s_cselect_b32 s39, s43, s39
	s_sub_i32 s43, s39, s33
	s_cmp_ge_u32 s39, s33
	s_cselect_b32 s56, s43, s39
	s_mov_b64 s[70:71], s[56:57]
.LBB189_105:                            ;   in Loop: Header=BB189_31 Depth=1
	s_sub_u32 s68, s6, s70
	s_subb_u32 s69, s69, s71
	s_mov_b32 s6, 0
	s_mov_b32 s39, 0
	s_mov_b32 s43, exec_lo
                                        ; implicit-def: $vgpr10_vgpr11
	v_cmpx_gt_u64_e64 s[68:69], v[0:1]
	s_cbranch_execz .LBB189_118
; %bb.106:                              ;   in Loop: Header=BB189_31 Depth=1
	v_mov_b32_e32 v39, v1
	v_mov_b32_e32 v18, v48
	v_mov_b32_e32 v38, v0
                                        ; implicit-def: $sgpr56
	s_branch .LBB189_110
.LBB189_107:                            ;   in Loop: Header=BB189_110 Depth=2
	s_or_b32 exec_lo, exec_lo, s44
	s_waitcnt lgkmcnt(0)
	s_barrier
	buffer_gl0_inv
	ds_read_b128 v[8:11], v19 offset:3072
	s_waitcnt lgkmcnt(0)
	s_barrier
	buffer_gl0_inv
	v_cmp_neq_f64_e32 vcc_lo, 0, v[8:9]
	s_cbranch_vccnz .LBB189_113
; %bb.108:                              ;   in Loop: Header=BB189_110 Depth=2
	v_add_co_u32 v38, vcc_lo, v38, s33
	v_add_co_ci_u32_e64 v39, null, 0, v39, vcc_lo
	v_add_nc_u32_e32 v18, s95, v18
	s_mov_b32 s44, 0
	v_cmp_le_u64_e32 vcc_lo, s[68:69], v[38:39]
	s_orn2_b32 s45, vcc_lo, exec_lo
.LBB189_109:                            ;   in Loop: Header=BB189_110 Depth=2
	s_and_b32 s45, exec_lo, s45
	s_or_b32 s39, s45, s39
	s_andn2_b32 s45, s56, exec_lo
	s_and_b32 s44, s44, exec_lo
	s_or_b32 s56, s45, s44
	s_andn2_b32 exec_lo, exec_lo, s39
	s_cbranch_execz .LBB189_117
.LBB189_110:                            ;   Parent Loop BB189_31 Depth=1
                                        ; =>  This Inner Loop Header: Depth=2
	s_mov_b32 s44, exec_lo
	v_cmpx_gt_u64_e64 s[22:23], v[38:39]
	s_cbranch_execz .LBB189_107
; %bb.111:                              ;   in Loop: Header=BB189_110 Depth=2
	ds_read_b64 v[4:5], v18
	s_waitcnt lgkmcnt(0)
	v_cmp_o_f64_e32 vcc_lo, v[4:5], v[4:5]
	v_ashrrev_i32_e32 v2, 31, v5
	v_or_b32_e32 v8, 0x80000000, v2
	v_xor_b32_e32 v2, v2, v4
	v_xor_b32_e32 v8, v8, v5
	v_cndmask_b32_e32 v8, -1, v8, vcc_lo
	v_cndmask_b32_e32 v2, -1, v2, vcc_lo
	v_and_b32_e32 v9, v8, v13
	v_and_b32_e32 v8, v2, v12
	v_cmp_eq_u64_e32 vcc_lo, v[8:9], v[14:15]
	s_and_b32 exec_lo, exec_lo, vcc_lo
	s_cbranch_execz .LBB189_107
; %bb.112:                              ;   in Loop: Header=BB189_110 Depth=2
	v_mov_b32_e32 v2, v19
	ds_write_b128 v19, v[2:5] offset:3072
	s_branch .LBB189_107
.LBB189_113:                            ;   in Loop: Header=BB189_110 Depth=2
	s_mov_b32 s45, -1
	s_mov_b32 s44, -1
                                        ; implicit-def: $vgpr38_vgpr39
                                        ; implicit-def: $vgpr18
	s_branch .LBB189_109
.LBB189_114:                            ;   in Loop: Header=BB189_31 Depth=1
	s_or_b32 exec_lo, exec_lo, s9
	s_waitcnt lgkmcnt(0)
	s_barrier
	buffer_gl0_inv
	s_and_saveexec_b32 s6, s3
	s_cbranch_execz .LBB189_116
; %bb.115:                              ;   in Loop: Header=BB189_31 Depth=1
	ds_read_b32 v4, v19 offset:5144
	s_waitcnt lgkmcnt(0)
	v_ashrrev_i32_e32 v5, 31, v4
	ds_write_b64 v19, v[4:5] offset:5120
.LBB189_116:                            ;   in Loop: Header=BB189_31 Depth=1
	s_or_b32 exec_lo, exec_lo, s6
	s_waitcnt lgkmcnt(0)
	s_mov_b32 s6, -1
	s_barrier
	s_and_b32 vcc_lo, exec_lo, s2
	s_cbranch_vccnz .LBB189_47
	s_branch .LBB189_56
.LBB189_117:                            ;   in Loop: Header=BB189_31 Depth=1
	s_or_b32 exec_lo, exec_lo, s39
	s_and_b32 s39, s56, exec_lo
.LBB189_118:                            ;   in Loop: Header=BB189_31 Depth=1
	s_or_b32 exec_lo, exec_lo, s43
.LBB189_119:                            ;   in Loop: Header=BB189_31 Depth=1
	s_and_b32 vcc_lo, exec_lo, s6
	s_cbranch_vccz .LBB189_134
; %bb.120:                              ;   in Loop: Header=BB189_31 Depth=1
	s_mov_b32 s58, s57
	s_cmp_lg_u64 s[58:59], 0
	s_cbranch_scc0 .LBB189_163
; %bb.121:                              ;   in Loop: Header=BB189_31 Depth=1
	v_cvt_f32_u32_e32 v2, s33
	s_sub_u32 s23, 0, s33
	s_subb_u32 s43, 0, 0
	v_fmac_f32_e64 v2, 0x4f800000, 0
	v_rcp_f32_e32 v2, v2
	v_mul_f32_e32 v2, 0x5f7ffffc, v2
	v_mul_f32_e32 v4, 0x2f800000, v2
	v_trunc_f32_e32 v4, v4
	v_fmac_f32_e32 v2, 0xcf800000, v4
	v_cvt_u32_f32_e32 v4, v4
	v_cvt_u32_f32_e32 v2, v2
	v_readfirstlane_b32 s6, v4
	v_readfirstlane_b32 s22, v2
	s_mul_i32 s44, s23, s6
	s_mul_hi_u32 s56, s23, s22
	s_mul_i32 s45, s43, s22
	s_add_i32 s44, s56, s44
	s_mul_i32 s58, s23, s22
	s_add_i32 s44, s44, s45
	s_mul_hi_u32 s56, s22, s58
	s_mul_i32 s63, s22, s44
	s_mul_hi_u32 s62, s6, s58
	s_mul_i32 s45, s6, s58
	s_mul_hi_u32 s58, s22, s44
	s_add_u32 s56, s56, s63
	s_addc_u32 s58, 0, s58
	s_mul_hi_u32 s68, s6, s44
	s_add_u32 s45, s56, s45
	s_mul_i32 s44, s6, s44
	s_addc_u32 s45, s58, s62
	s_addc_u32 s56, s68, 0
	s_add_u32 s44, s45, s44
	s_addc_u32 s45, 0, s56
	s_add_u32 s22, s22, s44
	s_cselect_b32 s44, -1, 0
	s_mul_hi_u32 s56, s23, s22
	s_cmp_lg_u32 s44, 0
	s_mul_i32 s44, s23, s22
	s_addc_u32 s6, s6, s45
	s_mul_i32 s43, s43, s22
	s_mul_i32 s23, s23, s6
	s_mul_hi_u32 s45, s22, s44
	s_add_i32 s23, s56, s23
	s_mul_hi_u32 s56, s6, s44
	s_add_i32 s23, s23, s43
	s_mul_i32 s43, s6, s44
	s_mul_i32 s62, s22, s23
	s_mul_hi_u32 s58, s22, s23
	s_add_u32 s45, s45, s62
	s_addc_u32 s58, 0, s58
	s_mul_hi_u32 s44, s6, s23
	s_add_u32 s43, s45, s43
	s_mul_i32 s23, s6, s23
	s_addc_u32 s43, s58, s56
	s_addc_u32 s44, s44, 0
	s_add_u32 s23, s43, s23
	s_addc_u32 s43, 0, s44
	s_add_u32 s22, s22, s23
	s_cselect_b32 s23, -1, 0
	s_mul_hi_u32 s44, s91, s22
	s_cmp_lg_u32 s23, 0
	s_mul_hi_u32 s23, s59, s22
	s_addc_u32 s6, s6, s43
	s_mul_i32 s22, s59, s22
	s_mul_i32 s45, s91, s6
	s_mul_hi_u32 s43, s91, s6
	s_add_u32 s44, s44, s45
	s_addc_u32 s43, 0, s43
	s_mul_hi_u32 s56, s59, s6
	s_add_u32 s22, s44, s22
	s_mul_i32 s6, s59, s6
	s_addc_u32 s22, s43, s23
	s_addc_u32 s23, s56, 0
	s_add_u32 s6, s22, s6
	s_addc_u32 s22, 0, s23
	s_mul_hi_u32 s23, s33, s6
	s_mul_i32 s22, s33, s22
	s_mul_i32 s6, s33, s6
	s_add_i32 s23, s23, s22
	s_sub_u32 s6, s91, s6
	s_cselect_b32 s22, -1, 0
	s_cmp_lg_u32 s22, 0
	s_subb_u32 s22, s59, s23
	s_sub_u32 s23, s6, s33
	s_cselect_b32 s43, -1, 0
	s_cmp_lg_u32 s43, 0
	s_subb_u32 s43, s22, 0
	;; [unrolled: 4-line block ×3, first 2 shown]
	s_cmp_ge_u32 s23, s33
	s_cselect_b32 s56, -1, 0
	s_cmp_eq_u32 s43, 0
	s_cselect_b32 s56, s56, -1
	s_cmp_lg_u32 s56, 0
	s_cselect_b32 s43, s45, s43
	s_cselect_b32 s44, s44, s23
	s_cmp_ge_u32 s6, s33
	s_cselect_b32 s23, -1, 0
	s_cmp_eq_u32 s22, 0
	s_cselect_b32 s23, s23, -1
	s_cmp_lg_u32 s23, 0
	s_cselect_b32 s23, s43, s22
	s_cselect_b32 s22, s44, s6
	s_cbranch_execnz .LBB189_123
.LBB189_122:                            ;   in Loop: Header=BB189_31 Depth=1
	v_cvt_f32_u32_e32 v2, s33
	s_sub_i32 s22, 0, s33
	v_rcp_iflag_f32_e32 v2, v2
	v_mul_f32_e32 v2, 0x4f7ffffe, v2
	v_cvt_u32_f32_e32 v2, v2
	v_readfirstlane_b32 s6, v2
	s_mul_i32 s22, s22, s6
	s_mul_hi_u32 s22, s6, s22
	s_add_i32 s6, s6, s22
	s_mul_hi_u32 s6, s91, s6
	s_mul_i32 s6, s6, s33
	s_sub_i32 s6, s91, s6
	s_sub_i32 s22, s6, s33
	s_cmp_ge_u32 s6, s33
	s_cselect_b32 s6, s22, s6
	s_sub_i32 s22, s6, s33
	s_cmp_ge_u32 s6, s33
	s_cselect_b32 s56, s22, s6
	s_mov_b64 s[22:23], s[56:57]
.LBB189_123:                            ;   in Loop: Header=BB189_31 Depth=1
	s_sub_u32 s22, s91, s22
	s_subb_u32 s23, s59, s23
	s_mov_b32 s43, exec_lo
                                        ; implicit-def: $vgpr10_vgpr11
	v_cmpx_gt_u64_e64 s[22:23], v[0:1]
	s_cbranch_execz .LBB189_133
; %bb.124:                              ;   in Loop: Header=BB189_31 Depth=1
	v_mov_b32_e32 v39, v33
	v_mov_b32_e32 v41, v1
	v_mov_b32_e32 v38, v32
	v_mov_b32_e32 v40, v0
	s_mov_b32 s58, 0
                                        ; implicit-def: $sgpr56
	s_branch .LBB189_128
.LBB189_125:                            ;   in Loop: Header=BB189_128 Depth=2
	s_or_b32 exec_lo, exec_lo, s6
	s_waitcnt lgkmcnt(0)
	s_barrier
	buffer_gl0_inv
	ds_read_b128 v[8:11], v19 offset:3072
	s_waitcnt lgkmcnt(0)
	s_barrier
	buffer_gl0_inv
	v_cmp_neq_f64_e32 vcc_lo, 0, v[8:9]
	s_cbranch_vccnz .LBB189_131
; %bb.126:                              ;   in Loop: Header=BB189_128 Depth=2
	v_add_co_u32 v40, vcc_lo, v40, s33
	v_add_co_ci_u32_e64 v41, null, 0, v41, vcc_lo
	v_add_co_u32 v38, s6, v38, s34
	v_add_co_ci_u32_e64 v39, null, s35, v39, s6
	v_cmp_le_u64_e32 vcc_lo, s[22:23], v[40:41]
	s_mov_b32 s6, 0
	s_orn2_b32 s44, vcc_lo, exec_lo
.LBB189_127:                            ;   in Loop: Header=BB189_128 Depth=2
	s_and_b32 s44, exec_lo, s44
	s_or_b32 s58, s44, s58
	s_andn2_b32 s44, s56, exec_lo
	s_and_b32 s6, s6, exec_lo
	s_or_b32 s56, s44, s6
	s_andn2_b32 exec_lo, exec_lo, s58
	s_cbranch_execz .LBB189_132
.LBB189_128:                            ;   Parent Loop BB189_31 Depth=1
                                        ; =>  This Inner Loop Header: Depth=2
	s_mov_b32 s6, exec_lo
	v_cmpx_gt_u64_e64 s[28:29], v[40:41]
	s_cbranch_execz .LBB189_125
; %bb.129:                              ;   in Loop: Header=BB189_128 Depth=2
	global_load_dwordx2 v[4:5], v[38:39], off
	s_waitcnt vmcnt(0)
	v_cmp_o_f64_e32 vcc_lo, v[4:5], v[4:5]
	v_ashrrev_i32_e32 v2, 31, v5
	v_or_b32_e32 v8, 0x80000000, v2
	v_xor_b32_e32 v2, v2, v4
	v_xor_b32_e32 v8, v8, v5
	v_cndmask_b32_e32 v8, -1, v8, vcc_lo
	v_cndmask_b32_e32 v2, -1, v2, vcc_lo
	v_and_b32_e32 v9, v8, v13
	v_and_b32_e32 v8, v2, v12
	v_cmp_eq_u64_e32 vcc_lo, v[8:9], v[14:15]
	s_and_b32 exec_lo, exec_lo, vcc_lo
	s_cbranch_execz .LBB189_125
; %bb.130:                              ;   in Loop: Header=BB189_128 Depth=2
	v_mov_b32_e32 v2, v19
	ds_write_b128 v19, v[2:5] offset:3072
	s_branch .LBB189_125
.LBB189_131:                            ;   in Loop: Header=BB189_128 Depth=2
	s_mov_b32 s44, -1
	s_mov_b32 s6, -1
                                        ; implicit-def: $vgpr40_vgpr41
                                        ; implicit-def: $vgpr38_vgpr39
	s_branch .LBB189_127
.LBB189_132:                            ;   in Loop: Header=BB189_31 Depth=1
	s_or_b32 exec_lo, exec_lo, s58
	s_andn2_b32 s6, s39, exec_lo
	s_and_b32 s22, s56, exec_lo
	s_or_b32 s39, s6, s22
.LBB189_133:                            ;   in Loop: Header=BB189_31 Depth=1
	s_or_b32 exec_lo, exec_lo, s43
	s_mov_b32 s72, 0
	s_mov_b32 s73, -1
.LBB189_134:                            ;   in Loop: Header=BB189_31 Depth=1
	s_orn2_b32 s6, s39, exec_lo
.LBB189_135:                            ;   in Loop: Header=BB189_31 Depth=1
	s_or_b32 exec_lo, exec_lo, s38
	s_mov_b32 s74, 0
	s_mov_b32 s70, 0
	;; [unrolled: 1-line block ×3, first 2 shown]
                                        ; implicit-def: $vgpr38_vgpr39
                                        ; implicit-def: $vgpr44
	s_and_saveexec_b32 s75, s6
	s_cbranch_execz .LBB189_299
; %bb.136:                              ;   in Loop: Header=BB189_31 Depth=1
	v_mov_b32_e32 v38, 1
	v_mov_b32_e32 v39, 0
	;; [unrolled: 1-line block ×3, first 2 shown]
	s_xor_b32 s22, s2, -1
	s_mov_b32 s6, 0
	s_and_saveexec_b32 s2, s22
	s_cbranch_execz .LBB189_145
; %bb.137:                              ;   in Loop: Header=BB189_31 Depth=1
	s_mov_b32 s6, exec_lo
	v_cmpx_ge_u64_e64 s[10:11], v[36:37]
	s_xor_b32 s6, exec_lo, s6
	s_cbranch_execz .LBB189_142
; %bb.138:                              ;   in Loop: Header=BB189_31 Depth=1
	ds_read_b64 v[4:5], v19 offset:5120
	v_and_b32_e32 v15, s15, v15
	v_and_b32_e32 v14, s14, v14
	v_or_b32_e32 v13, s13, v13
	v_or_b32_e32 v12, s12, v12
	s_waitcnt lgkmcnt(0)
	v_cmp_ne_u64_e32 vcc_lo, 0, v[4:5]
	s_cbranch_vccnz .LBB189_142
; %bb.139:                              ;   in Loop: Header=BB189_31 Depth=1
	s_and_saveexec_b32 s22, s3
; %bb.140:                              ;   in Loop: Header=BB189_31 Depth=1
	v_mov_b32_e32 v4, s10
	v_mov_b32_e32 v5, s11
	ds_write_b64 v19, v[4:5] offset:5128
; %bb.141:                              ;   in Loop: Header=BB189_31 Depth=1
	s_or_b32 exec_lo, exec_lo, s22
	s_waitcnt lgkmcnt(0)
	s_barrier
	buffer_gl0_inv
.LBB189_142:                            ;   in Loop: Header=BB189_31 Depth=1
	s_or_saveexec_b32 s6, s6
	v_mov_b32_e32 v39, v37
	v_mov_b32_e32 v44, 8
	;; [unrolled: 1-line block ×3, first 2 shown]
	s_mov_b32 s22, 0
	s_xor_b32 exec_lo, exec_lo, s6
; %bb.143:                              ;   in Loop: Header=BB189_31 Depth=1
	v_sub_co_u32 v38, vcc_lo, v36, s10
	v_subrev_co_ci_u32_e64 v39, null, s11, v37, vcc_lo
	v_mov_b32_e32 v44, 0
	s_mov_b32 s22, exec_lo
; %bb.144:                              ;   in Loop: Header=BB189_31 Depth=1
	s_or_b32 exec_lo, exec_lo, s6
	s_and_b32 s6, s22, exec_lo
.LBB189_145:                            ;   in Loop: Header=BB189_31 Depth=1
	s_or_b32 exec_lo, exec_lo, s2
	s_mov_b32 s2, -1
                                        ; implicit-def: $sgpr76
                                        ; implicit-def: $sgpr77
	s_and_saveexec_b32 s22, s6
	s_xor_b32 s43, exec_lo, s22
	s_cbranch_execz .LBB189_296
; %bb.146:                              ;   in Loop: Header=BB189_31 Depth=1
	v_cmp_eq_u64_e32 vcc_lo, 1, v[38:39]
	s_cmp_eq_u64 s[16:17], 1
	s_mov_b32 s6, -1
	s_cselect_b32 s2, -1, 0
                                        ; implicit-def: $sgpr77
                                        ; implicit-def: $sgpr76
	s_and_b32 s2, s2, vcc_lo
	s_and_saveexec_b32 s62, s2
	s_cbranch_execz .LBB189_182
; %bb.147:                              ;   in Loop: Header=BB189_31 Depth=1
	ds_read_b64 v[4:5], v19 offset:5120
	s_waitcnt lgkmcnt(0)
	s_barrier
	buffer_gl0_inv
	v_readfirstlane_b32 s22, v4
	v_readfirstlane_b32 s23, v5
	s_and_saveexec_b32 s6, s8
; %bb.148:                              ;   in Loop: Header=BB189_31 Depth=1
	v_mov_b32_e32 v18, v19
	ds_write_b64 v49, v[18:19]
; %bb.149:                              ;   in Loop: Header=BB189_31 Depth=1
	s_or_b32 exec_lo, exec_lo, s6
	v_and_b32_e32 v2, s15, v15
	v_and_b32_e32 v4, s14, v14
	s_lshl_b64 s[38:39], 1, s54
	v_or_b32_e32 v13, s13, v13
	v_or_b32_e32 v12, s12, v12
	;; [unrolled: 1-line block ×4, first 2 shown]
	s_mov_b32 s76, -1
	s_mov_b32 s77, 0
	s_cmp_eq_u64 s[22:23], 0
	s_mov_b32 s38, 0
	s_mov_b32 s6, -1
	s_waitcnt lgkmcnt(0)
	s_barrier
	buffer_gl0_inv
                                        ; implicit-def: $vgpr10_vgpr11
	s_cbranch_scc1 .LBB189_166
; %bb.150:                              ;   in Loop: Header=BB189_31 Depth=1
	s_add_u32 s6, s22, s89
	s_addc_u32 s69, s23, s90
	s_mov_b32 s68, s57
	s_cmp_lg_u64 s[68:69], 0
	s_cbranch_scc0 .LBB189_209
; %bb.151:                              ;   in Loop: Header=BB189_31 Depth=1
	v_cvt_f32_u32_e32 v2, s33
	s_sub_u32 s44, 0, s33
	s_subb_u32 s45, 0, 0
	v_fmac_f32_e64 v2, 0x4f800000, 0
	v_rcp_f32_e32 v2, v2
	v_mul_f32_e32 v2, 0x5f7ffffc, v2
	v_mul_f32_e32 v4, 0x2f800000, v2
	v_trunc_f32_e32 v4, v4
	v_fmac_f32_e32 v2, 0xcf800000, v4
	v_cvt_u32_f32_e32 v4, v4
	v_cvt_u32_f32_e32 v2, v2
	v_readfirstlane_b32 s38, v4
	v_readfirstlane_b32 s39, v2
	s_mul_i32 s56, s44, s38
	s_mul_hi_u32 s63, s44, s39
	s_mul_i32 s58, s45, s39
	s_add_i32 s56, s63, s56
	s_mul_i32 s68, s44, s39
	s_add_i32 s56, s56, s58
	s_mul_hi_u32 s63, s39, s68
	s_mul_i32 s71, s39, s56
	s_mul_hi_u32 s70, s38, s68
	s_mul_i32 s58, s38, s68
	s_mul_hi_u32 s68, s39, s56
	s_add_u32 s63, s63, s71
	s_addc_u32 s68, 0, s68
	s_mul_hi_u32 s78, s38, s56
	s_add_u32 s58, s63, s58
	s_mul_i32 s56, s38, s56
	s_addc_u32 s58, s68, s70
	s_addc_u32 s63, s78, 0
	s_add_u32 s56, s58, s56
	s_addc_u32 s58, 0, s63
	s_add_u32 s39, s39, s56
	s_cselect_b32 s56, -1, 0
	s_mul_hi_u32 s63, s44, s39
	s_cmp_lg_u32 s56, 0
	s_mul_i32 s56, s44, s39
	s_addc_u32 s38, s38, s58
	s_mul_i32 s45, s45, s39
	s_mul_i32 s44, s44, s38
	s_mul_hi_u32 s58, s39, s56
	s_add_i32 s44, s63, s44
	s_mul_hi_u32 s63, s38, s56
	s_add_i32 s44, s44, s45
	s_mul_i32 s45, s38, s56
	s_mul_i32 s70, s39, s44
	s_mul_hi_u32 s68, s39, s44
	s_add_u32 s58, s58, s70
	s_addc_u32 s68, 0, s68
	s_mul_hi_u32 s56, s38, s44
	s_add_u32 s45, s58, s45
	s_mul_i32 s44, s38, s44
	s_addc_u32 s45, s68, s63
	s_addc_u32 s56, s56, 0
	s_add_u32 s44, s45, s44
	s_addc_u32 s45, 0, s56
	s_add_u32 s39, s39, s44
	s_cselect_b32 s44, -1, 0
	s_mul_hi_u32 s56, s6, s39
	s_cmp_lg_u32 s44, 0
	s_mul_hi_u32 s44, s69, s39
	s_addc_u32 s38, s38, s45
	s_mul_i32 s39, s69, s39
	s_mul_i32 s58, s6, s38
	s_mul_hi_u32 s45, s6, s38
	s_add_u32 s56, s56, s58
	s_addc_u32 s45, 0, s45
	s_mul_hi_u32 s63, s69, s38
	s_add_u32 s39, s56, s39
	s_mul_i32 s38, s69, s38
	s_addc_u32 s39, s45, s44
	s_addc_u32 s44, s63, 0
	s_add_u32 s38, s39, s38
	s_addc_u32 s39, 0, s44
	s_mul_hi_u32 s44, s33, s38
	s_mul_i32 s39, s33, s39
	s_mul_i32 s38, s33, s38
	s_add_i32 s44, s44, s39
	s_sub_u32 s38, s6, s38
	s_cselect_b32 s39, -1, 0
	s_cmp_lg_u32 s39, 0
	s_subb_u32 s39, s69, s44
	s_sub_u32 s44, s38, s33
	s_cselect_b32 s45, -1, 0
	s_cmp_lg_u32 s45, 0
	s_subb_u32 s45, s39, 0
	s_sub_u32 s56, s44, s33
	s_cselect_b32 s58, -1, 0
	s_cmp_lg_u32 s58, 0
	s_subb_u32 s58, s45, 0
	s_cmp_ge_u32 s44, s33
	s_cselect_b32 s63, -1, 0
	s_cmp_eq_u32 s45, 0
	s_cselect_b32 s63, s63, -1
	s_cmp_lg_u32 s63, 0
	s_cselect_b32 s45, s58, s45
	s_cselect_b32 s44, s56, s44
	s_cmp_ge_u32 s38, s33
	s_cselect_b32 s56, -1, 0
	s_cmp_eq_u32 s39, 0
	s_cselect_b32 s56, s56, -1
	s_cmp_lg_u32 s56, 0
	s_cselect_b32 s71, s45, s39
	s_cselect_b32 s70, s44, s38
	s_cbranch_execnz .LBB189_153
.LBB189_152:                            ;   in Loop: Header=BB189_31 Depth=1
	v_cvt_f32_u32_e32 v2, s33
	s_sub_i32 s39, 0, s33
	v_rcp_iflag_f32_e32 v2, v2
	v_mul_f32_e32 v2, 0x4f7ffffe, v2
	v_cvt_u32_f32_e32 v2, v2
	v_readfirstlane_b32 s38, v2
	s_mul_i32 s39, s39, s38
	s_mul_hi_u32 s39, s38, s39
	s_add_i32 s38, s38, s39
	s_mul_hi_u32 s38, s6, s38
	s_mul_i32 s38, s38, s33
	s_sub_i32 s38, s6, s38
	s_sub_i32 s39, s38, s33
	s_cmp_ge_u32 s38, s33
	s_cselect_b32 s38, s39, s38
	s_sub_i32 s39, s38, s33
	s_cmp_ge_u32 s38, s33
	s_cselect_b32 s56, s39, s38
	s_mov_b64 s[70:71], s[56:57]
.LBB189_153:                            ;   in Loop: Header=BB189_31 Depth=1
	s_sub_u32 s68, s6, s70
	s_subb_u32 s69, s69, s71
	s_mov_b32 s6, 0
	s_mov_b32 s38, 0
	s_mov_b32 s39, exec_lo
                                        ; implicit-def: $vgpr10_vgpr11
	v_cmpx_gt_u64_e64 s[68:69], v[0:1]
	s_cbranch_execz .LBB189_165
; %bb.154:                              ;   in Loop: Header=BB189_31 Depth=1
	v_mov_b32_e32 v41, v1
	v_mov_b32_e32 v18, v48
	;; [unrolled: 1-line block ×3, first 2 shown]
                                        ; implicit-def: $sgpr56
	s_branch .LBB189_158
.LBB189_155:                            ;   in Loop: Header=BB189_158 Depth=2
	s_or_b32 exec_lo, exec_lo, s58
	s_waitcnt lgkmcnt(0)
	s_barrier
	buffer_gl0_inv
	ds_read_b128 v[8:11], v19 offset:3072
	s_waitcnt lgkmcnt(0)
	s_barrier
	buffer_gl0_inv
	v_cmp_neq_f64_e32 vcc_lo, 0, v[8:9]
	s_cbranch_vccnz .LBB189_161
; %bb.156:                              ;   in Loop: Header=BB189_158 Depth=2
	v_add_co_u32 v40, vcc_lo, v40, s33
	v_add_co_ci_u32_e64 v41, null, 0, v41, vcc_lo
	v_add_nc_u32_e32 v18, s95, v18
	s_mov_b32 s44, 0
	v_cmp_le_u64_e32 vcc_lo, s[68:69], v[40:41]
	s_orn2_b32 s45, vcc_lo, exec_lo
.LBB189_157:                            ;   in Loop: Header=BB189_158 Depth=2
	s_and_b32 s45, exec_lo, s45
	s_or_b32 s38, s45, s38
	s_andn2_b32 s45, s56, exec_lo
	s_and_b32 s44, s44, exec_lo
	s_or_b32 s56, s45, s44
	s_andn2_b32 exec_lo, exec_lo, s38
	s_cbranch_execz .LBB189_164
.LBB189_158:                            ;   Parent Loop BB189_31 Depth=1
                                        ; =>  This Inner Loop Header: Depth=2
	s_mov_b32 s58, exec_lo
	v_cmpx_gt_u64_e64 s[22:23], v[40:41]
	s_cbranch_execz .LBB189_155
; %bb.159:                              ;   in Loop: Header=BB189_158 Depth=2
	ds_read_b64 v[4:5], v18
	s_waitcnt lgkmcnt(0)
	v_cmp_o_f64_e32 vcc_lo, v[4:5], v[4:5]
	v_ashrrev_i32_e32 v2, 31, v5
	v_or_b32_e32 v8, 0x80000000, v2
	v_xor_b32_e32 v2, v2, v4
	v_xor_b32_e32 v8, v8, v5
	v_cndmask_b32_e32 v8, -1, v8, vcc_lo
	v_cndmask_b32_e32 v2, -1, v2, vcc_lo
	v_and_b32_e32 v9, v8, v13
	v_and_b32_e32 v8, v2, v12
	v_cmp_eq_u64_e32 vcc_lo, v[8:9], v[14:15]
	s_and_b32 exec_lo, exec_lo, vcc_lo
	s_cbranch_execz .LBB189_155
; %bb.160:                              ;   in Loop: Header=BB189_158 Depth=2
	v_mov_b32_e32 v2, v19
	ds_write_b128 v19, v[2:5] offset:3072
	s_branch .LBB189_155
.LBB189_161:                            ;   in Loop: Header=BB189_158 Depth=2
	s_mov_b32 s45, -1
	s_mov_b32 s44, -1
                                        ; implicit-def: $vgpr40_vgpr41
                                        ; implicit-def: $vgpr18
	s_branch .LBB189_157
.LBB189_162:                            ;   in Loop: Header=BB189_31 Depth=1
                                        ; implicit-def: $sgpr70_sgpr71
	s_branch .LBB189_104
.LBB189_163:                            ;   in Loop: Header=BB189_31 Depth=1
                                        ; implicit-def: $sgpr22_sgpr23
	s_branch .LBB189_122
.LBB189_164:                            ;   in Loop: Header=BB189_31 Depth=1
	s_or_b32 exec_lo, exec_lo, s38
	s_and_b32 s38, s56, exec_lo
.LBB189_165:                            ;   in Loop: Header=BB189_31 Depth=1
	s_or_b32 exec_lo, exec_lo, s39
.LBB189_166:                            ;   in Loop: Header=BB189_31 Depth=1
	s_and_b32 vcc_lo, exec_lo, s6
	s_cbranch_vccz .LBB189_181
; %bb.167:                              ;   in Loop: Header=BB189_31 Depth=1
	s_mov_b32 s58, s57
	s_cmp_lg_u64 s[58:59], 0
	s_cbranch_scc0 .LBB189_210
; %bb.168:                              ;   in Loop: Header=BB189_31 Depth=1
	v_cvt_f32_u32_e32 v2, s33
	s_sub_u32 s23, 0, s33
	s_subb_u32 s39, 0, 0
	v_fmac_f32_e64 v2, 0x4f800000, 0
	v_rcp_f32_e32 v2, v2
	v_mul_f32_e32 v2, 0x5f7ffffc, v2
	v_mul_f32_e32 v4, 0x2f800000, v2
	v_trunc_f32_e32 v4, v4
	v_fmac_f32_e32 v2, 0xcf800000, v4
	v_cvt_u32_f32_e32 v4, v4
	v_cvt_u32_f32_e32 v2, v2
	v_readfirstlane_b32 s6, v4
	v_readfirstlane_b32 s22, v2
	s_mul_i32 s44, s23, s6
	s_mul_hi_u32 s56, s23, s22
	s_mul_i32 s45, s39, s22
	s_add_i32 s44, s56, s44
	s_mul_i32 s58, s23, s22
	s_add_i32 s44, s44, s45
	s_mul_hi_u32 s56, s22, s58
	s_mul_i32 s68, s22, s44
	s_mul_hi_u32 s63, s6, s58
	s_mul_i32 s45, s6, s58
	s_mul_hi_u32 s58, s22, s44
	s_add_u32 s56, s56, s68
	s_addc_u32 s58, 0, s58
	s_mul_hi_u32 s69, s6, s44
	s_add_u32 s45, s56, s45
	s_mul_i32 s44, s6, s44
	s_addc_u32 s45, s58, s63
	s_addc_u32 s56, s69, 0
	s_add_u32 s44, s45, s44
	s_addc_u32 s45, 0, s56
	s_add_u32 s22, s22, s44
	s_cselect_b32 s44, -1, 0
	s_mul_hi_u32 s56, s23, s22
	s_cmp_lg_u32 s44, 0
	s_mul_i32 s44, s23, s22
	s_addc_u32 s6, s6, s45
	s_mul_i32 s39, s39, s22
	s_mul_i32 s23, s23, s6
	s_mul_hi_u32 s45, s22, s44
	s_add_i32 s23, s56, s23
	s_mul_hi_u32 s56, s6, s44
	s_add_i32 s23, s23, s39
	s_mul_i32 s39, s6, s44
	s_mul_i32 s63, s22, s23
	s_mul_hi_u32 s58, s22, s23
	s_add_u32 s45, s45, s63
	s_addc_u32 s58, 0, s58
	s_mul_hi_u32 s44, s6, s23
	s_add_u32 s39, s45, s39
	s_mul_i32 s23, s6, s23
	s_addc_u32 s39, s58, s56
	s_addc_u32 s44, s44, 0
	s_add_u32 s23, s39, s23
	s_addc_u32 s39, 0, s44
	s_add_u32 s22, s22, s23
	s_cselect_b32 s23, -1, 0
	s_mul_hi_u32 s44, s91, s22
	s_cmp_lg_u32 s23, 0
	s_mul_hi_u32 s23, s59, s22
	s_addc_u32 s6, s6, s39
	s_mul_i32 s22, s59, s22
	s_mul_i32 s45, s91, s6
	s_mul_hi_u32 s39, s91, s6
	s_add_u32 s44, s44, s45
	s_addc_u32 s39, 0, s39
	s_mul_hi_u32 s56, s59, s6
	s_add_u32 s22, s44, s22
	s_mul_i32 s6, s59, s6
	s_addc_u32 s22, s39, s23
	s_addc_u32 s23, s56, 0
	s_add_u32 s6, s22, s6
	s_addc_u32 s22, 0, s23
	s_mul_hi_u32 s23, s33, s6
	s_mul_i32 s22, s33, s22
	s_mul_i32 s6, s33, s6
	s_add_i32 s23, s23, s22
	s_sub_u32 s6, s91, s6
	s_cselect_b32 s22, -1, 0
	s_cmp_lg_u32 s22, 0
	s_subb_u32 s22, s59, s23
	s_sub_u32 s23, s6, s33
	s_cselect_b32 s39, -1, 0
	s_cmp_lg_u32 s39, 0
	s_subb_u32 s39, s22, 0
	;; [unrolled: 4-line block ×3, first 2 shown]
	s_cmp_ge_u32 s23, s33
	s_cselect_b32 s56, -1, 0
	s_cmp_eq_u32 s39, 0
	s_cselect_b32 s56, s56, -1
	s_cmp_lg_u32 s56, 0
	s_cselect_b32 s39, s45, s39
	s_cselect_b32 s44, s44, s23
	s_cmp_ge_u32 s6, s33
	s_cselect_b32 s23, -1, 0
	s_cmp_eq_u32 s22, 0
	s_cselect_b32 s23, s23, -1
	s_cmp_lg_u32 s23, 0
	s_cselect_b32 s23, s39, s22
	s_cselect_b32 s22, s44, s6
	s_cbranch_execnz .LBB189_170
.LBB189_169:                            ;   in Loop: Header=BB189_31 Depth=1
	v_cvt_f32_u32_e32 v2, s33
	s_sub_i32 s22, 0, s33
	v_rcp_iflag_f32_e32 v2, v2
	v_mul_f32_e32 v2, 0x4f7ffffe, v2
	v_cvt_u32_f32_e32 v2, v2
	v_readfirstlane_b32 s6, v2
	s_mul_i32 s22, s22, s6
	s_mul_hi_u32 s22, s6, s22
	s_add_i32 s6, s6, s22
	s_mul_hi_u32 s6, s91, s6
	s_mul_i32 s6, s6, s33
	s_sub_i32 s6, s91, s6
	s_sub_i32 s22, s6, s33
	s_cmp_ge_u32 s6, s33
	s_cselect_b32 s6, s22, s6
	s_sub_i32 s22, s6, s33
	s_cmp_ge_u32 s6, s33
	s_cselect_b32 s56, s22, s6
	s_mov_b64 s[22:23], s[56:57]
.LBB189_170:                            ;   in Loop: Header=BB189_31 Depth=1
	s_sub_u32 s22, s91, s22
	s_subb_u32 s23, s59, s23
	s_mov_b32 s39, exec_lo
                                        ; implicit-def: $vgpr10_vgpr11
	v_cmpx_gt_u64_e64 s[22:23], v[0:1]
	s_cbranch_execz .LBB189_180
; %bb.171:                              ;   in Loop: Header=BB189_31 Depth=1
	v_mov_b32_e32 v41, v33
	v_mov_b32_e32 v43, v1
	;; [unrolled: 1-line block ×4, first 2 shown]
	s_mov_b32 s56, 0
                                        ; implicit-def: $sgpr58
	s_branch .LBB189_175
.LBB189_172:                            ;   in Loop: Header=BB189_175 Depth=2
	s_or_b32 exec_lo, exec_lo, s6
	s_waitcnt lgkmcnt(0)
	s_barrier
	buffer_gl0_inv
	ds_read_b128 v[8:11], v19 offset:3072
	s_waitcnt lgkmcnt(0)
	s_barrier
	buffer_gl0_inv
	v_cmp_eq_f64_e32 vcc_lo, 0, v[8:9]
	s_cbranch_vccz .LBB189_178
; %bb.173:                              ;   in Loop: Header=BB189_175 Depth=2
	v_add_co_u32 v42, vcc_lo, v42, s33
	v_add_co_ci_u32_e64 v43, null, 0, v43, vcc_lo
	v_add_co_u32 v40, s6, v40, s34
	v_add_co_ci_u32_e64 v41, null, s35, v41, s6
	v_cmp_le_u64_e32 vcc_lo, s[22:23], v[42:43]
	s_mov_b32 s6, 0
	s_orn2_b32 s44, vcc_lo, exec_lo
.LBB189_174:                            ;   in Loop: Header=BB189_175 Depth=2
	s_and_b32 s44, exec_lo, s44
	s_or_b32 s56, s44, s56
	s_andn2_b32 s44, s58, exec_lo
	s_and_b32 s6, s6, exec_lo
	s_or_b32 s58, s44, s6
	s_andn2_b32 exec_lo, exec_lo, s56
	s_cbranch_execz .LBB189_179
.LBB189_175:                            ;   Parent Loop BB189_31 Depth=1
                                        ; =>  This Inner Loop Header: Depth=2
	s_mov_b32 s6, exec_lo
	v_cmpx_gt_u64_e64 s[28:29], v[42:43]
	s_cbranch_execz .LBB189_172
; %bb.176:                              ;   in Loop: Header=BB189_175 Depth=2
	global_load_dwordx2 v[4:5], v[40:41], off
	s_waitcnt vmcnt(0)
	v_cmp_o_f64_e32 vcc_lo, v[4:5], v[4:5]
	v_ashrrev_i32_e32 v2, 31, v5
	v_or_b32_e32 v8, 0x80000000, v2
	v_xor_b32_e32 v2, v2, v4
	v_xor_b32_e32 v8, v8, v5
	v_cndmask_b32_e32 v8, -1, v8, vcc_lo
	v_cndmask_b32_e32 v2, -1, v2, vcc_lo
	v_and_b32_e32 v9, v8, v13
	v_and_b32_e32 v8, v2, v12
	v_cmp_eq_u64_e32 vcc_lo, v[8:9], v[14:15]
	s_and_b32 exec_lo, exec_lo, vcc_lo
	s_cbranch_execz .LBB189_172
; %bb.177:                              ;   in Loop: Header=BB189_175 Depth=2
	v_mov_b32_e32 v2, v19
	ds_write_b128 v19, v[2:5] offset:3072
	s_branch .LBB189_172
.LBB189_178:                            ;   in Loop: Header=BB189_175 Depth=2
	s_mov_b32 s44, -1
	s_mov_b32 s6, -1
                                        ; implicit-def: $vgpr42_vgpr43
                                        ; implicit-def: $vgpr40_vgpr41
	s_branch .LBB189_174
.LBB189_179:                            ;   in Loop: Header=BB189_31 Depth=1
	s_or_b32 exec_lo, exec_lo, s56
	s_andn2_b32 s6, s38, exec_lo
	s_and_b32 s22, s58, exec_lo
	s_or_b32 s38, s6, s22
.LBB189_180:                            ;   in Loop: Header=BB189_31 Depth=1
	s_or_b32 exec_lo, exec_lo, s39
	s_mov_b32 s76, 0
	s_mov_b32 s77, -1
.LBB189_181:                            ;   in Loop: Header=BB189_31 Depth=1
	s_orn2_b32 s6, s38, exec_lo
.LBB189_182:                            ;   in Loop: Header=BB189_31 Depth=1
	s_or_b32 exec_lo, exec_lo, s62
	s_mov_b32 s22, 0
	s_and_saveexec_b32 s78, s6
	s_cbranch_execz .LBB189_295
; %bb.183:                              ;   in Loop: Header=BB189_31 Depth=1
	v_mov_b32_e32 v40, 1
	v_mov_b32_e32 v41, 0
	v_mov_b32_e32 v44, 1
	s_xor_b32 s22, s2, -1
	s_mov_b32 s6, 0
	s_and_saveexec_b32 s2, s22
	s_cbranch_execz .LBB189_192
; %bb.184:                              ;   in Loop: Header=BB189_31 Depth=1
	s_mov_b32 s6, exec_lo
	v_cmpx_ge_u64_e64 s[16:17], v[38:39]
	s_xor_b32 s6, exec_lo, s6
	s_cbranch_execz .LBB189_189
; %bb.185:                              ;   in Loop: Header=BB189_31 Depth=1
	ds_read_b64 v[4:5], v19 offset:5120
	v_and_b32_e32 v2, s15, v15
	v_and_b32_e32 v8, s14, v14
	s_lshl_b64 s[22:23], 1, s54
	v_or_b32_e32 v13, s13, v13
	v_or_b32_e32 v12, s12, v12
	;; [unrolled: 1-line block ×4, first 2 shown]
	s_waitcnt lgkmcnt(0)
	v_cmp_ne_u64_e32 vcc_lo, 0, v[4:5]
	s_cbranch_vccnz .LBB189_189
; %bb.186:                              ;   in Loop: Header=BB189_31 Depth=1
	s_and_saveexec_b32 s22, s3
; %bb.187:                              ;   in Loop: Header=BB189_31 Depth=1
	v_mov_b32_e32 v4, s16
	v_mov_b32_e32 v5, s17
	ds_write_b64 v19, v[4:5] offset:5128
; %bb.188:                              ;   in Loop: Header=BB189_31 Depth=1
	s_or_b32 exec_lo, exec_lo, s22
	s_waitcnt lgkmcnt(0)
	s_barrier
	buffer_gl0_inv
.LBB189_189:                            ;   in Loop: Header=BB189_31 Depth=1
	s_or_saveexec_b32 s6, s6
	v_mov_b32_e32 v44, 8
	s_mov_b32 s22, 0
	s_xor_b32 exec_lo, exec_lo, s6
; %bb.190:                              ;   in Loop: Header=BB189_31 Depth=1
	v_sub_co_u32 v38, vcc_lo, v38, s16
	v_subrev_co_ci_u32_e64 v39, null, s17, v39, vcc_lo
	v_mov_b32_e32 v44, 0
	s_mov_b32 s22, exec_lo
; %bb.191:                              ;   in Loop: Header=BB189_31 Depth=1
	s_or_b32 exec_lo, exec_lo, s6
	v_mov_b32_e32 v41, v39
	v_mov_b32_e32 v40, v38
	s_and_b32 s6, s22, exec_lo
.LBB189_192:                            ;   in Loop: Header=BB189_31 Depth=1
	s_or_b32 exec_lo, exec_lo, s2
	s_mov_b32 s2, -1
                                        ; implicit-def: $sgpr80
                                        ; implicit-def: $sgpr81
	s_and_saveexec_b32 s79, s6
	s_cbranch_execz .LBB189_294
; %bb.193:                              ;   in Loop: Header=BB189_31 Depth=1
	v_cmp_eq_u64_e32 vcc_lo, 1, v[40:41]
	s_cmp_eq_u64 s[18:19], 1
	s_mov_b32 s6, -1
	s_cselect_b32 s2, -1, 0
                                        ; implicit-def: $sgpr81
                                        ; implicit-def: $sgpr80
	s_and_b32 s62, s2, vcc_lo
	s_and_saveexec_b32 s2, s62
	s_cbranch_execz .LBB189_229
; %bb.194:                              ;   in Loop: Header=BB189_31 Depth=1
	ds_read_b64 v[4:5], v19 offset:5120
	s_waitcnt lgkmcnt(0)
	s_barrier
	buffer_gl0_inv
	v_readfirstlane_b32 s22, v4
	v_readfirstlane_b32 s23, v5
	s_and_saveexec_b32 s6, s8
; %bb.195:                              ;   in Loop: Header=BB189_31 Depth=1
	v_mov_b32_e32 v18, v19
	ds_write_b64 v49, v[18:19]
; %bb.196:                              ;   in Loop: Header=BB189_31 Depth=1
	s_or_b32 exec_lo, exec_lo, s6
	v_and_b32_e32 v2, s15, v15
	v_and_b32_e32 v4, s14, v14
	s_lshl_b64 s[38:39], 2, s54
	v_or_b32_e32 v13, s13, v13
	v_or_b32_e32 v12, s12, v12
	;; [unrolled: 1-line block ×4, first 2 shown]
	s_mov_b32 s80, -1
	s_mov_b32 s81, 0
	s_cmp_eq_u64 s[22:23], 0
	s_mov_b32 s38, 0
	s_mov_b32 s6, -1
	s_waitcnt lgkmcnt(0)
	s_barrier
	buffer_gl0_inv
                                        ; implicit-def: $vgpr10_vgpr11
	s_cbranch_scc1 .LBB189_213
; %bb.197:                              ;   in Loop: Header=BB189_31 Depth=1
	s_add_u32 s6, s22, s89
	s_addc_u32 s69, s23, s90
	s_mov_b32 s68, s57
	s_cmp_lg_u64 s[68:69], 0
	s_cbranch_scc0 .LBB189_246
; %bb.198:                              ;   in Loop: Header=BB189_31 Depth=1
	v_cvt_f32_u32_e32 v2, s33
	s_sub_u32 s44, 0, s33
	s_subb_u32 s45, 0, 0
	v_fmac_f32_e64 v2, 0x4f800000, 0
	v_rcp_f32_e32 v2, v2
	v_mul_f32_e32 v2, 0x5f7ffffc, v2
	v_mul_f32_e32 v4, 0x2f800000, v2
	v_trunc_f32_e32 v4, v4
	v_fmac_f32_e32 v2, 0xcf800000, v4
	v_cvt_u32_f32_e32 v4, v4
	v_cvt_u32_f32_e32 v2, v2
	v_readfirstlane_b32 s38, v4
	v_readfirstlane_b32 s39, v2
	s_mul_i32 s56, s44, s38
	s_mul_hi_u32 s63, s44, s39
	s_mul_i32 s58, s45, s39
	s_add_i32 s56, s63, s56
	s_mul_i32 s68, s44, s39
	s_add_i32 s56, s56, s58
	s_mul_hi_u32 s63, s39, s68
	s_mul_i32 s71, s39, s56
	s_mul_hi_u32 s70, s38, s68
	s_mul_i32 s58, s38, s68
	s_mul_hi_u32 s68, s39, s56
	s_add_u32 s63, s63, s71
	s_addc_u32 s68, 0, s68
	s_mul_hi_u32 vcc_lo, s38, s56
	s_add_u32 s58, s63, s58
	s_mul_i32 s56, s38, s56
	s_addc_u32 s58, s68, s70
	s_addc_u32 s63, vcc_lo, 0
	s_add_u32 s56, s58, s56
	s_addc_u32 s58, 0, s63
	s_add_u32 s39, s39, s56
	s_cselect_b32 s56, -1, 0
	s_mul_hi_u32 s63, s44, s39
	s_cmp_lg_u32 s56, 0
	s_mul_i32 s56, s44, s39
	s_addc_u32 s38, s38, s58
	s_mul_i32 s45, s45, s39
	s_mul_i32 s44, s44, s38
	s_mul_hi_u32 s58, s39, s56
	s_add_i32 s44, s63, s44
	s_mul_hi_u32 s63, s38, s56
	s_add_i32 s44, s44, s45
	s_mul_i32 s45, s38, s56
	s_mul_i32 s70, s39, s44
	s_mul_hi_u32 s68, s39, s44
	s_add_u32 s58, s58, s70
	s_addc_u32 s68, 0, s68
	s_mul_hi_u32 s56, s38, s44
	s_add_u32 s45, s58, s45
	s_mul_i32 s44, s38, s44
	s_addc_u32 s45, s68, s63
	s_addc_u32 s56, s56, 0
	s_add_u32 s44, s45, s44
	s_addc_u32 s45, 0, s56
	s_add_u32 s39, s39, s44
	s_cselect_b32 s44, -1, 0
	s_mul_hi_u32 s56, s6, s39
	s_cmp_lg_u32 s44, 0
	s_mul_hi_u32 s44, s69, s39
	s_addc_u32 s38, s38, s45
	s_mul_i32 s39, s69, s39
	s_mul_i32 s58, s6, s38
	s_mul_hi_u32 s45, s6, s38
	s_add_u32 s56, s56, s58
	s_addc_u32 s45, 0, s45
	s_mul_hi_u32 s63, s69, s38
	s_add_u32 s39, s56, s39
	s_mul_i32 s38, s69, s38
	s_addc_u32 s39, s45, s44
	s_addc_u32 s44, s63, 0
	s_add_u32 s38, s39, s38
	s_addc_u32 s39, 0, s44
	s_mul_hi_u32 s44, s33, s38
	s_mul_i32 s39, s33, s39
	s_mul_i32 s38, s33, s38
	s_add_i32 s44, s44, s39
	s_sub_u32 s38, s6, s38
	s_cselect_b32 s39, -1, 0
	s_cmp_lg_u32 s39, 0
	s_subb_u32 s39, s69, s44
	s_sub_u32 s44, s38, s33
	s_cselect_b32 s45, -1, 0
	s_cmp_lg_u32 s45, 0
	s_subb_u32 s45, s39, 0
	s_sub_u32 s56, s44, s33
	s_cselect_b32 s58, -1, 0
	s_cmp_lg_u32 s58, 0
	s_subb_u32 s58, s45, 0
	s_cmp_ge_u32 s44, s33
	s_cselect_b32 s63, -1, 0
	s_cmp_eq_u32 s45, 0
	s_cselect_b32 s63, s63, -1
	s_cmp_lg_u32 s63, 0
	s_cselect_b32 s45, s58, s45
	s_cselect_b32 s44, s56, s44
	s_cmp_ge_u32 s38, s33
	s_cselect_b32 s56, -1, 0
	s_cmp_eq_u32 s39, 0
	s_cselect_b32 s56, s56, -1
	s_cmp_lg_u32 s56, 0
	s_cselect_b32 s71, s45, s39
	s_cselect_b32 s70, s44, s38
	s_cbranch_execnz .LBB189_200
.LBB189_199:                            ;   in Loop: Header=BB189_31 Depth=1
	v_cvt_f32_u32_e32 v2, s33
	s_sub_i32 s39, 0, s33
	v_rcp_iflag_f32_e32 v2, v2
	v_mul_f32_e32 v2, 0x4f7ffffe, v2
	v_cvt_u32_f32_e32 v2, v2
	v_readfirstlane_b32 s38, v2
	s_mul_i32 s39, s39, s38
	s_mul_hi_u32 s39, s38, s39
	s_add_i32 s38, s38, s39
	s_mul_hi_u32 s38, s6, s38
	s_mul_i32 s38, s38, s33
	s_sub_i32 s38, s6, s38
	s_sub_i32 s39, s38, s33
	s_cmp_ge_u32 s38, s33
	s_cselect_b32 s38, s39, s38
	s_sub_i32 s39, s38, s33
	s_cmp_ge_u32 s38, s33
	s_cselect_b32 s56, s39, s38
	s_mov_b64 s[70:71], s[56:57]
.LBB189_200:                            ;   in Loop: Header=BB189_31 Depth=1
	s_sub_u32 s68, s6, s70
	s_subb_u32 s69, s69, s71
	s_mov_b32 s6, 0
	s_mov_b32 s38, 0
	s_mov_b32 s39, exec_lo
                                        ; implicit-def: $vgpr10_vgpr11
	v_cmpx_gt_u64_e64 s[68:69], v[0:1]
	s_cbranch_execz .LBB189_212
; %bb.201:                              ;   in Loop: Header=BB189_31 Depth=1
	v_mov_b32_e32 v39, v1
	v_mov_b32_e32 v18, v48
	;; [unrolled: 1-line block ×3, first 2 shown]
                                        ; implicit-def: $sgpr56
	s_branch .LBB189_205
.LBB189_202:                            ;   in Loop: Header=BB189_205 Depth=2
	s_or_b32 exec_lo, exec_lo, s58
	s_waitcnt lgkmcnt(0)
	s_barrier
	buffer_gl0_inv
	ds_read_b128 v[8:11], v19 offset:3072
	s_waitcnt lgkmcnt(0)
	s_barrier
	buffer_gl0_inv
	v_cmp_neq_f64_e32 vcc_lo, 0, v[8:9]
	s_cbranch_vccnz .LBB189_208
; %bb.203:                              ;   in Loop: Header=BB189_205 Depth=2
	v_add_co_u32 v38, vcc_lo, v38, s33
	v_add_co_ci_u32_e64 v39, null, 0, v39, vcc_lo
	v_add_nc_u32_e32 v18, s95, v18
	s_mov_b32 s44, 0
	v_cmp_le_u64_e32 vcc_lo, s[68:69], v[38:39]
	s_orn2_b32 s45, vcc_lo, exec_lo
.LBB189_204:                            ;   in Loop: Header=BB189_205 Depth=2
	s_and_b32 s45, exec_lo, s45
	s_or_b32 s38, s45, s38
	s_andn2_b32 s45, s56, exec_lo
	s_and_b32 s44, s44, exec_lo
	s_or_b32 s56, s45, s44
	s_andn2_b32 exec_lo, exec_lo, s38
	s_cbranch_execz .LBB189_211
.LBB189_205:                            ;   Parent Loop BB189_31 Depth=1
                                        ; =>  This Inner Loop Header: Depth=2
	s_mov_b32 s58, exec_lo
	v_cmpx_gt_u64_e64 s[22:23], v[38:39]
	s_cbranch_execz .LBB189_202
; %bb.206:                              ;   in Loop: Header=BB189_205 Depth=2
	ds_read_b64 v[4:5], v18
	s_waitcnt lgkmcnt(0)
	v_cmp_o_f64_e32 vcc_lo, v[4:5], v[4:5]
	v_ashrrev_i32_e32 v2, 31, v5
	v_or_b32_e32 v8, 0x80000000, v2
	v_xor_b32_e32 v2, v2, v4
	v_xor_b32_e32 v8, v8, v5
	v_cndmask_b32_e32 v8, -1, v8, vcc_lo
	v_cndmask_b32_e32 v2, -1, v2, vcc_lo
	v_and_b32_e32 v9, v8, v13
	v_and_b32_e32 v8, v2, v12
	v_cmp_eq_u64_e32 vcc_lo, v[8:9], v[14:15]
	s_and_b32 exec_lo, exec_lo, vcc_lo
	s_cbranch_execz .LBB189_202
; %bb.207:                              ;   in Loop: Header=BB189_205 Depth=2
	v_mov_b32_e32 v2, v19
	ds_write_b128 v19, v[2:5] offset:3072
	s_branch .LBB189_202
.LBB189_208:                            ;   in Loop: Header=BB189_205 Depth=2
	s_mov_b32 s45, -1
	s_mov_b32 s44, -1
                                        ; implicit-def: $vgpr38_vgpr39
                                        ; implicit-def: $vgpr18
	s_branch .LBB189_204
.LBB189_209:                            ;   in Loop: Header=BB189_31 Depth=1
                                        ; implicit-def: $sgpr70_sgpr71
	s_branch .LBB189_152
.LBB189_210:                            ;   in Loop: Header=BB189_31 Depth=1
                                        ; implicit-def: $sgpr22_sgpr23
	s_branch .LBB189_169
.LBB189_211:                            ;   in Loop: Header=BB189_31 Depth=1
	s_or_b32 exec_lo, exec_lo, s38
	s_and_b32 s38, s56, exec_lo
.LBB189_212:                            ;   in Loop: Header=BB189_31 Depth=1
	s_or_b32 exec_lo, exec_lo, s39
.LBB189_213:                            ;   in Loop: Header=BB189_31 Depth=1
	s_and_b32 vcc_lo, exec_lo, s6
	s_cbranch_vccz .LBB189_228
; %bb.214:                              ;   in Loop: Header=BB189_31 Depth=1
	s_mov_b32 s58, s57
	s_cmp_lg_u64 s[58:59], 0
	s_cbranch_scc0 .LBB189_247
; %bb.215:                              ;   in Loop: Header=BB189_31 Depth=1
	v_cvt_f32_u32_e32 v2, s33
	s_sub_u32 s23, 0, s33
	s_subb_u32 s39, 0, 0
	v_fmac_f32_e64 v2, 0x4f800000, 0
	v_rcp_f32_e32 v2, v2
	v_mul_f32_e32 v2, 0x5f7ffffc, v2
	v_mul_f32_e32 v4, 0x2f800000, v2
	v_trunc_f32_e32 v4, v4
	v_fmac_f32_e32 v2, 0xcf800000, v4
	v_cvt_u32_f32_e32 v4, v4
	v_cvt_u32_f32_e32 v2, v2
	v_readfirstlane_b32 s6, v4
	v_readfirstlane_b32 s22, v2
	s_mul_i32 s44, s23, s6
	s_mul_hi_u32 s56, s23, s22
	s_mul_i32 s45, s39, s22
	s_add_i32 s44, s56, s44
	s_mul_i32 s58, s23, s22
	s_add_i32 s44, s44, s45
	s_mul_hi_u32 s56, s22, s58
	s_mul_i32 s68, s22, s44
	s_mul_hi_u32 s63, s6, s58
	s_mul_i32 s45, s6, s58
	s_mul_hi_u32 s58, s22, s44
	s_add_u32 s56, s56, s68
	s_addc_u32 s58, 0, s58
	s_mul_hi_u32 s69, s6, s44
	s_add_u32 s45, s56, s45
	s_mul_i32 s44, s6, s44
	s_addc_u32 s45, s58, s63
	s_addc_u32 s56, s69, 0
	s_add_u32 s44, s45, s44
	s_addc_u32 s45, 0, s56
	s_add_u32 s22, s22, s44
	s_cselect_b32 s44, -1, 0
	s_mul_hi_u32 s56, s23, s22
	s_cmp_lg_u32 s44, 0
	s_mul_i32 s44, s23, s22
	s_addc_u32 s6, s6, s45
	s_mul_i32 s39, s39, s22
	s_mul_i32 s23, s23, s6
	s_mul_hi_u32 s45, s22, s44
	s_add_i32 s23, s56, s23
	s_mul_hi_u32 s56, s6, s44
	s_add_i32 s23, s23, s39
	s_mul_i32 s39, s6, s44
	s_mul_i32 s63, s22, s23
	s_mul_hi_u32 s58, s22, s23
	s_add_u32 s45, s45, s63
	s_addc_u32 s58, 0, s58
	s_mul_hi_u32 s44, s6, s23
	s_add_u32 s39, s45, s39
	s_mul_i32 s23, s6, s23
	s_addc_u32 s39, s58, s56
	s_addc_u32 s44, s44, 0
	s_add_u32 s23, s39, s23
	s_addc_u32 s39, 0, s44
	s_add_u32 s22, s22, s23
	s_cselect_b32 s23, -1, 0
	s_mul_hi_u32 s44, s91, s22
	s_cmp_lg_u32 s23, 0
	s_mul_hi_u32 s23, s59, s22
	s_addc_u32 s6, s6, s39
	s_mul_i32 s22, s59, s22
	s_mul_i32 s45, s91, s6
	s_mul_hi_u32 s39, s91, s6
	s_add_u32 s44, s44, s45
	s_addc_u32 s39, 0, s39
	s_mul_hi_u32 s56, s59, s6
	s_add_u32 s22, s44, s22
	s_mul_i32 s6, s59, s6
	s_addc_u32 s22, s39, s23
	s_addc_u32 s23, s56, 0
	s_add_u32 s6, s22, s6
	s_addc_u32 s22, 0, s23
	s_mul_hi_u32 s23, s33, s6
	s_mul_i32 s22, s33, s22
	s_mul_i32 s6, s33, s6
	s_add_i32 s23, s23, s22
	s_sub_u32 s6, s91, s6
	s_cselect_b32 s22, -1, 0
	s_cmp_lg_u32 s22, 0
	s_subb_u32 s22, s59, s23
	s_sub_u32 s23, s6, s33
	s_cselect_b32 s39, -1, 0
	s_cmp_lg_u32 s39, 0
	s_subb_u32 s39, s22, 0
	;; [unrolled: 4-line block ×3, first 2 shown]
	s_cmp_ge_u32 s23, s33
	s_cselect_b32 s56, -1, 0
	s_cmp_eq_u32 s39, 0
	s_cselect_b32 s56, s56, -1
	s_cmp_lg_u32 s56, 0
	s_cselect_b32 s39, s45, s39
	s_cselect_b32 s44, s44, s23
	s_cmp_ge_u32 s6, s33
	s_cselect_b32 s23, -1, 0
	s_cmp_eq_u32 s22, 0
	s_cselect_b32 s23, s23, -1
	s_cmp_lg_u32 s23, 0
	s_cselect_b32 s23, s39, s22
	s_cselect_b32 s22, s44, s6
	s_cbranch_execnz .LBB189_217
.LBB189_216:                            ;   in Loop: Header=BB189_31 Depth=1
	v_cvt_f32_u32_e32 v2, s33
	s_sub_i32 s22, 0, s33
	v_rcp_iflag_f32_e32 v2, v2
	v_mul_f32_e32 v2, 0x4f7ffffe, v2
	v_cvt_u32_f32_e32 v2, v2
	v_readfirstlane_b32 s6, v2
	s_mul_i32 s22, s22, s6
	s_mul_hi_u32 s22, s6, s22
	s_add_i32 s6, s6, s22
	s_mul_hi_u32 s6, s91, s6
	s_mul_i32 s6, s6, s33
	s_sub_i32 s6, s91, s6
	s_sub_i32 s22, s6, s33
	s_cmp_ge_u32 s6, s33
	s_cselect_b32 s6, s22, s6
	s_sub_i32 s22, s6, s33
	s_cmp_ge_u32 s6, s33
	s_cselect_b32 s56, s22, s6
	s_mov_b64 s[22:23], s[56:57]
.LBB189_217:                            ;   in Loop: Header=BB189_31 Depth=1
	s_sub_u32 s22, s91, s22
	s_subb_u32 s23, s59, s23
	s_mov_b32 s39, exec_lo
                                        ; implicit-def: $vgpr10_vgpr11
	v_cmpx_gt_u64_e64 s[22:23], v[0:1]
	s_cbranch_execz .LBB189_227
; %bb.218:                              ;   in Loop: Header=BB189_31 Depth=1
	v_mov_b32_e32 v39, v33
	v_mov_b32_e32 v43, v1
	;; [unrolled: 1-line block ×4, first 2 shown]
	s_mov_b32 s56, 0
                                        ; implicit-def: $sgpr58
	s_branch .LBB189_222
.LBB189_219:                            ;   in Loop: Header=BB189_222 Depth=2
	s_or_b32 exec_lo, exec_lo, s6
	s_waitcnt lgkmcnt(0)
	s_barrier
	buffer_gl0_inv
	ds_read_b128 v[8:11], v19 offset:3072
	s_waitcnt lgkmcnt(0)
	s_barrier
	buffer_gl0_inv
	v_cmp_eq_f64_e32 vcc_lo, 0, v[8:9]
	s_cbranch_vccz .LBB189_225
; %bb.220:                              ;   in Loop: Header=BB189_222 Depth=2
	v_add_co_u32 v42, vcc_lo, v42, s33
	v_add_co_ci_u32_e64 v43, null, 0, v43, vcc_lo
	v_add_co_u32 v38, s6, v38, s34
	v_add_co_ci_u32_e64 v39, null, s35, v39, s6
	v_cmp_le_u64_e32 vcc_lo, s[22:23], v[42:43]
	s_mov_b32 s6, 0
	s_orn2_b32 s44, vcc_lo, exec_lo
.LBB189_221:                            ;   in Loop: Header=BB189_222 Depth=2
	s_and_b32 s44, exec_lo, s44
	s_or_b32 s56, s44, s56
	s_andn2_b32 s44, s58, exec_lo
	s_and_b32 s6, s6, exec_lo
	s_or_b32 s58, s44, s6
	s_andn2_b32 exec_lo, exec_lo, s56
	s_cbranch_execz .LBB189_226
.LBB189_222:                            ;   Parent Loop BB189_31 Depth=1
                                        ; =>  This Inner Loop Header: Depth=2
	s_mov_b32 s6, exec_lo
	v_cmpx_gt_u64_e64 s[28:29], v[42:43]
	s_cbranch_execz .LBB189_219
; %bb.223:                              ;   in Loop: Header=BB189_222 Depth=2
	global_load_dwordx2 v[4:5], v[38:39], off
	s_waitcnt vmcnt(0)
	v_cmp_o_f64_e32 vcc_lo, v[4:5], v[4:5]
	v_ashrrev_i32_e32 v2, 31, v5
	v_or_b32_e32 v8, 0x80000000, v2
	v_xor_b32_e32 v2, v2, v4
	v_xor_b32_e32 v8, v8, v5
	v_cndmask_b32_e32 v8, -1, v8, vcc_lo
	v_cndmask_b32_e32 v2, -1, v2, vcc_lo
	v_and_b32_e32 v9, v8, v13
	v_and_b32_e32 v8, v2, v12
	v_cmp_eq_u64_e32 vcc_lo, v[8:9], v[14:15]
	s_and_b32 exec_lo, exec_lo, vcc_lo
	s_cbranch_execz .LBB189_219
; %bb.224:                              ;   in Loop: Header=BB189_222 Depth=2
	v_mov_b32_e32 v2, v19
	ds_write_b128 v19, v[2:5] offset:3072
	s_branch .LBB189_219
.LBB189_225:                            ;   in Loop: Header=BB189_222 Depth=2
	s_mov_b32 s44, -1
	s_mov_b32 s6, -1
                                        ; implicit-def: $vgpr42_vgpr43
                                        ; implicit-def: $vgpr38_vgpr39
	s_branch .LBB189_221
.LBB189_226:                            ;   in Loop: Header=BB189_31 Depth=1
	s_or_b32 exec_lo, exec_lo, s56
	s_andn2_b32 s6, s38, exec_lo
	s_and_b32 s22, s58, exec_lo
	s_or_b32 s38, s6, s22
.LBB189_227:                            ;   in Loop: Header=BB189_31 Depth=1
	s_or_b32 exec_lo, exec_lo, s39
	s_mov_b32 s80, 0
	s_mov_b32 s81, -1
.LBB189_228:                            ;   in Loop: Header=BB189_31 Depth=1
	s_orn2_b32 s6, s38, exec_lo
.LBB189_229:                            ;   in Loop: Header=BB189_31 Depth=1
	s_or_b32 exec_lo, exec_lo, s2
	s_mov_b32 s22, 0
	s_and_saveexec_b32 s2, s6
	s_cbranch_execz .LBB189_293
; %bb.230:                              ;   in Loop: Header=BB189_31 Depth=1
	v_mov_b32_e32 v38, 1
	v_mov_b32_e32 v39, 0
	;; [unrolled: 1-line block ×3, first 2 shown]
	s_xor_b32 s22, s62, -1
	s_mov_b32 s23, 0
	s_and_saveexec_b32 s6, s22
	s_cbranch_execz .LBB189_239
; %bb.231:                              ;   in Loop: Header=BB189_31 Depth=1
	s_mov_b32 s22, exec_lo
	v_cmpx_ge_u64_e64 s[18:19], v[40:41]
	s_xor_b32 s22, exec_lo, s22
	s_cbranch_execz .LBB189_236
; %bb.232:                              ;   in Loop: Header=BB189_31 Depth=1
	ds_read_b64 v[4:5], v19 offset:5120
	v_and_b32_e32 v2, s15, v15
	v_and_b32_e32 v8, s14, v14
	s_lshl_b64 s[38:39], 2, s54
	v_or_b32_e32 v13, s13, v13
	v_or_b32_e32 v12, s12, v12
	;; [unrolled: 1-line block ×4, first 2 shown]
	s_waitcnt lgkmcnt(0)
	v_cmp_ne_u64_e32 vcc_lo, 0, v[4:5]
	s_cbranch_vccnz .LBB189_236
; %bb.233:                              ;   in Loop: Header=BB189_31 Depth=1
	s_and_saveexec_b32 s23, s3
; %bb.234:                              ;   in Loop: Header=BB189_31 Depth=1
	v_mov_b32_e32 v4, s18
	v_mov_b32_e32 v5, s19
	ds_write_b64 v19, v[4:5] offset:5128
; %bb.235:                              ;   in Loop: Header=BB189_31 Depth=1
	s_or_b32 exec_lo, exec_lo, s23
	s_waitcnt lgkmcnt(0)
	s_barrier
	buffer_gl0_inv
.LBB189_236:                            ;   in Loop: Header=BB189_31 Depth=1
	s_or_saveexec_b32 s22, s22
	v_mov_b32_e32 v44, 8
	s_mov_b32 s23, 0
	s_xor_b32 exec_lo, exec_lo, s22
; %bb.237:                              ;   in Loop: Header=BB189_31 Depth=1
	v_sub_co_u32 v40, vcc_lo, v40, s18
	v_subrev_co_ci_u32_e64 v41, null, s19, v41, vcc_lo
	v_mov_b32_e32 v44, 0
	s_mov_b32 s23, exec_lo
; %bb.238:                              ;   in Loop: Header=BB189_31 Depth=1
	s_or_b32 exec_lo, exec_lo, s22
	v_mov_b32_e32 v38, v40
	v_mov_b32_e32 v39, v41
	s_and_b32 s23, s23, exec_lo
.LBB189_239:                            ;   in Loop: Header=BB189_31 Depth=1
	s_or_b32 exec_lo, exec_lo, s6
	s_mov_b32 s22, -1
                                        ; implicit-def: $sgpr39
                                        ; implicit-def: $sgpr6
	s_and_saveexec_b32 s62, s23
	s_cbranch_execz .LBB189_292
; %bb.240:                              ;   in Loop: Header=BB189_31 Depth=1
	v_cmp_eq_u64_e32 vcc_lo, 1, v[38:39]
	s_cmp_eq_u64 s[20:21], 1
	s_mov_b32 s23, -1
	s_cselect_b32 s6, -1, 0
                                        ; implicit-def: $sgpr39
	s_and_b32 s63, s6, vcc_lo
                                        ; implicit-def: $sgpr6
	s_and_saveexec_b32 s38, s63
	s_cbranch_execz .LBB189_280
; %bb.241:                              ;   in Loop: Header=BB189_31 Depth=1
	ds_read_b64 v[4:5], v19 offset:5120
	s_waitcnt lgkmcnt(0)
	s_barrier
	buffer_gl0_inv
	v_readfirstlane_b32 s22, v4
	v_readfirstlane_b32 s23, v5
	s_and_saveexec_b32 s6, s8
; %bb.242:                              ;   in Loop: Header=BB189_31 Depth=1
	v_mov_b32_e32 v18, v19
	ds_write_b64 v49, v[18:19]
; %bb.243:                              ;   in Loop: Header=BB189_31 Depth=1
	s_or_b32 exec_lo, exec_lo, s6
	v_or_b32_e32 v15, s13, v15
	v_or_b32_e32 v14, s12, v14
	;; [unrolled: 1-line block ×4, first 2 shown]
	s_mov_b32 s6, -1
	s_mov_b32 s39, 0
	s_cmp_eq_u64 s[22:23], 0
	s_mov_b32 s70, 0
	s_mov_b32 s56, -1
	s_waitcnt lgkmcnt(0)
	s_barrier
	buffer_gl0_inv
                                        ; implicit-def: $vgpr10_vgpr11
	s_cbranch_scc1 .LBB189_262
; %bb.244:                              ;   in Loop: Header=BB189_31 Depth=1
	v_writelane_b32 v55, s63, 13
	s_add_u32 s58, s22, s89
	s_addc_u32 s69, s23, s90
	s_mov_b32 s68, s57
	s_cmp_lg_u64 s[68:69], 0
	v_writelane_b32 v55, s94, 14
	s_cbranch_scc0 .LBB189_248
; %bb.245:                              ;   in Loop: Header=BB189_31 Depth=1
	v_cvt_f32_u32_e32 v2, s33
	s_sub_u32 s56, 0, s33
	s_subb_u32 s68, 0, 0
	v_fmac_f32_e64 v2, 0x4f800000, 0
	v_rcp_f32_e32 v2, v2
	v_mul_f32_e32 v2, 0x5f7ffffc, v2
	v_mul_f32_e32 v4, 0x2f800000, v2
	v_trunc_f32_e32 v4, v4
	v_fmac_f32_e32 v2, 0xcf800000, v4
	v_cvt_u32_f32_e32 v4, v4
	v_cvt_u32_f32_e32 v2, v2
	v_readfirstlane_b32 s44, v4
	v_readfirstlane_b32 s45, v2
	s_mul_i32 s70, s56, s44
	s_mul_hi_u32 vcc_lo, s56, s45
	s_mul_i32 s71, s68, s45
	s_add_i32 s70, vcc_lo, s70
	s_mul_i32 s92, s56, s45
	s_add_i32 s70, s70, s71
	s_mul_hi_u32 vcc_lo, s45, s92
	s_mul_i32 s93, s45, s70
	s_mul_hi_u32 s63, s44, s92
	s_mul_i32 s71, s44, s92
	s_mul_hi_u32 s92, s45, s70
	s_add_u32 s93, vcc_lo, s93
	s_addc_u32 s92, 0, s92
	s_mul_hi_u32 s94, s44, s70
	s_add_u32 s71, s93, s71
	s_mul_i32 s70, s44, s70
	s_addc_u32 s63, s92, s63
	s_addc_u32 s71, s94, 0
	s_add_u32 s63, s63, s70
	s_addc_u32 s70, 0, s71
	s_add_u32 s45, s45, s63
	s_cselect_b32 s63, -1, 0
	s_mul_hi_u32 s71, s56, s45
	s_cmp_lg_u32 s63, 0
	s_mul_i32 s63, s56, s45
	s_addc_u32 s44, s44, s70
	s_mul_i32 s68, s68, s45
	s_mul_i32 s56, s56, s44
	s_mul_hi_u32 s70, s45, s63
	s_add_i32 s56, s71, s56
	s_mul_hi_u32 s71, s44, s63
	s_add_i32 s56, s56, s68
	s_mul_i32 s63, s44, s63
	s_mul_i32 s93, s45, s56
	s_mul_hi_u32 s92, s45, s56
	s_add_u32 s70, s70, s93
	s_addc_u32 s92, 0, s92
	s_mul_hi_u32 s68, s44, s56
	s_add_u32 s63, s70, s63
	s_mul_i32 s56, s44, s56
	s_addc_u32 s63, s92, s71
	s_addc_u32 s68, s68, 0
	s_add_u32 s56, s63, s56
	s_addc_u32 s63, 0, s68
	s_add_u32 s45, s45, s56
	s_cselect_b32 s56, -1, 0
	s_mul_hi_u32 s68, s58, s45
	s_cmp_lg_u32 s56, 0
	s_mul_hi_u32 s56, s69, s45
	s_addc_u32 s44, s44, s63
	s_mul_i32 s45, s69, s45
	s_mul_i32 s70, s58, s44
	s_mul_hi_u32 s63, s58, s44
	s_add_u32 s68, s68, s70
	s_addc_u32 s63, 0, s63
	s_mul_hi_u32 s71, s69, s44
	s_add_u32 s45, s68, s45
	s_mul_i32 s44, s69, s44
	s_addc_u32 s45, s63, s56
	s_addc_u32 s56, s71, 0
	s_add_u32 s44, s45, s44
	s_addc_u32 s45, 0, s56
	s_mul_hi_u32 s56, s33, s44
	s_mul_i32 s45, s33, s45
	s_mul_i32 s44, s33, s44
	s_add_i32 s56, s56, s45
	s_sub_u32 s44, s58, s44
	s_cselect_b32 s45, -1, 0
	s_cmp_lg_u32 s45, 0
	s_subb_u32 s45, s69, s56
	s_sub_u32 s56, s44, s33
	s_cselect_b32 s63, -1, 0
	s_cmp_lg_u32 s63, 0
	s_subb_u32 s63, s45, 0
	;; [unrolled: 4-line block ×3, first 2 shown]
	s_cmp_ge_u32 s56, s33
	s_cselect_b32 s71, -1, 0
	s_cmp_eq_u32 s63, 0
	s_cselect_b32 s71, s71, -1
	s_cmp_lg_u32 s71, 0
	s_cselect_b32 s63, s70, s63
	s_cselect_b32 s56, s68, s56
	s_cmp_ge_u32 s44, s33
	s_cselect_b32 s68, -1, 0
	s_cmp_eq_u32 s45, 0
	s_cselect_b32 s68, s68, -1
	s_cmp_lg_u32 s68, 0
	s_cselect_b32 s71, s63, s45
	s_cselect_b32 s70, s56, s44
	s_mov_b32 s44, 0
	s_branch .LBB189_249
.LBB189_246:                            ;   in Loop: Header=BB189_31 Depth=1
                                        ; implicit-def: $sgpr70_sgpr71
	s_branch .LBB189_199
.LBB189_247:                            ;   in Loop: Header=BB189_31 Depth=1
                                        ; implicit-def: $sgpr22_sgpr23
	s_branch .LBB189_216
.LBB189_248:                            ;   in Loop: Header=BB189_31 Depth=1
	s_mov_b32 s44, -1
                                        ; implicit-def: $sgpr70_sgpr71
.LBB189_249:                            ;   in Loop: Header=BB189_31 Depth=1
	s_andn2_b32 vcc_lo, exec_lo, s44
	s_cbranch_vccnz .LBB189_251
; %bb.250:                              ;   in Loop: Header=BB189_31 Depth=1
	v_cvt_f32_u32_e32 v2, s33
	s_sub_i32 s45, 0, s33
	v_rcp_iflag_f32_e32 v2, v2
	v_mul_f32_e32 v2, 0x4f7ffffe, v2
	v_cvt_u32_f32_e32 v2, v2
	v_readfirstlane_b32 s44, v2
	s_mul_i32 s45, s45, s44
	s_mul_hi_u32 s45, s44, s45
	s_add_i32 s44, s44, s45
	s_mul_hi_u32 s44, s58, s44
	s_mul_i32 s44, s44, s33
	s_sub_i32 s44, s58, s44
	s_sub_i32 s45, s44, s33
	s_cmp_ge_u32 s44, s33
	s_cselect_b32 s44, s45, s44
	s_sub_i32 s45, s44, s33
	s_cmp_ge_u32 s44, s33
	s_cselect_b32 s56, s45, s44
	s_mov_b64 s[70:71], s[56:57]
.LBB189_251:                            ;   in Loop: Header=BB189_31 Depth=1
	s_sub_u32 s68, s58, s70
	s_subb_u32 s69, s69, s71
	s_mov_b32 s56, 0
	s_mov_b32 s70, 0
	s_mov_b32 s58, exec_lo
                                        ; implicit-def: $vgpr10_vgpr11
	v_cmpx_gt_u64_e64 s[68:69], v[0:1]
	s_load_dwordx2 s[92:93], s[4:5], 0x0
	v_readlane_b32 s94, v55, 14
	v_readlane_b32 s63, v55, 13
	s_cbranch_execz .LBB189_261
; %bb.252:                              ;   in Loop: Header=BB189_31 Depth=1
	v_mov_b32_e32 v41, v1
	v_mov_b32_e32 v18, v48
	;; [unrolled: 1-line block ×3, first 2 shown]
                                        ; implicit-def: $sgpr71
	s_branch .LBB189_256
.LBB189_253:                            ;   in Loop: Header=BB189_256 Depth=2
	s_or_b32 exec_lo, exec_lo, s44
	s_waitcnt lgkmcnt(0)
	s_barrier
	buffer_gl0_inv
	ds_read_b128 v[8:11], v19 offset:3072
	s_waitcnt lgkmcnt(0)
	s_barrier
	buffer_gl0_inv
	v_cmp_neq_f64_e32 vcc_lo, 0, v[8:9]
	s_cbranch_vccnz .LBB189_259
; %bb.254:                              ;   in Loop: Header=BB189_256 Depth=2
	v_add_co_u32 v40, vcc_lo, v40, s33
	v_add_co_ci_u32_e64 v41, null, 0, v41, vcc_lo
	v_add_nc_u32_e32 v18, s95, v18
	s_mov_b32 s44, 0
	v_cmp_le_u64_e32 vcc_lo, s[68:69], v[40:41]
	s_orn2_b32 s45, vcc_lo, exec_lo
.LBB189_255:                            ;   in Loop: Header=BB189_256 Depth=2
	s_and_b32 s45, exec_lo, s45
	s_or_b32 s70, s45, s70
	s_andn2_b32 s45, s71, exec_lo
	s_and_b32 s44, s44, exec_lo
	s_or_b32 s71, s45, s44
	s_andn2_b32 exec_lo, exec_lo, s70
	s_cbranch_execz .LBB189_260
.LBB189_256:                            ;   Parent Loop BB189_31 Depth=1
                                        ; =>  This Inner Loop Header: Depth=2
	s_mov_b32 s44, exec_lo
	v_cmpx_gt_u64_e64 s[22:23], v[40:41]
	s_cbranch_execz .LBB189_253
; %bb.257:                              ;   in Loop: Header=BB189_256 Depth=2
	ds_read_b64 v[4:5], v18
	s_waitcnt lgkmcnt(0)
	v_cmp_o_f64_e32 vcc_lo, v[4:5], v[4:5]
	v_ashrrev_i32_e32 v2, 31, v5
	v_or_b32_e32 v8, 0x80000000, v2
	v_xor_b32_e32 v2, v2, v4
	v_xor_b32_e32 v8, v8, v5
	v_cndmask_b32_e32 v8, -1, v8, vcc_lo
	v_cndmask_b32_e32 v2, -1, v2, vcc_lo
	v_and_b32_e32 v9, v8, v13
	v_and_b32_e32 v8, v2, v12
	v_cmp_eq_u64_e32 vcc_lo, v[8:9], v[14:15]
	s_and_b32 exec_lo, exec_lo, vcc_lo
	s_cbranch_execz .LBB189_253
; %bb.258:                              ;   in Loop: Header=BB189_256 Depth=2
	v_mov_b32_e32 v2, v19
	ds_write_b128 v19, v[2:5] offset:3072
	s_branch .LBB189_253
.LBB189_259:                            ;   in Loop: Header=BB189_256 Depth=2
	s_mov_b32 s45, -1
	s_mov_b32 s44, -1
                                        ; implicit-def: $vgpr40_vgpr41
                                        ; implicit-def: $vgpr18
	s_branch .LBB189_255
.LBB189_260:                            ;   in Loop: Header=BB189_31 Depth=1
	s_or_b32 exec_lo, exec_lo, s70
	s_and_b32 s70, s71, exec_lo
.LBB189_261:                            ;   in Loop: Header=BB189_31 Depth=1
	s_or_b32 exec_lo, exec_lo, s58
.LBB189_262:                            ;   in Loop: Header=BB189_31 Depth=1
	s_and_b32 vcc_lo, exec_lo, s56
	s_cbranch_vccz .LBB189_279
; %bb.263:                              ;   in Loop: Header=BB189_31 Depth=1
	s_mov_b32 s58, s57
	s_cmp_lg_u64 s[58:59], 0
	s_cbranch_scc0 .LBB189_265
; %bb.264:                              ;   in Loop: Header=BB189_31 Depth=1
	v_cvt_f32_u32_e32 v2, s33
	s_sub_u32 s23, 0, s33
	s_subb_u32 s39, 0, 0
	s_mov_b32 s71, s63
	v_fmac_f32_e64 v2, 0x4f800000, 0
	v_rcp_f32_e32 v2, v2
	v_mul_f32_e32 v2, 0x5f7ffffc, v2
	v_mul_f32_e32 v4, 0x2f800000, v2
	v_trunc_f32_e32 v4, v4
	v_fmac_f32_e32 v2, 0xcf800000, v4
	v_cvt_u32_f32_e32 v4, v4
	v_cvt_u32_f32_e32 v2, v2
	v_readfirstlane_b32 s6, v4
	v_readfirstlane_b32 s22, v2
	s_mul_i32 s44, s23, s6
	s_mul_hi_u32 s56, s23, s22
	s_mul_i32 s45, s39, s22
	s_add_i32 s44, s56, s44
	s_mul_i32 s58, s23, s22
	s_add_i32 s44, s44, s45
	s_mul_hi_u32 s56, s22, s58
	s_mul_i32 s68, s22, s44
	s_mul_hi_u32 s63, s6, s58
	s_mul_i32 s45, s6, s58
	s_mul_hi_u32 s58, s22, s44
	s_add_u32 s56, s56, s68
	s_addc_u32 s58, 0, s58
	s_mul_hi_u32 s69, s6, s44
	s_add_u32 s45, s56, s45
	s_mul_i32 s44, s6, s44
	s_addc_u32 s45, s58, s63
	s_addc_u32 s56, s69, 0
	s_add_u32 s44, s45, s44
	s_addc_u32 s45, 0, s56
	s_add_u32 s22, s22, s44
	s_cselect_b32 s44, -1, 0
	s_mul_hi_u32 s56, s23, s22
	s_cmp_lg_u32 s44, 0
	s_mul_i32 s44, s23, s22
	s_addc_u32 s6, s6, s45
	s_mul_i32 s39, s39, s22
	s_mul_i32 s23, s23, s6
	s_mul_hi_u32 s45, s22, s44
	s_add_i32 s23, s56, s23
	s_mul_hi_u32 s56, s6, s44
	s_add_i32 s23, s23, s39
	s_mul_i32 s39, s6, s44
	s_mul_i32 s63, s22, s23
	s_mul_hi_u32 s58, s22, s23
	s_add_u32 s45, s45, s63
	s_addc_u32 s58, 0, s58
	s_mul_hi_u32 s44, s6, s23
	s_add_u32 s39, s45, s39
	s_mul_i32 s23, s6, s23
	s_addc_u32 s39, s58, s56
	s_addc_u32 s44, s44, 0
	s_add_u32 s23, s39, s23
	s_addc_u32 s39, 0, s44
	s_add_u32 s22, s22, s23
	s_cselect_b32 s23, -1, 0
	s_mul_hi_u32 s44, s91, s22
	s_cmp_lg_u32 s23, 0
	s_mul_hi_u32 s23, s59, s22
	s_addc_u32 s6, s6, s39
	s_mul_i32 s22, s59, s22
	s_mul_i32 s45, s91, s6
	s_mul_hi_u32 s39, s91, s6
	s_add_u32 s44, s44, s45
	s_addc_u32 s39, 0, s39
	s_mul_hi_u32 s56, s59, s6
	s_add_u32 s22, s44, s22
	s_mul_i32 s6, s59, s6
	s_addc_u32 s22, s39, s23
	s_addc_u32 s23, s56, 0
	s_add_u32 s6, s22, s6
	s_addc_u32 s22, 0, s23
	s_mul_hi_u32 s23, s33, s6
	s_mul_i32 s22, s33, s22
	s_mul_i32 s6, s33, s6
	s_add_i32 s23, s23, s22
	s_sub_u32 s6, s91, s6
	s_cselect_b32 s22, -1, 0
	s_mov_b32 s63, s71
	s_cmp_lg_u32 s22, 0
	s_subb_u32 s22, s59, s23
	s_sub_u32 s23, s6, s33
	s_cselect_b32 s39, -1, 0
	s_cmp_lg_u32 s39, 0
	s_subb_u32 s39, s22, 0
	s_sub_u32 s44, s23, s33
	s_cselect_b32 s45, -1, 0
	s_cmp_lg_u32 s45, 0
	s_subb_u32 s45, s39, 0
	s_cmp_ge_u32 s23, s33
	s_cselect_b32 s56, -1, 0
	s_cmp_eq_u32 s39, 0
	s_cselect_b32 s56, s56, -1
	s_cmp_lg_u32 s56, 0
	s_cselect_b32 s39, s45, s39
	s_cselect_b32 s44, s44, s23
	s_cmp_ge_u32 s6, s33
	s_cselect_b32 s23, -1, 0
	s_cmp_eq_u32 s22, 0
	s_cselect_b32 s23, s23, -1
	s_cmp_lg_u32 s23, 0
	s_cselect_b32 s23, s39, s22
	s_cselect_b32 s22, s44, s6
	s_mov_b32 s6, 0
	s_branch .LBB189_266
.LBB189_265:                            ;   in Loop: Header=BB189_31 Depth=1
	s_mov_b32 s6, -1
                                        ; implicit-def: $sgpr22_sgpr23
.LBB189_266:                            ;   in Loop: Header=BB189_31 Depth=1
	s_andn2_b32 vcc_lo, exec_lo, s6
	s_cbranch_vccnz .LBB189_268
; %bb.267:                              ;   in Loop: Header=BB189_31 Depth=1
	v_cvt_f32_u32_e32 v2, s33
	s_sub_i32 s22, 0, s33
	v_rcp_iflag_f32_e32 v2, v2
	v_mul_f32_e32 v2, 0x4f7ffffe, v2
	v_cvt_u32_f32_e32 v2, v2
	v_readfirstlane_b32 s6, v2
	s_mul_i32 s22, s22, s6
	s_mul_hi_u32 s22, s6, s22
	s_add_i32 s6, s6, s22
	s_mul_hi_u32 s6, s91, s6
	s_mul_i32 s6, s6, s33
	s_sub_i32 s6, s91, s6
	s_sub_i32 s22, s6, s33
	s_cmp_ge_u32 s6, s33
	s_cselect_b32 s6, s22, s6
	s_sub_i32 s22, s6, s33
	s_cmp_ge_u32 s6, s33
	s_cselect_b32 s56, s22, s6
	s_mov_b64 s[22:23], s[56:57]
.LBB189_268:                            ;   in Loop: Header=BB189_31 Depth=1
	s_sub_u32 s22, s91, s22
	s_subb_u32 s23, s59, s23
	s_mov_b32 s39, exec_lo
                                        ; implicit-def: $vgpr10_vgpr11
	v_cmpx_gt_u64_e64 s[22:23], v[0:1]
	s_cbranch_execz .LBB189_278
; %bb.269:                              ;   in Loop: Header=BB189_31 Depth=1
	v_mov_b32_e32 v41, v33
	v_mov_b32_e32 v43, v1
	;; [unrolled: 1-line block ×4, first 2 shown]
	s_mov_b32 s56, 0
                                        ; implicit-def: $sgpr58
	s_branch .LBB189_273
.LBB189_270:                            ;   in Loop: Header=BB189_273 Depth=2
	s_or_b32 exec_lo, exec_lo, s6
	s_waitcnt lgkmcnt(0)
	s_barrier
	buffer_gl0_inv
	ds_read_b128 v[8:11], v19 offset:3072
	s_waitcnt lgkmcnt(0)
	s_barrier
	buffer_gl0_inv
	v_cmp_eq_f64_e32 vcc_lo, 0, v[8:9]
	s_cbranch_vccz .LBB189_276
; %bb.271:                              ;   in Loop: Header=BB189_273 Depth=2
	v_add_co_u32 v42, vcc_lo, v42, s33
	v_add_co_ci_u32_e64 v43, null, 0, v43, vcc_lo
	v_add_co_u32 v40, s6, v40, s34
	v_add_co_ci_u32_e64 v41, null, s35, v41, s6
	v_cmp_le_u64_e32 vcc_lo, s[22:23], v[42:43]
	s_mov_b32 s6, 0
	s_orn2_b32 s44, vcc_lo, exec_lo
.LBB189_272:                            ;   in Loop: Header=BB189_273 Depth=2
	s_and_b32 s44, exec_lo, s44
	s_or_b32 s56, s44, s56
	s_andn2_b32 s44, s58, exec_lo
	s_and_b32 s6, s6, exec_lo
	s_or_b32 s58, s44, s6
	s_andn2_b32 exec_lo, exec_lo, s56
	s_cbranch_execz .LBB189_277
.LBB189_273:                            ;   Parent Loop BB189_31 Depth=1
                                        ; =>  This Inner Loop Header: Depth=2
	s_mov_b32 s6, exec_lo
	v_cmpx_gt_u64_e64 s[28:29], v[42:43]
	s_cbranch_execz .LBB189_270
; %bb.274:                              ;   in Loop: Header=BB189_273 Depth=2
	global_load_dwordx2 v[4:5], v[40:41], off
	s_waitcnt vmcnt(0)
	v_cmp_o_f64_e32 vcc_lo, v[4:5], v[4:5]
	v_ashrrev_i32_e32 v2, 31, v5
	v_or_b32_e32 v8, 0x80000000, v2
	v_xor_b32_e32 v2, v2, v4
	v_xor_b32_e32 v8, v8, v5
	v_cndmask_b32_e32 v8, -1, v8, vcc_lo
	v_cndmask_b32_e32 v2, -1, v2, vcc_lo
	v_and_b32_e32 v9, v8, v13
	v_and_b32_e32 v8, v2, v12
	v_cmp_eq_u64_e32 vcc_lo, v[8:9], v[14:15]
	s_and_b32 exec_lo, exec_lo, vcc_lo
	s_cbranch_execz .LBB189_270
; %bb.275:                              ;   in Loop: Header=BB189_273 Depth=2
	v_mov_b32_e32 v2, v19
	ds_write_b128 v19, v[2:5] offset:3072
	s_branch .LBB189_270
.LBB189_276:                            ;   in Loop: Header=BB189_273 Depth=2
	s_mov_b32 s44, -1
	s_mov_b32 s6, -1
                                        ; implicit-def: $vgpr42_vgpr43
                                        ; implicit-def: $vgpr40_vgpr41
	s_branch .LBB189_272
.LBB189_277:                            ;   in Loop: Header=BB189_31 Depth=1
	s_or_b32 exec_lo, exec_lo, s56
	s_andn2_b32 s6, s70, exec_lo
	s_and_b32 s22, s58, exec_lo
	s_or_b32 s70, s6, s22
.LBB189_278:                            ;   in Loop: Header=BB189_31 Depth=1
	s_or_b32 exec_lo, exec_lo, s39
	s_mov_b32 s6, 0
	s_mov_b32 s39, -1
.LBB189_279:                            ;   in Loop: Header=BB189_31 Depth=1
	s_orn2_b32 s23, s70, exec_lo
.LBB189_280:                            ;   in Loop: Header=BB189_31 Depth=1
	s_or_b32 exec_lo, exec_lo, s38
	s_mov_b32 s38, 0
	s_and_saveexec_b32 s22, s23
	s_cbranch_execz .LBB189_291
; %bb.281:                              ;   in Loop: Header=BB189_31 Depth=1
	v_mov_b32_e32 v4, 1
	v_mov_b32_e32 v5, 0
	;; [unrolled: 1-line block ×3, first 2 shown]
	s_xor_b32 s38, s63, -1
	s_and_saveexec_b32 s23, s38
	s_cbranch_execz .LBB189_290
; %bb.282:                              ;   in Loop: Header=BB189_31 Depth=1
	s_mov_b32 s38, exec_lo
	v_cmpx_ge_u64_e64 s[20:21], v[38:39]
	s_xor_b32 s38, exec_lo, s38
	s_cbranch_execz .LBB189_287
; %bb.283:                              ;   in Loop: Header=BB189_31 Depth=1
	ds_read_b64 v[4:5], v19 offset:5120
	v_or_b32_e32 v15, s13, v15
	v_or_b32_e32 v14, s12, v14
	;; [unrolled: 1-line block ×4, first 2 shown]
	s_waitcnt lgkmcnt(0)
	v_cmp_ne_u64_e32 vcc_lo, 0, v[4:5]
	s_cbranch_vccnz .LBB189_287
; %bb.284:                              ;   in Loop: Header=BB189_31 Depth=1
	s_and_saveexec_b32 s44, s3
; %bb.285:                              ;   in Loop: Header=BB189_31 Depth=1
	v_mov_b32_e32 v4, s20
	v_mov_b32_e32 v5, s21
	ds_write_b64 v19, v[4:5] offset:5128
; %bb.286:                              ;   in Loop: Header=BB189_31 Depth=1
	s_or_b32 exec_lo, exec_lo, s44
	s_waitcnt lgkmcnt(0)
	s_barrier
	buffer_gl0_inv
.LBB189_287:                            ;   in Loop: Header=BB189_31 Depth=1
	s_andn2_saveexec_b32 s38, s38
; %bb.288:                              ;   in Loop: Header=BB189_31 Depth=1
	v_sub_co_u32 v38, vcc_lo, v38, s20
	v_subrev_co_ci_u32_e64 v39, null, s21, v39, vcc_lo
; %bb.289:                              ;   in Loop: Header=BB189_31 Depth=1
	s_or_b32 exec_lo, exec_lo, s38
	v_mov_b32_e32 v4, v38
	v_mov_b32_e32 v44, 8
	;; [unrolled: 1-line block ×3, first 2 shown]
.LBB189_290:                            ;   in Loop: Header=BB189_31 Depth=1
	s_or_b32 exec_lo, exec_lo, s23
	v_mov_b32_e32 v39, v5
	v_mov_b32_e32 v38, v4
	s_mov_b32 s38, exec_lo
.LBB189_291:                            ;   in Loop: Header=BB189_31 Depth=1
	s_or_b32 exec_lo, exec_lo, s22
	s_orn2_b32 s22, s38, exec_lo
.LBB189_292:                            ;   in Loop: Header=BB189_31 Depth=1
	s_or_b32 exec_lo, exec_lo, s62
	v_mov_b32_e32 v41, v39
	v_mov_b32_e32 v40, v38
	s_andn2_b32 s23, s81, exec_lo
	s_and_b32 s38, s39, exec_lo
	s_andn2_b32 s39, s80, exec_lo
	s_and_b32 s6, s6, exec_lo
	s_or_b32 s81, s23, s38
	s_or_b32 s80, s39, s6
	s_and_b32 s22, s22, exec_lo
.LBB189_293:                            ;   in Loop: Header=BB189_31 Depth=1
	s_or_b32 exec_lo, exec_lo, s2
	s_orn2_b32 s2, s22, exec_lo
.LBB189_294:                            ;   in Loop: Header=BB189_31 Depth=1
	s_or_b32 exec_lo, exec_lo, s79
	v_mov_b32_e32 v38, v40
	v_mov_b32_e32 v39, v41
	s_andn2_b32 s6, s77, exec_lo
	s_and_b32 s22, s81, exec_lo
	s_andn2_b32 s23, s76, exec_lo
	s_and_b32 s38, s80, exec_lo
	s_or_b32 s77, s6, s22
	s_or_b32 s76, s23, s38
	s_and_b32 s22, s2, exec_lo
.LBB189_295:                            ;   in Loop: Header=BB189_31 Depth=1
	s_or_b32 exec_lo, exec_lo, s78
	s_orn2_b32 s2, s22, exec_lo
.LBB189_296:                            ;   in Loop: Header=BB189_31 Depth=1
	s_or_b32 exec_lo, exec_lo, s43
	s_mov_b32 s6, 0
	s_mov_b32 s22, 0
	s_and_saveexec_b32 s23, s2
	s_xor_b32 s2, exec_lo, s23
; %bb.297:                              ;   in Loop: Header=BB189_31 Depth=1
	v_cmp_ne_u32_e32 vcc_lo, 8, v44
	v_cmp_eq_u32_e64 s6, 8, v44
	s_and_b32 s22, vcc_lo, exec_lo
	s_and_b32 s6, s6, exec_lo
; %bb.298:                              ;   in Loop: Header=BB189_31 Depth=1
	s_or_b32 exec_lo, exec_lo, s2
	s_andn2_b32 s2, s73, exec_lo
	s_and_b32 s23, s77, exec_lo
	s_andn2_b32 s38, s72, exec_lo
	s_and_b32 s39, s76, exec_lo
	s_or_b32 s73, s2, s23
	s_or_b32 s72, s38, s39
	s_and_b32 s43, s22, exec_lo
	s_and_b32 s70, s6, exec_lo
.LBB189_299:                            ;   in Loop: Header=BB189_31 Depth=1
	s_or_b32 exec_lo, exec_lo, s75
.LBB189_300:                            ;   in Loop: Header=BB189_31 Depth=1
	s_and_b32 vcc_lo, exec_lo, s74
	s_cbranch_vccz .LBB189_317
; %bb.301:                              ;   in Loop: Header=BB189_31 Depth=1
	s_cmp_eq_u64 s[20:21], 1
	s_mov_b32 s6, -1
	s_cselect_b32 s2, -1, 0
                                        ; implicit-def: $sgpr71
                                        ; implicit-def: $sgpr9
	s_and_b32 s2, s2, s7
	s_and_saveexec_b32 s38, s2
	s_cbranch_execz .LBB189_336
; %bb.302:                              ;   in Loop: Header=BB189_31 Depth=1
	ds_read_b64 v[4:5], v19 offset:5120
	s_waitcnt lgkmcnt(0)
	s_barrier
	buffer_gl0_inv
	v_readfirstlane_b32 s6, v4
	v_readfirstlane_b32 s7, v5
	s_and_saveexec_b32 s9, s8
; %bb.303:                              ;   in Loop: Header=BB189_31 Depth=1
	v_mov_b32_e32 v18, v19
	ds_write_b64 v49, v[18:19]
; %bb.304:                              ;   in Loop: Header=BB189_31 Depth=1
	s_or_b32 exec_lo, exec_lo, s9
	v_or_b32_e32 v29, s13, v29
	v_or_b32_e32 v28, s12, v28
	v_or_b32_e32 v35, s13, v35
	v_or_b32_e32 v34, s12, v34
	s_mov_b32 s9, -1
	s_mov_b32 s71, 0
	s_cmp_eq_u64 s[6:7], 0
	s_mov_b32 s39, 0
	s_mov_b32 s56, -1
	s_waitcnt lgkmcnt(0)
	s_barrier
	buffer_gl0_inv
                                        ; implicit-def: $vgpr6_vgpr7
	s_cbranch_scc1 .LBB189_320
; %bb.305:                              ;   in Loop: Header=BB189_31 Depth=1
	s_add_u32 s39, s6, s89
	s_addc_u32 s23, s7, s90
	s_mov_b32 s22, s57
	s_cmp_lg_u64 s[22:23], 0
	s_cbranch_scc0 .LBB189_363
; %bb.306:                              ;   in Loop: Header=BB189_31 Depth=1
	v_cvt_f32_u32_e32 v2, s33
	s_sub_u32 s45, 0, s33
	s_subb_u32 s56, 0, 0
	v_fmac_f32_e64 v2, 0x4f800000, 0
	v_rcp_f32_e32 v2, v2
	v_mul_f32_e32 v2, 0x5f7ffffc, v2
	v_mul_f32_e32 v4, 0x2f800000, v2
	v_trunc_f32_e32 v4, v4
	v_fmac_f32_e32 v2, 0xcf800000, v4
	v_cvt_u32_f32_e32 v4, v4
	v_cvt_u32_f32_e32 v2, v2
	v_readfirstlane_b32 s22, v4
	v_readfirstlane_b32 s44, v2
	s_mul_i32 s58, s45, s22
	s_mul_hi_u32 s63, s45, s44
	s_mul_i32 s62, s56, s44
	s_add_i32 s58, s63, s58
	s_mul_i32 s68, s45, s44
	s_add_i32 s58, s58, s62
	s_mul_hi_u32 s63, s44, s68
	s_mul_i32 s72, s44, s58
	s_mul_hi_u32 s69, s22, s68
	s_mul_i32 s62, s22, s68
	s_mul_hi_u32 s68, s44, s58
	s_add_u32 s63, s63, s72
	s_addc_u32 s68, 0, s68
	s_mul_hi_u32 s73, s22, s58
	s_add_u32 s62, s63, s62
	s_mul_i32 s58, s22, s58
	s_addc_u32 s62, s68, s69
	s_addc_u32 s63, s73, 0
	s_add_u32 s58, s62, s58
	s_addc_u32 s62, 0, s63
	s_add_u32 s44, s44, s58
	s_cselect_b32 s58, -1, 0
	s_mul_hi_u32 s63, s45, s44
	s_cmp_lg_u32 s58, 0
	s_mul_i32 s58, s45, s44
	s_addc_u32 s22, s22, s62
	s_mul_i32 s56, s56, s44
	s_mul_i32 s45, s45, s22
	s_mul_hi_u32 s62, s44, s58
	s_add_i32 s45, s63, s45
	s_mul_hi_u32 s63, s22, s58
	s_add_i32 s45, s45, s56
	s_mul_i32 s56, s22, s58
	s_mul_i32 s69, s44, s45
	s_mul_hi_u32 s68, s44, s45
	s_add_u32 s62, s62, s69
	s_addc_u32 s68, 0, s68
	s_mul_hi_u32 s58, s22, s45
	s_add_u32 s56, s62, s56
	s_mul_i32 s45, s22, s45
	s_addc_u32 s56, s68, s63
	s_addc_u32 s58, s58, 0
	s_add_u32 s45, s56, s45
	s_addc_u32 s56, 0, s58
	s_add_u32 s44, s44, s45
	s_cselect_b32 s45, -1, 0
	s_mul_hi_u32 s58, s39, s44
	s_cmp_lg_u32 s45, 0
	s_mul_hi_u32 s45, s23, s44
	s_addc_u32 s22, s22, s56
	s_mul_i32 s44, s23, s44
	s_mul_i32 s62, s39, s22
	s_mul_hi_u32 s56, s39, s22
	s_add_u32 s58, s58, s62
	s_addc_u32 s56, 0, s56
	s_mul_hi_u32 s63, s23, s22
	s_add_u32 s44, s58, s44
	s_mul_i32 s22, s23, s22
	s_addc_u32 s44, s56, s45
	s_addc_u32 s45, s63, 0
	s_add_u32 s22, s44, s22
	s_addc_u32 s44, 0, s45
	s_mul_hi_u32 s45, s33, s22
	s_mul_i32 s44, s33, s44
	s_mul_i32 s22, s33, s22
	s_add_i32 s45, s45, s44
	s_sub_u32 s22, s39, s22
	s_cselect_b32 s44, -1, 0
	s_cmp_lg_u32 s44, 0
	s_subb_u32 s44, s23, s45
	s_sub_u32 s45, s22, s33
	s_cselect_b32 s56, -1, 0
	s_cmp_lg_u32 s56, 0
	s_subb_u32 s56, s44, 0
	s_sub_u32 s58, s45, s33
	s_cselect_b32 s62, -1, 0
	s_cmp_lg_u32 s62, 0
	s_subb_u32 s62, s56, 0
	s_cmp_ge_u32 s45, s33
	s_cselect_b32 s63, -1, 0
	s_cmp_eq_u32 s56, 0
	s_cselect_b32 s63, s63, -1
	s_cmp_lg_u32 s63, 0
	s_cselect_b32 s56, s62, s56
	s_cselect_b32 s45, s58, s45
	s_cmp_ge_u32 s22, s33
	s_cselect_b32 s58, -1, 0
	s_cmp_eq_u32 s44, 0
	s_cselect_b32 s58, s58, -1
	s_cmp_lg_u32 s58, 0
	s_cselect_b32 s69, s56, s44
	s_cselect_b32 s68, s45, s22
	s_cbranch_execnz .LBB189_308
.LBB189_307:                            ;   in Loop: Header=BB189_31 Depth=1
	v_cvt_f32_u32_e32 v2, s33
	s_sub_i32 s44, 0, s33
	v_rcp_iflag_f32_e32 v2, v2
	v_mul_f32_e32 v2, 0x4f7ffffe, v2
	v_cvt_u32_f32_e32 v2, v2
	v_readfirstlane_b32 s22, v2
	s_mul_i32 s44, s44, s22
	s_mul_hi_u32 s44, s22, s44
	s_add_i32 s22, s22, s44
	s_mul_hi_u32 s22, s39, s22
	s_mul_i32 s22, s22, s33
	s_sub_i32 s22, s39, s22
	s_sub_i32 s44, s22, s33
	s_cmp_ge_u32 s22, s33
	s_cselect_b32 s22, s44, s22
	s_sub_i32 s44, s22, s33
	s_cmp_ge_u32 s22, s33
	s_cselect_b32 s56, s44, s22
	s_mov_b64 s[68:69], s[56:57]
.LBB189_308:                            ;   in Loop: Header=BB189_31 Depth=1
	s_sub_u32 s22, s39, s68
	s_subb_u32 s23, s23, s69
	s_mov_b32 s56, 0
	s_mov_b32 s39, 0
	s_mov_b32 s58, exec_lo
                                        ; implicit-def: $vgpr6_vgpr7
	v_cmpx_gt_u64_e64 s[22:23], v[0:1]
	s_cbranch_execz .LBB189_319
; %bb.309:                              ;   in Loop: Header=BB189_31 Depth=1
	v_mov_b32_e32 v9, v1
	v_mov_b32_e32 v10, v48
	;; [unrolled: 1-line block ×3, first 2 shown]
                                        ; implicit-def: $sgpr62
	s_branch .LBB189_313
.LBB189_310:                            ;   in Loop: Header=BB189_313 Depth=2
	s_or_b32 exec_lo, exec_lo, s44
	s_waitcnt lgkmcnt(0)
	s_barrier
	buffer_gl0_inv
	ds_read_b128 v[4:7], v19 offset:3072
	s_waitcnt lgkmcnt(0)
	s_barrier
	buffer_gl0_inv
	v_cmp_neq_f64_e32 vcc_lo, 0, v[4:5]
	s_cbranch_vccnz .LBB189_316
; %bb.311:                              ;   in Loop: Header=BB189_313 Depth=2
	v_add_co_u32 v8, vcc_lo, v8, s33
	v_add_co_ci_u32_e64 v9, null, 0, v9, vcc_lo
	v_add_nc_u32_e32 v10, s95, v10
	s_mov_b32 s44, 0
	v_cmp_le_u64_e32 vcc_lo, s[22:23], v[8:9]
	s_orn2_b32 s45, vcc_lo, exec_lo
.LBB189_312:                            ;   in Loop: Header=BB189_313 Depth=2
	s_and_b32 s45, exec_lo, s45
	s_or_b32 s39, s45, s39
	s_andn2_b32 s45, s62, exec_lo
	s_and_b32 s44, s44, exec_lo
	s_or_b32 s62, s45, s44
	s_andn2_b32 exec_lo, exec_lo, s39
	s_cbranch_execz .LBB189_318
.LBB189_313:                            ;   Parent Loop BB189_31 Depth=1
                                        ; =>  This Inner Loop Header: Depth=2
	s_mov_b32 s44, exec_lo
	v_cmpx_gt_u64_e64 s[6:7], v[8:9]
	s_cbranch_execz .LBB189_310
; %bb.314:                              ;   in Loop: Header=BB189_313 Depth=2
	ds_read_b64 v[4:5], v10
	s_waitcnt lgkmcnt(0)
	v_cmp_o_f64_e32 vcc_lo, v[4:5], v[4:5]
	v_ashrrev_i32_e32 v2, 31, v5
	v_or_b32_e32 v6, 0x80000000, v2
	v_xor_b32_e32 v2, v2, v4
	v_xor_b32_e32 v6, v6, v5
	v_cndmask_b32_e32 v6, -1, v6, vcc_lo
	v_cndmask_b32_e32 v2, -1, v2, vcc_lo
	v_and_b32_e32 v7, v6, v35
	v_and_b32_e32 v6, v2, v34
	v_cmp_eq_u64_e32 vcc_lo, v[6:7], v[28:29]
	s_and_b32 exec_lo, exec_lo, vcc_lo
	s_cbranch_execz .LBB189_310
; %bb.315:                              ;   in Loop: Header=BB189_313 Depth=2
	v_mov_b32_e32 v2, v19
	ds_write_b128 v19, v[2:5] offset:3072
	s_branch .LBB189_310
.LBB189_316:                            ;   in Loop: Header=BB189_313 Depth=2
	s_mov_b32 s45, -1
	s_mov_b32 s44, -1
                                        ; implicit-def: $vgpr8_vgpr9
                                        ; implicit-def: $vgpr10
	s_branch .LBB189_312
.LBB189_317:                            ;   in Loop: Header=BB189_31 Depth=1
	v_mov_b32_e32 v29, v15
	v_mov_b32_e32 v35, v13
	;; [unrolled: 1-line block ×6, first 2 shown]
	s_mov_b32 s71, 0
	s_and_saveexec_b32 s2, s70
	s_cbranch_execnz .LBB189_501
	s_branch .LBB189_502
.LBB189_318:                            ;   in Loop: Header=BB189_31 Depth=1
	s_or_b32 exec_lo, exec_lo, s39
	s_and_b32 s39, s62, exec_lo
.LBB189_319:                            ;   in Loop: Header=BB189_31 Depth=1
	s_or_b32 exec_lo, exec_lo, s58
.LBB189_320:                            ;   in Loop: Header=BB189_31 Depth=1
	s_and_b32 vcc_lo, exec_lo, s56
	s_cbranch_vccz .LBB189_335
; %bb.321:                              ;   in Loop: Header=BB189_31 Depth=1
	s_mov_b32 s58, s57
	s_cmp_lg_u64 s[58:59], 0
	s_cbranch_scc0 .LBB189_364
; %bb.322:                              ;   in Loop: Header=BB189_31 Depth=1
	v_cvt_f32_u32_e32 v2, s33
	s_sub_u32 s9, 0, s33
	s_subb_u32 s22, 0, 0
	v_fmac_f32_e64 v2, 0x4f800000, 0
	v_rcp_f32_e32 v2, v2
	v_mul_f32_e32 v2, 0x5f7ffffc, v2
	v_mul_f32_e32 v4, 0x2f800000, v2
	v_trunc_f32_e32 v4, v4
	v_fmac_f32_e32 v2, 0xcf800000, v4
	v_cvt_u32_f32_e32 v4, v4
	v_cvt_u32_f32_e32 v2, v2
	v_readfirstlane_b32 s6, v4
	v_readfirstlane_b32 s7, v2
	s_mul_i32 s23, s9, s6
	s_mul_hi_u32 s45, s9, s7
	s_mul_i32 s44, s22, s7
	s_add_i32 s23, s45, s23
	s_mul_i32 s56, s9, s7
	s_add_i32 s23, s23, s44
	s_mul_hi_u32 s45, s7, s56
	s_mul_i32 s62, s7, s23
	s_mul_hi_u32 s58, s6, s56
	s_mul_i32 s44, s6, s56
	s_mul_hi_u32 s56, s7, s23
	s_add_u32 s45, s45, s62
	s_addc_u32 s56, 0, s56
	s_mul_hi_u32 s63, s6, s23
	s_add_u32 s44, s45, s44
	s_mul_i32 s23, s6, s23
	s_addc_u32 s44, s56, s58
	s_addc_u32 s45, s63, 0
	s_add_u32 s23, s44, s23
	s_addc_u32 s44, 0, s45
	s_add_u32 s7, s7, s23
	s_cselect_b32 s23, -1, 0
	s_mul_hi_u32 s45, s9, s7
	s_cmp_lg_u32 s23, 0
	s_mul_i32 s23, s9, s7
	s_addc_u32 s6, s6, s44
	s_mul_i32 s22, s22, s7
	s_mul_i32 s9, s9, s6
	s_mul_hi_u32 s44, s7, s23
	s_add_i32 s9, s45, s9
	s_mul_hi_u32 s45, s6, s23
	s_add_i32 s9, s9, s22
	s_mul_i32 s22, s6, s23
	s_mul_i32 s58, s7, s9
	s_mul_hi_u32 s56, s7, s9
	s_add_u32 s44, s44, s58
	s_addc_u32 s56, 0, s56
	s_mul_hi_u32 s23, s6, s9
	s_add_u32 s22, s44, s22
	s_mul_i32 s9, s6, s9
	s_addc_u32 s22, s56, s45
	s_addc_u32 s23, s23, 0
	s_add_u32 s9, s22, s9
	s_addc_u32 s22, 0, s23
	s_add_u32 s7, s7, s9
	s_cselect_b32 s9, -1, 0
	s_mul_hi_u32 s23, s91, s7
	s_cmp_lg_u32 s9, 0
	s_mul_hi_u32 s9, s59, s7
	s_addc_u32 s6, s6, s22
	s_mul_i32 s7, s59, s7
	s_mul_i32 s44, s91, s6
	s_mul_hi_u32 s22, s91, s6
	s_add_u32 s23, s23, s44
	s_addc_u32 s22, 0, s22
	s_mul_hi_u32 s45, s59, s6
	s_add_u32 s7, s23, s7
	s_mul_i32 s6, s59, s6
	s_addc_u32 s7, s22, s9
	s_addc_u32 s9, s45, 0
	s_add_u32 s6, s7, s6
	s_addc_u32 s7, 0, s9
	s_mul_hi_u32 s9, s33, s6
	s_mul_i32 s7, s33, s7
	s_mul_i32 s6, s33, s6
	s_add_i32 s9, s9, s7
	s_sub_u32 s6, s91, s6
	s_cselect_b32 s7, -1, 0
	s_cmp_lg_u32 s7, 0
	s_subb_u32 s7, s59, s9
	s_sub_u32 s9, s6, s33
	s_cselect_b32 s22, -1, 0
	s_cmp_lg_u32 s22, 0
	s_subb_u32 s22, s7, 0
	;; [unrolled: 4-line block ×3, first 2 shown]
	s_cmp_ge_u32 s9, s33
	s_cselect_b32 s45, -1, 0
	s_cmp_eq_u32 s22, 0
	s_cselect_b32 s45, s45, -1
	s_cmp_lg_u32 s45, 0
	s_cselect_b32 s22, s44, s22
	s_cselect_b32 s9, s23, s9
	s_cmp_ge_u32 s6, s33
	s_cselect_b32 s23, -1, 0
	s_cmp_eq_u32 s7, 0
	s_cselect_b32 s23, s23, -1
	s_cmp_lg_u32 s23, 0
	s_cselect_b32 s7, s22, s7
	s_cselect_b32 s6, s9, s6
	s_cbranch_execnz .LBB189_324
.LBB189_323:                            ;   in Loop: Header=BB189_31 Depth=1
	v_cvt_f32_u32_e32 v2, s33
	s_sub_i32 s7, 0, s33
	v_rcp_iflag_f32_e32 v2, v2
	v_mul_f32_e32 v2, 0x4f7ffffe, v2
	v_cvt_u32_f32_e32 v2, v2
	v_readfirstlane_b32 s6, v2
	s_mul_i32 s7, s7, s6
	s_mul_hi_u32 s7, s6, s7
	s_add_i32 s6, s6, s7
	s_mul_hi_u32 s6, s91, s6
	s_mul_i32 s6, s6, s33
	s_sub_i32 s6, s91, s6
	s_sub_i32 s7, s6, s33
	s_cmp_ge_u32 s6, s33
	s_cselect_b32 s6, s7, s6
	s_sub_i32 s7, s6, s33
	s_cmp_ge_u32 s6, s33
	s_cselect_b32 s56, s7, s6
	s_mov_b64 s[6:7], s[56:57]
.LBB189_324:                            ;   in Loop: Header=BB189_31 Depth=1
	s_sub_u32 s22, s91, s6
	s_subb_u32 s23, s59, s7
	s_mov_b32 s7, exec_lo
                                        ; implicit-def: $vgpr6_vgpr7
	v_cmpx_gt_u64_e64 s[22:23], v[0:1]
	s_cbranch_execz .LBB189_334
; %bb.325:                              ;   in Loop: Header=BB189_31 Depth=1
	v_mov_b32_e32 v8, v32
	v_mov_b32_e32 v11, v1
	;; [unrolled: 1-line block ×4, first 2 shown]
	s_mov_b32 s56, 0
                                        ; implicit-def: $sgpr9
	s_branch .LBB189_329
.LBB189_326:                            ;   in Loop: Header=BB189_329 Depth=2
	s_or_b32 exec_lo, exec_lo, s6
	s_waitcnt lgkmcnt(0)
	s_barrier
	buffer_gl0_inv
	ds_read_b128 v[4:7], v19 offset:3072
	s_waitcnt lgkmcnt(0)
	s_barrier
	buffer_gl0_inv
	v_cmp_neq_f64_e32 vcc_lo, 0, v[4:5]
	s_cbranch_vccnz .LBB189_332
; %bb.327:                              ;   in Loop: Header=BB189_329 Depth=2
	v_add_co_u32 v10, vcc_lo, v10, s33
	v_add_co_ci_u32_e64 v11, null, 0, v11, vcc_lo
	v_add_co_u32 v8, s6, v8, s34
	v_add_co_ci_u32_e64 v9, null, s35, v9, s6
	v_cmp_le_u64_e32 vcc_lo, s[22:23], v[10:11]
	s_mov_b32 s6, 0
	s_orn2_b32 s44, vcc_lo, exec_lo
.LBB189_328:                            ;   in Loop: Header=BB189_329 Depth=2
	s_and_b32 s44, exec_lo, s44
	s_or_b32 s56, s44, s56
	s_andn2_b32 s9, s9, exec_lo
	s_and_b32 s6, s6, exec_lo
	s_or_b32 s9, s9, s6
	s_andn2_b32 exec_lo, exec_lo, s56
	s_cbranch_execz .LBB189_333
.LBB189_329:                            ;   Parent Loop BB189_31 Depth=1
                                        ; =>  This Inner Loop Header: Depth=2
	s_mov_b32 s6, exec_lo
	v_cmpx_gt_u64_e64 s[28:29], v[10:11]
	s_cbranch_execz .LBB189_326
; %bb.330:                              ;   in Loop: Header=BB189_329 Depth=2
	global_load_dwordx2 v[4:5], v[8:9], off
	s_waitcnt vmcnt(0)
	v_cmp_o_f64_e32 vcc_lo, v[4:5], v[4:5]
	v_ashrrev_i32_e32 v2, 31, v5
	v_or_b32_e32 v6, 0x80000000, v2
	v_xor_b32_e32 v2, v2, v4
	v_xor_b32_e32 v6, v6, v5
	v_cndmask_b32_e32 v6, -1, v6, vcc_lo
	v_cndmask_b32_e32 v2, -1, v2, vcc_lo
	v_and_b32_e32 v7, v6, v35
	v_and_b32_e32 v6, v2, v34
	v_cmp_eq_u64_e32 vcc_lo, v[6:7], v[28:29]
	s_and_b32 exec_lo, exec_lo, vcc_lo
	s_cbranch_execz .LBB189_326
; %bb.331:                              ;   in Loop: Header=BB189_329 Depth=2
	v_mov_b32_e32 v2, v19
	ds_write_b128 v19, v[2:5] offset:3072
	s_branch .LBB189_326
.LBB189_332:                            ;   in Loop: Header=BB189_329 Depth=2
	s_mov_b32 s44, -1
	s_mov_b32 s6, -1
                                        ; implicit-def: $vgpr10_vgpr11
                                        ; implicit-def: $vgpr8_vgpr9
	s_branch .LBB189_328
.LBB189_333:                            ;   in Loop: Header=BB189_31 Depth=1
	s_or_b32 exec_lo, exec_lo, s56
	s_andn2_b32 s6, s39, exec_lo
	s_and_b32 s9, s9, exec_lo
	s_or_b32 s39, s6, s9
.LBB189_334:                            ;   in Loop: Header=BB189_31 Depth=1
	s_or_b32 exec_lo, exec_lo, s7
	s_mov_b32 s9, 0
	s_mov_b32 s71, -1
.LBB189_335:                            ;   in Loop: Header=BB189_31 Depth=1
	s_orn2_b32 s6, s39, exec_lo
.LBB189_336:                            ;   in Loop: Header=BB189_31 Depth=1
	s_or_b32 exec_lo, exec_lo, s38
                                        ; implicit-def: $vgpr38_vgpr39
                                        ; implicit-def: $vgpr44
	s_and_saveexec_b32 s68, s6
	s_cbranch_execz .LBB189_500
; %bb.337:                              ;   in Loop: Header=BB189_31 Depth=1
	v_mov_b32_e32 v38, 1
	v_mov_b32_e32 v39, 0
	v_mov_b32_e32 v44, 1
	s_xor_b32 s7, s2, -1
	s_mov_b32 s6, 0
	s_and_saveexec_b32 s2, s7
	s_cbranch_execz .LBB189_346
; %bb.338:                              ;   in Loop: Header=BB189_31 Depth=1
	s_mov_b32 s6, exec_lo
	v_cmpx_ge_u64_e64 s[20:21], v[36:37]
	s_xor_b32 s6, exec_lo, s6
	s_cbranch_execz .LBB189_343
; %bb.339:                              ;   in Loop: Header=BB189_31 Depth=1
	ds_read_b64 v[4:5], v19 offset:5120
	v_or_b32_e32 v29, s13, v29
	v_or_b32_e32 v28, s12, v28
	v_or_b32_e32 v35, s13, v35
	v_or_b32_e32 v34, s12, v34
	s_waitcnt lgkmcnt(0)
	v_cmp_ne_u64_e32 vcc_lo, 0, v[4:5]
	s_cbranch_vccnz .LBB189_343
; %bb.340:                              ;   in Loop: Header=BB189_31 Depth=1
	s_and_saveexec_b32 s7, s3
; %bb.341:                              ;   in Loop: Header=BB189_31 Depth=1
	v_mov_b32_e32 v4, s20
	v_mov_b32_e32 v5, s21
	ds_write_b64 v19, v[4:5] offset:5128
; %bb.342:                              ;   in Loop: Header=BB189_31 Depth=1
	s_or_b32 exec_lo, exec_lo, s7
	s_waitcnt lgkmcnt(0)
	s_barrier
	buffer_gl0_inv
.LBB189_343:                            ;   in Loop: Header=BB189_31 Depth=1
	s_or_saveexec_b32 s6, s6
	v_mov_b32_e32 v44, 5
	s_mov_b32 s7, 0
	s_xor_b32 exec_lo, exec_lo, s6
; %bb.344:                              ;   in Loop: Header=BB189_31 Depth=1
	v_sub_co_u32 v36, vcc_lo, v36, s20
	v_subrev_co_ci_u32_e64 v37, null, s21, v37, vcc_lo
	v_mov_b32_e32 v44, 0
	s_mov_b32 s7, exec_lo
; %bb.345:                              ;   in Loop: Header=BB189_31 Depth=1
	s_or_b32 exec_lo, exec_lo, s6
	v_mov_b32_e32 v39, v37
	v_mov_b32_e32 v38, v36
	s_and_b32 s6, s7, exec_lo
.LBB189_346:                            ;   in Loop: Header=BB189_31 Depth=1
	s_or_b32 exec_lo, exec_lo, s2
	s_mov_b32 s2, -1
                                        ; implicit-def: $sgpr72
                                        ; implicit-def: $sgpr73
	s_and_saveexec_b32 s7, s6
	s_xor_b32 s69, exec_lo, s7
	s_cbranch_execz .LBB189_497
; %bb.347:                              ;   in Loop: Header=BB189_31 Depth=1
	v_cmp_eq_u64_e32 vcc_lo, 1, v[38:39]
	s_cmp_eq_u64 s[18:19], 1
	s_mov_b32 s6, -1
	s_cselect_b32 s2, -1, 0
                                        ; implicit-def: $sgpr73
                                        ; implicit-def: $sgpr72
	s_and_b32 s2, s2, vcc_lo
	s_and_saveexec_b32 s38, s2
	s_cbranch_execz .LBB189_383
; %bb.348:                              ;   in Loop: Header=BB189_31 Depth=1
	ds_read_b64 v[4:5], v19 offset:5120
	s_waitcnt lgkmcnt(0)
	s_barrier
	buffer_gl0_inv
	v_readfirstlane_b32 s6, v4
	v_readfirstlane_b32 s7, v5
	s_and_saveexec_b32 s20, s8
; %bb.349:                              ;   in Loop: Header=BB189_31 Depth=1
	v_mov_b32_e32 v18, v19
	ds_write_b64 v49, v[18:19]
; %bb.350:                              ;   in Loop: Header=BB189_31 Depth=1
	s_or_b32 exec_lo, exec_lo, s20
	v_and_b32_e32 v2, s15, v29
	v_and_b32_e32 v4, s14, v28
	s_lshl_b64 s[20:21], 2, s54
	v_or_b32_e32 v35, s13, v35
	v_or_b32_e32 v34, s12, v34
	;; [unrolled: 1-line block ×4, first 2 shown]
	s_mov_b32 s72, -1
	s_mov_b32 s73, 0
	s_cmp_eq_u64 s[6:7], 0
	s_mov_b32 s22, 0
	s_mov_b32 s23, -1
	s_waitcnt lgkmcnt(0)
	s_barrier
	buffer_gl0_inv
                                        ; implicit-def: $vgpr6_vgpr7
	s_cbranch_scc1 .LBB189_367
; %bb.351:                              ;   in Loop: Header=BB189_31 Depth=1
	s_add_u32 s39, s6, s89
	s_addc_u32 s21, s7, s90
	s_mov_b32 s20, s57
	s_cmp_lg_u64 s[20:21], 0
	s_cbranch_scc0 .LBB189_410
; %bb.352:                              ;   in Loop: Header=BB189_31 Depth=1
	v_cvt_f32_u32_e32 v2, s33
	s_sub_u32 s23, 0, s33
	s_subb_u32 s44, 0, 0
	v_fmac_f32_e64 v2, 0x4f800000, 0
	v_rcp_f32_e32 v2, v2
	v_mul_f32_e32 v2, 0x5f7ffffc, v2
	v_mul_f32_e32 v4, 0x2f800000, v2
	v_trunc_f32_e32 v4, v4
	v_fmac_f32_e32 v2, 0xcf800000, v4
	v_cvt_u32_f32_e32 v4, v4
	v_cvt_u32_f32_e32 v2, v2
	v_readfirstlane_b32 s20, v4
	v_readfirstlane_b32 s22, v2
	s_mul_i32 s45, s23, s20
	s_mul_hi_u32 s58, s23, s22
	s_mul_i32 s56, s44, s22
	s_add_i32 s45, s58, s45
	s_mul_i32 s62, s23, s22
	s_add_i32 s45, s45, s56
	s_mul_hi_u32 s58, s22, s62
	s_mul_i32 s74, s22, s45
	s_mul_hi_u32 s63, s20, s62
	s_mul_i32 s56, s20, s62
	s_mul_hi_u32 s62, s22, s45
	s_add_u32 s58, s58, s74
	s_addc_u32 s62, 0, s62
	s_mul_hi_u32 s75, s20, s45
	s_add_u32 s56, s58, s56
	s_mul_i32 s45, s20, s45
	s_addc_u32 s56, s62, s63
	s_addc_u32 s58, s75, 0
	s_add_u32 s45, s56, s45
	s_addc_u32 s56, 0, s58
	s_add_u32 s22, s22, s45
	s_cselect_b32 s45, -1, 0
	s_mul_hi_u32 s58, s23, s22
	s_cmp_lg_u32 s45, 0
	s_mul_i32 s45, s23, s22
	s_addc_u32 s20, s20, s56
	s_mul_i32 s44, s44, s22
	s_mul_i32 s23, s23, s20
	s_mul_hi_u32 s56, s22, s45
	s_add_i32 s23, s58, s23
	s_mul_hi_u32 s58, s20, s45
	s_add_i32 s23, s23, s44
	s_mul_i32 s44, s20, s45
	s_mul_i32 s63, s22, s23
	s_mul_hi_u32 s62, s22, s23
	s_add_u32 s56, s56, s63
	s_addc_u32 s62, 0, s62
	s_mul_hi_u32 s45, s20, s23
	s_add_u32 s44, s56, s44
	s_mul_i32 s23, s20, s23
	s_addc_u32 s44, s62, s58
	s_addc_u32 s45, s45, 0
	s_add_u32 s23, s44, s23
	s_addc_u32 s44, 0, s45
	s_add_u32 s22, s22, s23
	s_cselect_b32 s23, -1, 0
	s_mul_hi_u32 s45, s39, s22
	s_cmp_lg_u32 s23, 0
	s_mul_hi_u32 s23, s21, s22
	s_addc_u32 s20, s20, s44
	s_mul_i32 s22, s21, s22
	s_mul_i32 s56, s39, s20
	s_mul_hi_u32 s44, s39, s20
	s_add_u32 s45, s45, s56
	s_addc_u32 s44, 0, s44
	s_mul_hi_u32 s58, s21, s20
	s_add_u32 s22, s45, s22
	s_mul_i32 s20, s21, s20
	s_addc_u32 s22, s44, s23
	s_addc_u32 s23, s58, 0
	s_add_u32 s20, s22, s20
	s_addc_u32 s22, 0, s23
	s_mul_hi_u32 s23, s33, s20
	s_mul_i32 s22, s33, s22
	s_mul_i32 s20, s33, s20
	s_add_i32 s23, s23, s22
	s_sub_u32 s20, s39, s20
	s_cselect_b32 s22, -1, 0
	s_cmp_lg_u32 s22, 0
	s_subb_u32 s22, s21, s23
	s_sub_u32 s23, s20, s33
	s_cselect_b32 s44, -1, 0
	s_cmp_lg_u32 s44, 0
	s_subb_u32 s44, s22, 0
	;; [unrolled: 4-line block ×3, first 2 shown]
	s_cmp_ge_u32 s23, s33
	s_cselect_b32 s58, -1, 0
	s_cmp_eq_u32 s44, 0
	s_cselect_b32 s58, s58, -1
	s_cmp_lg_u32 s58, 0
	s_cselect_b32 s44, s56, s44
	s_cselect_b32 s45, s45, s23
	s_cmp_ge_u32 s20, s33
	s_cselect_b32 s23, -1, 0
	s_cmp_eq_u32 s22, 0
	s_cselect_b32 s23, s23, -1
	s_cmp_lg_u32 s23, 0
	s_cselect_b32 s23, s44, s22
	s_cselect_b32 s22, s45, s20
	s_cbranch_execnz .LBB189_354
.LBB189_353:                            ;   in Loop: Header=BB189_31 Depth=1
	v_cvt_f32_u32_e32 v2, s33
	s_sub_i32 s22, 0, s33
	v_rcp_iflag_f32_e32 v2, v2
	v_mul_f32_e32 v2, 0x4f7ffffe, v2
	v_cvt_u32_f32_e32 v2, v2
	v_readfirstlane_b32 s20, v2
	s_mul_i32 s22, s22, s20
	s_mul_hi_u32 s22, s20, s22
	s_add_i32 s20, s20, s22
	s_mul_hi_u32 s20, s39, s20
	s_mul_i32 s20, s20, s33
	s_sub_i32 s20, s39, s20
	s_sub_i32 s22, s20, s33
	s_cmp_ge_u32 s20, s33
	s_cselect_b32 s20, s22, s20
	s_sub_i32 s22, s20, s33
	s_cmp_ge_u32 s20, s33
	s_cselect_b32 s56, s22, s20
	s_mov_b64 s[22:23], s[56:57]
.LBB189_354:                            ;   in Loop: Header=BB189_31 Depth=1
	s_sub_u32 s20, s39, s22
	s_subb_u32 s21, s21, s23
	s_mov_b32 s23, 0
	s_mov_b32 s22, 0
	s_mov_b32 s39, exec_lo
                                        ; implicit-def: $vgpr6_vgpr7
	v_cmpx_gt_u64_e64 s[20:21], v[0:1]
	s_cbranch_execz .LBB189_366
; %bb.355:                              ;   in Loop: Header=BB189_31 Depth=1
	v_mov_b32_e32 v9, v1
	v_mov_b32_e32 v10, v48
	;; [unrolled: 1-line block ×3, first 2 shown]
                                        ; implicit-def: $sgpr56
	s_branch .LBB189_359
.LBB189_356:                            ;   in Loop: Header=BB189_359 Depth=2
	s_or_b32 exec_lo, exec_lo, s44
	s_waitcnt lgkmcnt(0)
	s_barrier
	buffer_gl0_inv
	ds_read_b128 v[4:7], v19 offset:3072
	s_waitcnt lgkmcnt(0)
	s_barrier
	buffer_gl0_inv
	v_cmp_neq_f64_e32 vcc_lo, 0, v[4:5]
	s_cbranch_vccnz .LBB189_362
; %bb.357:                              ;   in Loop: Header=BB189_359 Depth=2
	v_add_co_u32 v8, vcc_lo, v8, s33
	v_add_co_ci_u32_e64 v9, null, 0, v9, vcc_lo
	v_add_nc_u32_e32 v10, s95, v10
	s_mov_b32 s44, 0
	v_cmp_le_u64_e32 vcc_lo, s[20:21], v[8:9]
	s_orn2_b32 s45, vcc_lo, exec_lo
.LBB189_358:                            ;   in Loop: Header=BB189_359 Depth=2
	s_and_b32 s45, exec_lo, s45
	s_or_b32 s22, s45, s22
	s_andn2_b32 s45, s56, exec_lo
	s_and_b32 s44, s44, exec_lo
	s_or_b32 s56, s45, s44
	s_andn2_b32 exec_lo, exec_lo, s22
	s_cbranch_execz .LBB189_365
.LBB189_359:                            ;   Parent Loop BB189_31 Depth=1
                                        ; =>  This Inner Loop Header: Depth=2
	s_mov_b32 s44, exec_lo
	v_cmpx_gt_u64_e64 s[6:7], v[8:9]
	s_cbranch_execz .LBB189_356
; %bb.360:                              ;   in Loop: Header=BB189_359 Depth=2
	ds_read_b64 v[4:5], v10
	s_waitcnt lgkmcnt(0)
	v_cmp_o_f64_e32 vcc_lo, v[4:5], v[4:5]
	v_ashrrev_i32_e32 v2, 31, v5
	v_or_b32_e32 v6, 0x80000000, v2
	v_xor_b32_e32 v2, v2, v4
	v_xor_b32_e32 v6, v6, v5
	v_cndmask_b32_e32 v6, -1, v6, vcc_lo
	v_cndmask_b32_e32 v2, -1, v2, vcc_lo
	v_and_b32_e32 v7, v6, v35
	v_and_b32_e32 v6, v2, v34
	v_cmp_eq_u64_e32 vcc_lo, v[6:7], v[28:29]
	s_and_b32 exec_lo, exec_lo, vcc_lo
	s_cbranch_execz .LBB189_356
; %bb.361:                              ;   in Loop: Header=BB189_359 Depth=2
	v_mov_b32_e32 v2, v19
	ds_write_b128 v19, v[2:5] offset:3072
	s_branch .LBB189_356
.LBB189_362:                            ;   in Loop: Header=BB189_359 Depth=2
	s_mov_b32 s45, -1
	s_mov_b32 s44, -1
                                        ; implicit-def: $vgpr8_vgpr9
                                        ; implicit-def: $vgpr10
	s_branch .LBB189_358
.LBB189_363:                            ;   in Loop: Header=BB189_31 Depth=1
                                        ; implicit-def: $sgpr68_sgpr69
	s_branch .LBB189_307
.LBB189_364:                            ;   in Loop: Header=BB189_31 Depth=1
                                        ; implicit-def: $sgpr6_sgpr7
	s_branch .LBB189_323
.LBB189_365:                            ;   in Loop: Header=BB189_31 Depth=1
	s_or_b32 exec_lo, exec_lo, s22
	s_and_b32 s22, s56, exec_lo
.LBB189_366:                            ;   in Loop: Header=BB189_31 Depth=1
	s_or_b32 exec_lo, exec_lo, s39
.LBB189_367:                            ;   in Loop: Header=BB189_31 Depth=1
	s_and_b32 vcc_lo, exec_lo, s23
	s_cbranch_vccz .LBB189_382
; %bb.368:                              ;   in Loop: Header=BB189_31 Depth=1
	s_mov_b32 s58, s57
	s_cmp_lg_u64 s[58:59], 0
	s_cbranch_scc0 .LBB189_411
; %bb.369:                              ;   in Loop: Header=BB189_31 Depth=1
	v_cvt_f32_u32_e32 v2, s33
	s_sub_u32 s20, 0, s33
	s_subb_u32 s21, 0, 0
	v_fmac_f32_e64 v2, 0x4f800000, 0
	v_rcp_f32_e32 v2, v2
	v_mul_f32_e32 v2, 0x5f7ffffc, v2
	v_mul_f32_e32 v4, 0x2f800000, v2
	v_trunc_f32_e32 v4, v4
	v_fmac_f32_e32 v2, 0xcf800000, v4
	v_cvt_u32_f32_e32 v4, v4
	v_cvt_u32_f32_e32 v2, v2
	v_readfirstlane_b32 s6, v4
	v_readfirstlane_b32 s7, v2
	s_mul_i32 s23, s20, s6
	s_mul_hi_u32 s44, s20, s7
	s_mul_i32 s39, s21, s7
	s_add_i32 s23, s44, s23
	s_mul_i32 s45, s20, s7
	s_add_i32 s23, s23, s39
	s_mul_hi_u32 s44, s7, s45
	s_mul_i32 s58, s7, s23
	s_mul_hi_u32 s56, s6, s45
	s_mul_i32 s39, s6, s45
	s_mul_hi_u32 s45, s7, s23
	s_add_u32 s44, s44, s58
	s_addc_u32 s45, 0, s45
	s_mul_hi_u32 s62, s6, s23
	s_add_u32 s39, s44, s39
	s_mul_i32 s23, s6, s23
	s_addc_u32 s39, s45, s56
	s_addc_u32 s44, s62, 0
	s_add_u32 s23, s39, s23
	s_addc_u32 s39, 0, s44
	s_add_u32 s7, s7, s23
	s_cselect_b32 s23, -1, 0
	s_mul_hi_u32 s44, s20, s7
	s_cmp_lg_u32 s23, 0
	s_mul_i32 s23, s20, s7
	s_addc_u32 s6, s6, s39
	s_mul_i32 s21, s21, s7
	s_mul_i32 s20, s20, s6
	s_mul_hi_u32 s39, s7, s23
	s_add_i32 s20, s44, s20
	s_mul_hi_u32 s44, s6, s23
	s_add_i32 s20, s20, s21
	s_mul_i32 s21, s6, s23
	s_mul_i32 s56, s7, s20
	s_mul_hi_u32 s45, s7, s20
	s_add_u32 s39, s39, s56
	s_addc_u32 s45, 0, s45
	s_mul_hi_u32 s23, s6, s20
	s_add_u32 s21, s39, s21
	s_mul_i32 s20, s6, s20
	s_addc_u32 s21, s45, s44
	s_addc_u32 s23, s23, 0
	s_add_u32 s20, s21, s20
	s_addc_u32 s21, 0, s23
	s_add_u32 s7, s7, s20
	s_cselect_b32 s20, -1, 0
	s_mul_hi_u32 s23, s91, s7
	s_cmp_lg_u32 s20, 0
	s_mul_hi_u32 s20, s59, s7
	s_addc_u32 s6, s6, s21
	s_mul_i32 s7, s59, s7
	s_mul_i32 s39, s91, s6
	s_mul_hi_u32 s21, s91, s6
	s_add_u32 s23, s23, s39
	s_addc_u32 s21, 0, s21
	s_mul_hi_u32 s44, s59, s6
	s_add_u32 s7, s23, s7
	s_mul_i32 s6, s59, s6
	s_addc_u32 s7, s21, s20
	s_addc_u32 s20, s44, 0
	s_add_u32 s6, s7, s6
	s_addc_u32 s7, 0, s20
	s_mul_hi_u32 s20, s33, s6
	s_mul_i32 s7, s33, s7
	s_mul_i32 s6, s33, s6
	s_add_i32 s20, s20, s7
	s_sub_u32 s6, s91, s6
	s_cselect_b32 s7, -1, 0
	s_cmp_lg_u32 s7, 0
	s_subb_u32 s7, s59, s20
	s_sub_u32 s20, s6, s33
	s_cselect_b32 s21, -1, 0
	s_cmp_lg_u32 s21, 0
	s_subb_u32 s21, s7, 0
	;; [unrolled: 4-line block ×3, first 2 shown]
	s_cmp_ge_u32 s20, s33
	s_cselect_b32 s44, -1, 0
	s_cmp_eq_u32 s21, 0
	s_cselect_b32 s44, s44, -1
	s_cmp_lg_u32 s44, 0
	s_cselect_b32 s21, s39, s21
	s_cselect_b32 s20, s23, s20
	s_cmp_ge_u32 s6, s33
	s_cselect_b32 s23, -1, 0
	s_cmp_eq_u32 s7, 0
	s_cselect_b32 s23, s23, -1
	s_cmp_lg_u32 s23, 0
	s_cselect_b32 s7, s21, s7
	s_cselect_b32 s6, s20, s6
	s_cbranch_execnz .LBB189_371
.LBB189_370:                            ;   in Loop: Header=BB189_31 Depth=1
	v_cvt_f32_u32_e32 v2, s33
	s_sub_i32 s7, 0, s33
	v_rcp_iflag_f32_e32 v2, v2
	v_mul_f32_e32 v2, 0x4f7ffffe, v2
	v_cvt_u32_f32_e32 v2, v2
	v_readfirstlane_b32 s6, v2
	s_mul_i32 s7, s7, s6
	s_mul_hi_u32 s7, s6, s7
	s_add_i32 s6, s6, s7
	s_mul_hi_u32 s6, s91, s6
	s_mul_i32 s6, s6, s33
	s_sub_i32 s6, s91, s6
	s_sub_i32 s7, s6, s33
	s_cmp_ge_u32 s6, s33
	s_cselect_b32 s6, s7, s6
	s_sub_i32 s7, s6, s33
	s_cmp_ge_u32 s6, s33
	s_cselect_b32 s56, s7, s6
	s_mov_b64 s[6:7], s[56:57]
.LBB189_371:                            ;   in Loop: Header=BB189_31 Depth=1
	s_sub_u32 s20, s91, s6
	s_subb_u32 s21, s59, s7
	s_mov_b32 s7, exec_lo
                                        ; implicit-def: $vgpr6_vgpr7
	v_cmpx_gt_u64_e64 s[20:21], v[0:1]
	s_cbranch_execz .LBB189_381
; %bb.372:                              ;   in Loop: Header=BB189_31 Depth=1
	v_mov_b32_e32 v8, v32
	v_mov_b32_e32 v11, v1
	;; [unrolled: 1-line block ×4, first 2 shown]
	s_mov_b32 s23, 0
                                        ; implicit-def: $sgpr39
	s_branch .LBB189_376
.LBB189_373:                            ;   in Loop: Header=BB189_376 Depth=2
	s_or_b32 exec_lo, exec_lo, s6
	s_waitcnt lgkmcnt(0)
	s_barrier
	buffer_gl0_inv
	ds_read_b128 v[4:7], v19 offset:3072
	s_waitcnt lgkmcnt(0)
	s_barrier
	buffer_gl0_inv
	v_cmp_eq_f64_e32 vcc_lo, 0, v[4:5]
	s_cbranch_vccz .LBB189_379
; %bb.374:                              ;   in Loop: Header=BB189_376 Depth=2
	v_add_co_u32 v10, vcc_lo, v10, s33
	v_add_co_ci_u32_e64 v11, null, 0, v11, vcc_lo
	v_add_co_u32 v8, s6, v8, s34
	v_add_co_ci_u32_e64 v9, null, s35, v9, s6
	v_cmp_le_u64_e32 vcc_lo, s[20:21], v[10:11]
	s_mov_b32 s6, 0
	s_orn2_b32 s44, vcc_lo, exec_lo
.LBB189_375:                            ;   in Loop: Header=BB189_376 Depth=2
	s_and_b32 s44, exec_lo, s44
	s_or_b32 s23, s44, s23
	s_andn2_b32 s39, s39, exec_lo
	s_and_b32 s6, s6, exec_lo
	s_or_b32 s39, s39, s6
	s_andn2_b32 exec_lo, exec_lo, s23
	s_cbranch_execz .LBB189_380
.LBB189_376:                            ;   Parent Loop BB189_31 Depth=1
                                        ; =>  This Inner Loop Header: Depth=2
	s_mov_b32 s6, exec_lo
	v_cmpx_gt_u64_e64 s[28:29], v[10:11]
	s_cbranch_execz .LBB189_373
; %bb.377:                              ;   in Loop: Header=BB189_376 Depth=2
	global_load_dwordx2 v[4:5], v[8:9], off
	s_waitcnt vmcnt(0)
	v_cmp_o_f64_e32 vcc_lo, v[4:5], v[4:5]
	v_ashrrev_i32_e32 v2, 31, v5
	v_or_b32_e32 v6, 0x80000000, v2
	v_xor_b32_e32 v2, v2, v4
	v_xor_b32_e32 v6, v6, v5
	v_cndmask_b32_e32 v6, -1, v6, vcc_lo
	v_cndmask_b32_e32 v2, -1, v2, vcc_lo
	v_and_b32_e32 v7, v6, v35
	v_and_b32_e32 v6, v2, v34
	v_cmp_eq_u64_e32 vcc_lo, v[6:7], v[28:29]
	s_and_b32 exec_lo, exec_lo, vcc_lo
	s_cbranch_execz .LBB189_373
; %bb.378:                              ;   in Loop: Header=BB189_376 Depth=2
	v_mov_b32_e32 v2, v19
	ds_write_b128 v19, v[2:5] offset:3072
	s_branch .LBB189_373
.LBB189_379:                            ;   in Loop: Header=BB189_376 Depth=2
	s_mov_b32 s44, -1
	s_mov_b32 s6, -1
                                        ; implicit-def: $vgpr10_vgpr11
                                        ; implicit-def: $vgpr8_vgpr9
	s_branch .LBB189_375
.LBB189_380:                            ;   in Loop: Header=BB189_31 Depth=1
	s_or_b32 exec_lo, exec_lo, s23
	s_andn2_b32 s6, s22, exec_lo
	s_and_b32 s20, s39, exec_lo
	s_or_b32 s22, s6, s20
.LBB189_381:                            ;   in Loop: Header=BB189_31 Depth=1
	s_or_b32 exec_lo, exec_lo, s7
	s_mov_b32 s72, 0
	s_mov_b32 s73, -1
.LBB189_382:                            ;   in Loop: Header=BB189_31 Depth=1
	s_orn2_b32 s6, s22, exec_lo
.LBB189_383:                            ;   in Loop: Header=BB189_31 Depth=1
	s_or_b32 exec_lo, exec_lo, s38
	s_mov_b32 s7, 0
	s_and_saveexec_b32 s22, s6
	s_cbranch_execz .LBB189_496
; %bb.384:                              ;   in Loop: Header=BB189_31 Depth=1
	v_mov_b32_e32 v8, 1
	v_mov_b32_e32 v9, 0
	;; [unrolled: 1-line block ×3, first 2 shown]
	s_xor_b32 s7, s2, -1
	s_mov_b32 s6, 0
	s_and_saveexec_b32 s2, s7
	s_cbranch_execz .LBB189_393
; %bb.385:                              ;   in Loop: Header=BB189_31 Depth=1
	s_mov_b32 s6, exec_lo
	v_cmpx_ge_u64_e64 s[18:19], v[38:39]
	s_xor_b32 s6, exec_lo, s6
	s_cbranch_execz .LBB189_390
; %bb.386:                              ;   in Loop: Header=BB189_31 Depth=1
	ds_read_b64 v[4:5], v19 offset:5120
	v_and_b32_e32 v2, s15, v29
	v_and_b32_e32 v8, s14, v28
	s_lshl_b64 s[20:21], 2, s54
	v_or_b32_e32 v35, s13, v35
	v_or_b32_e32 v34, s12, v34
	;; [unrolled: 1-line block ×4, first 2 shown]
	s_waitcnt lgkmcnt(0)
	v_cmp_ne_u64_e32 vcc_lo, 0, v[4:5]
	s_cbranch_vccnz .LBB189_390
; %bb.387:                              ;   in Loop: Header=BB189_31 Depth=1
	s_and_saveexec_b32 s7, s3
; %bb.388:                              ;   in Loop: Header=BB189_31 Depth=1
	v_mov_b32_e32 v4, s18
	v_mov_b32_e32 v5, s19
	ds_write_b64 v19, v[4:5] offset:5128
; %bb.389:                              ;   in Loop: Header=BB189_31 Depth=1
	s_or_b32 exec_lo, exec_lo, s7
	s_waitcnt lgkmcnt(0)
	s_barrier
	buffer_gl0_inv
.LBB189_390:                            ;   in Loop: Header=BB189_31 Depth=1
	s_or_saveexec_b32 s6, s6
	v_mov_b32_e32 v44, 5
	s_mov_b32 s7, 0
	s_xor_b32 exec_lo, exec_lo, s6
; %bb.391:                              ;   in Loop: Header=BB189_31 Depth=1
	v_sub_co_u32 v38, vcc_lo, v38, s18
	v_subrev_co_ci_u32_e64 v39, null, s19, v39, vcc_lo
	v_mov_b32_e32 v44, 0
	s_mov_b32 s7, exec_lo
; %bb.392:                              ;   in Loop: Header=BB189_31 Depth=1
	s_or_b32 exec_lo, exec_lo, s6
	v_mov_b32_e32 v8, v38
	v_mov_b32_e32 v9, v39
	s_and_b32 s6, s7, exec_lo
.LBB189_393:                            ;   in Loop: Header=BB189_31 Depth=1
	s_or_b32 exec_lo, exec_lo, s2
	s_mov_b32 s2, -1
                                        ; implicit-def: $sgpr74
                                        ; implicit-def: $sgpr75
	s_and_saveexec_b32 s23, s6
	s_cbranch_execz .LBB189_495
; %bb.394:                              ;   in Loop: Header=BB189_31 Depth=1
	v_cmp_eq_u64_e32 vcc_lo, 1, v[8:9]
	s_cmp_eq_u64 s[16:17], 1
	s_mov_b32 s6, -1
	s_cselect_b32 s2, -1, 0
                                        ; implicit-def: $sgpr75
                                        ; implicit-def: $sgpr74
	s_and_b32 s62, s2, vcc_lo
	s_and_saveexec_b32 s2, s62
	s_cbranch_execz .LBB189_430
; %bb.395:                              ;   in Loop: Header=BB189_31 Depth=1
	ds_read_b64 v[4:5], v19 offset:5120
	s_waitcnt lgkmcnt(0)
	s_barrier
	buffer_gl0_inv
	v_readfirstlane_b32 s6, v4
	v_readfirstlane_b32 s7, v5
	s_and_saveexec_b32 s18, s8
; %bb.396:                              ;   in Loop: Header=BB189_31 Depth=1
	v_mov_b32_e32 v18, v19
	ds_write_b64 v49, v[18:19]
; %bb.397:                              ;   in Loop: Header=BB189_31 Depth=1
	s_or_b32 exec_lo, exec_lo, s18
	v_and_b32_e32 v2, s15, v29
	v_and_b32_e32 v4, s14, v28
	s_lshl_b64 s[18:19], 1, s54
	v_or_b32_e32 v35, s13, v35
	v_or_b32_e32 v34, s12, v34
	;; [unrolled: 1-line block ×4, first 2 shown]
	s_mov_b32 s74, -1
	s_mov_b32 s75, 0
	s_cmp_eq_u64 s[6:7], 0
	s_mov_b32 s20, 0
	s_mov_b32 s21, -1
	s_waitcnt lgkmcnt(0)
	s_barrier
	buffer_gl0_inv
                                        ; implicit-def: $vgpr6_vgpr7
	s_cbranch_scc1 .LBB189_414
; %bb.398:                              ;   in Loop: Header=BB189_31 Depth=1
	s_add_u32 s38, s6, s89
	s_addc_u32 s19, s7, s90
	s_mov_b32 s18, s57
	s_cmp_lg_u64 s[18:19], 0
	s_cbranch_scc0 .LBB189_447
; %bb.399:                              ;   in Loop: Header=BB189_31 Depth=1
	v_cvt_f32_u32_e32 v2, s33
	s_sub_u32 s21, 0, s33
	s_subb_u32 s39, 0, 0
	v_fmac_f32_e64 v2, 0x4f800000, 0
	v_rcp_f32_e32 v2, v2
	v_mul_f32_e32 v2, 0x5f7ffffc, v2
	v_mul_f32_e32 v4, 0x2f800000, v2
	v_trunc_f32_e32 v4, v4
	v_fmac_f32_e32 v2, 0xcf800000, v4
	v_cvt_u32_f32_e32 v4, v4
	v_cvt_u32_f32_e32 v2, v2
	v_readfirstlane_b32 s18, v4
	v_readfirstlane_b32 s20, v2
	s_mul_i32 s44, s21, s18
	s_mul_hi_u32 s56, s21, s20
	s_mul_i32 s45, s39, s20
	s_add_i32 s44, s56, s44
	s_mul_i32 s58, s21, s20
	s_add_i32 s44, s44, s45
	s_mul_hi_u32 s56, s20, s58
	s_mul_i32 s76, s20, s44
	s_mul_hi_u32 s63, s18, s58
	s_mul_i32 s45, s18, s58
	s_mul_hi_u32 s58, s20, s44
	s_add_u32 s56, s56, s76
	s_addc_u32 s58, 0, s58
	s_mul_hi_u32 s77, s18, s44
	s_add_u32 s45, s56, s45
	s_mul_i32 s44, s18, s44
	s_addc_u32 s45, s58, s63
	s_addc_u32 s56, s77, 0
	s_add_u32 s44, s45, s44
	s_addc_u32 s45, 0, s56
	s_add_u32 s20, s20, s44
	s_cselect_b32 s44, -1, 0
	s_mul_hi_u32 s56, s21, s20
	s_cmp_lg_u32 s44, 0
	s_mul_i32 s44, s21, s20
	s_addc_u32 s18, s18, s45
	s_mul_i32 s39, s39, s20
	s_mul_i32 s21, s21, s18
	s_mul_hi_u32 s45, s20, s44
	s_add_i32 s21, s56, s21
	s_mul_hi_u32 s56, s18, s44
	s_add_i32 s21, s21, s39
	s_mul_i32 s39, s18, s44
	s_mul_i32 s63, s20, s21
	s_mul_hi_u32 s58, s20, s21
	s_add_u32 s45, s45, s63
	s_addc_u32 s58, 0, s58
	s_mul_hi_u32 s44, s18, s21
	s_add_u32 s39, s45, s39
	s_mul_i32 s21, s18, s21
	s_addc_u32 s39, s58, s56
	s_addc_u32 s44, s44, 0
	s_add_u32 s21, s39, s21
	s_addc_u32 s39, 0, s44
	s_add_u32 s20, s20, s21
	s_cselect_b32 s21, -1, 0
	s_mul_hi_u32 s44, s38, s20
	s_cmp_lg_u32 s21, 0
	s_mul_hi_u32 s21, s19, s20
	s_addc_u32 s18, s18, s39
	s_mul_i32 s20, s19, s20
	s_mul_i32 s45, s38, s18
	s_mul_hi_u32 s39, s38, s18
	s_add_u32 s44, s44, s45
	s_addc_u32 s39, 0, s39
	s_mul_hi_u32 s56, s19, s18
	s_add_u32 s20, s44, s20
	s_mul_i32 s18, s19, s18
	s_addc_u32 s20, s39, s21
	s_addc_u32 s21, s56, 0
	s_add_u32 s18, s20, s18
	s_addc_u32 s20, 0, s21
	s_mul_hi_u32 s21, s33, s18
	s_mul_i32 s20, s33, s20
	s_mul_i32 s18, s33, s18
	s_add_i32 s21, s21, s20
	s_sub_u32 s18, s38, s18
	s_cselect_b32 s20, -1, 0
	s_cmp_lg_u32 s20, 0
	s_subb_u32 s20, s19, s21
	s_sub_u32 s21, s18, s33
	s_cselect_b32 s39, -1, 0
	s_cmp_lg_u32 s39, 0
	s_subb_u32 s39, s20, 0
	;; [unrolled: 4-line block ×3, first 2 shown]
	s_cmp_ge_u32 s21, s33
	s_cselect_b32 s56, -1, 0
	s_cmp_eq_u32 s39, 0
	s_cselect_b32 s56, s56, -1
	s_cmp_lg_u32 s56, 0
	s_cselect_b32 s39, s45, s39
	s_cselect_b32 s44, s44, s21
	s_cmp_ge_u32 s18, s33
	s_cselect_b32 s21, -1, 0
	s_cmp_eq_u32 s20, 0
	s_cselect_b32 s21, s21, -1
	s_cmp_lg_u32 s21, 0
	s_cselect_b32 s21, s39, s20
	s_cselect_b32 s20, s44, s18
	s_cbranch_execnz .LBB189_401
.LBB189_400:                            ;   in Loop: Header=BB189_31 Depth=1
	v_cvt_f32_u32_e32 v2, s33
	s_sub_i32 s20, 0, s33
	v_rcp_iflag_f32_e32 v2, v2
	v_mul_f32_e32 v2, 0x4f7ffffe, v2
	v_cvt_u32_f32_e32 v2, v2
	v_readfirstlane_b32 s18, v2
	s_mul_i32 s20, s20, s18
	s_mul_hi_u32 s20, s18, s20
	s_add_i32 s18, s18, s20
	s_mul_hi_u32 s18, s38, s18
	s_mul_i32 s18, s18, s33
	s_sub_i32 s18, s38, s18
	s_sub_i32 s20, s18, s33
	s_cmp_ge_u32 s18, s33
	s_cselect_b32 s18, s20, s18
	s_sub_i32 s20, s18, s33
	s_cmp_ge_u32 s18, s33
	s_cselect_b32 s56, s20, s18
	s_mov_b64 s[20:21], s[56:57]
.LBB189_401:                            ;   in Loop: Header=BB189_31 Depth=1
	s_sub_u32 s18, s38, s20
	s_subb_u32 s19, s19, s21
	s_mov_b32 s21, 0
	s_mov_b32 s20, 0
	s_mov_b32 s38, exec_lo
                                        ; implicit-def: $vgpr6_vgpr7
	v_cmpx_gt_u64_e64 s[18:19], v[0:1]
	s_cbranch_execz .LBB189_413
; %bb.402:                              ;   in Loop: Header=BB189_31 Depth=1
	v_mov_b32_e32 v11, v1
	v_mov_b32_e32 v12, v48
	;; [unrolled: 1-line block ×3, first 2 shown]
                                        ; implicit-def: $sgpr39
	s_branch .LBB189_406
.LBB189_403:                            ;   in Loop: Header=BB189_406 Depth=2
	s_or_b32 exec_lo, exec_lo, s56
	s_waitcnt lgkmcnt(0)
	s_barrier
	buffer_gl0_inv
	ds_read_b128 v[4:7], v19 offset:3072
	s_waitcnt lgkmcnt(0)
	s_barrier
	buffer_gl0_inv
	v_cmp_neq_f64_e32 vcc_lo, 0, v[4:5]
	s_cbranch_vccnz .LBB189_409
; %bb.404:                              ;   in Loop: Header=BB189_406 Depth=2
	v_add_co_u32 v10, vcc_lo, v10, s33
	v_add_co_ci_u32_e64 v11, null, 0, v11, vcc_lo
	v_add_nc_u32_e32 v12, s95, v12
	s_mov_b32 s44, 0
	v_cmp_le_u64_e32 vcc_lo, s[18:19], v[10:11]
	s_orn2_b32 s45, vcc_lo, exec_lo
.LBB189_405:                            ;   in Loop: Header=BB189_406 Depth=2
	s_and_b32 s45, exec_lo, s45
	s_or_b32 s20, s45, s20
	s_andn2_b32 s39, s39, exec_lo
	s_and_b32 s44, s44, exec_lo
	s_or_b32 s39, s39, s44
	s_andn2_b32 exec_lo, exec_lo, s20
	s_cbranch_execz .LBB189_412
.LBB189_406:                            ;   Parent Loop BB189_31 Depth=1
                                        ; =>  This Inner Loop Header: Depth=2
	s_mov_b32 s56, exec_lo
	v_cmpx_gt_u64_e64 s[6:7], v[10:11]
	s_cbranch_execz .LBB189_403
; %bb.407:                              ;   in Loop: Header=BB189_406 Depth=2
	ds_read_b64 v[4:5], v12
	s_waitcnt lgkmcnt(0)
	v_cmp_o_f64_e32 vcc_lo, v[4:5], v[4:5]
	v_ashrrev_i32_e32 v2, 31, v5
	v_or_b32_e32 v6, 0x80000000, v2
	v_xor_b32_e32 v2, v2, v4
	v_xor_b32_e32 v6, v6, v5
	v_cndmask_b32_e32 v6, -1, v6, vcc_lo
	v_cndmask_b32_e32 v2, -1, v2, vcc_lo
	v_and_b32_e32 v7, v6, v35
	v_and_b32_e32 v6, v2, v34
	v_cmp_eq_u64_e32 vcc_lo, v[6:7], v[28:29]
	s_and_b32 exec_lo, exec_lo, vcc_lo
	s_cbranch_execz .LBB189_403
; %bb.408:                              ;   in Loop: Header=BB189_406 Depth=2
	v_mov_b32_e32 v2, v19
	ds_write_b128 v19, v[2:5] offset:3072
	s_branch .LBB189_403
.LBB189_409:                            ;   in Loop: Header=BB189_406 Depth=2
	s_mov_b32 s45, -1
	s_mov_b32 s44, -1
                                        ; implicit-def: $vgpr10_vgpr11
                                        ; implicit-def: $vgpr12
	s_branch .LBB189_405
.LBB189_410:                            ;   in Loop: Header=BB189_31 Depth=1
                                        ; implicit-def: $sgpr22_sgpr23
	s_branch .LBB189_353
.LBB189_411:                            ;   in Loop: Header=BB189_31 Depth=1
                                        ; implicit-def: $sgpr6_sgpr7
	s_branch .LBB189_370
.LBB189_412:                            ;   in Loop: Header=BB189_31 Depth=1
	s_or_b32 exec_lo, exec_lo, s20
	s_and_b32 s20, s39, exec_lo
.LBB189_413:                            ;   in Loop: Header=BB189_31 Depth=1
	s_or_b32 exec_lo, exec_lo, s38
.LBB189_414:                            ;   in Loop: Header=BB189_31 Depth=1
	s_and_b32 vcc_lo, exec_lo, s21
	s_cbranch_vccz .LBB189_429
; %bb.415:                              ;   in Loop: Header=BB189_31 Depth=1
	s_mov_b32 s58, s57
	s_cmp_lg_u64 s[58:59], 0
	s_cbranch_scc0 .LBB189_448
; %bb.416:                              ;   in Loop: Header=BB189_31 Depth=1
	v_cvt_f32_u32_e32 v2, s33
	s_sub_u32 s18, 0, s33
	s_subb_u32 s19, 0, 0
	v_fmac_f32_e64 v2, 0x4f800000, 0
	v_rcp_f32_e32 v2, v2
	v_mul_f32_e32 v2, 0x5f7ffffc, v2
	v_mul_f32_e32 v4, 0x2f800000, v2
	v_trunc_f32_e32 v4, v4
	v_fmac_f32_e32 v2, 0xcf800000, v4
	v_cvt_u32_f32_e32 v4, v4
	v_cvt_u32_f32_e32 v2, v2
	v_readfirstlane_b32 s6, v4
	v_readfirstlane_b32 s7, v2
	s_mul_i32 s21, s18, s6
	s_mul_hi_u32 s39, s18, s7
	s_mul_i32 s38, s19, s7
	s_add_i32 s21, s39, s21
	s_mul_i32 s44, s18, s7
	s_add_i32 s21, s21, s38
	s_mul_hi_u32 s39, s7, s44
	s_mul_i32 s56, s7, s21
	s_mul_hi_u32 s45, s6, s44
	s_mul_i32 s38, s6, s44
	s_mul_hi_u32 s44, s7, s21
	s_add_u32 s39, s39, s56
	s_addc_u32 s44, 0, s44
	s_mul_hi_u32 s58, s6, s21
	s_add_u32 s38, s39, s38
	s_mul_i32 s21, s6, s21
	s_addc_u32 s38, s44, s45
	s_addc_u32 s39, s58, 0
	s_add_u32 s21, s38, s21
	s_addc_u32 s38, 0, s39
	s_add_u32 s7, s7, s21
	s_cselect_b32 s21, -1, 0
	s_mul_hi_u32 s39, s18, s7
	s_cmp_lg_u32 s21, 0
	s_mul_i32 s21, s18, s7
	s_addc_u32 s6, s6, s38
	s_mul_i32 s19, s19, s7
	s_mul_i32 s18, s18, s6
	s_mul_hi_u32 s38, s7, s21
	s_add_i32 s18, s39, s18
	s_mul_hi_u32 s39, s6, s21
	s_add_i32 s18, s18, s19
	s_mul_i32 s19, s6, s21
	s_mul_i32 s45, s7, s18
	s_mul_hi_u32 s44, s7, s18
	s_add_u32 s38, s38, s45
	s_addc_u32 s44, 0, s44
	s_mul_hi_u32 s21, s6, s18
	s_add_u32 s19, s38, s19
	s_mul_i32 s18, s6, s18
	s_addc_u32 s19, s44, s39
	s_addc_u32 s21, s21, 0
	s_add_u32 s18, s19, s18
	s_addc_u32 s19, 0, s21
	s_add_u32 s7, s7, s18
	s_cselect_b32 s18, -1, 0
	s_mul_hi_u32 s21, s91, s7
	s_cmp_lg_u32 s18, 0
	s_mul_hi_u32 s18, s59, s7
	s_addc_u32 s6, s6, s19
	s_mul_i32 s7, s59, s7
	s_mul_i32 s38, s91, s6
	s_mul_hi_u32 s19, s91, s6
	s_add_u32 s21, s21, s38
	s_addc_u32 s19, 0, s19
	s_mul_hi_u32 s39, s59, s6
	s_add_u32 s7, s21, s7
	s_mul_i32 s6, s59, s6
	s_addc_u32 s7, s19, s18
	s_addc_u32 s18, s39, 0
	s_add_u32 s6, s7, s6
	s_addc_u32 s7, 0, s18
	s_mul_hi_u32 s18, s33, s6
	s_mul_i32 s7, s33, s7
	s_mul_i32 s6, s33, s6
	s_add_i32 s18, s18, s7
	s_sub_u32 s6, s91, s6
	s_cselect_b32 s7, -1, 0
	s_cmp_lg_u32 s7, 0
	s_subb_u32 s7, s59, s18
	s_sub_u32 s18, s6, s33
	s_cselect_b32 s19, -1, 0
	s_cmp_lg_u32 s19, 0
	s_subb_u32 s19, s7, 0
	;; [unrolled: 4-line block ×3, first 2 shown]
	s_cmp_ge_u32 s18, s33
	s_cselect_b32 s39, -1, 0
	s_cmp_eq_u32 s19, 0
	s_cselect_b32 s39, s39, -1
	s_cmp_lg_u32 s39, 0
	s_cselect_b32 s19, s38, s19
	s_cselect_b32 s18, s21, s18
	s_cmp_ge_u32 s6, s33
	s_cselect_b32 s21, -1, 0
	s_cmp_eq_u32 s7, 0
	s_cselect_b32 s21, s21, -1
	s_cmp_lg_u32 s21, 0
	s_cselect_b32 s7, s19, s7
	s_cselect_b32 s6, s18, s6
	s_cbranch_execnz .LBB189_418
.LBB189_417:                            ;   in Loop: Header=BB189_31 Depth=1
	v_cvt_f32_u32_e32 v2, s33
	s_sub_i32 s7, 0, s33
	v_rcp_iflag_f32_e32 v2, v2
	v_mul_f32_e32 v2, 0x4f7ffffe, v2
	v_cvt_u32_f32_e32 v2, v2
	v_readfirstlane_b32 s6, v2
	s_mul_i32 s7, s7, s6
	s_mul_hi_u32 s7, s6, s7
	s_add_i32 s6, s6, s7
	s_mul_hi_u32 s6, s91, s6
	s_mul_i32 s6, s6, s33
	s_sub_i32 s6, s91, s6
	s_sub_i32 s7, s6, s33
	s_cmp_ge_u32 s6, s33
	s_cselect_b32 s6, s7, s6
	s_sub_i32 s7, s6, s33
	s_cmp_ge_u32 s6, s33
	s_cselect_b32 s56, s7, s6
	s_mov_b64 s[6:7], s[56:57]
.LBB189_418:                            ;   in Loop: Header=BB189_31 Depth=1
	s_sub_u32 s18, s91, s6
	s_subb_u32 s19, s59, s7
	s_mov_b32 s7, exec_lo
                                        ; implicit-def: $vgpr6_vgpr7
	v_cmpx_gt_u64_e64 s[18:19], v[0:1]
	s_cbranch_execz .LBB189_428
; %bb.419:                              ;   in Loop: Header=BB189_31 Depth=1
	v_mov_b32_e32 v10, v32
	v_mov_b32_e32 v13, v1
	;; [unrolled: 1-line block ×4, first 2 shown]
	s_mov_b32 s21, 0
                                        ; implicit-def: $sgpr38
	s_branch .LBB189_423
.LBB189_420:                            ;   in Loop: Header=BB189_423 Depth=2
	s_or_b32 exec_lo, exec_lo, s6
	s_waitcnt lgkmcnt(0)
	s_barrier
	buffer_gl0_inv
	ds_read_b128 v[4:7], v19 offset:3072
	s_waitcnt lgkmcnt(0)
	s_barrier
	buffer_gl0_inv
	v_cmp_eq_f64_e32 vcc_lo, 0, v[4:5]
	s_cbranch_vccz .LBB189_426
; %bb.421:                              ;   in Loop: Header=BB189_423 Depth=2
	v_add_co_u32 v12, vcc_lo, v12, s33
	v_add_co_ci_u32_e64 v13, null, 0, v13, vcc_lo
	v_add_co_u32 v10, s6, v10, s34
	v_add_co_ci_u32_e64 v11, null, s35, v11, s6
	v_cmp_le_u64_e32 vcc_lo, s[18:19], v[12:13]
	s_mov_b32 s6, 0
	s_orn2_b32 s39, vcc_lo, exec_lo
.LBB189_422:                            ;   in Loop: Header=BB189_423 Depth=2
	s_and_b32 s39, exec_lo, s39
	s_or_b32 s21, s39, s21
	s_andn2_b32 s38, s38, exec_lo
	s_and_b32 s6, s6, exec_lo
	s_or_b32 s38, s38, s6
	s_andn2_b32 exec_lo, exec_lo, s21
	s_cbranch_execz .LBB189_427
.LBB189_423:                            ;   Parent Loop BB189_31 Depth=1
                                        ; =>  This Inner Loop Header: Depth=2
	s_mov_b32 s6, exec_lo
	v_cmpx_gt_u64_e64 s[28:29], v[12:13]
	s_cbranch_execz .LBB189_420
; %bb.424:                              ;   in Loop: Header=BB189_423 Depth=2
	global_load_dwordx2 v[4:5], v[10:11], off
	s_waitcnt vmcnt(0)
	v_cmp_o_f64_e32 vcc_lo, v[4:5], v[4:5]
	v_ashrrev_i32_e32 v2, 31, v5
	v_or_b32_e32 v6, 0x80000000, v2
	v_xor_b32_e32 v2, v2, v4
	v_xor_b32_e32 v6, v6, v5
	v_cndmask_b32_e32 v6, -1, v6, vcc_lo
	v_cndmask_b32_e32 v2, -1, v2, vcc_lo
	v_and_b32_e32 v7, v6, v35
	v_and_b32_e32 v6, v2, v34
	v_cmp_eq_u64_e32 vcc_lo, v[6:7], v[28:29]
	s_and_b32 exec_lo, exec_lo, vcc_lo
	s_cbranch_execz .LBB189_420
; %bb.425:                              ;   in Loop: Header=BB189_423 Depth=2
	v_mov_b32_e32 v2, v19
	ds_write_b128 v19, v[2:5] offset:3072
	s_branch .LBB189_420
.LBB189_426:                            ;   in Loop: Header=BB189_423 Depth=2
	s_mov_b32 s39, -1
	s_mov_b32 s6, -1
                                        ; implicit-def: $vgpr12_vgpr13
                                        ; implicit-def: $vgpr10_vgpr11
	s_branch .LBB189_422
.LBB189_427:                            ;   in Loop: Header=BB189_31 Depth=1
	s_or_b32 exec_lo, exec_lo, s21
	s_andn2_b32 s6, s20, exec_lo
	s_and_b32 s18, s38, exec_lo
	s_or_b32 s20, s6, s18
.LBB189_428:                            ;   in Loop: Header=BB189_31 Depth=1
	s_or_b32 exec_lo, exec_lo, s7
	s_mov_b32 s74, 0
	s_mov_b32 s75, -1
.LBB189_429:                            ;   in Loop: Header=BB189_31 Depth=1
	s_orn2_b32 s6, s20, exec_lo
.LBB189_430:                            ;   in Loop: Header=BB189_31 Depth=1
	s_or_b32 exec_lo, exec_lo, s2
	s_mov_b32 s7, 0
	s_and_saveexec_b32 s2, s6
	s_cbranch_execz .LBB189_494
; %bb.431:                              ;   in Loop: Header=BB189_31 Depth=1
	v_mov_b32_e32 v10, 1
	v_mov_b32_e32 v11, 0
	;; [unrolled: 1-line block ×3, first 2 shown]
	s_xor_b32 s18, s62, -1
	s_and_saveexec_b32 s6, s18
	s_cbranch_execz .LBB189_440
; %bb.432:                              ;   in Loop: Header=BB189_31 Depth=1
	s_mov_b32 s7, exec_lo
	v_cmpx_ge_u64_e64 s[16:17], v[8:9]
	s_xor_b32 s7, exec_lo, s7
	s_cbranch_execz .LBB189_437
; %bb.433:                              ;   in Loop: Header=BB189_31 Depth=1
	ds_read_b64 v[4:5], v19 offset:5120
	v_and_b32_e32 v2, s15, v29
	v_and_b32_e32 v10, s14, v28
	s_lshl_b64 s[18:19], 1, s54
	v_or_b32_e32 v35, s13, v35
	v_or_b32_e32 v34, s12, v34
	;; [unrolled: 1-line block ×4, first 2 shown]
	s_waitcnt lgkmcnt(0)
	v_cmp_ne_u64_e32 vcc_lo, 0, v[4:5]
	s_cbranch_vccnz .LBB189_437
; %bb.434:                              ;   in Loop: Header=BB189_31 Depth=1
	s_and_saveexec_b32 s18, s3
; %bb.435:                              ;   in Loop: Header=BB189_31 Depth=1
	v_mov_b32_e32 v4, s16
	v_mov_b32_e32 v5, s17
	ds_write_b64 v19, v[4:5] offset:5128
; %bb.436:                              ;   in Loop: Header=BB189_31 Depth=1
	s_or_b32 exec_lo, exec_lo, s18
	s_waitcnt lgkmcnt(0)
	s_barrier
	buffer_gl0_inv
.LBB189_437:                            ;   in Loop: Header=BB189_31 Depth=1
	s_or_saveexec_b32 s7, s7
	v_mov_b32_e32 v44, 5
	s_mov_b32 s18, 0
	s_xor_b32 exec_lo, exec_lo, s7
; %bb.438:                              ;   in Loop: Header=BB189_31 Depth=1
	v_sub_co_u32 v8, vcc_lo, v8, s16
	v_subrev_co_ci_u32_e64 v9, null, s17, v9, vcc_lo
	v_mov_b32_e32 v44, 0
	s_mov_b32 s18, exec_lo
; %bb.439:                              ;   in Loop: Header=BB189_31 Depth=1
	s_or_b32 exec_lo, exec_lo, s7
	v_mov_b32_e32 v11, v9
	v_mov_b32_e32 v10, v8
	s_and_b32 s7, s18, exec_lo
.LBB189_440:                            ;   in Loop: Header=BB189_31 Depth=1
	s_or_b32 exec_lo, exec_lo, s6
	s_mov_b32 s6, -1
                                        ; implicit-def: $sgpr58
                                        ; implicit-def: $sgpr39
	s_and_saveexec_b32 s20, s7
	s_cbranch_execz .LBB189_493
; %bb.441:                              ;   in Loop: Header=BB189_31 Depth=1
	v_cmp_eq_u64_e32 vcc_lo, 1, v[10:11]
	s_cmp_eq_u64 s[10:11], 1
	s_mov_b32 s7, -1
	s_cselect_b32 s6, -1, 0
                                        ; implicit-def: $sgpr58
                                        ; implicit-def: $sgpr39
	s_and_b32 s21, s6, vcc_lo
	s_and_saveexec_b32 s38, s21
	s_cbranch_execz .LBB189_481
; %bb.442:                              ;   in Loop: Header=BB189_31 Depth=1
	ds_read_b64 v[4:5], v19 offset:5120
	s_waitcnt lgkmcnt(0)
	s_barrier
	buffer_gl0_inv
	v_readfirstlane_b32 s6, v4
	v_readfirstlane_b32 s7, v5
	s_and_saveexec_b32 s16, s8
; %bb.443:                              ;   in Loop: Header=BB189_31 Depth=1
	v_mov_b32_e32 v18, v19
	ds_write_b64 v49, v[18:19]
; %bb.444:                              ;   in Loop: Header=BB189_31 Depth=1
	s_or_b32 exec_lo, exec_lo, s16
	v_and_b32_e32 v29, s15, v29
	v_and_b32_e32 v28, s14, v28
	v_or_b32_e32 v35, s13, v35
	v_or_b32_e32 v34, s12, v34
	s_mov_b32 s39, -1
	s_mov_b32 s58, 0
	s_cmp_eq_u64 s[6:7], 0
	s_mov_b32 s18, 0
	s_mov_b32 s19, -1
	s_waitcnt lgkmcnt(0)
	s_barrier
	buffer_gl0_inv
                                        ; implicit-def: $vgpr6_vgpr7
	s_cbranch_scc1 .LBB189_463
; %bb.445:                              ;   in Loop: Header=BB189_31 Depth=1
	s_add_u32 s62, s6, s89
	s_addc_u32 s17, s7, s90
	s_mov_b32 s16, s57
	s_cmp_lg_u64 s[16:17], 0
	s_cbranch_scc0 .LBB189_449
; %bb.446:                              ;   in Loop: Header=BB189_31 Depth=1
	v_cvt_f32_u32_e32 v2, s33
	s_sub_u32 s19, 0, s33
	s_subb_u32 s44, 0, 0
	v_fmac_f32_e64 v2, 0x4f800000, 0
	v_rcp_f32_e32 v2, v2
	v_mul_f32_e32 v2, 0x5f7ffffc, v2
	v_mul_f32_e32 v4, 0x2f800000, v2
	v_trunc_f32_e32 v4, v4
	v_fmac_f32_e32 v2, 0xcf800000, v4
	v_cvt_u32_f32_e32 v4, v4
	v_cvt_u32_f32_e32 v2, v2
	v_readfirstlane_b32 s16, v4
	v_readfirstlane_b32 s18, v2
	s_mul_i32 s45, s19, s16
	s_mul_hi_u32 s63, s19, s18
	s_mul_i32 s56, s44, s18
	s_add_i32 s45, s63, s45
	s_mul_i32 s76, s19, s18
	s_add_i32 s45, s45, s56
	s_mul_hi_u32 s63, s18, s76
	s_mul_i32 s78, s18, s45
	s_mul_hi_u32 s77, s16, s76
	s_mul_i32 s56, s16, s76
	s_mul_hi_u32 s76, s18, s45
	s_add_u32 s63, s63, s78
	s_addc_u32 s76, 0, s76
	s_mul_hi_u32 s79, s16, s45
	s_add_u32 s56, s63, s56
	s_mul_i32 s45, s16, s45
	s_addc_u32 s56, s76, s77
	s_addc_u32 s63, s79, 0
	s_add_u32 s45, s56, s45
	s_addc_u32 s56, 0, s63
	s_add_u32 s18, s18, s45
	s_cselect_b32 s45, -1, 0
	s_mul_hi_u32 s63, s19, s18
	s_cmp_lg_u32 s45, 0
	s_mul_i32 s45, s19, s18
	s_addc_u32 s16, s16, s56
	s_mul_i32 s44, s44, s18
	s_mul_i32 s19, s19, s16
	s_mul_hi_u32 s56, s18, s45
	s_add_i32 s19, s63, s19
	s_mul_hi_u32 s63, s16, s45
	s_add_i32 s19, s19, s44
	s_mul_i32 s44, s16, s45
	s_mul_i32 s77, s18, s19
	s_mul_hi_u32 s76, s18, s19
	s_add_u32 s56, s56, s77
	s_addc_u32 s76, 0, s76
	s_mul_hi_u32 s45, s16, s19
	s_add_u32 s44, s56, s44
	s_mul_i32 s19, s16, s19
	s_addc_u32 s44, s76, s63
	s_addc_u32 s45, s45, 0
	s_add_u32 s19, s44, s19
	s_addc_u32 s44, 0, s45
	s_add_u32 s18, s18, s19
	s_cselect_b32 s19, -1, 0
	s_mul_hi_u32 s45, s62, s18
	s_cmp_lg_u32 s19, 0
	s_mul_hi_u32 s19, s17, s18
	s_addc_u32 s16, s16, s44
	s_mul_i32 s18, s17, s18
	s_mul_i32 s56, s62, s16
	s_mul_hi_u32 s44, s62, s16
	s_add_u32 s45, s45, s56
	s_addc_u32 s44, 0, s44
	s_mul_hi_u32 s63, s17, s16
	s_add_u32 s18, s45, s18
	s_mul_i32 s16, s17, s16
	s_addc_u32 s18, s44, s19
	s_addc_u32 s19, s63, 0
	s_add_u32 s16, s18, s16
	s_addc_u32 s18, 0, s19
	s_mul_hi_u32 s19, s33, s16
	s_mul_i32 s18, s33, s18
	s_mul_i32 s16, s33, s16
	s_add_i32 s19, s19, s18
	s_sub_u32 s16, s62, s16
	s_cselect_b32 s18, -1, 0
	s_cmp_lg_u32 s18, 0
	s_subb_u32 s18, s17, s19
	s_sub_u32 s19, s16, s33
	s_cselect_b32 s44, -1, 0
	s_cmp_lg_u32 s44, 0
	s_subb_u32 s44, s18, 0
	;; [unrolled: 4-line block ×3, first 2 shown]
	s_cmp_ge_u32 s19, s33
	s_cselect_b32 s63, -1, 0
	s_cmp_eq_u32 s44, 0
	s_cselect_b32 s63, s63, -1
	s_cmp_lg_u32 s63, 0
	s_cselect_b32 s44, s56, s44
	s_cselect_b32 s45, s45, s19
	s_cmp_ge_u32 s16, s33
	s_cselect_b32 s19, -1, 0
	s_cmp_eq_u32 s18, 0
	s_cselect_b32 s19, s19, -1
	s_cmp_lg_u32 s19, 0
	s_cselect_b32 s19, s44, s18
	s_cselect_b32 s18, s45, s16
	s_mov_b32 s16, 0
	s_branch .LBB189_450
.LBB189_447:                            ;   in Loop: Header=BB189_31 Depth=1
                                        ; implicit-def: $sgpr20_sgpr21
	s_branch .LBB189_400
.LBB189_448:                            ;   in Loop: Header=BB189_31 Depth=1
                                        ; implicit-def: $sgpr6_sgpr7
	s_branch .LBB189_417
.LBB189_449:                            ;   in Loop: Header=BB189_31 Depth=1
	s_mov_b32 s16, -1
                                        ; implicit-def: $sgpr18_sgpr19
.LBB189_450:                            ;   in Loop: Header=BB189_31 Depth=1
	s_andn2_b32 vcc_lo, exec_lo, s16
	s_cbranch_vccnz .LBB189_452
; %bb.451:                              ;   in Loop: Header=BB189_31 Depth=1
	v_cvt_f32_u32_e32 v2, s33
	s_sub_i32 s18, 0, s33
	v_rcp_iflag_f32_e32 v2, v2
	v_mul_f32_e32 v2, 0x4f7ffffe, v2
	v_cvt_u32_f32_e32 v2, v2
	v_readfirstlane_b32 s16, v2
	s_mul_i32 s18, s18, s16
	s_mul_hi_u32 s18, s16, s18
	s_add_i32 s16, s16, s18
	s_mul_hi_u32 s16, s62, s16
	s_mul_i32 s16, s16, s33
	s_sub_i32 s16, s62, s16
	s_sub_i32 s18, s16, s33
	s_cmp_ge_u32 s16, s33
	s_cselect_b32 s16, s18, s16
	s_sub_i32 s18, s16, s33
	s_cmp_ge_u32 s16, s33
	s_cselect_b32 s56, s18, s16
	s_mov_b64 s[18:19], s[56:57]
.LBB189_452:                            ;   in Loop: Header=BB189_31 Depth=1
	s_sub_u32 s16, s62, s18
	s_subb_u32 s17, s17, s19
	s_mov_b32 s19, 0
	s_mov_b32 s18, 0
	s_mov_b32 s56, exec_lo
                                        ; implicit-def: $vgpr6_vgpr7
	v_cmpx_gt_u64_e64 s[16:17], v[0:1]
	s_cbranch_execz .LBB189_462
; %bb.453:                              ;   in Loop: Header=BB189_31 Depth=1
	v_mov_b32_e32 v9, v1
	v_mov_b32_e32 v12, v48
	v_mov_b32_e32 v8, v0
                                        ; implicit-def: $sgpr62
	s_branch .LBB189_457
.LBB189_454:                            ;   in Loop: Header=BB189_457 Depth=2
	s_or_b32 exec_lo, exec_lo, s63
	s_waitcnt lgkmcnt(0)
	s_barrier
	buffer_gl0_inv
	ds_read_b128 v[4:7], v19 offset:3072
	s_waitcnt lgkmcnt(0)
	s_barrier
	buffer_gl0_inv
	v_cmp_neq_f64_e32 vcc_lo, 0, v[4:5]
	s_cbranch_vccnz .LBB189_460
; %bb.455:                              ;   in Loop: Header=BB189_457 Depth=2
	v_add_co_u32 v8, vcc_lo, v8, s33
	v_add_co_ci_u32_e64 v9, null, 0, v9, vcc_lo
	v_add_nc_u32_e32 v12, s95, v12
	s_mov_b32 s44, 0
	v_cmp_le_u64_e32 vcc_lo, s[16:17], v[8:9]
	s_orn2_b32 s45, vcc_lo, exec_lo
.LBB189_456:                            ;   in Loop: Header=BB189_457 Depth=2
	s_and_b32 s45, exec_lo, s45
	s_or_b32 s18, s45, s18
	s_andn2_b32 s45, s62, exec_lo
	s_and_b32 s44, s44, exec_lo
	s_or_b32 s62, s45, s44
	s_andn2_b32 exec_lo, exec_lo, s18
	s_cbranch_execz .LBB189_461
.LBB189_457:                            ;   Parent Loop BB189_31 Depth=1
                                        ; =>  This Inner Loop Header: Depth=2
	s_mov_b32 s63, exec_lo
	v_cmpx_gt_u64_e64 s[6:7], v[8:9]
	s_cbranch_execz .LBB189_454
; %bb.458:                              ;   in Loop: Header=BB189_457 Depth=2
	ds_read_b64 v[4:5], v12
	s_waitcnt lgkmcnt(0)
	v_cmp_o_f64_e32 vcc_lo, v[4:5], v[4:5]
	v_ashrrev_i32_e32 v2, 31, v5
	v_or_b32_e32 v6, 0x80000000, v2
	v_xor_b32_e32 v2, v2, v4
	v_xor_b32_e32 v6, v6, v5
	v_cndmask_b32_e32 v6, -1, v6, vcc_lo
	v_cndmask_b32_e32 v2, -1, v2, vcc_lo
	v_and_b32_e32 v7, v6, v35
	v_and_b32_e32 v6, v2, v34
	v_cmp_eq_u64_e32 vcc_lo, v[6:7], v[28:29]
	s_and_b32 exec_lo, exec_lo, vcc_lo
	s_cbranch_execz .LBB189_454
; %bb.459:                              ;   in Loop: Header=BB189_457 Depth=2
	v_mov_b32_e32 v2, v19
	ds_write_b128 v19, v[2:5] offset:3072
	s_branch .LBB189_454
.LBB189_460:                            ;   in Loop: Header=BB189_457 Depth=2
	s_mov_b32 s45, -1
	s_mov_b32 s44, -1
                                        ; implicit-def: $vgpr8_vgpr9
                                        ; implicit-def: $vgpr12
	s_branch .LBB189_456
.LBB189_461:                            ;   in Loop: Header=BB189_31 Depth=1
	s_or_b32 exec_lo, exec_lo, s18
	s_and_b32 s18, s62, exec_lo
.LBB189_462:                            ;   in Loop: Header=BB189_31 Depth=1
	s_or_b32 exec_lo, exec_lo, s56
.LBB189_463:                            ;   in Loop: Header=BB189_31 Depth=1
	s_and_b32 vcc_lo, exec_lo, s19
	s_cbranch_vccz .LBB189_480
; %bb.464:                              ;   in Loop: Header=BB189_31 Depth=1
	s_mov_b32 s58, s57
	s_cmp_lg_u64 s[58:59], 0
	s_cbranch_scc0 .LBB189_466
; %bb.465:                              ;   in Loop: Header=BB189_31 Depth=1
	v_cvt_f32_u32_e32 v2, s33
	s_sub_u32 s16, 0, s33
	s_subb_u32 s17, 0, 0
	v_fmac_f32_e64 v2, 0x4f800000, 0
	v_rcp_f32_e32 v2, v2
	v_mul_f32_e32 v2, 0x5f7ffffc, v2
	v_mul_f32_e32 v4, 0x2f800000, v2
	v_trunc_f32_e32 v4, v4
	v_fmac_f32_e32 v2, 0xcf800000, v4
	v_cvt_u32_f32_e32 v4, v4
	v_cvt_u32_f32_e32 v2, v2
	v_readfirstlane_b32 s6, v4
	v_readfirstlane_b32 s7, v2
	s_mul_i32 s19, s16, s6
	s_mul_hi_u32 s44, s16, s7
	s_mul_i32 s39, s17, s7
	s_add_i32 s19, s44, s19
	s_mul_i32 s45, s16, s7
	s_add_i32 s19, s19, s39
	s_mul_hi_u32 s44, s7, s45
	s_mul_i32 s58, s7, s19
	s_mul_hi_u32 s56, s6, s45
	s_mul_i32 s39, s6, s45
	s_mul_hi_u32 s45, s7, s19
	s_add_u32 s44, s44, s58
	s_addc_u32 s45, 0, s45
	s_mul_hi_u32 s62, s6, s19
	s_add_u32 s39, s44, s39
	s_mul_i32 s19, s6, s19
	s_addc_u32 s39, s45, s56
	s_addc_u32 s44, s62, 0
	s_add_u32 s19, s39, s19
	s_addc_u32 s39, 0, s44
	s_add_u32 s7, s7, s19
	s_cselect_b32 s19, -1, 0
	s_mul_hi_u32 s44, s16, s7
	s_cmp_lg_u32 s19, 0
	s_mul_i32 s19, s16, s7
	s_addc_u32 s6, s6, s39
	s_mul_i32 s17, s17, s7
	s_mul_i32 s16, s16, s6
	s_mul_hi_u32 s39, s7, s19
	s_add_i32 s16, s44, s16
	s_mul_hi_u32 s44, s6, s19
	s_add_i32 s16, s16, s17
	s_mul_i32 s17, s6, s19
	s_mul_i32 s56, s7, s16
	s_mul_hi_u32 s45, s7, s16
	s_add_u32 s39, s39, s56
	s_addc_u32 s45, 0, s45
	s_mul_hi_u32 s19, s6, s16
	s_add_u32 s17, s39, s17
	s_mul_i32 s16, s6, s16
	s_addc_u32 s17, s45, s44
	s_addc_u32 s19, s19, 0
	s_add_u32 s16, s17, s16
	s_addc_u32 s17, 0, s19
	s_add_u32 s7, s7, s16
	s_cselect_b32 s16, -1, 0
	s_mul_hi_u32 s19, s91, s7
	s_cmp_lg_u32 s16, 0
	s_mul_hi_u32 s16, s59, s7
	s_addc_u32 s6, s6, s17
	s_mul_i32 s7, s59, s7
	s_mul_i32 s39, s91, s6
	s_mul_hi_u32 s17, s91, s6
	s_add_u32 s19, s19, s39
	s_addc_u32 s17, 0, s17
	s_mul_hi_u32 s44, s59, s6
	s_add_u32 s7, s19, s7
	s_mul_i32 s6, s59, s6
	s_addc_u32 s7, s17, s16
	s_addc_u32 s16, s44, 0
	s_add_u32 s6, s7, s6
	s_addc_u32 s7, 0, s16
	s_mul_hi_u32 s16, s33, s6
	s_mul_i32 s7, s33, s7
	s_mul_i32 s6, s33, s6
	s_add_i32 s16, s16, s7
	s_sub_u32 s6, s91, s6
	s_cselect_b32 s7, -1, 0
	s_cmp_lg_u32 s7, 0
	s_subb_u32 s7, s59, s16
	s_sub_u32 s16, s6, s33
	s_cselect_b32 s17, -1, 0
	s_cmp_lg_u32 s17, 0
	s_subb_u32 s17, s7, 0
	;; [unrolled: 4-line block ×3, first 2 shown]
	s_cmp_ge_u32 s16, s33
	s_cselect_b32 s44, -1, 0
	s_cmp_eq_u32 s17, 0
	s_cselect_b32 s44, s44, -1
	s_cmp_lg_u32 s44, 0
	s_cselect_b32 s17, s39, s17
	s_cselect_b32 s16, s19, s16
	s_cmp_ge_u32 s6, s33
	s_cselect_b32 s19, -1, 0
	s_cmp_eq_u32 s7, 0
	s_cselect_b32 s19, s19, -1
	s_cmp_lg_u32 s19, 0
	s_cselect_b32 s7, s17, s7
	s_cselect_b32 s6, s16, s6
	s_mov_b32 s16, 0
	s_branch .LBB189_467
.LBB189_466:                            ;   in Loop: Header=BB189_31 Depth=1
	s_mov_b32 s16, -1
                                        ; implicit-def: $sgpr6_sgpr7
.LBB189_467:                            ;   in Loop: Header=BB189_31 Depth=1
	s_andn2_b32 vcc_lo, exec_lo, s16
	s_cbranch_vccnz .LBB189_469
; %bb.468:                              ;   in Loop: Header=BB189_31 Depth=1
	v_cvt_f32_u32_e32 v2, s33
	s_sub_i32 s7, 0, s33
	v_rcp_iflag_f32_e32 v2, v2
	v_mul_f32_e32 v2, 0x4f7ffffe, v2
	v_cvt_u32_f32_e32 v2, v2
	v_readfirstlane_b32 s6, v2
	s_mul_i32 s7, s7, s6
	s_mul_hi_u32 s7, s6, s7
	s_add_i32 s6, s6, s7
	s_mul_hi_u32 s6, s91, s6
	s_mul_i32 s6, s6, s33
	s_sub_i32 s6, s91, s6
	s_sub_i32 s7, s6, s33
	s_cmp_ge_u32 s6, s33
	s_cselect_b32 s6, s7, s6
	s_sub_i32 s7, s6, s33
	s_cmp_ge_u32 s6, s33
	s_cselect_b32 s56, s7, s6
	s_mov_b64 s[6:7], s[56:57]
.LBB189_469:                            ;   in Loop: Header=BB189_31 Depth=1
	s_sub_u32 s16, s91, s6
	s_subb_u32 s17, s59, s7
	s_mov_b32 s7, exec_lo
                                        ; implicit-def: $vgpr6_vgpr7
	v_cmpx_gt_u64_e64 s[16:17], v[0:1]
	s_cbranch_execz .LBB189_479
; %bb.470:                              ;   in Loop: Header=BB189_31 Depth=1
	v_mov_b32_e32 v8, v32
	v_mov_b32_e32 v13, v1
	;; [unrolled: 1-line block ×4, first 2 shown]
	s_mov_b32 s19, 0
                                        ; implicit-def: $sgpr39
	s_branch .LBB189_474
.LBB189_471:                            ;   in Loop: Header=BB189_474 Depth=2
	s_or_b32 exec_lo, exec_lo, s6
	s_waitcnt lgkmcnt(0)
	s_barrier
	buffer_gl0_inv
	ds_read_b128 v[4:7], v19 offset:3072
	s_waitcnt lgkmcnt(0)
	s_barrier
	buffer_gl0_inv
	v_cmp_eq_f64_e32 vcc_lo, 0, v[4:5]
	s_cbranch_vccz .LBB189_477
; %bb.472:                              ;   in Loop: Header=BB189_474 Depth=2
	v_add_co_u32 v12, vcc_lo, v12, s33
	v_add_co_ci_u32_e64 v13, null, 0, v13, vcc_lo
	v_add_co_u32 v8, s6, v8, s34
	v_add_co_ci_u32_e64 v9, null, s35, v9, s6
	v_cmp_le_u64_e32 vcc_lo, s[16:17], v[12:13]
	s_mov_b32 s6, 0
	s_orn2_b32 s44, vcc_lo, exec_lo
.LBB189_473:                            ;   in Loop: Header=BB189_474 Depth=2
	s_and_b32 s44, exec_lo, s44
	s_or_b32 s19, s44, s19
	s_andn2_b32 s39, s39, exec_lo
	s_and_b32 s6, s6, exec_lo
	s_or_b32 s39, s39, s6
	s_andn2_b32 exec_lo, exec_lo, s19
	s_cbranch_execz .LBB189_478
.LBB189_474:                            ;   Parent Loop BB189_31 Depth=1
                                        ; =>  This Inner Loop Header: Depth=2
	s_mov_b32 s6, exec_lo
	v_cmpx_gt_u64_e64 s[28:29], v[12:13]
	s_cbranch_execz .LBB189_471
; %bb.475:                              ;   in Loop: Header=BB189_474 Depth=2
	global_load_dwordx2 v[4:5], v[8:9], off
	s_waitcnt vmcnt(0)
	v_cmp_o_f64_e32 vcc_lo, v[4:5], v[4:5]
	v_ashrrev_i32_e32 v2, 31, v5
	v_or_b32_e32 v6, 0x80000000, v2
	v_xor_b32_e32 v2, v2, v4
	v_xor_b32_e32 v6, v6, v5
	v_cndmask_b32_e32 v6, -1, v6, vcc_lo
	v_cndmask_b32_e32 v2, -1, v2, vcc_lo
	v_and_b32_e32 v7, v6, v35
	v_and_b32_e32 v6, v2, v34
	v_cmp_eq_u64_e32 vcc_lo, v[6:7], v[28:29]
	s_and_b32 exec_lo, exec_lo, vcc_lo
	s_cbranch_execz .LBB189_471
; %bb.476:                              ;   in Loop: Header=BB189_474 Depth=2
	v_mov_b32_e32 v2, v19
	ds_write_b128 v19, v[2:5] offset:3072
	s_branch .LBB189_471
.LBB189_477:                            ;   in Loop: Header=BB189_474 Depth=2
	s_mov_b32 s44, -1
	s_mov_b32 s6, -1
                                        ; implicit-def: $vgpr12_vgpr13
                                        ; implicit-def: $vgpr8_vgpr9
	s_branch .LBB189_473
.LBB189_478:                            ;   in Loop: Header=BB189_31 Depth=1
	s_or_b32 exec_lo, exec_lo, s19
	s_andn2_b32 s6, s18, exec_lo
	s_and_b32 s16, s39, exec_lo
	s_or_b32 s18, s6, s16
.LBB189_479:                            ;   in Loop: Header=BB189_31 Depth=1
	s_or_b32 exec_lo, exec_lo, s7
	s_mov_b32 s39, 0
	s_mov_b32 s58, -1
.LBB189_480:                            ;   in Loop: Header=BB189_31 Depth=1
	s_orn2_b32 s7, s18, exec_lo
.LBB189_481:                            ;   in Loop: Header=BB189_31 Depth=1
	s_or_b32 exec_lo, exec_lo, s38
	s_mov_b32 s16, 0
	s_and_saveexec_b32 s6, s7
	s_cbranch_execz .LBB189_492
; %bb.482:                              ;   in Loop: Header=BB189_31 Depth=1
	v_mov_b32_e32 v4, 1
	v_mov_b32_e32 v5, 0
	;; [unrolled: 1-line block ×3, first 2 shown]
	s_xor_b32 s16, s21, -1
	s_and_saveexec_b32 s7, s16
	s_cbranch_execz .LBB189_491
; %bb.483:                              ;   in Loop: Header=BB189_31 Depth=1
	s_mov_b32 s16, exec_lo
	v_cmpx_ge_u64_e64 s[10:11], v[10:11]
	s_xor_b32 s16, exec_lo, s16
	s_cbranch_execz .LBB189_488
; %bb.484:                              ;   in Loop: Header=BB189_31 Depth=1
	ds_read_b64 v[4:5], v19 offset:5120
	v_and_b32_e32 v29, s15, v29
	v_and_b32_e32 v28, s14, v28
	v_or_b32_e32 v35, s13, v35
	v_or_b32_e32 v34, s12, v34
	s_waitcnt lgkmcnt(0)
	v_cmp_ne_u64_e32 vcc_lo, 0, v[4:5]
	s_cbranch_vccnz .LBB189_488
; %bb.485:                              ;   in Loop: Header=BB189_31 Depth=1
	s_and_saveexec_b32 s12, s3
; %bb.486:                              ;   in Loop: Header=BB189_31 Depth=1
	v_mov_b32_e32 v4, s10
	v_mov_b32_e32 v5, s11
	ds_write_b64 v19, v[4:5] offset:5128
; %bb.487:                              ;   in Loop: Header=BB189_31 Depth=1
	s_or_b32 exec_lo, exec_lo, s12
	s_waitcnt lgkmcnt(0)
	s_barrier
	buffer_gl0_inv
.LBB189_488:                            ;   in Loop: Header=BB189_31 Depth=1
	s_andn2_saveexec_b32 s12, s16
; %bb.489:                              ;   in Loop: Header=BB189_31 Depth=1
	v_sub_co_u32 v10, vcc_lo, v10, s10
	v_subrev_co_ci_u32_e64 v11, null, s11, v11, vcc_lo
; %bb.490:                              ;   in Loop: Header=BB189_31 Depth=1
	s_or_b32 exec_lo, exec_lo, s12
	v_mov_b32_e32 v4, v10
	v_mov_b32_e32 v44, 5
	;; [unrolled: 1-line block ×3, first 2 shown]
.LBB189_491:                            ;   in Loop: Header=BB189_31 Depth=1
	s_or_b32 exec_lo, exec_lo, s7
	v_mov_b32_e32 v11, v5
	v_mov_b32_e32 v10, v4
	s_mov_b32 s16, exec_lo
.LBB189_492:                            ;   in Loop: Header=BB189_31 Depth=1
	s_or_b32 exec_lo, exec_lo, s6
	s_orn2_b32 s6, s16, exec_lo
.LBB189_493:                            ;   in Loop: Header=BB189_31 Depth=1
	s_or_b32 exec_lo, exec_lo, s20
	s_andn2_b32 s7, s75, exec_lo
	s_and_b32 s10, s58, exec_lo
	s_andn2_b32 s11, s74, exec_lo
	s_and_b32 s12, s39, exec_lo
	v_mov_b32_e32 v8, v10
	v_mov_b32_e32 v9, v11
	s_or_b32 s75, s7, s10
	s_or_b32 s74, s11, s12
	s_and_b32 s7, s6, exec_lo
.LBB189_494:                            ;   in Loop: Header=BB189_31 Depth=1
	s_or_b32 exec_lo, exec_lo, s2
	s_orn2_b32 s2, s7, exec_lo
.LBB189_495:                            ;   in Loop: Header=BB189_31 Depth=1
	s_or_b32 exec_lo, exec_lo, s23
	s_andn2_b32 s6, s73, exec_lo
	s_and_b32 s7, s75, exec_lo
	s_andn2_b32 s10, s72, exec_lo
	s_and_b32 s11, s74, exec_lo
	v_mov_b32_e32 v39, v9
	v_mov_b32_e32 v38, v8
	s_or_b32 s73, s6, s7
	s_or_b32 s72, s10, s11
	s_and_b32 s7, s2, exec_lo
.LBB189_496:                            ;   in Loop: Header=BB189_31 Depth=1
	s_or_b32 exec_lo, exec_lo, s22
	s_orn2_b32 s2, s7, exec_lo
.LBB189_497:                            ;   in Loop: Header=BB189_31 Depth=1
	s_or_b32 exec_lo, exec_lo, s69
	s_mov_b32 s6, s70
	s_mov_b32 s7, s43
	s_and_saveexec_b32 s10, s2
; %bb.498:                              ;   in Loop: Header=BB189_31 Depth=1
	v_cmp_ne_u32_e32 vcc_lo, 5, v44
	v_cmp_eq_u32_e64 s6, 5, v44
	s_andn2_b32 s2, s43, exec_lo
	s_andn2_b32 s11, s70, exec_lo
	s_and_b32 s7, vcc_lo, exec_lo
	s_and_b32 s6, s6, exec_lo
	s_or_b32 s7, s2, s7
	s_or_b32 s6, s11, s6
; %bb.499:                              ;   in Loop: Header=BB189_31 Depth=1
	s_or_b32 exec_lo, exec_lo, s10
	s_andn2_b32 s2, s71, exec_lo
	s_and_b32 s10, s73, exec_lo
	s_andn2_b32 s9, s9, exec_lo
	s_and_b32 s11, s72, exec_lo
	s_or_b32 s71, s2, s10
	s_andn2_b32 s2, s43, exec_lo
	s_and_b32 s7, s7, exec_lo
	s_andn2_b32 s10, s70, exec_lo
	s_and_b32 s6, s6, exec_lo
	s_or_b32 s9, s9, s11
	s_or_b32 s43, s2, s7
	;; [unrolled: 1-line block ×3, first 2 shown]
.LBB189_500:                            ;   in Loop: Header=BB189_31 Depth=1
	s_or_b32 exec_lo, exec_lo, s68
	s_mov_b32 s72, 0
	s_mov_b32 s73, 0
	s_and_saveexec_b32 s2, s70
.LBB189_501:                            ;   in Loop: Header=BB189_31 Depth=1
	v_mov_b32_e32 v44, 0
	s_or_b32 s43, s43, exec_lo
.LBB189_502:                            ;   in Loop: Header=BB189_31 Depth=1
	s_or_b32 exec_lo, exec_lo, s2
	s_andn2_b32 s2, s52, exec_lo
	s_and_b32 s7, s71, exec_lo
	s_andn2_b32 s10, s50, exec_lo
	s_and_b32 s9, s9, exec_lo
	v_mov_b32_e32 v36, v38
	v_mov_b32_e32 v37, v39
	s_or_b32 s52, s2, s7
	s_or_b32 s50, s10, s9
	s_andn2_b32 s2, s42, exec_lo
	s_and_b32 s7, s73, exec_lo
	s_andn2_b32 s9, s53, exec_lo
	s_and_b32 s10, s72, exec_lo
	s_mov_b32 s6, -1
	s_andn2_b32 s51, s51, exec_lo
	s_or_b32 s42, s2, s7
	s_or_b32 s53, s9, s10
	s_and_saveexec_b32 s2, s43
	s_xor_b32 s2, exec_lo, s2
	s_cbranch_execz .LBB189_30
; %bb.503:                              ;   in Loop: Header=BB189_31 Depth=1
	s_mov_b32 s7, -1
	s_mov_b32 s9, exec_lo
	v_cmpx_eq_u32_e32 0, v44
	s_cbranch_execz .LBB189_29
; %bb.504:                              ;   in Loop: Header=BB189_31 Depth=1
	s_xor_b32 s98, s98, 1
	s_add_i32 s10, s54, -2
	s_cmp_eq_u32 s54, 0
	s_mov_b32 s54, s10
	s_cselect_b32 s6, -1, 0
	s_xor_b32 s7, exec_lo, -1
	s_orn2_b32 s6, s6, exec_lo
	s_branch .LBB189_29
.LBB189_505:
	s_or_b32 exec_lo, exec_lo, s96
	s_xor_b32 s7, s55, -1
	s_xor_b32 s9, s104, -1
	s_xor_b32 s10, vcc_hi, -1
	s_xor_b32 s2, s97, -1
	s_xor_b32 s6, s99, -1
	s_mov_b32 s8, 0
	s_and_saveexec_b32 s11, s2
	s_xor_b32 s2, exec_lo, s11
	s_cbranch_execnz .LBB189_510
; %bb.506:
	s_andn2_saveexec_b32 s0, s2
	s_cbranch_execnz .LBB189_529
.LBB189_507:
	s_or_b32 exec_lo, exec_lo, s0
	s_and_saveexec_b32 s0, s8
.LBB189_508:
	; divergent unreachable
.LBB189_509:
	s_endpgm
.LBB189_510:
	s_and_saveexec_b32 s11, s10
	s_xor_b32 s12, exec_lo, s11
	s_cbranch_execz .LBB189_527
; %bb.511:
	s_and_saveexec_b32 s10, s9
	s_xor_b32 s13, exec_lo, s10
	s_cbranch_execz .LBB189_525
; %bb.512:
	;; [unrolled: 4-line block ×3, first 2 shown]
	s_and_saveexec_b32 s7, s6
	s_xor_b32 s6, exec_lo, s7
; %bb.514:
	v_lshrrev_b32_e32 v2, 31, v29
	v_add_co_u32 v2, s7, v2, -1
	v_add_co_ci_u32_e64 v3, null, 0, -1, s7
	v_xor_b32_e32 v6, v2, v28
	v_or_b32_e32 v3, 0x80000000, v3
	v_xor_b32_e32 v7, v3, v29
; %bb.515:
	s_or_b32 exec_lo, exec_lo, s6
	s_and_saveexec_b32 s6, s3
; %bb.516:
	v_mov_b32_e32 v2, 0
	v_mov_b32_e32 v3, v2
	ds_write_b64 v2, v[2:3] offset:5136
; %bb.517:
	s_or_b32 exec_lo, exec_lo, s6
	v_mov_b32_e32 v4, 0
	v_mov_b32_e32 v5, 0
	s_waitcnt lgkmcnt(0)
	s_barrier
	buffer_gl0_inv
	s_and_saveexec_b32 s3, s1
	s_cbranch_execz .LBB189_519
; %bb.518:
	global_load_dwordx2 v[4:5], v[16:17], off
.LBB189_519:
	s_or_b32 exec_lo, exec_lo, s3
	v_readlane_b32 s6, v55, 0
	v_readlane_b32 s7, v55, 1
	v_cmp_o_f64_e32 vcc_lo, v[6:7], v[6:7]
	s_add_u32 s3, s28, 31
	s_addc_u32 s11, s29, 0
	s_mul_i32 s10, s6, s37
	s_mul_hi_u32 s15, s6, s36
	s_mul_i32 s17, s7, s36
	s_mul_i32 s16, s6, s36
	s_load_dwordx2 s[6:7], s[4:5], 0x440
	v_ashrrev_i32_e32 v2, 31, v7
	v_or_b32_e32 v3, 0x80000000, v2
	v_xor_b32_e32 v2, v2, v6
	v_xor_b32_e32 v3, v3, v7
	v_cndmask_b32_e32 v2, -1, v2, vcc_lo
	v_cndmask_b32_e32 v3, -1, v3, vcc_lo
	s_waitcnt lgkmcnt(0)
	s_mul_i32 s19, s6, s49
	s_mul_hi_u32 s20, s6, s48
	s_mul_i32 s21, s7, s48
	s_mul_i32 s18, s6, s48
	s_clause 0x1
	s_load_dwordx2 s[6:7], s[4:5], 0x368
	s_load_dwordx2 s[8:9], s[4:5], 0x510
	s_add_i32 s4, s15, s10
	s_and_b32 s10, s3, 0xffffffe0
	s_add_i32 s17, s4, s17
	s_add_i32 s3, s20, s19
	s_lshl_b64 s[4:5], s[16:17], 3
	v_readlane_b32 s16, v55, 2
	v_readlane_b32 s17, v55, 3
	s_add_i32 s19, s3, s21
	v_cmp_gt_u64_e32 vcc_lo, s[10:11], v[0:1]
	s_mov_b32 s20, -1
	s_add_u32 s3, s16, s4
	s_addc_u32 s4, s17, s5
	s_lshl_b64 s[16:17], s[24:25], 3
	s_add_u32 s5, s3, s16
	s_addc_u32 s15, s4, s17
	s_lshl_b64 s[16:17], s[18:19], 3
	v_readlane_b32 s18, v55, 4
	v_readlane_b32 s19, v55, 5
	s_add_u32 s3, s18, s16
	s_addc_u32 s4, s19, s17
	s_lshl_b64 s[16:17], s[40:41], 3
	s_mov_b32 s18, 0
	s_add_u32 s16, s3, s16
	s_addc_u32 s17, s4, s17
	s_mov_b32 s3, 0
	s_and_saveexec_b32 s19, vcc_lo
	s_cbranch_execnz .LBB189_530
; %bb.520:
	s_or_b32 exec_lo, exec_lo, s19
	s_and_saveexec_b32 s4, s20
	s_cbranch_execnz .LBB189_547
.LBB189_521:
	s_or_b32 exec_lo, exec_lo, s4
	s_and_saveexec_b32 s0, s3
	s_xor_b32 s0, exec_lo, s0
	s_cbranch_execnz .LBB189_572
.LBB189_522:
	s_or_b32 exec_lo, exec_lo, s0
	s_waitcnt lgkmcnt(0)
	s_and_b32 s8, s18, exec_lo
.LBB189_523:
	s_andn2_saveexec_b32 s0, s14
	s_cbranch_execnz .LBB189_574
.LBB189_524:
	s_or_b32 exec_lo, exec_lo, s0
	s_and_b32 s8, s8, exec_lo
.LBB189_525:
	s_andn2_saveexec_b32 s0, s13
	s_cbranch_execnz .LBB189_573
.LBB189_526:
	s_or_b32 exec_lo, exec_lo, s0
	s_and_b32 s8, s8, exec_lo
.LBB189_527:
	s_andn2_saveexec_b32 s0, s12
	s_cbranch_execnz .LBB189_568
.LBB189_528:
	s_or_b32 exec_lo, exec_lo, s0
	s_and_b32 s8, s8, exec_lo
	s_andn2_saveexec_b32 s0, s2
	s_cbranch_execz .LBB189_507
.LBB189_529:
	s_or_b32 s8, s8, exec_lo
	s_trap 2
	s_or_b32 exec_lo, exec_lo, s0
	s_and_saveexec_b32 s0, s8
	s_cbranch_execnz .LBB189_508
	s_branch .LBB189_509
.LBB189_530:
	v_add_nc_u32_e32 v8, s33, v0
	v_readlane_b32 s20, v55, 11
	v_readlane_b32 s21, v55, 12
	s_add_u32 s3, s92, s46
	s_addc_u32 s4, s93, s47
	v_mad_u64_u32 v[6:7], null, s26, v8, 0
	s_add_u32 s3, s3, s20
	s_addc_u32 s4, s4, s21
	v_mov_b32_e32 v19, v1
	v_mov_b32_e32 v18, v0
	s_mov_b32 s20, 0
                                        ; implicit-def: $sgpr21
                                        ; implicit-def: $vgpr14_vgpr15
	v_mad_u64_u32 v[7:8], null, s27, v8, v[7:8]
	v_lshlrev_b64 v[8:9], 3, v[6:7]
	v_mov_b32_e32 v7, 0
	v_add_co_u32 v8, s3, s3, v8
	v_add_co_ci_u32_e64 v9, null, s4, v9, s3
	s_branch .LBB189_532
.LBB189_531:                            ;   in Loop: Header=BB189_532 Depth=1
	s_or_b32 exec_lo, exec_lo, s22
	s_xor_b32 s3, s23, -1
	s_and_b32 s4, exec_lo, s4
	s_waitcnt vmcnt(0)
	v_mov_b32_e32 v4, v12
	v_mov_b32_e32 v19, v11
	;; [unrolled: 1-line block ×3, first 2 shown]
	s_or_b32 s20, s4, s20
	v_mov_b32_e32 v18, v10
	s_andn2_b32 s4, s21, exec_lo
	s_and_b32 s3, s3, exec_lo
	s_or_b32 s21, s4, s3
	s_andn2_b32 exec_lo, exec_lo, s20
	s_cbranch_execz .LBB189_546
.LBB189_532:                            ; =>This Inner Loop Header: Depth=1
	v_add_co_u32 v10, s3, v18, s33
	v_mov_b32_e32 v12, 0
	v_add_co_ci_u32_e64 v11, null, 0, v19, s3
	v_mov_b32_e32 v13, 0
	s_mov_b32 s4, exec_lo
	v_cmpx_gt_u64_e64 s[28:29], v[10:11]
	s_cbranch_execz .LBB189_534
; %bb.533:                              ;   in Loop: Header=BB189_532 Depth=1
	global_load_dwordx2 v[12:13], v[8:9], off
.LBB189_534:                            ;   in Loop: Header=BB189_532 Depth=1
	s_or_b32 exec_lo, exec_lo, s4
	s_mov_b32 s22, 0
	s_mov_b32 s4, exec_lo
	v_cmpx_gt_u64_e64 s[28:29], v[18:19]
	s_cbranch_execz .LBB189_536
; %bb.535:                              ;   in Loop: Header=BB189_532 Depth=1
	s_waitcnt vmcnt(0)
	v_cmp_o_f64_e64 s3, v[4:5], v[4:5]
	v_ashrrev_i32_e32 v6, 31, v5
	v_or_b32_e32 v20, 0x80000000, v6
	v_xor_b32_e32 v6, v6, v4
	v_xor_b32_e32 v20, v20, v5
	v_cndmask_b32_e64 v21, -1, v20, s3
	v_cndmask_b32_e64 v20, -1, v6, s3
	v_cmp_gt_u64_e64 s3, v[20:21], v[2:3]
	v_cndmask_b32_e64 v6, 0, 1, s3
	v_cmp_lt_u64_e64 s3, v[20:21], v[2:3]
	v_cndmask_b32_e64 v20, 0, 1, s3
	v_cndmask_b32_e64 v6, v20, v6, s94
	v_and_b32_e32 v6, 1, v6
	v_cmp_eq_u32_e64 s3, 1, v6
	s_and_b32 s22, s3, exec_lo
.LBB189_536:                            ;   in Loop: Header=BB189_532 Depth=1
	s_or_b32 exec_lo, exec_lo, s4
	v_cndmask_b32_e64 v6, 0, 1, s22
	v_cmp_ne_u32_e64 s3, 0, v6
	s_cmp_lg_u32 s3, 0
	s_cselect_b32 s4, -1, 0
	s_and_b32 s4, s0, s4
	s_and_saveexec_b32 s23, s4
	s_cbranch_execz .LBB189_540
; %bb.537:                              ;   in Loop: Header=BB189_532 Depth=1
	s_mov_b32 s36, exec_lo
	s_bcnt1_i32_b32 s24, s3
	v_mbcnt_lo_u32_b32 v20, s36, 0
	s_mov_b32 s25, exec_lo
                                        ; implicit-def: $vgpr14_vgpr15
	v_cmpx_eq_u32_e32 0, v20
	s_cbranch_execz .LBB189_539
; %bb.538:                              ;   in Loop: Header=BB189_532 Depth=1
	s_bcnt1_i32_b32 s4, s36
	s_mul_i32 s4, s24, s4
	v_mov_b32_e32 v6, s4
	s_waitcnt lgkmcnt(0)
	ds_add_rtn_u64 v[14:15], v7, v[6:7] offset:5136
.LBB189_539:                            ;   in Loop: Header=BB189_532 Depth=1
	s_or_b32 exec_lo, exec_lo, s25
	s_waitcnt lgkmcnt(0)
	v_readfirstlane_b32 s37, v15
	v_readfirstlane_b32 s36, v14
	v_mad_u64_u32 v[14:15], null, s24, v20, s[36:37]
.LBB189_540:                            ;   in Loop: Header=BB189_532 Depth=1
	s_or_b32 exec_lo, exec_lo, s23
	s_waitcnt lgkmcnt(0)
	ds_bpermute_b32 v14, v7, v14
	ds_bpermute_b32 v15, v7, v15
	s_mov_b32 s4, -1
	s_mov_b32 s24, -1
	s_and_saveexec_b32 s23, s22
	s_cbranch_execz .LBB189_544
; %bb.541:                              ;   in Loop: Header=BB189_532 Depth=1
	v_and_b32_e32 v6, s3, v46
	s_mov_b32 s22, 0
	s_mov_b32 s24, exec_lo
	v_bcnt_u32_b32 v6, v6, 0
	s_waitcnt lgkmcnt(0)
	v_add_co_u32 v20, s3, v14, v6
	v_add_co_ci_u32_e64 v21, null, 0, v15, s3
	v_cmpx_gt_u64_e64 s[30:31], v[20:21]
	s_cbranch_execz .LBB189_543
; %bb.542:                              ;   in Loop: Header=BB189_532 Depth=1
	v_mul_lo_u32 v6, v21, s6
	v_mul_lo_u32 v24, v20, s7
	v_mad_u64_u32 v[22:23], null, v20, s6, 0
	v_mul_lo_u32 v25, v21, s8
	v_mul_lo_u32 v26, v20, s9
	v_mad_u64_u32 v[20:21], null, v20, s8, 0
	s_mov_b32 s22, exec_lo
	v_add3_u32 v23, v23, v24, v6
	v_add3_u32 v21, v21, v26, v25
	v_lshlrev_b64 v[22:23], 3, v[22:23]
	v_lshlrev_b64 v[20:21], 3, v[20:21]
	v_add_co_u32 v22, s3, s5, v22
	v_add_co_ci_u32_e64 v23, null, s15, v23, s3
	v_add_co_u32 v20, s3, s16, v20
	v_add_co_ci_u32_e64 v21, null, s17, v21, s3
	s_waitcnt vmcnt(0)
	global_store_dwordx2 v[22:23], v[4:5], off
	global_store_dwordx2 v[20:21], v[18:19], off
.LBB189_543:                            ;   in Loop: Header=BB189_532 Depth=1
	s_or_b32 exec_lo, exec_lo, s24
	s_orn2_b32 s24, s22, exec_lo
.LBB189_544:                            ;   in Loop: Header=BB189_532 Depth=1
	s_or_b32 exec_lo, exec_lo, s23
	s_mov_b32 s23, -1
	s_and_saveexec_b32 s22, s24
	s_cbranch_execz .LBB189_531
; %bb.545:                              ;   in Loop: Header=BB189_532 Depth=1
	v_cmp_le_u64_e64 s3, s[10:11], v[10:11]
	v_add_co_u32 v8, s4, v8, s34
	v_add_co_ci_u32_e64 v9, null, s35, v9, s4
	s_xor_b32 s23, exec_lo, -1
	s_orn2_b32 s4, s3, exec_lo
	s_branch .LBB189_531
.LBB189_546:
	s_or_b32 exec_lo, exec_lo, s20
	s_mov_b32 s3, exec_lo
	s_orn2_b32 s20, s21, exec_lo
	s_or_b32 exec_lo, exec_lo, s19
	s_and_saveexec_b32 s4, s20
	s_cbranch_execz .LBB189_521
.LBB189_547:
	v_mov_b32_e32 v10, 0
	v_mov_b32_e32 v11, 0
	s_waitcnt vmcnt(0) lgkmcnt(0)
	s_waitcnt_vscnt null, 0x0
	s_barrier
	buffer_gl0_inv
	s_and_saveexec_b32 s18, s1
	s_cbranch_execz .LBB189_549
; %bb.548:
	global_load_dwordx2 v[10:11], v[16:17], off
.LBB189_549:
	s_or_b32 exec_lo, exec_lo, s18
	s_mov_b32 s1, 0
	s_and_saveexec_b32 s18, vcc_lo
	s_cbranch_execz .LBB189_571
; %bb.550:
	v_add_nc_u32_e32 v6, s33, v0
	v_readlane_b32 s20, v55, 11
	v_readlane_b32 s21, v55, 12
	s_add_u32 s1, s92, s46
	s_addc_u32 s19, s93, s47
	v_mad_u64_u32 v[4:5], null, s26, v6, 0
	s_add_u32 s1, s1, s20
	s_addc_u32 s19, s19, s21
	v_mov_b32_e32 v7, 0
                                        ; implicit-def: $sgpr20
                                        ; implicit-def: $vgpr14_vgpr15
	v_mad_u64_u32 v[5:6], null, s27, v6, v[5:6]
	v_lshlrev_b64 v[4:5], 3, v[4:5]
	v_add_co_u32 v4, vcc_lo, s1, v4
	v_add_co_ci_u32_e64 v5, null, s19, v5, vcc_lo
	s_mov_b32 s19, 0
	s_branch .LBB189_553
.LBB189_551:                            ;   in Loop: Header=BB189_553 Depth=1
	s_or_b32 exec_lo, exec_lo, s22
	s_orn2_b32 s24, s23, exec_lo
	s_orn2_b32 s23, s1, exec_lo
.LBB189_552:                            ;   in Loop: Header=BB189_553 Depth=1
	s_or_b32 exec_lo, exec_lo, s21
	s_xor_b32 s1, s24, -1
	s_and_b32 s21, exec_lo, s23
	v_mov_b32_e32 v0, v8
	s_waitcnt vmcnt(0)
	v_mov_b32_e32 v10, v12
	v_mov_b32_e32 v1, v9
	s_or_b32 s19, s21, s19
	v_mov_b32_e32 v11, v13
	s_andn2_b32 s20, s20, exec_lo
	s_and_b32 s1, s1, exec_lo
	s_or_b32 s20, s20, s1
	s_andn2_b32 exec_lo, exec_lo, s19
	s_cbranch_execz .LBB189_569
.LBB189_553:                            ; =>This Inner Loop Header: Depth=1
	v_add_co_u32 v8, vcc_lo, v0, s33
	v_mov_b32_e32 v12, 0
	v_add_co_ci_u32_e64 v9, null, 0, v1, vcc_lo
	v_mov_b32_e32 v13, 0
	s_mov_b32 s1, exec_lo
	v_cmpx_gt_u64_e64 s[28:29], v[8:9]
	s_cbranch_execz .LBB189_555
; %bb.554:                              ;   in Loop: Header=BB189_553 Depth=1
	global_load_dwordx2 v[12:13], v[4:5], off
.LBB189_555:                            ;   in Loop: Header=BB189_553 Depth=1
	s_or_b32 exec_lo, exec_lo, s1
	s_mov_b32 s22, 0
	s_mov_b32 s1, exec_lo
	v_cmpx_gt_u64_e64 s[28:29], v[0:1]
	s_cbranch_execz .LBB189_557
; %bb.556:                              ;   in Loop: Header=BB189_553 Depth=1
	s_waitcnt vmcnt(0)
	v_cmp_o_f64_e32 vcc_lo, v[10:11], v[10:11]
	v_ashrrev_i32_e32 v6, 31, v11
	v_or_b32_e32 v16, 0x80000000, v6
	v_xor_b32_e32 v6, v6, v10
	v_xor_b32_e32 v16, v16, v11
	v_cndmask_b32_e32 v17, -1, v16, vcc_lo
	v_cndmask_b32_e32 v16, -1, v6, vcc_lo
	v_cmp_eq_u64_e32 vcc_lo, v[16:17], v[2:3]
	s_and_b32 s22, vcc_lo, exec_lo
.LBB189_557:                            ;   in Loop: Header=BB189_553 Depth=1
	s_or_b32 exec_lo, exec_lo, s1
	v_cndmask_b32_e64 v6, 0, 1, s22
	v_cmp_ne_u32_e32 vcc_lo, 0, v6
	s_cmp_lg_u32 vcc_lo, 0
	s_cselect_b32 s1, -1, 0
	s_and_b32 s1, s0, s1
	s_and_saveexec_b32 s21, s1
	s_cbranch_execz .LBB189_561
; %bb.558:                              ;   in Loop: Header=BB189_553 Depth=1
	s_mov_b32 s25, exec_lo
	s_bcnt1_i32_b32 s23, vcc_lo
	v_mbcnt_lo_u32_b32 v16, s25, 0
	s_mov_b32 s24, exec_lo
                                        ; implicit-def: $vgpr14_vgpr15
	v_cmpx_eq_u32_e32 0, v16
; %bb.559:                              ;   in Loop: Header=BB189_553 Depth=1
	s_bcnt1_i32_b32 s1, s25
	s_mul_i32 s1, s23, s1
	v_mov_b32_e32 v6, s1
	ds_add_rtn_u64 v[14:15], v7, v[6:7] offset:5136
; %bb.560:                              ;   in Loop: Header=BB189_553 Depth=1
	s_or_b32 exec_lo, exec_lo, s24
	s_waitcnt lgkmcnt(0)
	v_readfirstlane_b32 s25, v15
	v_readfirstlane_b32 s24, v14
	v_mad_u64_u32 v[14:15], null, s23, v16, s[24:25]
.LBB189_561:                            ;   in Loop: Header=BB189_553 Depth=1
	s_or_b32 exec_lo, exec_lo, s21
	ds_bpermute_b32 v14, v7, v14
	ds_bpermute_b32 v15, v7, v15
	s_cmp_eq_u32 vcc_lo, 0
	s_mov_b32 s23, -1
	s_cselect_b32 s21, -1, 0
	s_mov_b32 s24, -1
	s_waitcnt lgkmcnt(0)
	v_cmp_gt_u64_e64 s1, s[30:31], v[14:15]
	s_or_b32 s1, s21, s1
	s_and_saveexec_b32 s21, s1
	s_cbranch_execz .LBB189_552
; %bb.562:                              ;   in Loop: Header=BB189_553 Depth=1
	v_and_b32_e32 v6, vcc_lo, v46
	v_sub_co_u32 v16, vcc_lo, s30, v14
	v_sub_co_ci_u32_e64 v17, null, s31, v15, vcc_lo
	v_bcnt_u32_b32 v6, v6, 0
	s_mov_b32 s1, -1
	v_bcnt_u32_b32 v6, 0, v6
	v_cmp_gt_u64_e32 vcc_lo, v[16:17], v[6:7]
	s_and_b32 s25, s22, vcc_lo
	s_and_saveexec_b32 s22, s25
	s_cbranch_execz .LBB189_566
; %bb.563:                              ;   in Loop: Header=BB189_553 Depth=1
	v_add_co_u32 v16, vcc_lo, v14, v6
	v_add_co_ci_u32_e64 v17, null, 0, v15, vcc_lo
	s_mov_b32 s24, 0
	s_mov_b32 s23, exec_lo
	v_cmpx_gt_u64_e64 s[30:31], v[16:17]
	s_cbranch_execz .LBB189_565
; %bb.564:                              ;   in Loop: Header=BB189_553 Depth=1
	v_mul_lo_u32 v6, v17, s6
	v_mul_lo_u32 v20, v16, s7
	v_mad_u64_u32 v[18:19], null, v16, s6, 0
	v_mul_lo_u32 v21, v17, s8
	v_mul_lo_u32 v22, v16, s9
	v_mad_u64_u32 v[16:17], null, v16, s8, 0
	s_mov_b32 s24, exec_lo
	v_add3_u32 v19, v19, v20, v6
	v_add3_u32 v17, v17, v22, v21
	v_lshlrev_b64 v[18:19], 3, v[18:19]
	v_lshlrev_b64 v[16:17], 3, v[16:17]
	v_add_co_u32 v18, vcc_lo, s5, v18
	v_add_co_ci_u32_e64 v19, null, s15, v19, vcc_lo
	v_add_co_u32 v16, vcc_lo, s16, v16
	v_add_co_ci_u32_e64 v17, null, s17, v17, vcc_lo
	s_waitcnt vmcnt(0)
	global_store_dwordx2 v[18:19], v[10:11], off
	global_store_dwordx2 v[16:17], v[0:1], off
.LBB189_565:                            ;   in Loop: Header=BB189_553 Depth=1
	s_or_b32 exec_lo, exec_lo, s23
	s_xor_b32 s23, exec_lo, -1
	s_orn2_b32 s24, s24, exec_lo
.LBB189_566:                            ;   in Loop: Header=BB189_553 Depth=1
	s_or_b32 exec_lo, exec_lo, s22
	s_and_saveexec_b32 s22, s24
	s_cbranch_execz .LBB189_551
; %bb.567:                              ;   in Loop: Header=BB189_553 Depth=1
	v_cmp_le_u64_e32 vcc_lo, s[10:11], v[8:9]
	v_add_co_u32 v4, s1, v4, s34
	v_add_co_ci_u32_e64 v5, null, s35, v5, s1
	s_or_b32 s23, s23, exec_lo
	s_orn2_b32 s1, vcc_lo, exec_lo
	s_branch .LBB189_551
.LBB189_568:
	s_or_b32 s8, s8, exec_lo
	s_trap 2
	s_branch .LBB189_528
.LBB189_569:
	s_or_b32 exec_lo, exec_lo, s19
	s_mov_b32 s0, 0
	s_and_saveexec_b32 s1, s20
	s_xor_b32 s1, exec_lo, s1
	s_cbranch_execnz .LBB189_575
.LBB189_570:
	s_or_b32 exec_lo, exec_lo, s1
	s_and_b32 s1, s0, exec_lo
.LBB189_571:
	s_or_b32 exec_lo, exec_lo, s18
	s_and_b32 s18, s1, exec_lo
	s_andn2_b32 s3, s3, exec_lo
	s_or_b32 exec_lo, exec_lo, s4
	s_and_saveexec_b32 s0, s3
	s_xor_b32 s0, exec_lo, s0
	s_cbranch_execz .LBB189_522
.LBB189_572:
	s_or_b32 s18, s18, exec_lo
	s_trap 2
	s_branch .LBB189_522
.LBB189_573:
	s_or_b32 s8, s8, exec_lo
	s_trap 2
	s_branch .LBB189_526
.LBB189_574:
	s_or_b32 s8, s8, exec_lo
	s_trap 2
	s_branch .LBB189_524
.LBB189_575:
	s_mov_b32 s0, exec_lo
	s_trap 2
	s_branch .LBB189_570
	.section	.rodata,"a",@progbits
	.p2align	6, 0x0
	.amdhsa_kernel _ZN2at6native6sbtopk10gatherTopKIdmLin1ELb0EEEvNS_4cuda6detail10TensorInfoIKT_T0_EES8_S8_bS8_S8_NS5_IS6_S8_EES8_NS5_IlS8_EES8_PS6_
		.amdhsa_group_segment_fixed_size 5152
		.amdhsa_private_segment_fixed_size 0
		.amdhsa_kernarg_size 1568
		.amdhsa_user_sgpr_count 6
		.amdhsa_user_sgpr_private_segment_buffer 1
		.amdhsa_user_sgpr_dispatch_ptr 0
		.amdhsa_user_sgpr_queue_ptr 0
		.amdhsa_user_sgpr_kernarg_segment_ptr 1
		.amdhsa_user_sgpr_dispatch_id 0
		.amdhsa_user_sgpr_flat_scratch_init 0
		.amdhsa_user_sgpr_private_segment_size 0
		.amdhsa_wavefront_size32 1
		.amdhsa_uses_dynamic_stack 0
		.amdhsa_system_sgpr_private_segment_wavefront_offset 0
		.amdhsa_system_sgpr_workgroup_id_x 1
		.amdhsa_system_sgpr_workgroup_id_y 1
		.amdhsa_system_sgpr_workgroup_id_z 1
		.amdhsa_system_sgpr_workgroup_info 0
		.amdhsa_system_vgpr_workitem_id 0
		.amdhsa_next_free_vgpr 56
		.amdhsa_next_free_sgpr 105
		.amdhsa_reserve_vcc 1
		.amdhsa_reserve_flat_scratch 0
		.amdhsa_float_round_mode_32 0
		.amdhsa_float_round_mode_16_64 0
		.amdhsa_float_denorm_mode_32 3
		.amdhsa_float_denorm_mode_16_64 3
		.amdhsa_dx10_clamp 1
		.amdhsa_ieee_mode 1
		.amdhsa_fp16_overflow 0
		.amdhsa_workgroup_processor_mode 1
		.amdhsa_memory_ordered 1
		.amdhsa_forward_progress 1
		.amdhsa_shared_vgpr_count 0
		.amdhsa_exception_fp_ieee_invalid_op 0
		.amdhsa_exception_fp_denorm_src 0
		.amdhsa_exception_fp_ieee_div_zero 0
		.amdhsa_exception_fp_ieee_overflow 0
		.amdhsa_exception_fp_ieee_underflow 0
		.amdhsa_exception_fp_ieee_inexact 0
		.amdhsa_exception_int_div_zero 0
	.end_amdhsa_kernel
	.section	.text._ZN2at6native6sbtopk10gatherTopKIdmLin1ELb0EEEvNS_4cuda6detail10TensorInfoIKT_T0_EES8_S8_bS8_S8_NS5_IS6_S8_EES8_NS5_IlS8_EES8_PS6_,"axG",@progbits,_ZN2at6native6sbtopk10gatherTopKIdmLin1ELb0EEEvNS_4cuda6detail10TensorInfoIKT_T0_EES8_S8_bS8_S8_NS5_IS6_S8_EES8_NS5_IlS8_EES8_PS6_,comdat
.Lfunc_end189:
	.size	_ZN2at6native6sbtopk10gatherTopKIdmLin1ELb0EEEvNS_4cuda6detail10TensorInfoIKT_T0_EES8_S8_bS8_S8_NS5_IS6_S8_EES8_NS5_IlS8_EES8_PS6_, .Lfunc_end189-_ZN2at6native6sbtopk10gatherTopKIdmLin1ELb0EEEvNS_4cuda6detail10TensorInfoIKT_T0_EES8_S8_bS8_S8_NS5_IS6_S8_EES8_NS5_IlS8_EES8_PS6_
                                        ; -- End function
	.set _ZN2at6native6sbtopk10gatherTopKIdmLin1ELb0EEEvNS_4cuda6detail10TensorInfoIKT_T0_EES8_S8_bS8_S8_NS5_IS6_S8_EES8_NS5_IlS8_EES8_PS6_.num_vgpr, 56
	.set _ZN2at6native6sbtopk10gatherTopKIdmLin1ELb0EEEvNS_4cuda6detail10TensorInfoIKT_T0_EES8_S8_bS8_S8_NS5_IS6_S8_EES8_NS5_IlS8_EES8_PS6_.num_agpr, 0
	.set _ZN2at6native6sbtopk10gatherTopKIdmLin1ELb0EEEvNS_4cuda6detail10TensorInfoIKT_T0_EES8_S8_bS8_S8_NS5_IS6_S8_EES8_NS5_IlS8_EES8_PS6_.numbered_sgpr, 105
	.set _ZN2at6native6sbtopk10gatherTopKIdmLin1ELb0EEEvNS_4cuda6detail10TensorInfoIKT_T0_EES8_S8_bS8_S8_NS5_IS6_S8_EES8_NS5_IlS8_EES8_PS6_.num_named_barrier, 0
	.set _ZN2at6native6sbtopk10gatherTopKIdmLin1ELb0EEEvNS_4cuda6detail10TensorInfoIKT_T0_EES8_S8_bS8_S8_NS5_IS6_S8_EES8_NS5_IlS8_EES8_PS6_.private_seg_size, 0
	.set _ZN2at6native6sbtopk10gatherTopKIdmLin1ELb0EEEvNS_4cuda6detail10TensorInfoIKT_T0_EES8_S8_bS8_S8_NS5_IS6_S8_EES8_NS5_IlS8_EES8_PS6_.uses_vcc, 1
	.set _ZN2at6native6sbtopk10gatherTopKIdmLin1ELb0EEEvNS_4cuda6detail10TensorInfoIKT_T0_EES8_S8_bS8_S8_NS5_IS6_S8_EES8_NS5_IlS8_EES8_PS6_.uses_flat_scratch, 0
	.set _ZN2at6native6sbtopk10gatherTopKIdmLin1ELb0EEEvNS_4cuda6detail10TensorInfoIKT_T0_EES8_S8_bS8_S8_NS5_IS6_S8_EES8_NS5_IlS8_EES8_PS6_.has_dyn_sized_stack, 0
	.set _ZN2at6native6sbtopk10gatherTopKIdmLin1ELb0EEEvNS_4cuda6detail10TensorInfoIKT_T0_EES8_S8_bS8_S8_NS5_IS6_S8_EES8_NS5_IlS8_EES8_PS6_.has_recursion, 0
	.set _ZN2at6native6sbtopk10gatherTopKIdmLin1ELb0EEEvNS_4cuda6detail10TensorInfoIKT_T0_EES8_S8_bS8_S8_NS5_IS6_S8_EES8_NS5_IlS8_EES8_PS6_.has_indirect_call, 0
	.section	.AMDGPU.csdata,"",@progbits
; Kernel info:
; codeLenInByte = 28204
; TotalNumSgprs: 107
; NumVgprs: 56
; ScratchSize: 0
; MemoryBound: 0
; FloatMode: 240
; IeeeMode: 1
; LDSByteSize: 5152 bytes/workgroup (compile time only)
; SGPRBlocks: 0
; VGPRBlocks: 6
; NumSGPRsForWavesPerEU: 107
; NumVGPRsForWavesPerEU: 56
; Occupancy: 16
; WaveLimiterHint : 1
; COMPUTE_PGM_RSRC2:SCRATCH_EN: 0
; COMPUTE_PGM_RSRC2:USER_SGPR: 6
; COMPUTE_PGM_RSRC2:TRAP_HANDLER: 0
; COMPUTE_PGM_RSRC2:TGID_X_EN: 1
; COMPUTE_PGM_RSRC2:TGID_Y_EN: 1
; COMPUTE_PGM_RSRC2:TGID_Z_EN: 1
; COMPUTE_PGM_RSRC2:TIDIG_COMP_CNT: 0
	.section	.text._ZN2at6native6mbtopk23computeBlockDigitCountsIfmjLi1EEEvNS_4cuda6detail10TensorInfoIKT_T0_EEjPjjS8_iijT1_PSB_Ps,"axG",@progbits,_ZN2at6native6mbtopk23computeBlockDigitCountsIfmjLi1EEEvNS_4cuda6detail10TensorInfoIKT_T0_EEjPjjS8_iijT1_PSB_Ps,comdat
	.protected	_ZN2at6native6mbtopk23computeBlockDigitCountsIfmjLi1EEEvNS_4cuda6detail10TensorInfoIKT_T0_EEjPjjS8_iijT1_PSB_Ps ; -- Begin function _ZN2at6native6mbtopk23computeBlockDigitCountsIfmjLi1EEEvNS_4cuda6detail10TensorInfoIKT_T0_EEjPjjS8_iijT1_PSB_Ps
	.globl	_ZN2at6native6mbtopk23computeBlockDigitCountsIfmjLi1EEEvNS_4cuda6detail10TensorInfoIKT_T0_EEjPjjS8_iijT1_PSB_Ps
	.p2align	8
	.type	_ZN2at6native6mbtopk23computeBlockDigitCountsIfmjLi1EEEvNS_4cuda6detail10TensorInfoIKT_T0_EEjPjjS8_iijT1_PSB_Ps,@function
_ZN2at6native6mbtopk23computeBlockDigitCountsIfmjLi1EEEvNS_4cuda6detail10TensorInfoIKT_T0_EEjPjjS8_iijT1_PSB_Ps: ; @_ZN2at6native6mbtopk23computeBlockDigitCountsIfmjLi1EEEvNS_4cuda6detail10TensorInfoIKT_T0_EEjPjjS8_iijT1_PSB_Ps
; %bb.0:
	s_clause 0x2
	s_load_dwordx4 s[12:15], s[4:5], 0x1c0
	s_load_dword s3, s[4:5], 0x1b0
	s_load_dwordx2 s[0:1], s[4:5], 0x1e0
	s_mov_b32 s9, 0
	s_waitcnt lgkmcnt(0)
	v_cvt_f32_u32_e32 v1, s14
	s_mul_i32 s1, s1, s8
	s_sub_i32 s8, 0, s14
	s_add_i32 s1, s1, s7
	v_rcp_iflag_f32_e32 v1, v1
	s_mul_i32 s10, s1, s0
	s_add_i32 s10, s10, s6
	v_mul_f32_e32 v1, 0x4f7ffffe, v1
	v_cvt_u32_f32_e32 v1, v1
	v_readfirstlane_b32 s2, v1
	s_mul_i32 s8, s8, s2
	s_mul_hi_u32 s0, s2, s8
	s_add_i32 s2, s2, s0
	s_mul_hi_u32 s0, s10, s2
	s_mul_i32 s1, s0, s14
	s_add_i32 s2, s0, 1
	s_sub_i32 s1, s10, s1
	s_sub_i32 s6, s1, s14
	s_cmp_ge_u32 s1, s14
	s_cselect_b32 s0, s2, s0
	s_cselect_b32 s1, s6, s1
	s_add_i32 s2, s0, 1
	s_cmp_ge_u32 s1, s14
	s_cselect_b32 s8, s2, s0
	s_cmp_ge_u32 s8, s3
	s_cbranch_scc1 .LBB190_21
; %bb.1:
	s_load_dwordx4 s[0:3], s[4:5], 0x1d0
	s_lshl_b64 s[6:7], s[8:9], 2
	v_cmp_gt_u32_e32 vcc_lo, 0x100, v0
	v_lshlrev_b32_e32 v1, 2, v0
	s_waitcnt lgkmcnt(0)
	s_add_u32 s0, s0, s6
	s_addc_u32 s1, s1, s7
	s_and_saveexec_b32 s6, vcc_lo
; %bb.2:
	v_mov_b32_e32 v2, 0
	ds_write_b32 v1, v2
; %bb.3:
	s_or_b32 exec_lo, exec_lo, s6
	s_load_dword s9, s[4:5], 0x1a0
	s_mul_i32 s6, s8, s14
	s_waitcnt lgkmcnt(0)
	s_sub_i32 s6, s10, s6
	s_barrier
	s_mul_i32 s7, s13, s6
	s_add_i32 s11, s6, 1
	s_lshl_b32 s16, s7, 8
	buffer_gl0_inv
	s_sub_i32 s7, s9, s16
	s_add_u32 s6, s7, 0xff
	s_addc_u32 s7, 0, 0
	s_lshr_b64 s[6:7], s[6:7], 8
	s_cmp_lt_u32 s11, s14
	s_cselect_b32 s11, s13, s6
	s_mov_b32 s13, 0
	s_cmp_lt_i32 s11, 1
	s_cbranch_scc1 .LBB190_19
; %bb.4:
	s_clause 0x2
	s_load_dwordx2 s[18:19], s[4:5], 0xd0
	s_load_dwordx2 s[6:7], s[4:5], 0x1b8
	;; [unrolled: 1-line block ×3, first 2 shown]
	s_load_dword s1, s[0:1], 0x0
	v_add_nc_u32_e32 v2, s16, v0
	s_waitcnt lgkmcnt(0)
	s_mul_i32 s0, s19, s8
	s_mul_hi_u32 s5, s18, s8
	s_mul_i32 s4, s18, s8
	s_add_i32 s5, s5, s0
	s_lshl_b64 s[18:19], s[4:5], 2
	s_add_u32 s5, s20, s18
	s_addc_u32 s8, s21, s19
	s_and_b32 s4, s12, 0xff
	s_cmp_eq_u32 s11, 1
	s_cbranch_scc1 .LBB190_14
; %bb.5:
	v_mov_b32_e32 v3, 1
	v_mov_b32_e32 v4, v2
	s_and_b32 s12, s11, 0x7ffffffe
	s_branch .LBB190_7
.LBB190_6:                              ;   in Loop: Header=BB190_7 Depth=1
	s_or_b32 exec_lo, exec_lo, s14
	v_add_nc_u32_e32 v4, 0x200, v4
	s_add_i32 s13, s13, 2
	s_cmp_eq_u32 s12, s13
	s_cbranch_scc1 .LBB190_13
.LBB190_7:                              ; =>This Inner Loop Header: Depth=1
	s_mov_b32 s14, exec_lo
	v_cmpx_gt_u32_e64 s9, v4
	s_cbranch_execz .LBB190_10
; %bb.8:                                ;   in Loop: Header=BB190_7 Depth=1
	v_mad_u64_u32 v[5:6], null, s6, v4, 0
	v_mad_u64_u32 v[6:7], null, s7, v4, v[6:7]
	v_lshlrev_b64 v[5:6], 2, v[5:6]
	v_add_co_u32 v5, s0, s5, v5
	v_add_co_ci_u32_e64 v6, null, s8, v6, s0
	global_load_dword v5, v[5:6], off
	s_waitcnt vmcnt(0)
	v_cmp_lt_i32_e64 s0, -1, v5
	v_cndmask_b32_e64 v6, -1, 0x80000000, s0
	v_cmp_o_f32_e64 s0, v5, v5
	v_xor_b32_e32 v6, v6, v5
	v_cndmask_b32_e64 v5, -1, v6, s0
	v_xor_b32_e32 v6, s1, v5
	v_and_b32_e32 v6, s15, v6
	v_cmp_eq_u32_e64 s0, 0, v6
	s_and_b32 exec_lo, exec_lo, s0
; %bb.9:                                ;   in Loop: Header=BB190_7 Depth=1
	v_bfe_u32 v5, v5, s4, 8
	v_lshlrev_b32_e32 v5, 2, v5
	ds_add_u32 v5, v3
.LBB190_10:                             ;   in Loop: Header=BB190_7 Depth=1
	s_or_b32 exec_lo, exec_lo, s14
	v_add_nc_u32_e32 v5, 0x100, v4
	s_mov_b32 s14, exec_lo
	v_cmpx_gt_u32_e64 s9, v5
	s_cbranch_execz .LBB190_6
; %bb.11:                               ;   in Loop: Header=BB190_7 Depth=1
	v_mad_u64_u32 v[6:7], null, s6, v5, 0
	v_mad_u64_u32 v[7:8], null, s7, v5, v[7:8]
	v_lshlrev_b64 v[5:6], 2, v[6:7]
	v_add_co_u32 v5, s0, s5, v5
	v_add_co_ci_u32_e64 v6, null, s8, v6, s0
	global_load_dword v5, v[5:6], off
	s_waitcnt vmcnt(0)
	v_cmp_lt_i32_e64 s0, -1, v5
	v_cndmask_b32_e64 v6, -1, 0x80000000, s0
	v_cmp_o_f32_e64 s0, v5, v5
	v_xor_b32_e32 v6, v6, v5
	v_cndmask_b32_e64 v5, -1, v6, s0
	v_xor_b32_e32 v6, s1, v5
	v_and_b32_e32 v6, s15, v6
	v_cmp_eq_u32_e64 s0, 0, v6
	s_and_b32 exec_lo, exec_lo, s0
	s_cbranch_execz .LBB190_6
; %bb.12:                               ;   in Loop: Header=BB190_7 Depth=1
	v_bfe_u32 v5, v5, s4, 8
	v_lshlrev_b32_e32 v5, 2, v5
	ds_add_u32 v5, v3
	s_branch .LBB190_6
.LBB190_13:
	s_lshl_b32 s13, s12, 8
.LBB190_14:
	s_bitcmp0_b32 s11, 0
	s_cbranch_scc1 .LBB190_19
; %bb.15:
	v_add_nc_u32_e32 v2, s13, v2
	v_cmp_gt_u32_e64 s0, s9, v2
	s_and_saveexec_b32 s9, s0
	s_cbranch_execz .LBB190_18
; %bb.16:
	v_mad_u64_u32 v[3:4], null, s6, v2, 0
	v_mad_u64_u32 v[4:5], null, s7, v2, v[4:5]
	v_lshlrev_b64 v[2:3], 2, v[3:4]
	v_add_co_u32 v2, s0, s5, v2
	v_add_co_ci_u32_e64 v3, null, s8, v3, s0
	global_load_dword v2, v[2:3], off
	s_waitcnt vmcnt(0)
	v_cmp_lt_i32_e64 s0, -1, v2
	v_cndmask_b32_e64 v3, -1, 0x80000000, s0
	v_cmp_o_f32_e64 s0, v2, v2
	v_xor_b32_e32 v3, v3, v2
	v_cndmask_b32_e64 v2, -1, v3, s0
	v_xor_b32_e32 v3, s1, v2
	v_and_b32_e32 v3, s15, v3
	v_cmp_eq_u32_e64 s0, 0, v3
	s_and_b32 exec_lo, exec_lo, s0
	s_cbranch_execz .LBB190_18
; %bb.17:
	v_bfe_u32 v2, v2, s4, 8
	v_mov_b32_e32 v3, 1
	v_lshlrev_b32_e32 v2, 2, v2
	ds_add_u32 v2, v3
.LBB190_18:
	s_or_b32 exec_lo, exec_lo, s9
.LBB190_19:
	s_waitcnt lgkmcnt(0)
	s_barrier
	buffer_gl0_inv
	s_and_saveexec_b32 s0, vcc_lo
	s_cbranch_execz .LBB190_21
; %bb.20:
	ds_read_b32 v2, v1
	v_lshl_or_b32 v0, s10, 8, v0
	v_mov_b32_e32 v1, 0
	v_lshlrev_b64 v[0:1], 1, v[0:1]
	v_add_co_u32 v0, vcc_lo, s2, v0
	v_add_co_ci_u32_e64 v1, null, s3, v1, vcc_lo
	s_waitcnt lgkmcnt(0)
	global_store_short v[0:1], v2, off
.LBB190_21:
	s_endpgm
	.section	.rodata,"a",@progbits
	.p2align	6, 0x0
	.amdhsa_kernel _ZN2at6native6mbtopk23computeBlockDigitCountsIfmjLi1EEEvNS_4cuda6detail10TensorInfoIKT_T0_EEjPjjS8_iijT1_PSB_Ps
		.amdhsa_group_segment_fixed_size 1024
		.amdhsa_private_segment_fixed_size 0
		.amdhsa_kernarg_size 736
		.amdhsa_user_sgpr_count 6
		.amdhsa_user_sgpr_private_segment_buffer 1
		.amdhsa_user_sgpr_dispatch_ptr 0
		.amdhsa_user_sgpr_queue_ptr 0
		.amdhsa_user_sgpr_kernarg_segment_ptr 1
		.amdhsa_user_sgpr_dispatch_id 0
		.amdhsa_user_sgpr_flat_scratch_init 0
		.amdhsa_user_sgpr_private_segment_size 0
		.amdhsa_wavefront_size32 1
		.amdhsa_uses_dynamic_stack 0
		.amdhsa_system_sgpr_private_segment_wavefront_offset 0
		.amdhsa_system_sgpr_workgroup_id_x 1
		.amdhsa_system_sgpr_workgroup_id_y 1
		.amdhsa_system_sgpr_workgroup_id_z 1
		.amdhsa_system_sgpr_workgroup_info 0
		.amdhsa_system_vgpr_workitem_id 0
		.amdhsa_next_free_vgpr 9
		.amdhsa_next_free_sgpr 22
		.amdhsa_reserve_vcc 1
		.amdhsa_reserve_flat_scratch 0
		.amdhsa_float_round_mode_32 0
		.amdhsa_float_round_mode_16_64 0
		.amdhsa_float_denorm_mode_32 3
		.amdhsa_float_denorm_mode_16_64 3
		.amdhsa_dx10_clamp 1
		.amdhsa_ieee_mode 1
		.amdhsa_fp16_overflow 0
		.amdhsa_workgroup_processor_mode 1
		.amdhsa_memory_ordered 1
		.amdhsa_forward_progress 1
		.amdhsa_shared_vgpr_count 0
		.amdhsa_exception_fp_ieee_invalid_op 0
		.amdhsa_exception_fp_denorm_src 0
		.amdhsa_exception_fp_ieee_div_zero 0
		.amdhsa_exception_fp_ieee_overflow 0
		.amdhsa_exception_fp_ieee_underflow 0
		.amdhsa_exception_fp_ieee_inexact 0
		.amdhsa_exception_int_div_zero 0
	.end_amdhsa_kernel
	.section	.text._ZN2at6native6mbtopk23computeBlockDigitCountsIfmjLi1EEEvNS_4cuda6detail10TensorInfoIKT_T0_EEjPjjS8_iijT1_PSB_Ps,"axG",@progbits,_ZN2at6native6mbtopk23computeBlockDigitCountsIfmjLi1EEEvNS_4cuda6detail10TensorInfoIKT_T0_EEjPjjS8_iijT1_PSB_Ps,comdat
.Lfunc_end190:
	.size	_ZN2at6native6mbtopk23computeBlockDigitCountsIfmjLi1EEEvNS_4cuda6detail10TensorInfoIKT_T0_EEjPjjS8_iijT1_PSB_Ps, .Lfunc_end190-_ZN2at6native6mbtopk23computeBlockDigitCountsIfmjLi1EEEvNS_4cuda6detail10TensorInfoIKT_T0_EEjPjjS8_iijT1_PSB_Ps
                                        ; -- End function
	.set _ZN2at6native6mbtopk23computeBlockDigitCountsIfmjLi1EEEvNS_4cuda6detail10TensorInfoIKT_T0_EEjPjjS8_iijT1_PSB_Ps.num_vgpr, 9
	.set _ZN2at6native6mbtopk23computeBlockDigitCountsIfmjLi1EEEvNS_4cuda6detail10TensorInfoIKT_T0_EEjPjjS8_iijT1_PSB_Ps.num_agpr, 0
	.set _ZN2at6native6mbtopk23computeBlockDigitCountsIfmjLi1EEEvNS_4cuda6detail10TensorInfoIKT_T0_EEjPjjS8_iijT1_PSB_Ps.numbered_sgpr, 22
	.set _ZN2at6native6mbtopk23computeBlockDigitCountsIfmjLi1EEEvNS_4cuda6detail10TensorInfoIKT_T0_EEjPjjS8_iijT1_PSB_Ps.num_named_barrier, 0
	.set _ZN2at6native6mbtopk23computeBlockDigitCountsIfmjLi1EEEvNS_4cuda6detail10TensorInfoIKT_T0_EEjPjjS8_iijT1_PSB_Ps.private_seg_size, 0
	.set _ZN2at6native6mbtopk23computeBlockDigitCountsIfmjLi1EEEvNS_4cuda6detail10TensorInfoIKT_T0_EEjPjjS8_iijT1_PSB_Ps.uses_vcc, 1
	.set _ZN2at6native6mbtopk23computeBlockDigitCountsIfmjLi1EEEvNS_4cuda6detail10TensorInfoIKT_T0_EEjPjjS8_iijT1_PSB_Ps.uses_flat_scratch, 0
	.set _ZN2at6native6mbtopk23computeBlockDigitCountsIfmjLi1EEEvNS_4cuda6detail10TensorInfoIKT_T0_EEjPjjS8_iijT1_PSB_Ps.has_dyn_sized_stack, 0
	.set _ZN2at6native6mbtopk23computeBlockDigitCountsIfmjLi1EEEvNS_4cuda6detail10TensorInfoIKT_T0_EEjPjjS8_iijT1_PSB_Ps.has_recursion, 0
	.set _ZN2at6native6mbtopk23computeBlockDigitCountsIfmjLi1EEEvNS_4cuda6detail10TensorInfoIKT_T0_EEjPjjS8_iijT1_PSB_Ps.has_indirect_call, 0
	.section	.AMDGPU.csdata,"",@progbits
; Kernel info:
; codeLenInByte = 992
; TotalNumSgprs: 24
; NumVgprs: 9
; ScratchSize: 0
; MemoryBound: 0
; FloatMode: 240
; IeeeMode: 1
; LDSByteSize: 1024 bytes/workgroup (compile time only)
; SGPRBlocks: 0
; VGPRBlocks: 1
; NumSGPRsForWavesPerEU: 24
; NumVGPRsForWavesPerEU: 9
; Occupancy: 16
; WaveLimiterHint : 1
; COMPUTE_PGM_RSRC2:SCRATCH_EN: 0
; COMPUTE_PGM_RSRC2:USER_SGPR: 6
; COMPUTE_PGM_RSRC2:TRAP_HANDLER: 0
; COMPUTE_PGM_RSRC2:TGID_X_EN: 1
; COMPUTE_PGM_RSRC2:TGID_Y_EN: 1
; COMPUTE_PGM_RSRC2:TGID_Z_EN: 1
; COMPUTE_PGM_RSRC2:TIDIG_COMP_CNT: 0
	.section	.text._ZN2at6native6mbtopk10gatherTopKIfmLi1EEEvNS_4cuda6detail10TensorInfoIKT_T0_EES8_S8_bjS8_NS5_IS6_S8_EES8_NS5_IlS8_EES8_jjPS6_PjSD_j,"axG",@progbits,_ZN2at6native6mbtopk10gatherTopKIfmLi1EEEvNS_4cuda6detail10TensorInfoIKT_T0_EES8_S8_bjS8_NS5_IS6_S8_EES8_NS5_IlS8_EES8_jjPS6_PjSD_j,comdat
	.protected	_ZN2at6native6mbtopk10gatherTopKIfmLi1EEEvNS_4cuda6detail10TensorInfoIKT_T0_EES8_S8_bjS8_NS5_IS6_S8_EES8_NS5_IlS8_EES8_jjPS6_PjSD_j ; -- Begin function _ZN2at6native6mbtopk10gatherTopKIfmLi1EEEvNS_4cuda6detail10TensorInfoIKT_T0_EES8_S8_bjS8_NS5_IS6_S8_EES8_NS5_IlS8_EES8_jjPS6_PjSD_j
	.globl	_ZN2at6native6mbtopk10gatherTopKIfmLi1EEEvNS_4cuda6detail10TensorInfoIKT_T0_EES8_S8_bjS8_NS5_IS6_S8_EES8_NS5_IlS8_EES8_jjPS6_PjSD_j
	.p2align	8
	.type	_ZN2at6native6mbtopk10gatherTopKIfmLi1EEEvNS_4cuda6detail10TensorInfoIKT_T0_EES8_S8_bjS8_NS5_IS6_S8_EES8_NS5_IlS8_EES8_jjPS6_PjSD_j,@function
_ZN2at6native6mbtopk10gatherTopKIfmLi1EEEvNS_4cuda6detail10TensorInfoIKT_T0_EES8_S8_bjS8_NS5_IS6_S8_EES8_NS5_IlS8_EES8_jjPS6_PjSD_j: ; @_ZN2at6native6mbtopk10gatherTopKIfmLi1EEEvNS_4cuda6detail10TensorInfoIKT_T0_EES8_S8_bjS8_NS5_IS6_S8_EES8_NS5_IlS8_EES8_jjPS6_PjSD_j
; %bb.0:
	s_clause 0x1
	s_load_dwordx2 s[0:1], s[4:5], 0x538
	s_load_dword s2, s[4:5], 0x530
	s_waitcnt lgkmcnt(0)
	s_mul_i32 s1, s1, s8
	s_add_i32 s1, s1, s7
	s_mul_i32 s0, s1, s0
	s_add_i32 s0, s0, s6
	s_cmp_ge_u32 s0, s2
	s_cbranch_scc1 .LBB191_42
; %bb.1:
	s_clause 0x1
	s_load_dwordx2 s[6:7], s[4:5], 0x510
	s_load_dwordx4 s[8:11], s[4:5], 0x1a0
	s_mov_b32 s21, 0
	s_waitcnt lgkmcnt(0)
	v_cvt_f32_u32_e32 v1, s7
	s_sub_i32 s2, 0, s7
	s_lshl_b32 s33, s6, 8
	v_rcp_iflag_f32_e32 v1, v1
	v_mul_f32_e32 v1, 0x4f7ffffe, v1
	v_cvt_u32_f32_e32 v1, v1
	v_readfirstlane_b32 s1, v1
	s_mul_i32 s2, s2, s1
	s_mul_hi_u32 s2, s1, s2
	s_add_i32 s1, s1, s2
	s_mul_hi_u32 s1, s0, s1
	s_mul_i32 s2, s1, s7
	s_add_i32 s3, s1, 1
	s_sub_i32 s2, s0, s2
	s_sub_i32 s12, s2, s7
	s_cmp_ge_u32 s2, s7
	s_cselect_b32 s1, s3, s1
	s_cselect_b32 s2, s12, s2
	s_add_i32 s3, s1, 1
	s_cmp_ge_u32 s2, s7
	s_cselect_b32 s20, s3, s1
	s_mul_i32 s16, s20, s7
	s_sub_i32 s36, s0, s16
	s_add_i32 s0, s36, 1
	s_cmp_lt_u32 s0, s7
	s_cbranch_scc1 .LBB191_3
; %bb.2:
	s_mul_i32 s0, s36, s33
	s_sub_u32 s0, s8, s0
	s_subb_u32 s1, s9, 0
	s_add_u32 s0, s0, 0xff
	s_addc_u32 s1, s1, 0
	s_ashr_i32 s2, s1, 31
	s_lshr_b32 s2, s2, 24
	s_add_u32 s0, s0, s2
	s_addc_u32 s1, s1, 0
	s_lshr_b64 s[0:1], s[0:1], 8
	s_mov_b32 s6, s0
.LBB191_3:
	s_load_dwordx4 s[0:3], s[4:5], 0x518
	s_lshl_b64 s[12:13], s[20:21], 2
	s_waitcnt lgkmcnt(0)
	s_add_u32 s0, s0, s12
	s_addc_u32 s1, s1, s13
	s_clause 0x3
	s_load_dwordx2 s[22:23], s[4:5], 0x0
	s_load_dwordx2 s[28:29], s[4:5], 0xd0
	;; [unrolled: 1-line block ×4, first 2 shown]
	s_load_dword s21, s[0:1], 0x0
	v_cmp_ne_u32_e64 s0, 0, v0
	v_cmp_eq_u32_e64 s1, 0, v0
	s_and_saveexec_b32 s37, s1
	s_cbranch_execz .LBB191_19
; %bb.4:
	s_load_dwordx2 s[18:19], s[4:5], 0x528
	s_mov_b32 s17, 0
	s_mov_b32 s38, 0
	s_lshl_b64 s[30:31], s[16:17], 2
	s_mov_b32 s16, 0
	s_add_u32 s12, s2, s30
	s_addc_u32 s13, s3, s31
	s_waitcnt lgkmcnt(0)
	s_add_u32 s14, s18, s30
	s_addc_u32 s15, s19, s31
	s_cmp_lt_u32 s7, 4
	s_cbranch_scc1 .LBB191_16
; %bb.5:
	s_mov_b32 s39, 0
.LBB191_6:                              ; =>This Inner Loop Header: Depth=1
	s_add_u32 s12, s2, s30
	s_addc_u32 s13, s3, s31
	s_add_u32 s34, s18, s30
	s_load_dwordx4 s[12:15], s[12:13], 0x0
	s_addc_u32 s35, s19, s31
	s_cmp_ge_u32 s39, s36
	s_cbranch_scc0 .LBB191_13
; %bb.7:                                ;   in Loop: Header=BB191_6 Depth=1
	s_add_i32 s40, s39, 1
	s_cmp_ge_u32 s40, s36
	s_cbranch_scc0 .LBB191_14
.LBB191_8:                              ;   in Loop: Header=BB191_6 Depth=1
	s_add_i32 s40, s40, 1
	s_cmp_ge_u32 s40, s36
	s_cbranch_scc0 .LBB191_15
.LBB191_9:                              ;   in Loop: Header=BB191_6 Depth=1
	s_add_i32 s40, s40, 1
	s_cmp_ge_u32 s40, s36
	s_cbranch_scc1 .LBB191_11
.LBB191_10:                             ;   in Loop: Header=BB191_6 Depth=1
	s_load_dword s34, s[34:35], 0xc
	s_waitcnt lgkmcnt(0)
	s_add_i32 s17, s17, s15
	s_add_i32 s16, s34, s16
.LBB191_11:                             ;   in Loop: Header=BB191_6 Depth=1
	s_waitcnt lgkmcnt(0)
	s_add_i32 s12, s12, s38
	s_add_i32 s12, s12, s13
	;; [unrolled: 1-line block ×4, first 2 shown]
	s_add_u32 s2, s2, 16
	s_addc_u32 s3, s3, 0
	s_add_u32 s18, s18, 16
	s_addc_u32 s19, s19, 0
	s_add_i32 s35, s40, 4
	s_add_u32 s14, s18, s30
	s_addc_u32 s15, s19, s31
	s_add_u32 s12, s2, s30
	s_addc_u32 s13, s3, s31
	s_add_i32 s34, s40, 1
	s_cmp_ge_u32 s35, s7
	s_cbranch_scc1 .LBB191_17
; %bb.12:                               ;   in Loop: Header=BB191_6 Depth=1
	s_mov_b32 s39, s34
	s_branch .LBB191_6
.LBB191_13:                             ;   in Loop: Header=BB191_6 Depth=1
	s_load_dword s40, s[34:35], 0x0
	s_waitcnt lgkmcnt(0)
	s_add_i32 s17, s12, s17
	s_add_i32 s16, s40, s16
	;; [unrolled: 1-line block ×3, first 2 shown]
	s_cmp_ge_u32 s40, s36
	s_cbranch_scc1 .LBB191_8
.LBB191_14:                             ;   in Loop: Header=BB191_6 Depth=1
	s_load_dword s41, s[34:35], 0x4
	s_waitcnt lgkmcnt(0)
	s_add_i32 s17, s17, s13
	s_add_i32 s16, s41, s16
	;; [unrolled: 1-line block ×3, first 2 shown]
	s_cmp_ge_u32 s40, s36
	s_cbranch_scc1 .LBB191_9
.LBB191_15:                             ;   in Loop: Header=BB191_6 Depth=1
	s_load_dword s41, s[34:35], 0x8
	s_waitcnt lgkmcnt(0)
	s_add_i32 s17, s17, s14
	s_add_i32 s16, s41, s16
	s_add_i32 s40, s40, 1
	s_cmp_ge_u32 s40, s36
	s_cbranch_scc0 .LBB191_10
	s_branch .LBB191_11
.LBB191_16:
	s_mov_b32 s2, 0
	s_cmp_ge_u32 s2, s7
	s_cbranch_scc0 .LBB191_40
	s_branch .LBB191_18
.LBB191_17:
	s_add_i32 s2, s39, 4
	s_cmp_ge_u32 s2, s7
	s_cbranch_scc0 .LBB191_40
.LBB191_18:
	v_mov_b32_e32 v1, s16
	v_mov_b32_e32 v2, s38
	;; [unrolled: 1-line block ×4, first 2 shown]
	ds_write_b96 v4, v[1:3] offset:1056
.LBB191_19:
	s_or_b32 exec_lo, exec_lo, s37
	s_clause 0x1
	s_load_dwordx4 s[12:15], s[4:5], 0x1b8
	s_load_dwordx4 s[16:19], s[4:5], 0x360
	s_cmp_eq_u32 s6, 0
	s_waitcnt lgkmcnt(0)
	s_barrier
	buffer_gl0_inv
	s_cbranch_scc1 .LBB191_42
; %bb.20:
	v_mov_b32_e32 v5, 0
	s_mul_i32 s2, s29, s20
	s_mul_hi_u32 s3, s28, s20
	s_mul_i32 s7, s27, s20
	s_mul_hi_u32 s27, s26, s20
	ds_read_b96 v[1:3], v5 offset:1056
	s_add_i32 s3, s3, s2
	s_mul_i32 s2, s28, s20
	s_add_i32 s27, s27, s7
	s_mul_i32 s7, s25, s20
	s_mul_hi_u32 s25, s24, s20
	s_lshl_b64 s[2:3], s[2:3], 2
	s_add_i32 s25, s25, s7
	s_add_u32 s7, s22, s2
	s_load_dword s22, s[4:5], 0x1b0
	v_add_nc_u32_e32 v4, -1, v0
	s_mul_i32 s26, s26, s20
	s_load_dwordx2 s[4:5], s[4:5], 0x508
	s_mul_i32 s24, s24, s20
	s_addc_u32 s20, s23, s3
	s_lshl_b64 s[2:3], s[26:27], 2
	v_lshrrev_b32_e32 v6, 3, v0
	v_lshrrev_b32_e32 v7, 3, v4
	s_add_u32 s14, s14, s2
	s_addc_u32 s15, s15, s3
	s_waitcnt lgkmcnt(0)
	v_add_nc_u32_e32 v1, v1, v2
	s_lshl_b64 s[2:3], s[24:25], 3
	v_and_b32_e32 v2, 28, v6
	s_add_u32 s18, s18, s2
	v_and_b32_e32 v12, 0x1ffffffc, v7
	v_mad_u64_u32 v[6:7], null, s36, s33, v[0:1]
	s_addc_u32 s19, s19, s3
	s_cmp_gt_i32 s21, -1
	v_cmp_o_f32_e64 s2, s21, s21
	v_and_b32_e32 v10, 0xfc, v0
	v_lshlrev_b32_e32 v11, 5, v0
	v_mbcnt_lo_u32_b32 v8, -1, 0
	s_cselect_b32 s3, 0x80000000, -1
	v_lshl_add_u32 v9, v0, 2, v2
	s_xor_b32 s3, s3, s21
	s_and_b32 s2, s2, exec_lo
	v_cmp_gt_u32_e64 s2, 32, v0
	v_lshl_add_u32 v0, v4, 2, v12
	v_add_nc_u32_e32 v10, v10, v11
	v_and_b32_e32 v11, 15, v8
	v_bfe_i32 v12, v8, 4, 1
	v_add_nc_u32_e32 v13, -1, v8
	v_mov_b32_e32 v4, v6
	s_cselect_b32 s21, s3, -1
	s_bitcmp1_b32 s22, 0
                                        ; implicit-def: $vgpr14
	s_cselect_b32 s3, -1, 0
	s_branch .LBB191_23
.LBB191_21:                             ;   in Loop: Header=BB191_23 Depth=1
	s_or_b32 exec_lo, exec_lo, s22
	v_add_nc_u32_e32 v1, v2, v1
.LBB191_22:                             ;   in Loop: Header=BB191_23 Depth=1
	v_add_nc_u32_e32 v3, v15, v3
	v_add_nc_u32_e32 v4, 0x100, v4
	s_add_i32 s6, s6, -1
	s_cmp_lg_u32 s6, 0
	s_cbranch_scc0 .LBB191_42
.LBB191_23:                             ; =>This Inner Loop Header: Depth=1
	v_mov_b32_e32 v2, v5
	v_mov_b32_e32 v6, v5
	s_mov_b32 s22, exec_lo
	v_cmpx_gt_u64_e64 s[8:9], v[4:5]
	s_cbranch_execz .LBB191_25
; %bb.24:                               ;   in Loop: Header=BB191_23 Depth=1
	v_mad_u64_u32 v[6:7], null, s12, v4, 0
	v_mov_b32_e32 v2, v7
	v_mad_u64_u32 v[14:15], null, s13, v4, v[2:3]
	v_mov_b32_e32 v7, v14
	v_lshlrev_b64 v[6:7], 2, v[6:7]
	v_add_co_u32 v6, vcc_lo, s7, v6
	v_add_co_ci_u32_e64 v7, null, s20, v7, vcc_lo
	global_load_dword v14, v[6:7], off
	s_waitcnt vmcnt(0)
	v_cmp_lt_i32_e32 vcc_lo, -1, v14
	v_cndmask_b32_e64 v2, -1, 0x80000000, vcc_lo
	v_cmp_o_f32_e32 vcc_lo, v14, v14
	v_xor_b32_e32 v2, v2, v14
	v_cndmask_b32_e32 v6, -1, v2, vcc_lo
	v_cmp_lt_u32_e32 vcc_lo, s21, v6
	v_cndmask_b32_e64 v2, 0, 1, vcc_lo
	v_cmp_gt_u32_e32 vcc_lo, s21, v6
	v_cndmask_b32_e64 v7, 0, 1, vcc_lo
	v_cmp_eq_u32_e32 vcc_lo, s21, v6
	v_cndmask_b32_e64 v2, v7, v2, s3
	v_cndmask_b32_e64 v6, 0, 1, vcc_lo
	v_and_b32_e32 v2, 1, v2
.LBB191_25:                             ;   in Loop: Header=BB191_23 Depth=1
	s_or_b32 exec_lo, exec_lo, s22
	ds_write_b32 v9, v2
	s_waitcnt lgkmcnt(0)
	s_barrier
	buffer_gl0_inv
	s_and_saveexec_b32 s22, s2
	s_cbranch_execz .LBB191_27
; %bb.26:                               ;   in Loop: Header=BB191_23 Depth=1
	ds_read2_b32 v[15:16], v10 offset1:1
	ds_read2_b32 v[17:18], v10 offset0:2 offset1:3
	ds_read2_b32 v[19:20], v10 offset0:4 offset1:5
	;; [unrolled: 1-line block ×3, first 2 shown]
	v_cmp_ne_u32_e32 vcc_lo, 0, v11
	; wave barrier
	s_waitcnt lgkmcnt(3)
	v_add_nc_u32_e32 v7, v16, v15
	s_waitcnt lgkmcnt(2)
	v_add3_u32 v7, v7, v17, v18
	s_waitcnt lgkmcnt(1)
	v_add3_u32 v7, v7, v19, v20
	;; [unrolled: 2-line block ×3, first 2 shown]
	v_mov_b32_dpp v16, v7 row_shr:1 row_mask:0xf bank_mask:0xf
	v_cndmask_b32_e32 v16, 0, v16, vcc_lo
	v_cmp_lt_u32_e32 vcc_lo, 1, v11
	v_add_nc_u32_e32 v7, v16, v7
	v_mov_b32_dpp v16, v7 row_shr:2 row_mask:0xf bank_mask:0xf
	v_cndmask_b32_e32 v16, 0, v16, vcc_lo
	v_cmp_lt_u32_e32 vcc_lo, 3, v11
	v_add_nc_u32_e32 v7, v7, v16
	;; [unrolled: 4-line block ×3, first 2 shown]
	v_mov_b32_dpp v16, v7 row_shr:8 row_mask:0xf bank_mask:0xf
	v_cndmask_b32_e32 v16, 0, v16, vcc_lo
	v_cmp_gt_i32_e32 vcc_lo, 0, v13
	v_add_nc_u32_e32 v7, v7, v16
	v_cndmask_b32_e32 v17, v13, v8, vcc_lo
	ds_swizzle_b32 v16, v7 offset:swizzle(BROADCAST,32,15)
	v_lshlrev_b32_e32 v17, 2, v17
	s_waitcnt lgkmcnt(0)
	v_and_b32_e32 v16, v12, v16
	v_add_nc_u32_e32 v7, v7, v16
	ds_bpermute_b32 v7, v17, v7
	s_waitcnt lgkmcnt(0)
	v_add_nc_u32_e32 v7, v7, v15
	v_cndmask_b32_e64 v7, v7, v2, s1
	ds_write_b32 v10, v7
	; wave barrier
	ds_read2_b32 v[15:16], v10 offset0:1 offset1:2
	ds_read2_b32 v[17:18], v10 offset0:3 offset1:4
	;; [unrolled: 1-line block ×3, first 2 shown]
	ds_read_b32 v21, v10 offset:28
	s_waitcnt lgkmcnt(3)
	v_add_nc_u32_e32 v7, v15, v7
	v_add_nc_u32_e32 v15, v16, v7
	s_waitcnt lgkmcnt(2)
	v_add_nc_u32_e32 v16, v17, v15
	v_add_nc_u32_e32 v17, v18, v16
	;; [unrolled: 3-line block ×3, first 2 shown]
	s_waitcnt lgkmcnt(0)
	v_add_nc_u32_e32 v20, v21, v19
	ds_write2_b32 v10, v7, v15 offset0:1 offset1:2
	ds_write2_b32 v10, v16, v17 offset0:3 offset1:4
	;; [unrolled: 1-line block ×3, first 2 shown]
	ds_write_b32 v10, v20 offset:28
.LBB191_27:                             ;   in Loop: Header=BB191_23 Depth=1
	s_or_b32 exec_lo, exec_lo, s22
	v_mov_b32_e32 v7, 0
	s_waitcnt lgkmcnt(0)
	s_barrier
	buffer_gl0_inv
	s_and_saveexec_b32 s22, s0
; %bb.28:                               ;   in Loop: Header=BB191_23 Depth=1
	ds_read_b32 v7, v0
; %bb.29:                               ;   in Loop: Header=BB191_23 Depth=1
	s_or_b32 exec_lo, exec_lo, s22
	ds_read_b32 v15, v5 offset:1048
	s_mov_b32 s22, exec_lo
	s_waitcnt lgkmcnt(0)
	s_barrier
	buffer_gl0_inv
	v_cmpx_ne_u32_e32 0, v2
	s_cbranch_execz .LBB191_31
; %bb.30:                               ;   in Loop: Header=BB191_23 Depth=1
	v_add_nc_u32_e32 v21, v7, v3
	v_mad_u64_u32 v[16:17], null, s16, v21, 0
	v_mad_u64_u32 v[18:19], null, s4, v21, 0
	v_mov_b32_e32 v2, v17
	v_mov_b32_e32 v7, v19
	v_mad_u64_u32 v[19:20], null, s17, v21, v[2:3]
	v_mad_u64_u32 v[20:21], null, s5, v21, v[7:8]
	v_mov_b32_e32 v17, v19
	v_mov_b32_e32 v19, v20
	v_lshlrev_b64 v[16:17], 2, v[16:17]
	v_lshlrev_b64 v[18:19], 3, v[18:19]
	v_add_co_u32 v16, vcc_lo, s14, v16
	v_add_co_ci_u32_e64 v17, null, s15, v17, vcc_lo
	v_add_co_u32 v18, vcc_lo, s18, v18
	v_add_co_ci_u32_e64 v19, null, s19, v19, vcc_lo
	global_store_dword v[16:17], v14, off
	global_store_dwordx2 v[18:19], v[4:5], off
.LBB191_31:                             ;   in Loop: Header=BB191_23 Depth=1
	s_or_b32 exec_lo, exec_lo, s22
	v_mov_b32_e32 v2, v5
	v_cmp_le_u64_e32 vcc_lo, s[10:11], v[1:2]
	s_cbranch_vccnz .LBB191_22
; %bb.32:                               ;   in Loop: Header=BB191_23 Depth=1
	ds_write_b32 v9, v6
	s_waitcnt lgkmcnt(0)
	s_waitcnt_vscnt null, 0x0
	s_barrier
	buffer_gl0_inv
	s_and_saveexec_b32 s22, s2
	s_cbranch_execz .LBB191_34
; %bb.33:                               ;   in Loop: Header=BB191_23 Depth=1
	ds_read2_b32 v[16:17], v10 offset1:1
	ds_read2_b32 v[18:19], v10 offset0:2 offset1:3
	ds_read2_b32 v[20:21], v10 offset0:4 offset1:5
	;; [unrolled: 1-line block ×3, first 2 shown]
	v_cmp_ne_u32_e32 vcc_lo, 0, v11
	; wave barrier
	s_waitcnt lgkmcnt(3)
	v_add_nc_u32_e32 v2, v17, v16
	s_waitcnt lgkmcnt(2)
	v_add3_u32 v2, v2, v18, v19
	s_waitcnt lgkmcnt(1)
	v_add3_u32 v2, v2, v20, v21
	;; [unrolled: 2-line block ×3, first 2 shown]
	v_mov_b32_dpp v7, v2 row_shr:1 row_mask:0xf bank_mask:0xf
	v_cndmask_b32_e32 v7, 0, v7, vcc_lo
	v_cmp_lt_u32_e32 vcc_lo, 1, v11
	v_add_nc_u32_e32 v2, v7, v2
	v_mov_b32_dpp v7, v2 row_shr:2 row_mask:0xf bank_mask:0xf
	v_cndmask_b32_e32 v7, 0, v7, vcc_lo
	v_cmp_lt_u32_e32 vcc_lo, 3, v11
	v_add_nc_u32_e32 v2, v2, v7
	;; [unrolled: 4-line block ×3, first 2 shown]
	v_mov_b32_dpp v7, v2 row_shr:8 row_mask:0xf bank_mask:0xf
	v_cndmask_b32_e32 v7, 0, v7, vcc_lo
	v_cmp_gt_i32_e32 vcc_lo, 0, v13
	v_add_nc_u32_e32 v2, v2, v7
	v_cndmask_b32_e32 v17, v13, v8, vcc_lo
	ds_swizzle_b32 v7, v2 offset:swizzle(BROADCAST,32,15)
	v_lshlrev_b32_e32 v17, 2, v17
	s_waitcnt lgkmcnt(0)
	v_and_b32_e32 v7, v12, v7
	v_add_nc_u32_e32 v2, v2, v7
	ds_bpermute_b32 v2, v17, v2
	s_waitcnt lgkmcnt(0)
	v_add_nc_u32_e32 v2, v2, v16
	v_cndmask_b32_e64 v2, v2, v6, s1
	ds_write_b32 v10, v2
	; wave barrier
	ds_read2_b32 v[16:17], v10 offset0:1 offset1:2
	ds_read2_b32 v[18:19], v10 offset0:3 offset1:4
	;; [unrolled: 1-line block ×3, first 2 shown]
	ds_read_b32 v7, v10 offset:28
	s_waitcnt lgkmcnt(3)
	v_add_nc_u32_e32 v2, v16, v2
	v_add_nc_u32_e32 v16, v17, v2
	s_waitcnt lgkmcnt(2)
	v_add_nc_u32_e32 v17, v18, v16
	v_add_nc_u32_e32 v18, v19, v17
	;; [unrolled: 3-line block ×3, first 2 shown]
	s_waitcnt lgkmcnt(0)
	v_add_nc_u32_e32 v7, v7, v20
	ds_write2_b32 v10, v2, v16 offset0:1 offset1:2
	ds_write2_b32 v10, v17, v18 offset0:3 offset1:4
	;; [unrolled: 1-line block ×3, first 2 shown]
	ds_write_b32 v10, v7 offset:28
.LBB191_34:                             ;   in Loop: Header=BB191_23 Depth=1
	s_or_b32 exec_lo, exec_lo, s22
	v_mov_b32_e32 v7, 0
	s_waitcnt lgkmcnt(0)
	s_barrier
	buffer_gl0_inv
	s_and_saveexec_b32 s22, s0
; %bb.35:                               ;   in Loop: Header=BB191_23 Depth=1
	ds_read_b32 v7, v0
; %bb.36:                               ;   in Loop: Header=BB191_23 Depth=1
	s_or_b32 exec_lo, exec_lo, s22
	ds_read_b32 v2, v5 offset:1048
	s_mov_b32 s22, exec_lo
	s_waitcnt lgkmcnt(0)
	s_barrier
	buffer_gl0_inv
	v_cmpx_ne_u32_e32 0, v6
	s_cbranch_execz .LBB191_21
; %bb.37:                               ;   in Loop: Header=BB191_23 Depth=1
	v_add_nc_u32_e32 v6, v7, v1
	v_mov_b32_e32 v7, v5
	v_cmp_gt_u64_e32 vcc_lo, s[10:11], v[6:7]
	s_and_b32 exec_lo, exec_lo, vcc_lo
	s_cbranch_execz .LBB191_21
; %bb.38:                               ;   in Loop: Header=BB191_23 Depth=1
	v_mad_u64_u32 v[16:17], null, s16, v6, 0
	v_mad_u64_u32 v[18:19], null, s4, v6, 0
	v_mov_b32_e32 v7, v17
	v_mov_b32_e32 v17, v19
	v_mad_u64_u32 v[19:20], null, s17, v6, v[7:8]
	v_mad_u64_u32 v[6:7], null, s5, v6, v[17:18]
	v_mov_b32_e32 v17, v19
	v_mov_b32_e32 v19, v6
	v_lshlrev_b64 v[6:7], 2, v[16:17]
	v_lshlrev_b64 v[16:17], 3, v[18:19]
	v_add_co_u32 v6, vcc_lo, s14, v6
	v_add_co_ci_u32_e64 v7, null, s15, v7, vcc_lo
	v_add_co_u32 v16, vcc_lo, s18, v16
	v_add_co_ci_u32_e64 v17, null, s19, v17, vcc_lo
	global_store_dword v[6:7], v14, off
	global_store_dwordx2 v[16:17], v[4:5], off
	s_branch .LBB191_21
	.p2align	6
.LBB191_39:                             ;   in Loop: Header=BB191_40 Depth=1
	s_add_u32 s12, s12, 4
	s_addc_u32 s13, s13, 0
	s_waitcnt lgkmcnt(0)
	s_add_i32 s38, s3, s38
	s_add_u32 s14, s14, 4
	s_addc_u32 s15, s15, 0
	s_add_i32 s2, s2, 1
	s_cmp_lt_u32 s2, s7
	s_cbranch_scc0 .LBB191_18
.LBB191_40:                             ; =>This Inner Loop Header: Depth=1
	s_load_dword s3, s[12:13], 0x0
	s_cmp_ge_u32 s2, s36
	s_cbranch_scc1 .LBB191_39
; %bb.41:                               ;   in Loop: Header=BB191_40 Depth=1
	s_load_dword s18, s[14:15], 0x0
	s_waitcnt lgkmcnt(0)
	s_add_i32 s17, s3, s17
	s_add_i32 s16, s18, s16
	s_branch .LBB191_39
.LBB191_42:
	s_endpgm
	.section	.rodata,"a",@progbits
	.p2align	6, 0x0
	.amdhsa_kernel _ZN2at6native6mbtopk10gatherTopKIfmLi1EEEvNS_4cuda6detail10TensorInfoIKT_T0_EES8_S8_bjS8_NS5_IS6_S8_EES8_NS5_IlS8_EES8_jjPS6_PjSD_j
		.amdhsa_group_segment_fixed_size 1068
		.amdhsa_private_segment_fixed_size 0
		.amdhsa_kernarg_size 1592
		.amdhsa_user_sgpr_count 6
		.amdhsa_user_sgpr_private_segment_buffer 1
		.amdhsa_user_sgpr_dispatch_ptr 0
		.amdhsa_user_sgpr_queue_ptr 0
		.amdhsa_user_sgpr_kernarg_segment_ptr 1
		.amdhsa_user_sgpr_dispatch_id 0
		.amdhsa_user_sgpr_flat_scratch_init 0
		.amdhsa_user_sgpr_private_segment_size 0
		.amdhsa_wavefront_size32 1
		.amdhsa_uses_dynamic_stack 0
		.amdhsa_system_sgpr_private_segment_wavefront_offset 0
		.amdhsa_system_sgpr_workgroup_id_x 1
		.amdhsa_system_sgpr_workgroup_id_y 1
		.amdhsa_system_sgpr_workgroup_id_z 1
		.amdhsa_system_sgpr_workgroup_info 0
		.amdhsa_system_vgpr_workitem_id 0
		.amdhsa_next_free_vgpr 24
		.amdhsa_next_free_sgpr 42
		.amdhsa_reserve_vcc 1
		.amdhsa_reserve_flat_scratch 0
		.amdhsa_float_round_mode_32 0
		.amdhsa_float_round_mode_16_64 0
		.amdhsa_float_denorm_mode_32 3
		.amdhsa_float_denorm_mode_16_64 3
		.amdhsa_dx10_clamp 1
		.amdhsa_ieee_mode 1
		.amdhsa_fp16_overflow 0
		.amdhsa_workgroup_processor_mode 1
		.amdhsa_memory_ordered 1
		.amdhsa_forward_progress 1
		.amdhsa_shared_vgpr_count 0
		.amdhsa_exception_fp_ieee_invalid_op 0
		.amdhsa_exception_fp_denorm_src 0
		.amdhsa_exception_fp_ieee_div_zero 0
		.amdhsa_exception_fp_ieee_overflow 0
		.amdhsa_exception_fp_ieee_underflow 0
		.amdhsa_exception_fp_ieee_inexact 0
		.amdhsa_exception_int_div_zero 0
	.end_amdhsa_kernel
	.section	.text._ZN2at6native6mbtopk10gatherTopKIfmLi1EEEvNS_4cuda6detail10TensorInfoIKT_T0_EES8_S8_bjS8_NS5_IS6_S8_EES8_NS5_IlS8_EES8_jjPS6_PjSD_j,"axG",@progbits,_ZN2at6native6mbtopk10gatherTopKIfmLi1EEEvNS_4cuda6detail10TensorInfoIKT_T0_EES8_S8_bjS8_NS5_IS6_S8_EES8_NS5_IlS8_EES8_jjPS6_PjSD_j,comdat
.Lfunc_end191:
	.size	_ZN2at6native6mbtopk10gatherTopKIfmLi1EEEvNS_4cuda6detail10TensorInfoIKT_T0_EES8_S8_bjS8_NS5_IS6_S8_EES8_NS5_IlS8_EES8_jjPS6_PjSD_j, .Lfunc_end191-_ZN2at6native6mbtopk10gatherTopKIfmLi1EEEvNS_4cuda6detail10TensorInfoIKT_T0_EES8_S8_bjS8_NS5_IS6_S8_EES8_NS5_IlS8_EES8_jjPS6_PjSD_j
                                        ; -- End function
	.set _ZN2at6native6mbtopk10gatherTopKIfmLi1EEEvNS_4cuda6detail10TensorInfoIKT_T0_EES8_S8_bjS8_NS5_IS6_S8_EES8_NS5_IlS8_EES8_jjPS6_PjSD_j.num_vgpr, 24
	.set _ZN2at6native6mbtopk10gatherTopKIfmLi1EEEvNS_4cuda6detail10TensorInfoIKT_T0_EES8_S8_bjS8_NS5_IS6_S8_EES8_NS5_IlS8_EES8_jjPS6_PjSD_j.num_agpr, 0
	.set _ZN2at6native6mbtopk10gatherTopKIfmLi1EEEvNS_4cuda6detail10TensorInfoIKT_T0_EES8_S8_bjS8_NS5_IS6_S8_EES8_NS5_IlS8_EES8_jjPS6_PjSD_j.numbered_sgpr, 42
	.set _ZN2at6native6mbtopk10gatherTopKIfmLi1EEEvNS_4cuda6detail10TensorInfoIKT_T0_EES8_S8_bjS8_NS5_IS6_S8_EES8_NS5_IlS8_EES8_jjPS6_PjSD_j.num_named_barrier, 0
	.set _ZN2at6native6mbtopk10gatherTopKIfmLi1EEEvNS_4cuda6detail10TensorInfoIKT_T0_EES8_S8_bjS8_NS5_IS6_S8_EES8_NS5_IlS8_EES8_jjPS6_PjSD_j.private_seg_size, 0
	.set _ZN2at6native6mbtopk10gatherTopKIfmLi1EEEvNS_4cuda6detail10TensorInfoIKT_T0_EES8_S8_bjS8_NS5_IS6_S8_EES8_NS5_IlS8_EES8_jjPS6_PjSD_j.uses_vcc, 1
	.set _ZN2at6native6mbtopk10gatherTopKIfmLi1EEEvNS_4cuda6detail10TensorInfoIKT_T0_EES8_S8_bjS8_NS5_IS6_S8_EES8_NS5_IlS8_EES8_jjPS6_PjSD_j.uses_flat_scratch, 0
	.set _ZN2at6native6mbtopk10gatherTopKIfmLi1EEEvNS_4cuda6detail10TensorInfoIKT_T0_EES8_S8_bjS8_NS5_IS6_S8_EES8_NS5_IlS8_EES8_jjPS6_PjSD_j.has_dyn_sized_stack, 0
	.set _ZN2at6native6mbtopk10gatherTopKIfmLi1EEEvNS_4cuda6detail10TensorInfoIKT_T0_EES8_S8_bjS8_NS5_IS6_S8_EES8_NS5_IlS8_EES8_jjPS6_PjSD_j.has_recursion, 0
	.set _ZN2at6native6mbtopk10gatherTopKIfmLi1EEEvNS_4cuda6detail10TensorInfoIKT_T0_EES8_S8_bjS8_NS5_IS6_S8_EES8_NS5_IlS8_EES8_jjPS6_PjSD_j.has_indirect_call, 0
	.section	.AMDGPU.csdata,"",@progbits
; Kernel info:
; codeLenInByte = 2448
; TotalNumSgprs: 44
; NumVgprs: 24
; ScratchSize: 0
; MemoryBound: 0
; FloatMode: 240
; IeeeMode: 1
; LDSByteSize: 1068 bytes/workgroup (compile time only)
; SGPRBlocks: 0
; VGPRBlocks: 2
; NumSGPRsForWavesPerEU: 44
; NumVGPRsForWavesPerEU: 24
; Occupancy: 16
; WaveLimiterHint : 1
; COMPUTE_PGM_RSRC2:SCRATCH_EN: 0
; COMPUTE_PGM_RSRC2:USER_SGPR: 6
; COMPUTE_PGM_RSRC2:TRAP_HANDLER: 0
; COMPUTE_PGM_RSRC2:TGID_X_EN: 1
; COMPUTE_PGM_RSRC2:TGID_Y_EN: 1
; COMPUTE_PGM_RSRC2:TGID_Z_EN: 1
; COMPUTE_PGM_RSRC2:TIDIG_COMP_CNT: 0
	.section	.text._ZN2at6native6sbtopk10gatherTopKIfmLi1ELb0EEEvNS_4cuda6detail10TensorInfoIKT_T0_EES8_S8_bS8_S8_NS5_IS6_S8_EES8_NS5_IlS8_EES8_PS6_,"axG",@progbits,_ZN2at6native6sbtopk10gatherTopKIfmLi1ELb0EEEvNS_4cuda6detail10TensorInfoIKT_T0_EES8_S8_bS8_S8_NS5_IS6_S8_EES8_NS5_IlS8_EES8_PS6_,comdat
	.protected	_ZN2at6native6sbtopk10gatherTopKIfmLi1ELb0EEEvNS_4cuda6detail10TensorInfoIKT_T0_EES8_S8_bS8_S8_NS5_IS6_S8_EES8_NS5_IlS8_EES8_PS6_ ; -- Begin function _ZN2at6native6sbtopk10gatherTopKIfmLi1ELb0EEEvNS_4cuda6detail10TensorInfoIKT_T0_EES8_S8_bS8_S8_NS5_IS6_S8_EES8_NS5_IlS8_EES8_PS6_
	.globl	_ZN2at6native6sbtopk10gatherTopKIfmLi1ELb0EEEvNS_4cuda6detail10TensorInfoIKT_T0_EES8_S8_bS8_S8_NS5_IS6_S8_EES8_NS5_IlS8_EES8_PS6_
	.p2align	8
	.type	_ZN2at6native6sbtopk10gatherTopKIfmLi1ELb0EEEvNS_4cuda6detail10TensorInfoIKT_T0_EES8_S8_bS8_S8_NS5_IS6_S8_EES8_NS5_IlS8_EES8_PS6_,@function
_ZN2at6native6sbtopk10gatherTopKIfmLi1ELb0EEEvNS_4cuda6detail10TensorInfoIKT_T0_EES8_S8_bS8_S8_NS5_IS6_S8_EES8_NS5_IlS8_EES8_PS6_: ; @_ZN2at6native6sbtopk10gatherTopKIfmLi1ELb0EEEvNS_4cuda6detail10TensorInfoIKT_T0_EES8_S8_bS8_S8_NS5_IS6_S8_EES8_NS5_IlS8_EES8_PS6_
; %bb.0:
	s_clause 0x1
	s_load_dwordx2 s[12:13], s[4:5], 0x520
	s_load_dwordx4 s[36:39], s[4:5], 0x1b8
	s_add_u32 s10, s4, 0x520
	s_addc_u32 s11, s5, 0
	s_mov_b32 s43, 0
	s_waitcnt lgkmcnt(0)
	s_mul_i32 s0, s13, s8
	s_add_i32 s0, s0, s7
	s_mul_i32 s0, s0, s12
	s_add_i32 s42, s0, s6
	v_cmp_le_u64_e64 s0, s[36:37], s[42:43]
	s_and_b32 vcc_lo, exec_lo, s0
	s_cbranch_vccnz .LBB192_483
; %bb.1:
	s_load_dwordx2 s[0:1], s[4:5], 0x440
                                        ; implicit-def: $vgpr47 : SGPR spill to VGPR lane
	v_cmp_eq_u32_e64 s3, 0, v0
	s_waitcnt lgkmcnt(0)
	v_writelane_b32 v47, s0, 0
	v_writelane_b32 v47, s1, 1
	s_load_dwordx2 s[0:1], s[4:5], 0x370
	s_waitcnt lgkmcnt(0)
	v_writelane_b32 v47, s0, 2
	v_writelane_b32 v47, s1, 3
	s_clause 0x2
	s_load_dwordx2 s[50:51], s[4:5], 0x298
	s_load_dwordx4 s[28:31], s[4:5], 0x1a0
	s_load_dwordx2 s[0:1], s[4:5], 0x1c8
	s_waitcnt lgkmcnt(0)
	v_writelane_b32 v47, s0, 4
	v_writelane_b32 v47, s1, 5
	s_clause 0x1
	s_load_dwordx2 s[0:1], s[4:5], 0xd0
	s_load_dwordx2 s[36:37], s[4:5], 0x0
	s_and_saveexec_b32 s2, s3
	s_cbranch_execz .LBB192_3
; %bb.2:
	v_mov_b32_e32 v1, 0
	v_mov_b32_e32 v3, s28
	;; [unrolled: 1-line block ×4, first 2 shown]
	ds_write_b32 v1, v1 offset:5144
	ds_write_b128 v1, v[1:4] offset:5120
.LBB192_3:
	s_or_b32 exec_lo, exec_lo, s2
	v_mad_u64_u32 v[2:3], null, s38, v0, 0
	s_load_dword s2, s[4:5], 0x1b0
	s_waitcnt lgkmcnt(0)
	s_mul_i32 s1, s1, s42
	s_mul_hi_u32 s7, s0, s42
	s_barrier
	buffer_gl0_inv
	v_mov_b32_e32 v1, v3
	s_add_i32 s1, s7, s1
	s_load_dword s7, s[10:11], 0xc
	v_mbcnt_lo_u32_b32 v31, -1, 0
	v_lshlrev_b32_e32 v33, 4, v0
	v_mad_u64_u32 v[3:4], null, s39, v0, v[1:2]
	s_mul_i32 s0, s0, s42
	v_cmp_gt_u32_e32 vcc_lo, 32, v0
	s_lshl_b64 s[40:41], s[0:1], 2
	v_cmp_gt_i32_e64 s1, 4, v31
	v_or_b32_e32 v7, 12, v33
	v_or_b32_e32 v9, 8, v33
	v_lshlrev_b64 v[4:5], 2, v[2:3]
	s_add_u32 s52, s36, s40
	s_addc_u32 s53, s37, s41
	s_bitcmp1_b32 s2, 0
	v_mad_u64_u32 v[16:17], null, s38, v7, 0
	s_cselect_b32 s2, -1, 0
	s_and_b32 s76, vcc_lo, s1
	v_add_co_u32 v10, vcc_lo, s52, v4
	v_mad_u64_u32 v[18:19], null, s38, v9, 0
	v_add_co_ci_u32_e64 v11, null, s53, v5, vcc_lo
	v_lshlrev_b64 v[4:5], v31, -1
	v_or_b32_e32 v12, 4, v33
	s_waitcnt lgkmcnt(0)
	s_and_b32 s33, s7, 0xffff
	s_xor_b32 s43, s2, -1
	s_bfe_u32 s9, s33, 0x80008
	v_mov_b32_e32 v5, v19
	v_mad_u64_u32 v[20:21], null, s38, v12, 0
	v_not_b32_e32 v30, v4
	v_mov_b32_e32 v4, v17
	s_lshl_b32 s78, s9, 3
	s_bfe_u32 s7, s7, 0xb0005
	s_cmp_gt_u32 s33, 31
	v_mov_b32_e32 v13, 0
	s_cselect_b32 s79, -1, 0
	s_add_u32 s80, s33, -1
	v_mad_u64_u32 v[7:8], null, s39, v7, v[4:5]
	s_addc_u32 s81, 0, -1
	s_add_u32 s82, s80, s28
	v_mov_b32_e32 v6, v21
	s_addc_u32 s55, s81, s29
	s_cmp_lt_u32 s6, s12
	v_mov_b32_e32 v1, v13
	s_cselect_b32 s6, 12, 18
	v_mad_u64_u32 v[4:5], null, s39, v9, v[5:6]
	s_add_u32 s56, s10, s6
	v_mad_u64_u32 v[5:6], null, s39, v12, v[6:7]
	s_addc_u32 s57, s11, 0
	s_add_i32 s7, s7, -1
	v_lshlrev_b32_e32 v14, 2, v0
	s_and_b32 s7, s7, 0xffff
	s_bfe_u32 s83, s33, 0x30005
	s_movk_i32 s6, 0x3e0
	s_cmp_gt_u32 s7, 6
	v_cmp_lt_u64_e64 s77, 0x300, s[28:29]
	v_cmp_gt_u64_e64 s1, s[28:29], v[0:1]
	s_cselect_b32 s84, -1, 0
	s_cmp_lg_u32 s83, 0
	v_and_or_b32 v19, v0, s6, 0xc00
	v_lshlrev_b64 v[21:22], 4, v[2:3]
	s_mul_i32 s6, s39, s33
	s_mul_hi_u32 s7, s38, s33
	v_mov_b32_e32 v26, s30
	v_cmp_eq_u32_e64 s0, 0, v31
	v_mov_b32_e32 v15, v13
	v_cmp_gt_u32_e64 s8, 2, v0
	v_add_nc_u32_e32 v32, 0xc00, v14
	v_mov_b32_e32 v34, v7
	v_mov_b32_e32 v35, v4
	;; [unrolled: 1-line block ×3, first 2 shown]
	v_lshl_or_b32 v37, v31, 3, 0xc00
	v_mov_b32_e32 v27, s31
	v_mov_b32_e32 v23, 1.0
	v_mov_b32_e32 v25, 0
	v_mov_b32_e32 v17, 0
	;; [unrolled: 1-line block ×3, first 2 shown]
	s_cselect_b32 s85, -1, 0
	s_add_i32 s7, s7, s6
	s_mul_i32 s6, s38, s33
	s_mov_b32 s27, 0
	s_lshl_b64 s[58:59], s[38:39], 2
	s_lshl_b64 s[60:61], s[38:39], 4
	s_lshl_b32 s86, s33, 2
	s_lshl_b64 s[34:35], s[6:7], 2
	s_mov_b32 s93, 30
	s_mov_b32 s87, 0
	;; [unrolled: 1-line block ×3, first 2 shown]
                                        ; implicit-def: $sgpr88
                                        ; implicit-def: $sgpr92
                                        ; implicit-def: $sgpr91
                                        ; implicit-def: $sgpr94
                                        ; implicit-def: $sgpr90
                                        ; implicit-def: $sgpr98
                                        ; implicit-def: $sgpr99
                                        ; implicit-def: $sgpr95
                                        ; implicit-def: $sgpr97
                                        ; implicit-def: $sgpr96
	s_branch .LBB192_6
.LBB192_4:                              ;   in Loop: Header=BB192_6 Depth=1
	s_or_b32 exec_lo, exec_lo, s10
	v_mov_b32_e32 v27, v3
	v_mov_b32_e32 v26, v2
	s_andn2_b32 s10, s96, exec_lo
	s_and_b32 s9, s9, exec_lo
	s_andn2_b32 s97, s97, exec_lo
	s_or_b32 s96, s10, s9
	s_andn2_b32 s95, s95, exec_lo
	s_andn2_b32 s99, s99, exec_lo
	;; [unrolled: 1-line block ×3, first 2 shown]
	s_orn2_b32 s7, s7, exec_lo
.LBB192_5:                              ;   in Loop: Header=BB192_6 Depth=1
	s_or_b32 exec_lo, exec_lo, s6
	s_and_b32 s6, exec_lo, s7
	s_or_b32 s87, s6, s87
	s_andn2_b32 s6, s90, exec_lo
	s_and_b32 s7, s96, exec_lo
	s_andn2_b32 s9, s94, exec_lo
	s_or_b32 s90, s6, s7
	s_and_b32 s6, s97, exec_lo
	s_andn2_b32 s7, s91, exec_lo
	s_and_b32 s10, s95, exec_lo
	s_or_b32 s94, s9, s6
	s_or_b32 s91, s7, s10
	s_andn2_b32 s6, s92, exec_lo
	s_and_b32 s7, s99, exec_lo
	s_andn2_b32 s9, s88, exec_lo
	s_and_b32 s10, s98, exec_lo
	s_or_b32 s92, s6, s7
	s_or_b32 s88, s9, s10
	s_andn2_b32 exec_lo, exec_lo, s87
	s_cbranch_execz .LBB192_479
.LBB192_6:                              ; =>This Loop Header: Depth=1
                                        ;     Child Loop BB192_12 Depth 2
                                        ;     Child Loop BB192_25 Depth 2
	;; [unrolled: 1-line block ×24, first 2 shown]
	ds_read_b128 v[2:5], v13 offset:5120
	s_waitcnt lgkmcnt(0)
	v_readfirstlane_b32 s63, v3
	v_readfirstlane_b32 s62, v2
	s_cmp_lg_u64 s[62:63], 0
	s_cbranch_scc1 .LBB192_33
; %bb.7:                                ;   in Loop: Header=BB192_6 Depth=1
	s_and_b32 vcc_lo, exec_lo, s77
	s_cbranch_vccz .LBB192_20
; %bb.8:                                ;   in Loop: Header=BB192_6 Depth=1
	v_cmp_gt_u64_e32 vcc_lo, 0x301, v[4:5]
	s_mov_b32 s9, 0
	s_mov_b32 s6, 0
	s_cbranch_vccz .LBB192_21
; %bb.9:                                ;   in Loop: Header=BB192_6 Depth=1
	s_and_saveexec_b32 s10, s1
	s_cbranch_execz .LBB192_88
; %bb.10:                               ;   in Loop: Header=BB192_6 Depth=1
	global_load_ushort v5, v13, s[56:57]
	global_load_dword v7, v[10:11], off
	s_mov_b32 s13, 0
	s_waitcnt vmcnt(1)
	v_readfirstlane_b32 s6, v5
	v_and_b32_e32 v6, 0xffff, v5
	s_and_b32 s6, 0xffff, s6
	v_add_nc_u32_e32 v4, s6, v0
	s_mul_i32 s7, s59, s6
	s_mul_hi_u32 s11, s58, s6
	s_mul_i32 s12, s58, s6
	s_add_i32 s11, s11, s7
	v_mad_u64_u32 v[2:3], null, s58, v4, s[52:53]
	v_mad_u64_u32 v[3:4], null, s59, v4, v[3:4]
	v_mov_b32_e32 v5, v1
	v_mov_b32_e32 v4, v0
	s_branch .LBB192_12
.LBB192_11:                             ;   in Loop: Header=BB192_12 Depth=2
	s_or_b32 exec_lo, exec_lo, s7
	v_add_co_u32 v2, vcc_lo, v2, s12
	v_add_co_ci_u32_e64 v3, null, s11, v3, vcc_lo
	v_mov_b32_e32 v7, v8
	s_andn2_b32 exec_lo, exec_lo, s13
	s_cbranch_execz .LBB192_88
.LBB192_12:                             ;   Parent Loop BB192_6 Depth=1
                                        ; =>  This Inner Loop Header: Depth=2
	v_add_co_u32 v4, vcc_lo, v4, v6
	v_add_co_ci_u32_e64 v5, null, 0, v5, vcc_lo
	s_waitcnt lgkmcnt(0)
	v_mov_b32_e32 v9, 0
	v_mov_b32_e32 v8, 0
	s_mov_b32 s7, exec_lo
	v_cmp_le_u64_e32 vcc_lo, s[28:29], v[4:5]
	v_cmpx_gt_u64_e64 s[28:29], v[4:5]
	s_cbranch_execz .LBB192_14
; %bb.13:                               ;   in Loop: Header=BB192_12 Depth=2
	global_load_dword v8, v[2:3], off
.LBB192_14:                             ;   in Loop: Header=BB192_12 Depth=2
	s_or_b32 exec_lo, exec_lo, s7
	s_waitcnt vmcnt(0)
	v_cmp_lt_i32_e64 s6, -1, v7
	v_cndmask_b32_e64 v12, -1, 0x80000000, s6
	v_cmp_o_f32_e64 s6, v7, v7
	v_xor_b32_e32 v12, v12, v7
	v_cndmask_b32_e64 v12, -1, v12, s6
	v_and_b32_e32 v12, v12, v38
	v_cmp_eq_u32_e64 s6, v12, v17
	s_cmp_lg_u32 s6, 0
	s_cselect_b32 s7, -1, 0
	s_and_b32 s7, s0, s7
	s_and_saveexec_b32 s14, s7
	s_cbranch_execz .LBB192_18
; %bb.15:                               ;   in Loop: Header=BB192_12 Depth=2
	s_mov_b32 s17, exec_lo
	s_bcnt1_i32_b32 s15, s6
	v_mbcnt_lo_u32_b32 v9, s17, 0
	s_mov_b32 s16, exec_lo
                                        ; implicit-def: $vgpr12
	v_cmpx_eq_u32_e32 0, v9
; %bb.16:                               ;   in Loop: Header=BB192_12 Depth=2
	s_bcnt1_i32_b32 s7, s17
	s_mul_i32 s7, s15, s7
	v_mov_b32_e32 v12, s7
	ds_add_rtn_u32 v12, v13, v12 offset:5144
; %bb.17:                               ;   in Loop: Header=BB192_12 Depth=2
	s_or_b32 exec_lo, exec_lo, s16
	s_waitcnt lgkmcnt(0)
	v_readfirstlane_b32 s7, v12
	v_mad_u32_u24 v9, s15, v9, s7
.LBB192_18:                             ;   in Loop: Header=BB192_12 Depth=2
	s_or_b32 exec_lo, exec_lo, s14
	ds_bpermute_b32 v9, v13, v9
	s_and_b32 s7, exec_lo, vcc_lo
	s_or_b32 s13, s7, s13
	s_and_saveexec_b32 s7, s6
	s_cbranch_execz .LBB192_11
; %bb.19:                               ;   in Loop: Header=BB192_12 Depth=2
	v_and_b32_e32 v12, s6, v30
	v_bcnt_u32_b32 v12, v12, 0
	v_lshlrev_b32_e32 v12, 2, v12
	s_waitcnt lgkmcnt(0)
	v_lshl_add_u32 v9, v9, 2, v12
	ds_write_b32 v9, v7
	s_branch .LBB192_11
.LBB192_20:                             ;   in Loop: Header=BB192_6 Depth=1
	s_mov_b32 s9, -1
	s_mov_b32 s6, 0
.LBB192_21:                             ;   in Loop: Header=BB192_6 Depth=1
	s_and_b32 vcc_lo, exec_lo, s9
	s_cbranch_vccz .LBB192_31
.LBB192_22:                             ;   in Loop: Header=BB192_6 Depth=1
	s_and_saveexec_b32 s7, s1
	s_cbranch_execz .LBB192_28
; %bb.23:                               ;   in Loop: Header=BB192_6 Depth=1
	global_load_ushort v2, v13, s[56:57]
	global_load_dword v8, v[10:11], off
	s_mov_b32 s9, exec_lo
	s_waitcnt vmcnt(1)
	v_add_nc_u32_sdwa v12, v2, v0 dst_sel:DWORD dst_unused:UNUSED_PAD src0_sel:WORD_0 src1_sel:DWORD
	v_readfirstlane_b32 s6, v2
	v_mov_b32_e32 v2, v0
	v_cmpx_gt_u64_e64 s[28:29], v[12:13]
	s_cbranch_execz .LBB192_27
; %bb.24:                               ;   in Loop: Header=BB192_6 Depth=1
	v_mad_u64_u32 v[2:3], null, s58, v12, s[52:53]
	s_and_b32 s10, s6, 0xffff
	v_mov_b32_e32 v7, v1
	v_mov_b32_e32 v6, v0
	s_mul_i32 s6, s59, s10
	s_mul_hi_u32 s11, s58, s10
	s_mul_i32 s13, s58, s10
	v_mad_u64_u32 v[3:4], null, s59, v12, v[3:4]
	v_mov_b32_e32 v4, v12
	v_mov_b32_e32 v5, v13
	s_add_i32 s11, s11, s6
	s_mov_b32 s12, 0
	.p2align	6
.LBB192_25:                             ;   Parent Loop BB192_6 Depth=1
                                        ; =>  This Inner Loop Header: Depth=2
	global_load_dword v9, v[2:3], off
	v_mov_b32_e32 v29, v5
	v_mov_b32_e32 v28, v4
	v_lshlrev_b32_e32 v6, 2, v6
	v_add_co_u32 v4, vcc_lo, v28, s10
	v_add_co_ci_u32_e64 v5, null, 0, v29, vcc_lo
	v_add_co_u32 v2, vcc_lo, v2, s13
	v_add_co_ci_u32_e64 v3, null, s11, v3, vcc_lo
	v_cmp_le_u64_e64 s6, s[28:29], v[4:5]
	s_waitcnt vmcnt(1)
	ds_write_b32 v6, v8
	v_mov_b32_e32 v6, v28
	v_mov_b32_e32 v7, v29
	s_or_b32 s12, s6, s12
	s_waitcnt vmcnt(0)
	v_mov_b32_e32 v8, v9
	s_andn2_b32 exec_lo, exec_lo, s12
	s_cbranch_execnz .LBB192_25
; %bb.26:                               ;   in Loop: Header=BB192_6 Depth=1
	s_or_b32 exec_lo, exec_lo, s12
	v_subrev_nc_u32_e32 v2, s10, v4
	v_mov_b32_e32 v8, v9
.LBB192_27:                             ;   in Loop: Header=BB192_6 Depth=1
	s_or_b32 exec_lo, exec_lo, s9
	v_lshlrev_b32_e32 v2, 2, v2
	s_waitcnt vmcnt(0)
	ds_write_b32 v2, v8
.LBB192_28:                             ;   in Loop: Header=BB192_6 Depth=1
	s_or_b32 exec_lo, exec_lo, s7
	s_waitcnt lgkmcnt(0)
	s_barrier
	buffer_gl0_inv
	s_and_saveexec_b32 s6, s3
; %bb.29:                               ;   in Loop: Header=BB192_6 Depth=1
	v_mov_b32_e32 v2, s28
	v_mov_b32_e32 v3, s29
	ds_write_b64 v13, v[2:3] offset:5120
; %bb.30:                               ;   in Loop: Header=BB192_6 Depth=1
	s_or_b32 exec_lo, exec_lo, s6
	s_mov_b32 s6, -1
	s_waitcnt lgkmcnt(0)
	s_barrier
.LBB192_31:                             ;   in Loop: Header=BB192_6 Depth=1
	s_and_b32 vcc_lo, exec_lo, s6
	s_mov_b64 s[62:63], 0
	s_cbranch_vccz .LBB192_33
; %bb.32:                               ;   in Loop: Header=BB192_6 Depth=1
	buffer_gl0_inv
	ds_read_b64 v[2:3], v13 offset:5120
	s_waitcnt lgkmcnt(0)
	v_readfirstlane_b32 s62, v2
.LBB192_33:                             ;   in Loop: Header=BB192_6 Depth=1
	s_cmp_lt_i32 s62, 1
	s_mov_b32 s6, -1
                                        ; implicit-def: $vgpr2_vgpr3
                                        ; implicit-def: $vgpr6_vgpr7
	s_cbranch_scc1 .LBB192_43
; %bb.34:                               ;   in Loop: Header=BB192_6 Depth=1
	s_and_b32 vcc_lo, exec_lo, s6
	s_cbranch_vccnz .LBB192_57
.LBB192_35:                             ;   in Loop: Header=BB192_6 Depth=1
	s_lshl_b32 s6, s89, 7
	s_and_saveexec_b32 s7, s0
	s_cbranch_execz .LBB192_37
.LBB192_36:                             ;   in Loop: Header=BB192_6 Depth=1
	v_lshl_add_u32 v12, s6, 3, v19
	ds_write_b128 v12, v[2:5]
	ds_write_b128 v12, v[6:9] offset:16
.LBB192_37:                             ;   in Loop: Header=BB192_6 Depth=1
	s_or_b32 exec_lo, exec_lo, s7
	s_waitcnt lgkmcnt(0)
	s_barrier
	buffer_gl0_inv
	s_and_saveexec_b32 s7, s76
	s_cbranch_execz .LBB192_71
; %bb.38:                               ;   in Loop: Header=BB192_6 Depth=1
	v_mov_b32_e32 v2, 0
	v_mov_b32_e32 v3, 0
	s_andn2_b32 vcc_lo, exec_lo, s79
	s_cbranch_vccnz .LBB192_70
; %bb.39:                               ;   in Loop: Header=BB192_6 Depth=1
	v_mov_b32_e32 v2, 0
	v_mov_b32_e32 v3, 0
	s_andn2_b32 vcc_lo, exec_lo, s84
	s_cbranch_vccnz .LBB192_67
; %bb.40:                               ;   in Loop: Header=BB192_6 Depth=1
	v_lshl_add_u32 v4, s89, 10, v37
	s_mov_b32 s9, 0
	s_inst_prefetch 0x1
	.p2align	6
.LBB192_41:                             ;   Parent Loop BB192_6 Depth=1
                                        ; =>  This Inner Loop Header: Depth=2
	ds_read2_b64 v[5:8], v4 offset1:4
	ds_read2_b64 v[39:42], v4 offset0:8 offset1:12
	ds_read2_b64 v[43:46], v4 offset0:16 offset1:20
	s_add_i32 s9, s9, 8
	s_cmp_eq_u32 s78, s9
	s_waitcnt lgkmcnt(2)
	v_add_co_u32 v2, vcc_lo, v5, v2
	v_add_co_ci_u32_e64 v3, null, v6, v3, vcc_lo
	v_add_co_u32 v2, vcc_lo, v7, v2
	v_add_co_ci_u32_e64 v3, null, v8, v3, vcc_lo
	ds_read2_b64 v[5:8], v4 offset0:24 offset1:28
	s_waitcnt lgkmcnt(2)
	v_add_co_u32 v2, vcc_lo, v39, v2
	v_add_co_ci_u32_e64 v3, null, v40, v3, vcc_lo
	v_add_nc_u32_e32 v4, 0x100, v4
	v_add_co_u32 v2, vcc_lo, v41, v2
	v_add_co_ci_u32_e64 v3, null, v42, v3, vcc_lo
	s_waitcnt lgkmcnt(1)
	v_add_co_u32 v2, vcc_lo, v43, v2
	v_add_co_ci_u32_e64 v3, null, v44, v3, vcc_lo
	v_add_co_u32 v2, vcc_lo, v45, v2
	v_add_co_ci_u32_e64 v3, null, v46, v3, vcc_lo
	s_waitcnt lgkmcnt(0)
	v_add_co_u32 v2, vcc_lo, v5, v2
	v_add_co_ci_u32_e64 v3, null, v6, v3, vcc_lo
	v_add_co_u32 v2, vcc_lo, v7, v2
	v_add_co_ci_u32_e64 v3, null, v8, v3, vcc_lo
	s_cbranch_scc0 .LBB192_41
; %bb.42:                               ;   in Loop: Header=BB192_6 Depth=1
	s_inst_prefetch 0x2
	s_mov_b32 s9, s78
	s_andn2_b32 vcc_lo, exec_lo, s85
	s_cbranch_vccz .LBB192_68
	s_branch .LBB192_70
.LBB192_43:                             ;   in Loop: Header=BB192_6 Depth=1
	global_load_ushort v2, v13, s[56:57]
	s_mov_b32 s7, s29
	s_waitcnt vmcnt(0)
	v_readfirstlane_b32 s6, v2
	s_and_b32 s54, s6, 0xffff
	s_mov_b32 s6, s27
	s_lshl_b32 s63, s54, 2
	s_cmp_lg_u64 s[6:7], 0
	s_cbranch_scc0 .LBB192_66
; %bb.44:                               ;   in Loop: Header=BB192_6 Depth=1
	v_cvt_f32_u32_e32 v2, s63
	s_sub_u32 s9, 0, s63
	s_subb_u32 s10, 0, 0
	v_fmac_f32_e64 v2, 0x4f800000, 0
	v_rcp_f32_e32 v2, v2
	v_mul_f32_e32 v2, 0x5f7ffffc, v2
	v_mul_f32_e32 v3, 0x2f800000, v2
	v_trunc_f32_e32 v3, v3
	v_fmac_f32_e32 v2, 0xcf800000, v3
	v_cvt_u32_f32_e32 v3, v3
	v_cvt_u32_f32_e32 v2, v2
	v_readfirstlane_b32 s6, v3
	v_readfirstlane_b32 s7, v2
	s_mul_i32 s11, s9, s6
	s_mul_hi_u32 s13, s9, s7
	s_mul_i32 s12, s10, s7
	s_add_i32 s11, s13, s11
	s_mul_i32 s14, s9, s7
	s_add_i32 s11, s11, s12
	s_mul_hi_u32 s13, s7, s14
	s_mul_i32 s16, s7, s11
	s_mul_hi_u32 s15, s6, s14
	s_mul_i32 s12, s6, s14
	s_mul_hi_u32 s14, s7, s11
	s_add_u32 s13, s13, s16
	s_addc_u32 s14, 0, s14
	s_mul_hi_u32 s17, s6, s11
	s_add_u32 s12, s13, s12
	s_mul_i32 s11, s6, s11
	s_addc_u32 s12, s14, s15
	s_addc_u32 s13, s17, 0
	s_add_u32 s11, s12, s11
	s_addc_u32 s12, 0, s13
	s_add_u32 s7, s7, s11
	s_cselect_b32 s11, -1, 0
	s_mul_hi_u32 s13, s9, s7
	s_cmp_lg_u32 s11, 0
	s_mul_i32 s11, s9, s7
	s_addc_u32 s6, s6, s12
	s_mul_i32 s10, s10, s7
	s_mul_i32 s9, s9, s6
	s_mul_hi_u32 s12, s7, s11
	s_add_i32 s9, s13, s9
	s_mul_hi_u32 s13, s6, s11
	s_add_i32 s9, s9, s10
	s_mul_i32 s10, s6, s11
	s_mul_i32 s15, s7, s9
	s_mul_hi_u32 s14, s7, s9
	s_add_u32 s12, s12, s15
	s_addc_u32 s14, 0, s14
	s_mul_hi_u32 s11, s6, s9
	s_add_u32 s10, s12, s10
	s_mul_i32 s9, s6, s9
	s_addc_u32 s10, s14, s13
	s_addc_u32 s11, s11, 0
	s_add_u32 s9, s10, s9
	s_addc_u32 s10, 0, s11
	s_add_u32 s7, s7, s9
	s_cselect_b32 s9, -1, 0
	s_mul_hi_u32 s11, s28, s7
	s_cmp_lg_u32 s9, 0
	s_mul_hi_u32 s9, s29, s7
	s_addc_u32 s6, s6, s10
	s_mul_i32 s7, s29, s7
	s_mul_i32 s12, s28, s6
	s_mul_hi_u32 s10, s28, s6
	s_add_u32 s11, s11, s12
	s_addc_u32 s10, 0, s10
	s_mul_hi_u32 s13, s29, s6
	s_add_u32 s7, s11, s7
	s_mul_i32 s6, s29, s6
	s_addc_u32 s7, s10, s9
	s_addc_u32 s9, s13, 0
	s_add_u32 s6, s7, s6
	s_addc_u32 s7, 0, s9
	s_mul_hi_u32 s9, s63, s6
	s_mul_i32 s7, s63, s7
	s_mul_i32 s6, s63, s6
	s_add_i32 s9, s9, s7
	s_sub_u32 s6, s28, s6
	s_cselect_b32 s7, -1, 0
	s_cmp_lg_u32 s7, 0
	s_subb_u32 s7, s29, s9
	s_sub_u32 s9, s6, s63
	s_cselect_b32 s10, -1, 0
	s_cmp_lg_u32 s10, 0
	s_subb_u32 s10, s7, 0
	;; [unrolled: 4-line block ×3, first 2 shown]
	s_cmp_ge_u32 s9, s63
	s_cselect_b32 s13, -1, 0
	s_cmp_eq_u32 s10, 0
	s_cselect_b32 s13, s13, -1
	s_cmp_lg_u32 s13, 0
	s_cselect_b32 s10, s12, s10
	s_cselect_b32 s9, s11, s9
	s_cmp_ge_u32 s6, s63
	s_cselect_b32 s11, -1, 0
	s_cmp_eq_u32 s7, 0
	s_cselect_b32 s11, s11, -1
	s_cmp_lg_u32 s11, 0
	s_cselect_b32 s7, s10, s7
	s_cselect_b32 s6, s9, s6
	s_cbranch_execnz .LBB192_46
.LBB192_45:                             ;   in Loop: Header=BB192_6 Depth=1
	v_cvt_f32_u32_e32 v2, s63
	s_sub_i32 s7, 0, s63
	v_rcp_iflag_f32_e32 v2, v2
	v_mul_f32_e32 v2, 0x4f7ffffe, v2
	v_cvt_u32_f32_e32 v2, v2
	v_readfirstlane_b32 s6, v2
	s_mul_i32 s7, s7, s6
	s_mul_hi_u32 s7, s6, s7
	s_add_i32 s6, s6, s7
	s_mul_hi_u32 s6, s28, s6
	s_mul_i32 s6, s6, s63
	s_sub_i32 s6, s28, s6
	s_sub_i32 s7, s6, s63
	s_cmp_ge_u32 s6, s63
	s_cselect_b32 s6, s7, s6
	s_sub_i32 s7, s6, s63
	s_cmp_ge_u32 s6, s63
	s_cselect_b32 s26, s7, s6
	s_mov_b64 s[6:7], s[26:27]
.LBB192_46:                             ;   in Loop: Header=BB192_6 Depth=1
	v_mov_b32_e32 v2, 0
	v_mov_b32_e32 v4, 0
	;; [unrolled: 1-line block ×8, first 2 shown]
	s_sub_u32 s64, s28, s6
	s_subb_u32 s65, s29, s7
	s_mov_b32 s104, exec_lo
	v_cmpx_gt_u64_e64 s[64:65], v[14:15]
	s_cbranch_execz .LBB192_50
; %bb.47:                               ;   in Loop: Header=BB192_6 Depth=1
	v_mov_b32_e32 v29, v15
	v_mov_b32_e32 v28, v14
	s_mul_i32 s6, s61, s54
	s_mul_hi_u32 s7, s60, s54
	s_mul_i32 s44, s60, s54
	s_add_i32 vcc_hi, s7, s6
	s_mov_b64 s[66:67], 0
	s_mov_b32 s45, 0
	s_mov_b64 s[68:69], s[52:53]
	s_mov_b64 s[70:71], 0
	;; [unrolled: 1-line block ×4, first 2 shown]
.LBB192_48:                             ;   Parent Loop BB192_6 Depth=1
                                        ; =>  This Inner Loop Header: Depth=2
	v_add_co_u32 v2, vcc_lo, s68, v21
	v_add_co_ci_u32_e64 v3, null, s69, v22, vcc_lo
	v_add_co_u32 v4, vcc_lo, s68, v20
	v_add_co_ci_u32_e64 v5, null, s69, v36, vcc_lo
	;; [unrolled: 2-line block ×4, first 2 shown]
	s_clause 0x3
	global_load_dword v2, v[2:3], off
	global_load_dword v3, v[4:5], off
	;; [unrolled: 1-line block ×4, first 2 shown]
	v_add_co_u32 v28, vcc_lo, v28, s63
	v_add_co_ci_u32_e64 v29, null, 0, v29, vcc_lo
	v_cmp_le_u64_e32 vcc_lo, s[64:65], v[28:29]
	s_waitcnt vmcnt(3)
	v_cmp_lt_i32_e64 s6, -1, v2
	v_cmp_o_f32_e64 s10, v2, v2
	s_waitcnt vmcnt(1)
	v_cmp_o_f32_e64 s7, v4, v4
	s_waitcnt vmcnt(0)
	v_cmp_o_f32_e64 s9, v5, v5
	v_cndmask_b32_e64 v6, -1, 0x80000000, s6
	v_cmp_lt_i32_e64 s6, -1, v3
	v_xor_b32_e32 v6, v6, v2
	v_cndmask_b32_e64 v7, -1, 0x80000000, s6
	v_cmp_lt_i32_e64 s6, -1, v4
	v_cndmask_b32_e64 v2, -1, v6, s10
	v_xor_b32_e32 v7, v7, v3
	v_cndmask_b32_e64 v8, -1, 0x80000000, s6
	v_cmp_lt_i32_e64 s6, -1, v5
	v_and_b32_e32 v6, v2, v38
	v_bfe_u32 v2, v2, s93, 2
	v_cndmask_b32_e64 v9, -1, 0x80000000, s6
	v_cmp_o_f32_e64 s6, v3, v3
	v_xor_b32_e32 v3, v8, v4
	v_cmp_eq_u32_e64 s11, 0, v2
	v_cmp_eq_u32_e64 s15, 1, v2
	v_xor_b32_e32 v4, v9, v5
	v_cndmask_b32_e64 v5, -1, v7, s6
	v_cndmask_b32_e64 v3, -1, v3, s7
	v_cmp_eq_u32_e64 s6, v6, v17
	v_cmp_eq_u32_e64 s19, 2, v2
	v_cndmask_b32_e64 v4, -1, v4, s9
	v_and_b32_e32 v7, v5, v38
	v_bfe_u32 v5, v5, s93, 2
	v_and_b32_e32 v8, v3, v38
	v_bfe_u32 v3, v3, s93, 2
	;; [unrolled: 2-line block ×3, first 2 shown]
	v_cmp_eq_u32_e64 s7, v7, v17
	v_cmp_eq_u32_e64 s12, 0, v5
	;; [unrolled: 1-line block ×4, first 2 shown]
	s_and_b32 s11, s6, s11
	v_cmp_eq_u32_e64 s10, v9, v17
	v_cmp_eq_u32_e64 s14, 0, v4
	v_cmp_eq_u32_e64 s23, 3, v2
	v_cndmask_b32_e64 v2, 0, 1, s11
	s_and_b32 s11, s7, s12
	v_cmp_eq_u32_e64 s17, 1, v3
	v_cmp_eq_u32_e64 s21, 2, v3
	v_cmp_eq_u32_e64 s25, 3, v3
	v_cndmask_b32_e64 v3, 0, 1, s11
	;; [unrolled: 5-line block ×4, first 2 shown]
	v_cmp_ne_u32_e64 s11, 0, v2
	v_cmp_ne_u32_e64 s12, 0, v3
	;; [unrolled: 1-line block ×4, first 2 shown]
	s_bcnt1_i32_b32 s11, s11
	s_bcnt1_i32_b32 s12, s12
	s_bcnt1_i32_b32 s13, s13
	s_add_i32 s11, s12, s11
	s_bcnt1_i32_b32 s14, s14
	s_add_i32 s11, s11, s13
	s_add_i32 s11, s11, s14
	s_add_u32 s74, s74, s11
	s_addc_u32 s75, s75, 0
	s_and_b32 s11, s6, s15
	v_mov_b32_e32 v2, s74
	v_cndmask_b32_e64 v4, 0, 1, s11
	s_and_b32 s11, s7, s16
	v_mov_b32_e32 v3, s75
	v_cndmask_b32_e64 v5, 0, 1, s11
	s_and_b32 s11, s9, s17
	v_cndmask_b32_e64 v6, 0, 1, s11
	s_and_b32 s11, s10, s18
	v_cmp_ne_u32_e64 s12, 0, v5
	v_cndmask_b32_e64 v7, 0, 1, s11
	v_cmp_ne_u32_e64 s11, 0, v4
	v_cmp_ne_u32_e64 s13, 0, v6
	s_bcnt1_i32_b32 s12, s12
	v_cmp_ne_u32_e64 s14, 0, v7
	s_bcnt1_i32_b32 s11, s11
	s_bcnt1_i32_b32 s13, s13
	s_add_i32 s11, s12, s11
	s_bcnt1_i32_b32 s14, s14
	s_add_i32 s11, s11, s13
	s_add_i32 s11, s11, s14
	s_add_u32 s72, s72, s11
	s_addc_u32 s73, s73, 0
	s_and_b32 s11, s6, s19
	v_cndmask_b32_e64 v4, 0, 1, s11
	s_and_b32 s11, s7, s20
	v_cndmask_b32_e64 v5, 0, 1, s11
	;; [unrolled: 2-line block ×3, first 2 shown]
	s_and_b32 s11, s10, s22
	v_cmp_ne_u32_e64 s12, 0, v5
	v_cndmask_b32_e64 v7, 0, 1, s11
	v_cmp_ne_u32_e64 s11, 0, v4
	v_cmp_ne_u32_e64 s13, 0, v6
	s_bcnt1_i32_b32 s12, s12
	v_cmp_ne_u32_e64 s14, 0, v7
	s_bcnt1_i32_b32 s11, s11
	s_bcnt1_i32_b32 s13, s13
	s_add_i32 s11, s12, s11
	s_bcnt1_i32_b32 s14, s14
	s_add_i32 s11, s11, s13
	s_add_i32 s11, s11, s14
	s_add_u32 s70, s70, s11
	s_addc_u32 s71, s71, 0
	s_and_b32 s6, s6, s23
	v_cndmask_b32_e64 v4, 0, 1, s6
	s_and_b32 s6, s7, s24
	v_cndmask_b32_e64 v5, 0, 1, s6
	;; [unrolled: 2-line block ×3, first 2 shown]
	s_and_b32 s6, s10, s26
	v_cmp_ne_u32_e64 s7, 0, v5
	v_cndmask_b32_e64 v7, 0, 1, s6
	v_cmp_ne_u32_e64 s6, 0, v4
	v_cmp_ne_u32_e64 s9, 0, v6
	v_mov_b32_e32 v4, s72
	s_bcnt1_i32_b32 s7, s7
	v_cmp_ne_u32_e64 s10, 0, v7
	s_bcnt1_i32_b32 s6, s6
	s_bcnt1_i32_b32 s9, s9
	s_add_i32 s6, s7, s6
	v_mov_b32_e32 v6, s70
	s_bcnt1_i32_b32 s7, s10
	s_add_i32 s6, s6, s9
	v_mov_b32_e32 v5, s73
	s_add_i32 s6, s6, s7
	v_mov_b32_e32 v7, s71
	s_add_u32 s66, s66, s6
	s_addc_u32 s67, s67, 0
	v_mov_b32_e32 v8, s66
	v_mov_b32_e32 v9, s67
	s_add_u32 s68, s68, s44
	s_addc_u32 s69, s69, vcc_hi
	s_or_b32 s45, vcc_lo, s45
	s_andn2_b32 exec_lo, exec_lo, s45
	s_cbranch_execnz .LBB192_48
; %bb.49:                               ;   in Loop: Header=BB192_6 Depth=1
	s_or_b32 exec_lo, exec_lo, s45
.LBB192_50:                             ;   in Loop: Header=BB192_6 Depth=1
	s_or_b32 exec_lo, exec_lo, s104
	v_add_co_u32 v28, s6, s64, v0
	v_add_co_ci_u32_e64 v29, null, s65, 0, s6
	s_mov_b32 s11, exec_lo
	v_cmpx_gt_u64_e64 s[28:29], v[28:29]
	s_cbranch_execz .LBB192_56
; %bb.51:                               ;   in Loop: Header=BB192_6 Depth=1
	v_mul_lo_u32 v12, v29, s38
	v_mul_lo_u32 v24, v28, s39
	v_mad_u64_u32 v[39:40], null, v28, s38, 0
	s_mov_b32 s12, 0
	v_add3_u32 v40, v40, v24, v12
	v_lshlrev_b64 v[39:40], 2, v[39:40]
	v_add_co_u32 v39, vcc_lo, s52, v39
	v_add_co_ci_u32_e64 v40, null, s53, v40, vcc_lo
	global_load_dword v24, v[39:40], off
	s_branch .LBB192_53
.LBB192_52:                             ;   in Loop: Header=BB192_53 Depth=2
	s_or_b32 exec_lo, exec_lo, s7
	s_waitcnt vmcnt(0)
	v_cmp_lt_i32_e64 s6, -1, v24
	s_and_b32 s7, exec_lo, vcc_lo
	s_or_b32 s12, s7, s12
	v_cndmask_b32_e64 v39, -1, 0x80000000, s6
	v_cmp_o_f32_e64 s6, v24, v24
	v_xor_b32_e32 v39, v39, v24
	v_cndmask_b32_e64 v24, -1, v39, s6
	v_and_b32_e32 v39, v24, v38
	v_bfe_u32 v24, v24, s93, 2
	v_cmp_eq_u32_e32 vcc_lo, v39, v17
	v_cmp_eq_u32_e64 s6, 0, v24
	v_cmp_eq_u32_e64 s7, 1, v24
	;; [unrolled: 1-line block ×4, first 2 shown]
	s_and_b32 s6, vcc_lo, s6
	v_cndmask_b32_e64 v24, 0, 1, s6
	s_and_b32 s6, vcc_lo, s7
	v_cndmask_b32_e64 v39, 0, 1, s6
	s_and_b32 s6, vcc_lo, s9
	v_cndmask_b32_e64 v40, 0, 1, s6
	s_and_b32 s6, vcc_lo, s10
	v_cmp_ne_u32_e32 vcc_lo, 0, v24
	v_cndmask_b32_e64 v41, 0, 1, s6
	v_cmp_ne_u32_e64 s6, 0, v39
	v_cmp_ne_u32_e64 s7, 0, v40
	v_mov_b32_e32 v24, v12
	s_bcnt1_i32_b32 s10, vcc_lo
	v_cmp_ne_u32_e64 s9, 0, v41
	s_bcnt1_i32_b32 s6, s6
	v_add_co_u32 v2, vcc_lo, v2, s10
	s_bcnt1_i32_b32 s7, s7
	v_add_co_ci_u32_e64 v3, null, 0, v3, vcc_lo
	v_add_co_u32 v4, vcc_lo, v4, s6
	v_add_co_ci_u32_e64 v5, null, 0, v5, vcc_lo
	v_add_co_u32 v6, vcc_lo, v6, s7
	s_bcnt1_i32_b32 s6, s9
	v_add_co_ci_u32_e64 v7, null, 0, v7, vcc_lo
	v_add_co_u32 v8, vcc_lo, v8, s6
	v_add_co_ci_u32_e64 v9, null, 0, v9, vcc_lo
	s_andn2_b32 exec_lo, exec_lo, s12
	s_cbranch_execz .LBB192_55
.LBB192_53:                             ;   Parent Loop BB192_6 Depth=1
                                        ; =>  This Inner Loop Header: Depth=2
	v_add_co_u32 v28, vcc_lo, v28, s54
	v_add_co_ci_u32_e64 v29, null, 0, v29, vcc_lo
	v_mov_b32_e32 v12, 0
	s_mov_b32 s7, exec_lo
	v_cmp_le_u64_e32 vcc_lo, s[28:29], v[28:29]
	v_cmpx_gt_u64_e64 s[28:29], v[28:29]
	s_cbranch_execz .LBB192_52
; %bb.54:                               ;   in Loop: Header=BB192_53 Depth=2
	v_mul_lo_u32 v12, v29, s38
	v_mul_lo_u32 v41, v28, s39
	v_mad_u64_u32 v[39:40], null, v28, s38, 0
	v_add3_u32 v40, v40, v41, v12
	v_lshlrev_b64 v[39:40], 2, v[39:40]
	v_add_co_u32 v39, s6, s52, v39
	v_add_co_ci_u32_e64 v40, null, s53, v40, s6
	global_load_dword v12, v[39:40], off
	s_branch .LBB192_52
.LBB192_55:                             ;   in Loop: Header=BB192_6 Depth=1
	s_or_b32 exec_lo, exec_lo, s12
.LBB192_56:                             ;   in Loop: Header=BB192_6 Depth=1
	s_or_b32 exec_lo, exec_lo, s11
	s_branch .LBB192_35
.LBB192_57:                             ;   in Loop: Header=BB192_6 Depth=1
	global_load_ushort v12, v13, s[56:57]
	v_mov_b32_e32 v4, 0
	v_mov_b32_e32 v6, 0
	;; [unrolled: 1-line block ×6, first 2 shown]
	s_mov_b32 s44, exec_lo
	s_waitcnt vmcnt(0)
	v_readfirstlane_b32 s6, v12
	s_and_b32 s6, 0xffff, s6
	s_lshl_b32 s54, s6, 2
	v_cvt_f32_u32_e32 v2, s54
	s_sub_i32 s9, 0, s54
	v_rcp_iflag_f32_e32 v2, v2
	v_mul_f32_e32 v2, 0x4f7ffffe, v2
	v_cvt_u32_f32_e32 v2, v2
	v_readfirstlane_b32 s7, v2
	v_mov_b32_e32 v2, 0
	v_mov_b32_e32 v3, 0
	s_mul_i32 s9, s9, s7
	s_mul_hi_u32 s9, s7, s9
	s_add_i32 s7, s7, s9
	s_mul_hi_u32 s7, s62, s7
	s_mul_i32 s9, s7, s54
	s_add_i32 s10, s7, 1
	s_sub_i32 s9, s62, s9
	s_sub_i32 s11, s9, s54
	s_cmp_ge_u32 s9, s54
	s_cselect_b32 s7, s10, s7
	s_cselect_b32 s9, s11, s9
	s_add_i32 s10, s7, 1
	s_cmp_ge_u32 s9, s54
	s_cselect_b32 s7, s10, s7
	s_mul_hi_u32 s65, s6, s7
	s_mul_i32 s64, s6, s7
	s_lshl_b64 s[66:67], s[64:65], 2
	v_cmpx_gt_u64_e64 s[66:67], v[14:15]
	s_cbranch_execz .LBB192_61
; %bb.58:                               ;   in Loop: Header=BB192_6 Depth=1
	v_mov_b32_e32 v29, v15
	v_mov_b32_e32 v24, v33
	;; [unrolled: 1-line block ×3, first 2 shown]
	s_lshl_b32 s45, s6, 4
	s_mov_b64 s[68:69], 0
	s_mov_b32 s63, 0
	s_mov_b64 s[70:71], 0
	s_mov_b64 s[72:73], 0
	;; [unrolled: 1-line block ×3, first 2 shown]
.LBB192_59:                             ;   Parent Loop BB192_6 Depth=1
                                        ; =>  This Inner Loop Header: Depth=2
	ds_read_b128 v[2:5], v24
	v_add_co_u32 v28, vcc_lo, v28, s54
	v_add_co_ci_u32_e64 v29, null, 0, v29, vcc_lo
	v_add_nc_u32_e32 v24, s45, v24
	v_cmp_le_u64_e32 vcc_lo, s[66:67], v[28:29]
	s_waitcnt lgkmcnt(0)
	v_cmp_lt_i32_e64 s6, -1, v2
	v_cmp_o_f32_e64 s10, v2, v2
	v_cmp_o_f32_e64 s7, v4, v4
	;; [unrolled: 1-line block ×3, first 2 shown]
	v_cndmask_b32_e64 v6, -1, 0x80000000, s6
	v_cmp_lt_i32_e64 s6, -1, v3
	v_xor_b32_e32 v6, v6, v2
	v_cndmask_b32_e64 v7, -1, 0x80000000, s6
	v_cmp_lt_i32_e64 s6, -1, v4
	v_cndmask_b32_e64 v2, -1, v6, s10
	v_xor_b32_e32 v7, v7, v3
	v_cndmask_b32_e64 v8, -1, 0x80000000, s6
	v_cmp_lt_i32_e64 s6, -1, v5
	v_and_b32_e32 v6, v2, v38
	v_bfe_u32 v2, v2, s93, 2
	v_cndmask_b32_e64 v9, -1, 0x80000000, s6
	v_cmp_o_f32_e64 s6, v3, v3
	v_xor_b32_e32 v3, v8, v4
	v_cmp_eq_u32_e64 s11, 0, v2
	v_cmp_eq_u32_e64 s15, 1, v2
	v_xor_b32_e32 v4, v9, v5
	v_cndmask_b32_e64 v5, -1, v7, s6
	v_cndmask_b32_e64 v3, -1, v3, s7
	v_cmp_eq_u32_e64 s6, v6, v17
	v_cmp_eq_u32_e64 s19, 2, v2
	v_cndmask_b32_e64 v4, -1, v4, s9
	v_and_b32_e32 v7, v5, v38
	v_bfe_u32 v5, v5, s93, 2
	v_and_b32_e32 v8, v3, v38
	v_bfe_u32 v3, v3, s93, 2
	;; [unrolled: 2-line block ×3, first 2 shown]
	v_cmp_eq_u32_e64 s7, v7, v17
	v_cmp_eq_u32_e64 s12, 0, v5
	;; [unrolled: 1-line block ×4, first 2 shown]
	s_and_b32 s11, s6, s11
	v_cmp_eq_u32_e64 s10, v9, v17
	v_cmp_eq_u32_e64 s14, 0, v4
	v_cmp_eq_u32_e64 s23, 3, v2
	v_cndmask_b32_e64 v2, 0, 1, s11
	s_and_b32 s11, s7, s12
	v_cmp_eq_u32_e64 s17, 1, v3
	v_cmp_eq_u32_e64 s21, 2, v3
	v_cmp_eq_u32_e64 s25, 3, v3
	v_cndmask_b32_e64 v3, 0, 1, s11
	;; [unrolled: 5-line block ×4, first 2 shown]
	v_cmp_ne_u32_e64 s11, 0, v2
	v_cmp_ne_u32_e64 s12, 0, v3
	;; [unrolled: 1-line block ×4, first 2 shown]
	s_bcnt1_i32_b32 s11, s11
	s_bcnt1_i32_b32 s12, s12
	;; [unrolled: 1-line block ×3, first 2 shown]
	s_add_i32 s11, s12, s11
	s_bcnt1_i32_b32 s14, s14
	s_add_i32 s11, s11, s13
	s_add_i32 s11, s11, s14
	s_add_u32 s74, s74, s11
	s_addc_u32 s75, s75, 0
	s_and_b32 s11, s6, s15
	v_cndmask_b32_e64 v2, 0, 1, s11
	s_and_b32 s11, s7, s16
	v_cndmask_b32_e64 v3, 0, 1, s11
	;; [unrolled: 2-line block ×3, first 2 shown]
	s_and_b32 s11, s10, s18
	v_cmp_ne_u32_e64 s12, 0, v3
	v_cndmask_b32_e64 v5, 0, 1, s11
	v_cmp_ne_u32_e64 s11, 0, v2
	v_cmp_ne_u32_e64 s13, 0, v4
	s_bcnt1_i32_b32 s12, s12
	v_cmp_ne_u32_e64 s14, 0, v5
	s_bcnt1_i32_b32 s11, s11
	s_bcnt1_i32_b32 s13, s13
	s_add_i32 s11, s12, s11
	s_bcnt1_i32_b32 s14, s14
	s_add_i32 s11, s11, s13
	s_add_i32 s11, s11, s14
	s_add_u32 s72, s72, s11
	s_addc_u32 s73, s73, 0
	s_and_b32 s11, s6, s19
	v_cndmask_b32_e64 v2, 0, 1, s11
	s_and_b32 s11, s7, s20
	v_cndmask_b32_e64 v3, 0, 1, s11
	;; [unrolled: 2-line block ×3, first 2 shown]
	s_and_b32 s11, s10, s22
	v_cmp_ne_u32_e64 s12, 0, v3
	v_cndmask_b32_e64 v5, 0, 1, s11
	v_cmp_ne_u32_e64 s11, 0, v2
	v_cmp_ne_u32_e64 s13, 0, v4
	s_bcnt1_i32_b32 s12, s12
	v_cmp_ne_u32_e64 s14, 0, v5
	s_bcnt1_i32_b32 s11, s11
	s_bcnt1_i32_b32 s13, s13
	s_add_i32 s11, s12, s11
	s_bcnt1_i32_b32 s14, s14
	s_add_i32 s11, s11, s13
	s_add_i32 s11, s11, s14
	s_add_u32 s70, s70, s11
	s_addc_u32 s71, s71, 0
	s_and_b32 s6, s6, s23
	v_mov_b32_e32 v6, s70
	v_cndmask_b32_e64 v2, 0, 1, s6
	s_and_b32 s6, s7, s24
	v_mov_b32_e32 v7, s71
	v_cndmask_b32_e64 v3, 0, 1, s6
	s_and_b32 s6, s9, s25
	v_cndmask_b32_e64 v4, 0, 1, s6
	s_and_b32 s6, s10, s26
	v_cmp_ne_u32_e64 s7, 0, v3
	v_cndmask_b32_e64 v5, 0, 1, s6
	v_cmp_ne_u32_e64 s6, 0, v2
	v_cmp_ne_u32_e64 s9, 0, v4
	v_mov_b32_e32 v2, s74
	s_bcnt1_i32_b32 s7, s7
	v_cmp_ne_u32_e64 s10, 0, v5
	s_bcnt1_i32_b32 s6, s6
	s_bcnt1_i32_b32 s9, s9
	s_add_i32 s6, s7, s6
	v_mov_b32_e32 v4, s72
	s_bcnt1_i32_b32 s7, s10
	s_add_i32 s6, s6, s9
	v_mov_b32_e32 v3, s75
	s_add_i32 s6, s6, s7
	v_mov_b32_e32 v5, s73
	s_add_u32 s68, s68, s6
	s_addc_u32 s69, s69, 0
	v_mov_b32_e32 v8, s68
	v_mov_b32_e32 v9, s69
	s_or_b32 s63, vcc_lo, s63
	s_andn2_b32 exec_lo, exec_lo, s63
	s_cbranch_execnz .LBB192_59
; %bb.60:                               ;   in Loop: Header=BB192_6 Depth=1
	s_or_b32 exec_lo, exec_lo, s63
.LBB192_61:                             ;   in Loop: Header=BB192_6 Depth=1
	s_or_b32 exec_lo, exec_lo, s44
	v_add_co_u32 v28, s6, s66, v0
	v_and_b32_e32 v12, 0xffff, v12
	v_add_co_ci_u32_e64 v29, null, s67, 0, s6
	s_and_b32 s26, s62, 0x7fffffff
	s_mov_b32 s12, exec_lo
	v_cmpx_gt_u64_e64 s[26:27], v[28:29]
	s_cbranch_execz .LBB192_65
; %bb.62:                               ;   in Loop: Header=BB192_6 Depth=1
	v_lshl_add_u32 v24, s64, 4, v14
	s_mov_b32 s13, 0
.LBB192_63:                             ;   Parent Loop BB192_6 Depth=1
                                        ; =>  This Inner Loop Header: Depth=2
	ds_read_b32 v39, v24
	v_add_co_u32 v28, vcc_lo, v28, v12
	v_add_co_ci_u32_e64 v29, null, 0, v29, vcc_lo
	v_add_nc_u32_e32 v24, s54, v24
	v_cmp_le_u64_e32 vcc_lo, s[26:27], v[28:29]
	s_waitcnt lgkmcnt(0)
	v_cmp_lt_i32_e64 s6, -1, v39
	v_cndmask_b32_e64 v40, -1, 0x80000000, s6
	v_cmp_o_f32_e64 s6, v39, v39
	v_xor_b32_e32 v40, v40, v39
	v_cndmask_b32_e64 v39, -1, v40, s6
	v_and_b32_e32 v40, v39, v38
	v_bfe_u32 v39, v39, s93, 2
	v_cmp_eq_u32_e64 s6, v40, v17
	v_cmp_eq_u32_e64 s7, 0, v39
	;; [unrolled: 1-line block ×5, first 2 shown]
	s_and_b32 s7, s6, s7
	v_cndmask_b32_e64 v39, 0, 1, s7
	s_and_b32 s7, s6, s9
	v_cndmask_b32_e64 v40, 0, 1, s7
	s_and_b32 s7, s6, s10
	s_and_b32 s6, s6, s11
	v_cndmask_b32_e64 v41, 0, 1, s7
	v_cndmask_b32_e64 v42, 0, 1, s6
	v_cmp_ne_u32_e64 s6, 0, v39
	v_cmp_ne_u32_e64 s7, 0, v40
	;; [unrolled: 1-line block ×4, first 2 shown]
	s_bcnt1_i32_b32 s6, s6
	s_bcnt1_i32_b32 s7, s7
	v_add_co_u32 v2, s6, v2, s6
	s_bcnt1_i32_b32 s9, s9
	v_add_co_ci_u32_e64 v3, null, 0, v3, s6
	v_add_co_u32 v4, s6, v4, s7
	s_bcnt1_i32_b32 s10, s10
	v_add_co_ci_u32_e64 v5, null, 0, v5, s6
	v_add_co_u32 v6, s6, v6, s9
	v_add_co_ci_u32_e64 v7, null, 0, v7, s6
	v_add_co_u32 v8, s6, v8, s10
	v_add_co_ci_u32_e64 v9, null, 0, v9, s6
	s_or_b32 s13, vcc_lo, s13
	s_andn2_b32 exec_lo, exec_lo, s13
	s_cbranch_execnz .LBB192_63
; %bb.64:                               ;   in Loop: Header=BB192_6 Depth=1
	s_or_b32 exec_lo, exec_lo, s13
.LBB192_65:                             ;   in Loop: Header=BB192_6 Depth=1
	s_or_b32 exec_lo, exec_lo, s12
	s_lshl_b32 s6, s89, 7
	s_and_saveexec_b32 s7, s0
	s_cbranch_execnz .LBB192_36
	s_branch .LBB192_37
.LBB192_66:                             ;   in Loop: Header=BB192_6 Depth=1
                                        ; implicit-def: $sgpr6_sgpr7
	s_branch .LBB192_45
.LBB192_67:                             ;   in Loop: Header=BB192_6 Depth=1
	s_mov_b32 s9, 0
	s_andn2_b32 vcc_lo, exec_lo, s85
	s_cbranch_vccnz .LBB192_70
.LBB192_68:                             ;   in Loop: Header=BB192_6 Depth=1
	s_lshl_b32 s10, s89, 10
	s_lshl_b32 s9, s9, 5
	v_add3_u32 v4, s10, s9, v37
	s_mov_b32 s9, s83
.LBB192_69:                             ;   Parent Loop BB192_6 Depth=1
                                        ; =>  This Inner Loop Header: Depth=2
	ds_read_b64 v[5:6], v4
	v_add_nc_u32_e32 v4, 32, v4
	s_add_i32 s9, s9, -1
	s_cmp_lg_u32 s9, 0
	s_waitcnt lgkmcnt(0)
	v_add_co_u32 v2, vcc_lo, v5, v2
	v_add_co_ci_u32_e64 v3, null, v6, v3, vcc_lo
	s_cbranch_scc1 .LBB192_69
.LBB192_70:                             ;   in Loop: Header=BB192_6 Depth=1
	v_add_lshl_u32 v4, s6, v31, 3
	ds_write_b64 v4, v[2:3] offset:3072
.LBB192_71:                             ;   in Loop: Header=BB192_6 Depth=1
	s_or_b32 exec_lo, exec_lo, s7
	s_lshl_b32 s6, s6, 3
	s_waitcnt lgkmcnt(0)
	v_mov_b32_e32 v6, s6
	s_barrier
	buffer_gl0_inv
	v_cmp_eq_u64_e64 s7, 1, v[26:27]
	s_lshl_b32 s9, 3, s93
	ds_read_b128 v[2:5], v6 offset:3072
	ds_read_b128 v[6:9], v6 offset:3088
	s_mov_b32 s64, -1
	s_not_b32 s24, s9
	s_mov_b32 s25, 0
	s_andn2_b32 vcc_lo, exec_lo, s43
	s_mov_b32 s23, 0
	s_mov_b32 s22, 0
                                        ; implicit-def: $sgpr62
                                        ; implicit-def: $sgpr63
                                        ; implicit-def: $vgpr12
                                        ; implicit-def: $vgpr28
                                        ; implicit-def: $vgpr29
	s_waitcnt lgkmcnt(1)
	v_readfirstlane_b32 s11, v3
	v_readfirstlane_b32 s10, v2
	;; [unrolled: 1-line block ×4, first 2 shown]
	s_waitcnt lgkmcnt(0)
	v_readfirstlane_b32 s15, v7
	v_readfirstlane_b32 s14, v6
	;; [unrolled: 1-line block ×4, first 2 shown]
                                        ; implicit-def: $vgpr2_vgpr3
                                        ; implicit-def: $vgpr5
	s_cbranch_vccnz .LBB192_274
; %bb.72:                               ;   in Loop: Header=BB192_6 Depth=1
	s_cmp_eq_u64 s[10:11], 1
	v_mov_b32_e32 v28, v17
	v_mov_b32_e32 v29, v38
	;; [unrolled: 1-line block ×3, first 2 shown]
	s_cselect_b32 s6, -1, 0
                                        ; implicit-def: $sgpr63
                                        ; implicit-def: $sgpr62
	s_and_b32 s66, s6, s7
	s_mov_b32 s6, -1
	s_and_saveexec_b32 s64, s66
	s_cbranch_execz .LBB192_109
; %bb.73:                               ;   in Loop: Header=BB192_6 Depth=1
	ds_read_b64 v[2:3], v13 offset:5120
	s_waitcnt lgkmcnt(0)
	s_barrier
	buffer_gl0_inv
	v_readfirstlane_b32 s18, v2
	v_readfirstlane_b32 s19, v3
	s_and_saveexec_b32 s6, s8
; %bb.74:                               ;   in Loop: Header=BB192_6 Depth=1
	ds_write_b32 v32, v13
; %bb.75:                               ;   in Loop: Header=BB192_6 Depth=1
	s_or_b32 exec_lo, exec_lo, s6
	v_and_b32_e32 v28, s24, v17
	v_or_b32_e32 v29, s9, v38
	s_mov_b32 s62, -1
	s_mov_b32 s63, 0
	s_cmp_eq_u64 s[18:19], 0
	s_mov_b32 s6, -1
	s_waitcnt lgkmcnt(0)
	s_barrier
	buffer_gl0_inv
                                        ; implicit-def: $vgpr5
	s_cbranch_scc1 .LBB192_93
; %bb.76:                               ;   in Loop: Header=BB192_6 Depth=1
	s_add_u32 s6, s18, s80
	s_addc_u32 s21, s19, s81
	s_mov_b32 s20, s27
	s_cmp_lg_u64 s[20:21], 0
	s_cbranch_scc0 .LBB192_136
; %bb.77:                               ;   in Loop: Header=BB192_6 Depth=1
	v_cvt_f32_u32_e32 v2, s33
	s_sub_u32 s23, 0, s33
	s_subb_u32 s26, 0, 0
	v_fmac_f32_e64 v2, 0x4f800000, 0
	v_rcp_f32_e32 v2, v2
	v_mul_f32_e32 v2, 0x5f7ffffc, v2
	v_mul_f32_e32 v3, 0x2f800000, v2
	v_trunc_f32_e32 v3, v3
	v_fmac_f32_e32 v2, 0xcf800000, v3
	v_cvt_u32_f32_e32 v3, v3
	v_cvt_u32_f32_e32 v2, v2
	v_readfirstlane_b32 s20, v3
	v_readfirstlane_b32 s22, v2
	s_mul_i32 s44, s23, s20
	s_mul_hi_u32 s46, s23, s22
	s_mul_i32 s45, s26, s22
	s_add_i32 s44, s46, s44
	s_mul_i32 s47, s23, s22
	s_add_i32 s44, s44, s45
	s_mul_hi_u32 s46, s22, s47
	s_mul_i32 s49, s22, s44
	s_mul_hi_u32 s48, s20, s47
	s_mul_i32 s45, s20, s47
	s_mul_hi_u32 s47, s22, s44
	s_add_u32 s46, s46, s49
	s_addc_u32 s47, 0, s47
	s_mul_hi_u32 s54, s20, s44
	s_add_u32 s45, s46, s45
	s_mul_i32 s44, s20, s44
	s_addc_u32 s45, s47, s48
	s_addc_u32 s46, s54, 0
	s_add_u32 s44, s45, s44
	s_addc_u32 s45, 0, s46
	s_add_u32 s22, s22, s44
	s_cselect_b32 s44, -1, 0
	s_mul_hi_u32 s46, s23, s22
	s_cmp_lg_u32 s44, 0
	s_mul_i32 s44, s23, s22
	s_addc_u32 s20, s20, s45
	s_mul_i32 s26, s26, s22
	s_mul_i32 s23, s23, s20
	s_mul_hi_u32 s45, s22, s44
	s_add_i32 s23, s46, s23
	s_mul_hi_u32 s46, s20, s44
	s_add_i32 s23, s23, s26
	s_mul_i32 s26, s20, s44
	s_mul_i32 s48, s22, s23
	s_mul_hi_u32 s47, s22, s23
	s_add_u32 s45, s45, s48
	s_addc_u32 s47, 0, s47
	s_mul_hi_u32 s44, s20, s23
	s_add_u32 s26, s45, s26
	s_mul_i32 s23, s20, s23
	s_addc_u32 s26, s47, s46
	s_addc_u32 s44, s44, 0
	s_add_u32 s23, s26, s23
	s_addc_u32 s26, 0, s44
	s_add_u32 s22, s22, s23
	s_cselect_b32 s23, -1, 0
	s_mul_hi_u32 s44, s6, s22
	s_cmp_lg_u32 s23, 0
	s_mul_hi_u32 s23, s21, s22
	s_addc_u32 s20, s20, s26
	s_mul_i32 s22, s21, s22
	s_mul_i32 s45, s6, s20
	s_mul_hi_u32 s26, s6, s20
	s_add_u32 s44, s44, s45
	s_addc_u32 s26, 0, s26
	s_mul_hi_u32 s46, s21, s20
	s_add_u32 s22, s44, s22
	s_mul_i32 s20, s21, s20
	s_addc_u32 s22, s26, s23
	s_addc_u32 s23, s46, 0
	s_add_u32 s20, s22, s20
	s_addc_u32 s22, 0, s23
	s_mul_hi_u32 s23, s33, s20
	s_mul_i32 s22, s33, s22
	s_mul_i32 s20, s33, s20
	s_add_i32 s23, s23, s22
	s_sub_u32 s20, s6, s20
	s_cselect_b32 s22, -1, 0
	s_cmp_lg_u32 s22, 0
	s_subb_u32 s22, s21, s23
	s_sub_u32 s23, s20, s33
	s_cselect_b32 s26, -1, 0
	s_cmp_lg_u32 s26, 0
	s_subb_u32 s26, s22, 0
	;; [unrolled: 4-line block ×3, first 2 shown]
	s_cmp_ge_u32 s23, s33
	s_cselect_b32 s46, -1, 0
	s_cmp_eq_u32 s26, 0
	s_cselect_b32 s46, s46, -1
	s_cmp_lg_u32 s46, 0
	s_cselect_b32 s26, s45, s26
	s_cselect_b32 s44, s44, s23
	s_cmp_ge_u32 s20, s33
	s_cselect_b32 s23, -1, 0
	s_cmp_eq_u32 s22, 0
	s_cselect_b32 s23, s23, -1
	s_cmp_lg_u32 s23, 0
	s_cselect_b32 s23, s26, s22
	s_cselect_b32 s22, s44, s20
	s_cbranch_execnz .LBB192_79
.LBB192_78:                             ;   in Loop: Header=BB192_6 Depth=1
	v_cvt_f32_u32_e32 v2, s33
	s_sub_i32 s22, 0, s33
	v_rcp_iflag_f32_e32 v2, v2
	v_mul_f32_e32 v2, 0x4f7ffffe, v2
	v_cvt_u32_f32_e32 v2, v2
	v_readfirstlane_b32 s20, v2
	s_mul_i32 s22, s22, s20
	s_mul_hi_u32 s22, s20, s22
	s_add_i32 s20, s20, s22
	s_mul_hi_u32 s20, s6, s20
	s_mul_i32 s20, s20, s33
	s_sub_i32 s20, s6, s20
	s_sub_i32 s22, s20, s33
	s_cmp_ge_u32 s20, s33
	s_cselect_b32 s20, s22, s20
	s_sub_i32 s22, s20, s33
	s_cmp_ge_u32 s20, s33
	s_cselect_b32 s26, s22, s20
	s_mov_b64 s[22:23], s[26:27]
.LBB192_79:                             ;   in Loop: Header=BB192_6 Depth=1
	s_sub_u32 s20, s6, s22
	s_subb_u32 s21, s21, s23
	s_mov_b32 s6, 0
	s_mov_b32 s22, 0
	s_mov_b32 s23, exec_lo
                                        ; implicit-def: $vgpr5
	v_cmpx_gt_u64_e64 s[20:21], v[0:1]
	s_cbranch_execz .LBB192_92
; %bb.80:                               ;   in Loop: Header=BB192_6 Depth=1
	v_mov_b32_e32 v3, v1
	v_mov_b32_e32 v6, v14
	;; [unrolled: 1-line block ×3, first 2 shown]
                                        ; implicit-def: $sgpr26
	s_inst_prefetch 0x1
	s_branch .LBB192_84
	.p2align	6
.LBB192_81:                             ;   in Loop: Header=BB192_84 Depth=2
	s_or_b32 exec_lo, exec_lo, s44
	s_waitcnt lgkmcnt(0)
	s_barrier
	buffer_gl0_inv
	ds_read_b64 v[4:5], v13 offset:3072
	s_waitcnt lgkmcnt(0)
	s_barrier
	buffer_gl0_inv
	v_cmp_neq_f32_e32 vcc_lo, 0, v4
	s_cbranch_vccnz .LBB192_87
; %bb.82:                               ;   in Loop: Header=BB192_84 Depth=2
	v_add_co_u32 v2, vcc_lo, v2, s33
	v_add_co_ci_u32_e64 v3, null, 0, v3, vcc_lo
	v_add_nc_u32_e32 v6, s86, v6
	s_mov_b32 s44, 0
	v_cmp_le_u64_e32 vcc_lo, s[20:21], v[2:3]
	s_orn2_b32 s45, vcc_lo, exec_lo
.LBB192_83:                             ;   in Loop: Header=BB192_84 Depth=2
	s_and_b32 s45, exec_lo, s45
	s_or_b32 s22, s45, s22
	s_andn2_b32 s26, s26, exec_lo
	s_and_b32 s44, s44, exec_lo
	s_or_b32 s26, s26, s44
	s_andn2_b32 exec_lo, exec_lo, s22
	s_cbranch_execz .LBB192_91
.LBB192_84:                             ;   Parent Loop BB192_6 Depth=1
                                        ; =>  This Inner Loop Header: Depth=2
	s_mov_b32 s44, exec_lo
	v_cmpx_gt_u64_e64 s[18:19], v[2:3]
	s_cbranch_execz .LBB192_81
; %bb.85:                               ;   in Loop: Header=BB192_84 Depth=2
	ds_read_b32 v24, v6
	s_waitcnt lgkmcnt(0)
	v_cmp_lt_i32_e32 vcc_lo, -1, v24
	v_cndmask_b32_e64 v4, -1, 0x80000000, vcc_lo
	v_cmp_o_f32_e32 vcc_lo, v24, v24
	v_xor_b32_e32 v4, v4, v24
	v_cndmask_b32_e32 v4, -1, v4, vcc_lo
	v_and_b32_e32 v4, v4, v29
	v_cmp_eq_u32_e32 vcc_lo, v4, v28
	s_and_b32 exec_lo, exec_lo, vcc_lo
	s_cbranch_execz .LBB192_81
; %bb.86:                               ;   in Loop: Header=BB192_84 Depth=2
	ds_write_b64 v13, v[23:24] offset:3072
	s_branch .LBB192_81
.LBB192_87:                             ;   in Loop: Header=BB192_84 Depth=2
	s_mov_b32 s45, -1
	s_mov_b32 s44, -1
                                        ; implicit-def: $vgpr2_vgpr3
                                        ; implicit-def: $vgpr6
	s_branch .LBB192_83
.LBB192_88:                             ;   in Loop: Header=BB192_6 Depth=1
	s_or_b32 exec_lo, exec_lo, s10
	s_waitcnt lgkmcnt(0)
	s_barrier
	buffer_gl0_inv
	s_and_saveexec_b32 s6, s3
	s_cbranch_execz .LBB192_90
; %bb.89:                               ;   in Loop: Header=BB192_6 Depth=1
	ds_read_b32 v2, v13 offset:5144
	s_waitcnt lgkmcnt(0)
	v_ashrrev_i32_e32 v3, 31, v2
	ds_write_b64 v13, v[2:3] offset:5120
.LBB192_90:                             ;   in Loop: Header=BB192_6 Depth=1
	s_or_b32 exec_lo, exec_lo, s6
	s_waitcnt lgkmcnt(0)
	s_mov_b32 s6, -1
	s_barrier
	s_and_b32 vcc_lo, exec_lo, s9
	s_cbranch_vccnz .LBB192_22
	s_branch .LBB192_31
.LBB192_91:                             ;   in Loop: Header=BB192_6 Depth=1
	s_inst_prefetch 0x2
	s_or_b32 exec_lo, exec_lo, s22
	s_and_b32 s22, s26, exec_lo
.LBB192_92:                             ;   in Loop: Header=BB192_6 Depth=1
	s_or_b32 exec_lo, exec_lo, s23
.LBB192_93:                             ;   in Loop: Header=BB192_6 Depth=1
	s_and_b32 vcc_lo, exec_lo, s6
	s_cbranch_vccz .LBB192_108
; %bb.94:                               ;   in Loop: Header=BB192_6 Depth=1
	s_mov_b32 s54, s27
	s_cmp_lg_u64 s[54:55], 0
	s_cbranch_scc0 .LBB192_137
; %bb.95:                               ;   in Loop: Header=BB192_6 Depth=1
	v_cvt_f32_u32_e32 v2, s33
	s_sub_u32 s19, 0, s33
	s_subb_u32 s20, 0, 0
	v_fmac_f32_e64 v2, 0x4f800000, 0
	v_rcp_f32_e32 v2, v2
	v_mul_f32_e32 v2, 0x5f7ffffc, v2
	v_mul_f32_e32 v3, 0x2f800000, v2
	v_trunc_f32_e32 v3, v3
	v_fmac_f32_e32 v2, 0xcf800000, v3
	v_cvt_u32_f32_e32 v3, v3
	v_cvt_u32_f32_e32 v2, v2
	v_readfirstlane_b32 s6, v3
	v_readfirstlane_b32 s18, v2
	s_mul_i32 s21, s19, s6
	s_mul_hi_u32 s26, s19, s18
	s_mul_i32 s23, s20, s18
	s_add_i32 s21, s26, s21
	s_mul_i32 s44, s19, s18
	s_add_i32 s21, s21, s23
	s_mul_hi_u32 s26, s18, s44
	s_mul_i32 s46, s18, s21
	s_mul_hi_u32 s45, s6, s44
	s_mul_i32 s23, s6, s44
	s_mul_hi_u32 s44, s18, s21
	s_add_u32 s26, s26, s46
	s_addc_u32 s44, 0, s44
	s_mul_hi_u32 s47, s6, s21
	s_add_u32 s23, s26, s23
	s_mul_i32 s21, s6, s21
	s_addc_u32 s23, s44, s45
	s_addc_u32 s26, s47, 0
	s_add_u32 s21, s23, s21
	s_addc_u32 s23, 0, s26
	s_add_u32 s18, s18, s21
	s_cselect_b32 s21, -1, 0
	s_mul_hi_u32 s26, s19, s18
	s_cmp_lg_u32 s21, 0
	s_mul_i32 s21, s19, s18
	s_addc_u32 s6, s6, s23
	s_mul_i32 s20, s20, s18
	s_mul_i32 s19, s19, s6
	s_mul_hi_u32 s23, s18, s21
	s_add_i32 s19, s26, s19
	s_mul_hi_u32 s26, s6, s21
	s_add_i32 s19, s19, s20
	s_mul_i32 s20, s6, s21
	s_mul_i32 s45, s18, s19
	s_mul_hi_u32 s44, s18, s19
	s_add_u32 s23, s23, s45
	s_addc_u32 s44, 0, s44
	s_mul_hi_u32 s21, s6, s19
	s_add_u32 s20, s23, s20
	s_mul_i32 s19, s6, s19
	s_addc_u32 s20, s44, s26
	s_addc_u32 s21, s21, 0
	s_add_u32 s19, s20, s19
	s_addc_u32 s20, 0, s21
	s_add_u32 s18, s18, s19
	s_cselect_b32 s19, -1, 0
	s_mul_hi_u32 s21, s82, s18
	s_cmp_lg_u32 s19, 0
	s_mul_hi_u32 s19, s55, s18
	s_addc_u32 s6, s6, s20
	s_mul_i32 s18, s55, s18
	s_mul_i32 s23, s82, s6
	s_mul_hi_u32 s20, s82, s6
	s_add_u32 s21, s21, s23
	s_addc_u32 s20, 0, s20
	s_mul_hi_u32 s26, s55, s6
	s_add_u32 s18, s21, s18
	s_mul_i32 s6, s55, s6
	s_addc_u32 s18, s20, s19
	s_addc_u32 s19, s26, 0
	s_add_u32 s6, s18, s6
	s_addc_u32 s18, 0, s19
	s_mul_hi_u32 s19, s33, s6
	s_mul_i32 s18, s33, s18
	s_mul_i32 s6, s33, s6
	s_add_i32 s19, s19, s18
	s_sub_u32 s6, s82, s6
	s_cselect_b32 s18, -1, 0
	s_cmp_lg_u32 s18, 0
	s_subb_u32 s18, s55, s19
	s_sub_u32 s19, s6, s33
	s_cselect_b32 s20, -1, 0
	s_cmp_lg_u32 s20, 0
	s_subb_u32 s20, s18, 0
	s_sub_u32 s21, s19, s33
	s_cselect_b32 s23, -1, 0
	s_cmp_lg_u32 s23, 0
	s_subb_u32 s23, s20, 0
	s_cmp_ge_u32 s19, s33
	s_cselect_b32 s26, -1, 0
	s_cmp_eq_u32 s20, 0
	s_cselect_b32 s26, s26, -1
	s_cmp_lg_u32 s26, 0
	s_cselect_b32 s20, s23, s20
	s_cselect_b32 s21, s21, s19
	s_cmp_ge_u32 s6, s33
	s_cselect_b32 s19, -1, 0
	s_cmp_eq_u32 s18, 0
	s_cselect_b32 s19, s19, -1
	s_cmp_lg_u32 s19, 0
	s_cselect_b32 s19, s20, s18
	s_cselect_b32 s18, s21, s6
	s_cbranch_execnz .LBB192_97
.LBB192_96:                             ;   in Loop: Header=BB192_6 Depth=1
	v_cvt_f32_u32_e32 v2, s33
	s_sub_i32 s18, 0, s33
	v_rcp_iflag_f32_e32 v2, v2
	v_mul_f32_e32 v2, 0x4f7ffffe, v2
	v_cvt_u32_f32_e32 v2, v2
	v_readfirstlane_b32 s6, v2
	s_mul_i32 s18, s18, s6
	s_mul_hi_u32 s18, s6, s18
	s_add_i32 s6, s6, s18
	s_mul_hi_u32 s6, s82, s6
	s_mul_i32 s6, s6, s33
	s_sub_i32 s6, s82, s6
	s_sub_i32 s18, s6, s33
	s_cmp_ge_u32 s6, s33
	s_cselect_b32 s6, s18, s6
	s_sub_i32 s18, s6, s33
	s_cmp_ge_u32 s6, s33
	s_cselect_b32 s26, s18, s6
	s_mov_b64 s[18:19], s[26:27]
.LBB192_97:                             ;   in Loop: Header=BB192_6 Depth=1
	s_sub_u32 s18, s82, s18
	s_subb_u32 s19, s55, s19
	s_mov_b32 s20, exec_lo
                                        ; implicit-def: $vgpr5
	v_cmpx_gt_u64_e64 s[18:19], v[0:1]
	s_cbranch_execz .LBB192_107
; %bb.98:                               ;   in Loop: Header=BB192_6 Depth=1
	v_mov_b32_e32 v2, v10
	v_mov_b32_e32 v7, v1
	;; [unrolled: 1-line block ×4, first 2 shown]
	s_mov_b32 s21, 0
                                        ; implicit-def: $sgpr23
	s_branch .LBB192_102
.LBB192_99:                             ;   in Loop: Header=BB192_102 Depth=2
	s_or_b32 exec_lo, exec_lo, s6
	s_waitcnt lgkmcnt(0)
	s_barrier
	buffer_gl0_inv
	ds_read_b64 v[4:5], v13 offset:3072
	s_waitcnt lgkmcnt(0)
	s_barrier
	buffer_gl0_inv
	v_cmp_neq_f32_e32 vcc_lo, 0, v4
	s_cbranch_vccnz .LBB192_105
; %bb.100:                              ;   in Loop: Header=BB192_102 Depth=2
	v_add_co_u32 v6, vcc_lo, v6, s33
	v_add_co_ci_u32_e64 v7, null, 0, v7, vcc_lo
	v_add_co_u32 v2, s6, v2, s34
	v_add_co_ci_u32_e64 v3, null, s35, v3, s6
	v_cmp_le_u64_e32 vcc_lo, s[18:19], v[6:7]
	s_mov_b32 s6, 0
	s_orn2_b32 s26, vcc_lo, exec_lo
.LBB192_101:                            ;   in Loop: Header=BB192_102 Depth=2
	s_and_b32 s26, exec_lo, s26
	s_or_b32 s21, s26, s21
	s_andn2_b32 s23, s23, exec_lo
	s_and_b32 s6, s6, exec_lo
	s_or_b32 s23, s23, s6
	s_andn2_b32 exec_lo, exec_lo, s21
	s_cbranch_execz .LBB192_106
.LBB192_102:                            ;   Parent Loop BB192_6 Depth=1
                                        ; =>  This Inner Loop Header: Depth=2
	s_mov_b32 s6, exec_lo
	v_cmpx_gt_u64_e64 s[28:29], v[6:7]
	s_cbranch_execz .LBB192_99
; %bb.103:                              ;   in Loop: Header=BB192_102 Depth=2
	global_load_dword v24, v[2:3], off
	s_waitcnt vmcnt(0)
	v_cmp_lt_i32_e32 vcc_lo, -1, v24
	v_cndmask_b32_e64 v4, -1, 0x80000000, vcc_lo
	v_cmp_o_f32_e32 vcc_lo, v24, v24
	v_xor_b32_e32 v4, v4, v24
	v_cndmask_b32_e32 v4, -1, v4, vcc_lo
	v_and_b32_e32 v4, v4, v29
	v_cmp_eq_u32_e32 vcc_lo, v4, v28
	s_and_b32 exec_lo, exec_lo, vcc_lo
	s_cbranch_execz .LBB192_99
; %bb.104:                              ;   in Loop: Header=BB192_102 Depth=2
	ds_write_b64 v13, v[23:24] offset:3072
	s_branch .LBB192_99
.LBB192_105:                            ;   in Loop: Header=BB192_102 Depth=2
	s_mov_b32 s26, -1
	s_mov_b32 s6, -1
                                        ; implicit-def: $vgpr6_vgpr7
                                        ; implicit-def: $vgpr2_vgpr3
	s_branch .LBB192_101
.LBB192_106:                            ;   in Loop: Header=BB192_6 Depth=1
	s_or_b32 exec_lo, exec_lo, s21
	s_andn2_b32 s6, s22, exec_lo
	s_and_b32 s18, s23, exec_lo
	s_or_b32 s22, s6, s18
.LBB192_107:                            ;   in Loop: Header=BB192_6 Depth=1
	s_or_b32 exec_lo, exec_lo, s20
	s_mov_b32 s62, 0
	s_mov_b32 s63, -1
.LBB192_108:                            ;   in Loop: Header=BB192_6 Depth=1
	s_orn2_b32 s6, s22, exec_lo
.LBB192_109:                            ;   in Loop: Header=BB192_6 Depth=1
	s_or_b32 exec_lo, exec_lo, s64
	s_mov_b32 s64, 0
	s_mov_b32 s23, 0
	;; [unrolled: 1-line block ×3, first 2 shown]
                                        ; implicit-def: $vgpr2_vgpr3
                                        ; implicit-def: $vgpr12
	s_and_saveexec_b32 s65, s6
	s_cbranch_execz .LBB192_273
; %bb.110:                              ;   in Loop: Header=BB192_6 Depth=1
	v_mov_b32_e32 v2, 1
	v_mov_b32_e32 v3, 0
	;; [unrolled: 1-line block ×3, first 2 shown]
	s_xor_b32 s19, s66, -1
	s_mov_b32 s18, 0
	s_and_saveexec_b32 s6, s19
	s_cbranch_execz .LBB192_119
; %bb.111:                              ;   in Loop: Header=BB192_6 Depth=1
	s_mov_b32 s18, exec_lo
	v_cmpx_ge_u64_e64 s[10:11], v[26:27]
	s_xor_b32 s18, exec_lo, s18
	s_cbranch_execz .LBB192_116
; %bb.112:                              ;   in Loop: Header=BB192_6 Depth=1
	ds_read_b64 v[2:3], v13 offset:5120
	v_and_b32_e32 v28, s24, v28
	v_or_b32_e32 v29, s9, v29
	s_waitcnt lgkmcnt(0)
	v_cmp_ne_u64_e32 vcc_lo, 0, v[2:3]
	s_cbranch_vccnz .LBB192_116
; %bb.113:                              ;   in Loop: Header=BB192_6 Depth=1
	s_and_saveexec_b32 s19, s3
; %bb.114:                              ;   in Loop: Header=BB192_6 Depth=1
	v_mov_b32_e32 v2, s10
	v_mov_b32_e32 v3, s11
	ds_write_b64 v13, v[2:3] offset:5128
; %bb.115:                              ;   in Loop: Header=BB192_6 Depth=1
	s_or_b32 exec_lo, exec_lo, s19
	s_waitcnt lgkmcnt(0)
	s_barrier
	buffer_gl0_inv
.LBB192_116:                            ;   in Loop: Header=BB192_6 Depth=1
	s_or_saveexec_b32 s18, s18
	v_mov_b32_e32 v2, v26
	v_mov_b32_e32 v12, 8
	v_mov_b32_e32 v3, v27
	s_mov_b32 s19, 0
	s_xor_b32 exec_lo, exec_lo, s18
; %bb.117:                              ;   in Loop: Header=BB192_6 Depth=1
	v_sub_co_u32 v2, vcc_lo, v26, s10
	v_subrev_co_ci_u32_e64 v3, null, s11, v27, vcc_lo
	v_mov_b32_e32 v12, 0
	s_mov_b32 s19, exec_lo
; %bb.118:                              ;   in Loop: Header=BB192_6 Depth=1
	s_or_b32 exec_lo, exec_lo, s18
	s_and_b32 s18, s19, exec_lo
.LBB192_119:                            ;   in Loop: Header=BB192_6 Depth=1
	s_or_b32 exec_lo, exec_lo, s6
	s_mov_b32 s6, -1
                                        ; implicit-def: $sgpr67
                                        ; implicit-def: $sgpr68
	s_and_saveexec_b32 s19, s18
	s_xor_b32 s66, exec_lo, s19
	s_cbranch_execz .LBB192_270
; %bb.120:                              ;   in Loop: Header=BB192_6 Depth=1
	v_cmp_eq_u64_e32 vcc_lo, 1, v[2:3]
	s_cmp_eq_u64 s[12:13], 1
                                        ; implicit-def: $sgpr68
                                        ; implicit-def: $sgpr67
	s_cselect_b32 s6, -1, 0
	s_and_b32 s70, s6, vcc_lo
	s_mov_b32 s6, -1
	s_and_saveexec_b32 s69, s70
	s_cbranch_execz .LBB192_156
; %bb.121:                              ;   in Loop: Header=BB192_6 Depth=1
	ds_read_b64 v[4:5], v13 offset:5120
	s_waitcnt lgkmcnt(0)
	s_barrier
	buffer_gl0_inv
	v_readfirstlane_b32 s18, v4
	v_readfirstlane_b32 s19, v5
	s_and_saveexec_b32 s6, s8
; %bb.122:                              ;   in Loop: Header=BB192_6 Depth=1
	ds_write_b32 v32, v13
; %bb.123:                              ;   in Loop: Header=BB192_6 Depth=1
	s_or_b32 exec_lo, exec_lo, s6
	s_lshl_b32 s6, 1, s93
	v_or_b32_e32 v29, s9, v29
	v_and_or_b32 v28, v28, s24, s6
	s_mov_b32 s67, -1
	s_mov_b32 s68, 0
	s_cmp_eq_u64 s[18:19], 0
	s_mov_b32 s6, -1
	s_waitcnt lgkmcnt(0)
	s_barrier
	buffer_gl0_inv
                                        ; implicit-def: $vgpr5
	s_cbranch_scc1 .LBB192_140
; %bb.124:                              ;   in Loop: Header=BB192_6 Depth=1
	s_add_u32 s6, s18, s80
	s_addc_u32 s21, s19, s81
	s_mov_b32 s20, s27
	s_cmp_lg_u64 s[20:21], 0
	s_cbranch_scc0 .LBB192_183
; %bb.125:                              ;   in Loop: Header=BB192_6 Depth=1
	v_cvt_f32_u32_e32 v4, s33
	s_sub_u32 s23, 0, s33
	s_subb_u32 s26, 0, 0
	v_fmac_f32_e64 v4, 0x4f800000, 0
	v_rcp_f32_e32 v4, v4
	v_mul_f32_e32 v4, 0x5f7ffffc, v4
	v_mul_f32_e32 v5, 0x2f800000, v4
	v_trunc_f32_e32 v5, v5
	v_fmac_f32_e32 v4, 0xcf800000, v5
	v_cvt_u32_f32_e32 v5, v5
	v_cvt_u32_f32_e32 v4, v4
	v_readfirstlane_b32 s20, v5
	v_readfirstlane_b32 s22, v4
	s_mul_i32 s44, s23, s20
	s_mul_hi_u32 s54, s23, s22
	s_mul_i32 s45, s26, s22
	s_add_i32 s44, s54, s44
	s_mul_i32 s71, s23, s22
	s_add_i32 s44, s44, s45
	s_mul_hi_u32 s54, s22, s71
	s_mul_i32 s73, s22, s44
	s_mul_hi_u32 s72, s20, s71
	s_mul_i32 s45, s20, s71
	s_mul_hi_u32 s71, s22, s44
	s_add_u32 s54, s54, s73
	s_addc_u32 s71, 0, s71
	s_mul_hi_u32 s74, s20, s44
	s_add_u32 s45, s54, s45
	s_mul_i32 s44, s20, s44
	s_addc_u32 s45, s71, s72
	s_addc_u32 s54, s74, 0
	s_add_u32 s44, s45, s44
	s_addc_u32 s45, 0, s54
	s_add_u32 s22, s22, s44
	s_cselect_b32 s44, -1, 0
	s_mul_hi_u32 s54, s23, s22
	s_cmp_lg_u32 s44, 0
	s_mul_i32 s44, s23, s22
	s_addc_u32 s20, s20, s45
	s_mul_i32 s26, s26, s22
	s_mul_i32 s23, s23, s20
	s_mul_hi_u32 s45, s22, s44
	s_add_i32 s23, s54, s23
	s_mul_hi_u32 s54, s20, s44
	s_add_i32 s23, s23, s26
	s_mul_i32 s26, s20, s44
	s_mul_i32 s72, s22, s23
	s_mul_hi_u32 s71, s22, s23
	s_add_u32 s45, s45, s72
	s_addc_u32 s71, 0, s71
	s_mul_hi_u32 s44, s20, s23
	s_add_u32 s26, s45, s26
	s_mul_i32 s23, s20, s23
	s_addc_u32 s26, s71, s54
	s_addc_u32 s44, s44, 0
	s_add_u32 s23, s26, s23
	s_addc_u32 s26, 0, s44
	s_add_u32 s22, s22, s23
	s_cselect_b32 s23, -1, 0
	s_mul_hi_u32 s44, s6, s22
	s_cmp_lg_u32 s23, 0
	s_mul_hi_u32 s23, s21, s22
	s_addc_u32 s20, s20, s26
	s_mul_i32 s22, s21, s22
	s_mul_i32 s45, s6, s20
	s_mul_hi_u32 s26, s6, s20
	s_add_u32 s44, s44, s45
	s_addc_u32 s26, 0, s26
	s_mul_hi_u32 s54, s21, s20
	s_add_u32 s22, s44, s22
	s_mul_i32 s20, s21, s20
	s_addc_u32 s22, s26, s23
	s_addc_u32 s23, s54, 0
	s_add_u32 s20, s22, s20
	s_addc_u32 s22, 0, s23
	s_mul_hi_u32 s23, s33, s20
	s_mul_i32 s22, s33, s22
	s_mul_i32 s20, s33, s20
	s_add_i32 s23, s23, s22
	s_sub_u32 s20, s6, s20
	s_cselect_b32 s22, -1, 0
	s_cmp_lg_u32 s22, 0
	s_subb_u32 s22, s21, s23
	s_sub_u32 s23, s20, s33
	s_cselect_b32 s26, -1, 0
	s_cmp_lg_u32 s26, 0
	s_subb_u32 s26, s22, 0
	;; [unrolled: 4-line block ×3, first 2 shown]
	s_cmp_ge_u32 s23, s33
	s_cselect_b32 s54, -1, 0
	s_cmp_eq_u32 s26, 0
	s_cselect_b32 s54, s54, -1
	s_cmp_lg_u32 s54, 0
	s_cselect_b32 s26, s45, s26
	s_cselect_b32 s44, s44, s23
	s_cmp_ge_u32 s20, s33
	s_cselect_b32 s23, -1, 0
	s_cmp_eq_u32 s22, 0
	s_cselect_b32 s23, s23, -1
	s_cmp_lg_u32 s23, 0
	s_cselect_b32 s23, s26, s22
	s_cselect_b32 s22, s44, s20
	s_cbranch_execnz .LBB192_127
.LBB192_126:                            ;   in Loop: Header=BB192_6 Depth=1
	v_cvt_f32_u32_e32 v4, s33
	s_sub_i32 s22, 0, s33
	v_rcp_iflag_f32_e32 v4, v4
	v_mul_f32_e32 v4, 0x4f7ffffe, v4
	v_cvt_u32_f32_e32 v4, v4
	v_readfirstlane_b32 s20, v4
	s_mul_i32 s22, s22, s20
	s_mul_hi_u32 s22, s20, s22
	s_add_i32 s20, s20, s22
	s_mul_hi_u32 s20, s6, s20
	s_mul_i32 s20, s20, s33
	s_sub_i32 s20, s6, s20
	s_sub_i32 s22, s20, s33
	s_cmp_ge_u32 s20, s33
	s_cselect_b32 s20, s22, s20
	s_sub_i32 s22, s20, s33
	s_cmp_ge_u32 s20, s33
	s_cselect_b32 s26, s22, s20
	s_mov_b64 s[22:23], s[26:27]
.LBB192_127:                            ;   in Loop: Header=BB192_6 Depth=1
	s_sub_u32 s20, s6, s22
	s_subb_u32 s21, s21, s23
	s_mov_b32 s6, 0
	s_mov_b32 s22, 0
	s_mov_b32 s23, exec_lo
                                        ; implicit-def: $vgpr5
	v_cmpx_gt_u64_e64 s[20:21], v[0:1]
	s_cbranch_execz .LBB192_139
; %bb.128:                              ;   in Loop: Header=BB192_6 Depth=1
	v_mov_b32_e32 v7, v1
	v_mov_b32_e32 v8, v14
	;; [unrolled: 1-line block ×3, first 2 shown]
                                        ; implicit-def: $sgpr26
	s_inst_prefetch 0x1
	s_branch .LBB192_132
	.p2align	6
.LBB192_129:                            ;   in Loop: Header=BB192_132 Depth=2
	s_or_b32 exec_lo, exec_lo, s44
	s_waitcnt lgkmcnt(0)
	s_barrier
	buffer_gl0_inv
	ds_read_b64 v[4:5], v13 offset:3072
	s_waitcnt lgkmcnt(0)
	s_barrier
	buffer_gl0_inv
	v_cmp_neq_f32_e32 vcc_lo, 0, v4
	s_cbranch_vccnz .LBB192_135
; %bb.130:                              ;   in Loop: Header=BB192_132 Depth=2
	v_add_co_u32 v6, vcc_lo, v6, s33
	v_add_co_ci_u32_e64 v7, null, 0, v7, vcc_lo
	v_add_nc_u32_e32 v8, s86, v8
	s_mov_b32 s44, 0
	v_cmp_le_u64_e32 vcc_lo, s[20:21], v[6:7]
	s_orn2_b32 s45, vcc_lo, exec_lo
.LBB192_131:                            ;   in Loop: Header=BB192_132 Depth=2
	s_and_b32 s45, exec_lo, s45
	s_or_b32 s22, s45, s22
	s_andn2_b32 s26, s26, exec_lo
	s_and_b32 s44, s44, exec_lo
	s_or_b32 s26, s26, s44
	s_andn2_b32 exec_lo, exec_lo, s22
	s_cbranch_execz .LBB192_138
.LBB192_132:                            ;   Parent Loop BB192_6 Depth=1
                                        ; =>  This Inner Loop Header: Depth=2
	s_mov_b32 s44, exec_lo
	v_cmpx_gt_u64_e64 s[18:19], v[6:7]
	s_cbranch_execz .LBB192_129
; %bb.133:                              ;   in Loop: Header=BB192_132 Depth=2
	ds_read_b32 v24, v8
	s_waitcnt lgkmcnt(0)
	v_cmp_lt_i32_e32 vcc_lo, -1, v24
	v_cndmask_b32_e64 v4, -1, 0x80000000, vcc_lo
	v_cmp_o_f32_e32 vcc_lo, v24, v24
	v_xor_b32_e32 v4, v4, v24
	v_cndmask_b32_e32 v4, -1, v4, vcc_lo
	v_and_b32_e32 v4, v4, v29
	v_cmp_eq_u32_e32 vcc_lo, v4, v28
	s_and_b32 exec_lo, exec_lo, vcc_lo
	s_cbranch_execz .LBB192_129
; %bb.134:                              ;   in Loop: Header=BB192_132 Depth=2
	ds_write_b64 v13, v[23:24] offset:3072
	s_branch .LBB192_129
.LBB192_135:                            ;   in Loop: Header=BB192_132 Depth=2
	s_mov_b32 s45, -1
	s_mov_b32 s44, -1
                                        ; implicit-def: $vgpr6_vgpr7
                                        ; implicit-def: $vgpr8
	s_branch .LBB192_131
.LBB192_136:                            ;   in Loop: Header=BB192_6 Depth=1
                                        ; implicit-def: $sgpr22_sgpr23
	s_branch .LBB192_78
.LBB192_137:                            ;   in Loop: Header=BB192_6 Depth=1
                                        ; implicit-def: $sgpr18_sgpr19
	s_branch .LBB192_96
.LBB192_138:                            ;   in Loop: Header=BB192_6 Depth=1
	s_inst_prefetch 0x2
	s_or_b32 exec_lo, exec_lo, s22
	s_and_b32 s22, s26, exec_lo
.LBB192_139:                            ;   in Loop: Header=BB192_6 Depth=1
	s_or_b32 exec_lo, exec_lo, s23
.LBB192_140:                            ;   in Loop: Header=BB192_6 Depth=1
	s_and_b32 vcc_lo, exec_lo, s6
	s_cbranch_vccz .LBB192_155
; %bb.141:                              ;   in Loop: Header=BB192_6 Depth=1
	s_mov_b32 s54, s27
	s_cmp_lg_u64 s[54:55], 0
	s_cbranch_scc0 .LBB192_184
; %bb.142:                              ;   in Loop: Header=BB192_6 Depth=1
	v_cvt_f32_u32_e32 v4, s33
	s_sub_u32 s19, 0, s33
	s_subb_u32 s20, 0, 0
	v_fmac_f32_e64 v4, 0x4f800000, 0
	v_rcp_f32_e32 v4, v4
	v_mul_f32_e32 v4, 0x5f7ffffc, v4
	v_mul_f32_e32 v5, 0x2f800000, v4
	v_trunc_f32_e32 v5, v5
	v_fmac_f32_e32 v4, 0xcf800000, v5
	v_cvt_u32_f32_e32 v5, v5
	v_cvt_u32_f32_e32 v4, v4
	v_readfirstlane_b32 s6, v5
	v_readfirstlane_b32 s18, v4
	s_mul_i32 s21, s19, s6
	s_mul_hi_u32 s26, s19, s18
	s_mul_i32 s23, s20, s18
	s_add_i32 s21, s26, s21
	s_mul_i32 s44, s19, s18
	s_add_i32 s21, s21, s23
	s_mul_hi_u32 s26, s18, s44
	s_mul_i32 s54, s18, s21
	s_mul_hi_u32 s45, s6, s44
	s_mul_i32 s23, s6, s44
	s_mul_hi_u32 s44, s18, s21
	s_add_u32 s26, s26, s54
	s_addc_u32 s44, 0, s44
	s_mul_hi_u32 s67, s6, s21
	s_add_u32 s23, s26, s23
	s_mul_i32 s21, s6, s21
	s_addc_u32 s23, s44, s45
	s_addc_u32 s26, s67, 0
	s_add_u32 s21, s23, s21
	s_addc_u32 s23, 0, s26
	s_add_u32 s18, s18, s21
	s_cselect_b32 s21, -1, 0
	s_mul_hi_u32 s26, s19, s18
	s_cmp_lg_u32 s21, 0
	s_mul_i32 s21, s19, s18
	s_addc_u32 s6, s6, s23
	s_mul_i32 s20, s20, s18
	s_mul_i32 s19, s19, s6
	s_mul_hi_u32 s23, s18, s21
	s_add_i32 s19, s26, s19
	s_mul_hi_u32 s26, s6, s21
	s_add_i32 s19, s19, s20
	s_mul_i32 s20, s6, s21
	s_mul_i32 s45, s18, s19
	s_mul_hi_u32 s44, s18, s19
	s_add_u32 s23, s23, s45
	s_addc_u32 s44, 0, s44
	s_mul_hi_u32 s21, s6, s19
	s_add_u32 s20, s23, s20
	s_mul_i32 s19, s6, s19
	s_addc_u32 s20, s44, s26
	s_addc_u32 s21, s21, 0
	s_add_u32 s19, s20, s19
	s_addc_u32 s20, 0, s21
	s_add_u32 s18, s18, s19
	s_cselect_b32 s19, -1, 0
	s_mul_hi_u32 s21, s82, s18
	s_cmp_lg_u32 s19, 0
	s_mul_hi_u32 s19, s55, s18
	s_addc_u32 s6, s6, s20
	s_mul_i32 s18, s55, s18
	s_mul_i32 s23, s82, s6
	s_mul_hi_u32 s20, s82, s6
	s_add_u32 s21, s21, s23
	s_addc_u32 s20, 0, s20
	s_mul_hi_u32 s26, s55, s6
	s_add_u32 s18, s21, s18
	s_mul_i32 s6, s55, s6
	s_addc_u32 s18, s20, s19
	s_addc_u32 s19, s26, 0
	s_add_u32 s6, s18, s6
	s_addc_u32 s18, 0, s19
	s_mul_hi_u32 s19, s33, s6
	s_mul_i32 s18, s33, s18
	s_mul_i32 s6, s33, s6
	s_add_i32 s19, s19, s18
	s_sub_u32 s6, s82, s6
	s_cselect_b32 s18, -1, 0
	s_cmp_lg_u32 s18, 0
	s_subb_u32 s18, s55, s19
	s_sub_u32 s19, s6, s33
	s_cselect_b32 s20, -1, 0
	s_cmp_lg_u32 s20, 0
	s_subb_u32 s20, s18, 0
	;; [unrolled: 4-line block ×3, first 2 shown]
	s_cmp_ge_u32 s19, s33
	s_cselect_b32 s26, -1, 0
	s_cmp_eq_u32 s20, 0
	s_cselect_b32 s26, s26, -1
	s_cmp_lg_u32 s26, 0
	s_cselect_b32 s20, s23, s20
	s_cselect_b32 s21, s21, s19
	s_cmp_ge_u32 s6, s33
	s_cselect_b32 s19, -1, 0
	s_cmp_eq_u32 s18, 0
	s_cselect_b32 s19, s19, -1
	s_cmp_lg_u32 s19, 0
	s_cselect_b32 s19, s20, s18
	s_cselect_b32 s18, s21, s6
	s_cbranch_execnz .LBB192_144
.LBB192_143:                            ;   in Loop: Header=BB192_6 Depth=1
	v_cvt_f32_u32_e32 v4, s33
	s_sub_i32 s18, 0, s33
	v_rcp_iflag_f32_e32 v4, v4
	v_mul_f32_e32 v4, 0x4f7ffffe, v4
	v_cvt_u32_f32_e32 v4, v4
	v_readfirstlane_b32 s6, v4
	s_mul_i32 s18, s18, s6
	s_mul_hi_u32 s18, s6, s18
	s_add_i32 s6, s6, s18
	s_mul_hi_u32 s6, s82, s6
	s_mul_i32 s6, s6, s33
	s_sub_i32 s6, s82, s6
	s_sub_i32 s18, s6, s33
	s_cmp_ge_u32 s6, s33
	s_cselect_b32 s6, s18, s6
	s_sub_i32 s18, s6, s33
	s_cmp_ge_u32 s6, s33
	s_cselect_b32 s26, s18, s6
	s_mov_b64 s[18:19], s[26:27]
.LBB192_144:                            ;   in Loop: Header=BB192_6 Depth=1
	s_sub_u32 s18, s82, s18
	s_subb_u32 s19, s55, s19
	s_mov_b32 s20, exec_lo
                                        ; implicit-def: $vgpr5
	v_cmpx_gt_u64_e64 s[18:19], v[0:1]
	s_cbranch_execz .LBB192_154
; %bb.145:                              ;   in Loop: Header=BB192_6 Depth=1
	v_mov_b32_e32 v6, v10
	v_mov_b32_e32 v9, v1
	;; [unrolled: 1-line block ×4, first 2 shown]
	s_mov_b32 s21, 0
                                        ; implicit-def: $sgpr23
	s_branch .LBB192_149
.LBB192_146:                            ;   in Loop: Header=BB192_149 Depth=2
	s_or_b32 exec_lo, exec_lo, s6
	s_waitcnt lgkmcnt(0)
	s_barrier
	buffer_gl0_inv
	ds_read_b64 v[4:5], v13 offset:3072
	s_waitcnt lgkmcnt(0)
	s_barrier
	buffer_gl0_inv
	v_cmp_eq_f32_e32 vcc_lo, 0, v4
	s_cbranch_vccz .LBB192_152
; %bb.147:                              ;   in Loop: Header=BB192_149 Depth=2
	v_add_co_u32 v8, vcc_lo, v8, s33
	v_add_co_ci_u32_e64 v9, null, 0, v9, vcc_lo
	v_add_co_u32 v6, s6, v6, s34
	v_add_co_ci_u32_e64 v7, null, s35, v7, s6
	v_cmp_le_u64_e32 vcc_lo, s[18:19], v[8:9]
	s_mov_b32 s6, 0
	s_orn2_b32 s26, vcc_lo, exec_lo
.LBB192_148:                            ;   in Loop: Header=BB192_149 Depth=2
	s_and_b32 s26, exec_lo, s26
	s_or_b32 s21, s26, s21
	s_andn2_b32 s23, s23, exec_lo
	s_and_b32 s6, s6, exec_lo
	s_or_b32 s23, s23, s6
	s_andn2_b32 exec_lo, exec_lo, s21
	s_cbranch_execz .LBB192_153
.LBB192_149:                            ;   Parent Loop BB192_6 Depth=1
                                        ; =>  This Inner Loop Header: Depth=2
	s_mov_b32 s6, exec_lo
	v_cmpx_gt_u64_e64 s[28:29], v[8:9]
	s_cbranch_execz .LBB192_146
; %bb.150:                              ;   in Loop: Header=BB192_149 Depth=2
	global_load_dword v24, v[6:7], off
	s_waitcnt vmcnt(0)
	v_cmp_lt_i32_e32 vcc_lo, -1, v24
	v_cndmask_b32_e64 v4, -1, 0x80000000, vcc_lo
	v_cmp_o_f32_e32 vcc_lo, v24, v24
	v_xor_b32_e32 v4, v4, v24
	v_cndmask_b32_e32 v4, -1, v4, vcc_lo
	v_and_b32_e32 v4, v4, v29
	v_cmp_eq_u32_e32 vcc_lo, v4, v28
	s_and_b32 exec_lo, exec_lo, vcc_lo
	s_cbranch_execz .LBB192_146
; %bb.151:                              ;   in Loop: Header=BB192_149 Depth=2
	ds_write_b64 v13, v[23:24] offset:3072
	s_branch .LBB192_146
.LBB192_152:                            ;   in Loop: Header=BB192_149 Depth=2
	s_mov_b32 s26, -1
	s_mov_b32 s6, -1
                                        ; implicit-def: $vgpr8_vgpr9
                                        ; implicit-def: $vgpr6_vgpr7
	s_branch .LBB192_148
.LBB192_153:                            ;   in Loop: Header=BB192_6 Depth=1
	s_or_b32 exec_lo, exec_lo, s21
	s_andn2_b32 s6, s22, exec_lo
	s_and_b32 s18, s23, exec_lo
	s_or_b32 s22, s6, s18
.LBB192_154:                            ;   in Loop: Header=BB192_6 Depth=1
	s_or_b32 exec_lo, exec_lo, s20
	s_mov_b32 s67, 0
	s_mov_b32 s68, -1
.LBB192_155:                            ;   in Loop: Header=BB192_6 Depth=1
	s_orn2_b32 s6, s22, exec_lo
.LBB192_156:                            ;   in Loop: Header=BB192_6 Depth=1
	s_or_b32 exec_lo, exec_lo, s69
	s_mov_b32 s18, 0
	s_and_saveexec_b32 s69, s6
	s_cbranch_execz .LBB192_269
; %bb.157:                              ;   in Loop: Header=BB192_6 Depth=1
	v_mov_b32_e32 v6, 1
	v_mov_b32_e32 v7, 0
	;; [unrolled: 1-line block ×3, first 2 shown]
	s_xor_b32 s19, s70, -1
	s_and_saveexec_b32 s6, s19
	s_cbranch_execz .LBB192_166
; %bb.158:                              ;   in Loop: Header=BB192_6 Depth=1
	s_mov_b32 s18, exec_lo
	v_cmpx_ge_u64_e64 s[12:13], v[2:3]
	s_xor_b32 s18, exec_lo, s18
	s_cbranch_execz .LBB192_163
; %bb.159:                              ;   in Loop: Header=BB192_6 Depth=1
	ds_read_b64 v[6:7], v13 offset:5120
	s_lshl_b32 s19, 1, s93
	v_or_b32_e32 v29, s9, v29
	v_and_or_b32 v28, v28, s24, s19
	s_waitcnt lgkmcnt(0)
	v_cmp_ne_u64_e32 vcc_lo, 0, v[6:7]
	s_cbranch_vccnz .LBB192_163
; %bb.160:                              ;   in Loop: Header=BB192_6 Depth=1
	s_and_saveexec_b32 s19, s3
; %bb.161:                              ;   in Loop: Header=BB192_6 Depth=1
	v_mov_b32_e32 v6, s12
	v_mov_b32_e32 v7, s13
	ds_write_b64 v13, v[6:7] offset:5128
; %bb.162:                              ;   in Loop: Header=BB192_6 Depth=1
	s_or_b32 exec_lo, exec_lo, s19
	s_waitcnt lgkmcnt(0)
	s_barrier
	buffer_gl0_inv
.LBB192_163:                            ;   in Loop: Header=BB192_6 Depth=1
	s_or_saveexec_b32 s18, s18
	v_mov_b32_e32 v12, 8
	s_mov_b32 s19, 0
	s_xor_b32 exec_lo, exec_lo, s18
; %bb.164:                              ;   in Loop: Header=BB192_6 Depth=1
	v_sub_co_u32 v2, vcc_lo, v2, s12
	v_subrev_co_ci_u32_e64 v3, null, s13, v3, vcc_lo
	v_mov_b32_e32 v12, 0
	s_mov_b32 s19, exec_lo
; %bb.165:                              ;   in Loop: Header=BB192_6 Depth=1
	s_or_b32 exec_lo, exec_lo, s18
	v_mov_b32_e32 v7, v3
	v_mov_b32_e32 v6, v2
	s_and_b32 s18, s19, exec_lo
.LBB192_166:                            ;   in Loop: Header=BB192_6 Depth=1
	s_or_b32 exec_lo, exec_lo, s6
	s_mov_b32 s6, -1
                                        ; implicit-def: $sgpr71
                                        ; implicit-def: $sgpr72
	s_and_saveexec_b32 s70, s18
	s_cbranch_execz .LBB192_268
; %bb.167:                              ;   in Loop: Header=BB192_6 Depth=1
	v_cmp_eq_u64_e32 vcc_lo, 1, v[6:7]
	s_cmp_eq_u64 s[14:15], 1
                                        ; implicit-def: $sgpr72
                                        ; implicit-def: $sgpr71
	s_cselect_b32 s6, -1, 0
	s_and_b32 s74, s6, vcc_lo
	s_mov_b32 s6, -1
	s_and_saveexec_b32 s73, s74
	s_cbranch_execz .LBB192_203
; %bb.168:                              ;   in Loop: Header=BB192_6 Depth=1
	ds_read_b64 v[2:3], v13 offset:5120
	s_waitcnt lgkmcnt(0)
	s_barrier
	buffer_gl0_inv
	v_readfirstlane_b32 s18, v2
	v_readfirstlane_b32 s19, v3
	s_and_saveexec_b32 s6, s8
; %bb.169:                              ;   in Loop: Header=BB192_6 Depth=1
	ds_write_b32 v32, v13
; %bb.170:                              ;   in Loop: Header=BB192_6 Depth=1
	s_or_b32 exec_lo, exec_lo, s6
	s_lshl_b32 s6, 2, s93
	v_or_b32_e32 v29, s9, v29
	v_and_or_b32 v28, v28, s24, s6
	s_mov_b32 s71, -1
	s_mov_b32 s72, 0
	s_cmp_eq_u64 s[18:19], 0
	s_mov_b32 s22, 0
	s_mov_b32 s6, -1
	s_waitcnt lgkmcnt(0)
	s_barrier
	buffer_gl0_inv
                                        ; implicit-def: $vgpr5
	s_cbranch_scc1 .LBB192_187
; %bb.171:                              ;   in Loop: Header=BB192_6 Depth=1
	s_add_u32 s6, s18, s80
	s_addc_u32 s21, s19, s81
	s_mov_b32 s20, s27
	s_cmp_lg_u64 s[20:21], 0
	s_cbranch_scc0 .LBB192_220
; %bb.172:                              ;   in Loop: Header=BB192_6 Depth=1
	v_cvt_f32_u32_e32 v2, s33
	s_sub_u32 s23, 0, s33
	s_subb_u32 s26, 0, 0
	v_fmac_f32_e64 v2, 0x4f800000, 0
	v_rcp_f32_e32 v2, v2
	v_mul_f32_e32 v2, 0x5f7ffffc, v2
	v_mul_f32_e32 v3, 0x2f800000, v2
	v_trunc_f32_e32 v3, v3
	v_fmac_f32_e32 v2, 0xcf800000, v3
	v_cvt_u32_f32_e32 v3, v3
	v_cvt_u32_f32_e32 v2, v2
	v_readfirstlane_b32 s20, v3
	v_readfirstlane_b32 s22, v2
	s_mul_i32 s44, s23, s20
	s_mul_hi_u32 s54, s23, s22
	s_mul_i32 s45, s26, s22
	s_add_i32 s44, s54, s44
	s_mul_i32 s75, s23, s22
	s_add_i32 s44, s44, s45
	s_mul_hi_u32 s54, s22, s75
	s_mul_i32 vcc_lo, s22, s44
	s_mul_hi_u32 s104, s20, s75
	s_mul_i32 s45, s20, s75
	s_mul_hi_u32 s75, s22, s44
	s_add_u32 s54, s54, vcc_lo
	s_addc_u32 s75, 0, s75
	s_mul_hi_u32 vcc_hi, s20, s44
	s_add_u32 s45, s54, s45
	s_mul_i32 s44, s20, s44
	s_addc_u32 s45, s75, s104
	s_addc_u32 s54, vcc_hi, 0
	s_add_u32 s44, s45, s44
	s_addc_u32 s45, 0, s54
	s_add_u32 s22, s22, s44
	s_cselect_b32 s44, -1, 0
	s_mul_hi_u32 s54, s23, s22
	s_cmp_lg_u32 s44, 0
	s_mul_i32 s44, s23, s22
	s_addc_u32 s20, s20, s45
	s_mul_i32 s26, s26, s22
	s_mul_i32 s23, s23, s20
	s_mul_hi_u32 s45, s22, s44
	s_add_i32 s23, s54, s23
	s_mul_hi_u32 s54, s20, s44
	s_add_i32 s23, s23, s26
	s_mul_i32 s26, s20, s44
	s_mul_i32 s104, s22, s23
	s_mul_hi_u32 s75, s22, s23
	s_add_u32 s45, s45, s104
	s_addc_u32 s75, 0, s75
	s_mul_hi_u32 s44, s20, s23
	s_add_u32 s26, s45, s26
	s_mul_i32 s23, s20, s23
	s_addc_u32 s26, s75, s54
	s_addc_u32 s44, s44, 0
	s_add_u32 s23, s26, s23
	s_addc_u32 s26, 0, s44
	s_add_u32 s22, s22, s23
	s_cselect_b32 s23, -1, 0
	s_mul_hi_u32 s44, s6, s22
	s_cmp_lg_u32 s23, 0
	s_mul_hi_u32 s23, s21, s22
	s_addc_u32 s20, s20, s26
	s_mul_i32 s22, s21, s22
	s_mul_i32 s45, s6, s20
	s_mul_hi_u32 s26, s6, s20
	s_add_u32 s44, s44, s45
	s_addc_u32 s26, 0, s26
	s_mul_hi_u32 s54, s21, s20
	s_add_u32 s22, s44, s22
	s_mul_i32 s20, s21, s20
	s_addc_u32 s22, s26, s23
	s_addc_u32 s23, s54, 0
	s_add_u32 s20, s22, s20
	s_addc_u32 s22, 0, s23
	s_mul_hi_u32 s23, s33, s20
	s_mul_i32 s22, s33, s22
	s_mul_i32 s20, s33, s20
	s_add_i32 s23, s23, s22
	s_sub_u32 s20, s6, s20
	s_cselect_b32 s22, -1, 0
	s_cmp_lg_u32 s22, 0
	s_subb_u32 s22, s21, s23
	s_sub_u32 s23, s20, s33
	s_cselect_b32 s26, -1, 0
	s_cmp_lg_u32 s26, 0
	s_subb_u32 s26, s22, 0
	;; [unrolled: 4-line block ×3, first 2 shown]
	s_cmp_ge_u32 s23, s33
	s_cselect_b32 s54, -1, 0
	s_cmp_eq_u32 s26, 0
	s_cselect_b32 s54, s54, -1
	s_cmp_lg_u32 s54, 0
	s_cselect_b32 s26, s45, s26
	s_cselect_b32 s44, s44, s23
	s_cmp_ge_u32 s20, s33
	s_cselect_b32 s23, -1, 0
	s_cmp_eq_u32 s22, 0
	s_cselect_b32 s23, s23, -1
	s_cmp_lg_u32 s23, 0
	s_cselect_b32 s23, s26, s22
	s_cselect_b32 s22, s44, s20
	s_cbranch_execnz .LBB192_174
.LBB192_173:                            ;   in Loop: Header=BB192_6 Depth=1
	v_cvt_f32_u32_e32 v2, s33
	s_sub_i32 s22, 0, s33
	v_rcp_iflag_f32_e32 v2, v2
	v_mul_f32_e32 v2, 0x4f7ffffe, v2
	v_cvt_u32_f32_e32 v2, v2
	v_readfirstlane_b32 s20, v2
	s_mul_i32 s22, s22, s20
	s_mul_hi_u32 s22, s20, s22
	s_add_i32 s20, s20, s22
	s_mul_hi_u32 s20, s6, s20
	s_mul_i32 s20, s20, s33
	s_sub_i32 s20, s6, s20
	s_sub_i32 s22, s20, s33
	s_cmp_ge_u32 s20, s33
	s_cselect_b32 s20, s22, s20
	s_sub_i32 s22, s20, s33
	s_cmp_ge_u32 s20, s33
	s_cselect_b32 s26, s22, s20
	s_mov_b64 s[22:23], s[26:27]
.LBB192_174:                            ;   in Loop: Header=BB192_6 Depth=1
	s_sub_u32 s20, s6, s22
	s_subb_u32 s21, s21, s23
	s_mov_b32 s6, 0
	s_mov_b32 s22, 0
	s_mov_b32 s23, exec_lo
                                        ; implicit-def: $vgpr5
	v_cmpx_gt_u64_e64 s[20:21], v[0:1]
	s_cbranch_execz .LBB192_186
; %bb.175:                              ;   in Loop: Header=BB192_6 Depth=1
	v_mov_b32_e32 v3, v1
	v_mov_b32_e32 v8, v14
	;; [unrolled: 1-line block ×3, first 2 shown]
                                        ; implicit-def: $sgpr26
	s_inst_prefetch 0x1
	s_branch .LBB192_179
	.p2align	6
.LBB192_176:                            ;   in Loop: Header=BB192_179 Depth=2
	s_or_b32 exec_lo, exec_lo, s44
	s_waitcnt lgkmcnt(0)
	s_barrier
	buffer_gl0_inv
	ds_read_b64 v[4:5], v13 offset:3072
	s_waitcnt lgkmcnt(0)
	s_barrier
	buffer_gl0_inv
	v_cmp_neq_f32_e32 vcc_lo, 0, v4
	s_cbranch_vccnz .LBB192_182
; %bb.177:                              ;   in Loop: Header=BB192_179 Depth=2
	v_add_co_u32 v2, vcc_lo, v2, s33
	v_add_co_ci_u32_e64 v3, null, 0, v3, vcc_lo
	v_add_nc_u32_e32 v8, s86, v8
	s_mov_b32 s44, 0
	v_cmp_le_u64_e32 vcc_lo, s[20:21], v[2:3]
	s_orn2_b32 s45, vcc_lo, exec_lo
.LBB192_178:                            ;   in Loop: Header=BB192_179 Depth=2
	s_and_b32 s45, exec_lo, s45
	s_or_b32 s22, s45, s22
	s_andn2_b32 s26, s26, exec_lo
	s_and_b32 s44, s44, exec_lo
	s_or_b32 s26, s26, s44
	s_andn2_b32 exec_lo, exec_lo, s22
	s_cbranch_execz .LBB192_185
.LBB192_179:                            ;   Parent Loop BB192_6 Depth=1
                                        ; =>  This Inner Loop Header: Depth=2
	s_mov_b32 s44, exec_lo
	v_cmpx_gt_u64_e64 s[18:19], v[2:3]
	s_cbranch_execz .LBB192_176
; %bb.180:                              ;   in Loop: Header=BB192_179 Depth=2
	ds_read_b32 v24, v8
	s_waitcnt lgkmcnt(0)
	v_cmp_lt_i32_e32 vcc_lo, -1, v24
	v_cndmask_b32_e64 v4, -1, 0x80000000, vcc_lo
	v_cmp_o_f32_e32 vcc_lo, v24, v24
	v_xor_b32_e32 v4, v4, v24
	v_cndmask_b32_e32 v4, -1, v4, vcc_lo
	v_and_b32_e32 v4, v4, v29
	v_cmp_eq_u32_e32 vcc_lo, v4, v28
	s_and_b32 exec_lo, exec_lo, vcc_lo
	s_cbranch_execz .LBB192_176
; %bb.181:                              ;   in Loop: Header=BB192_179 Depth=2
	ds_write_b64 v13, v[23:24] offset:3072
	s_branch .LBB192_176
.LBB192_182:                            ;   in Loop: Header=BB192_179 Depth=2
	s_mov_b32 s45, -1
	s_mov_b32 s44, -1
                                        ; implicit-def: $vgpr2_vgpr3
                                        ; implicit-def: $vgpr8
	s_branch .LBB192_178
.LBB192_183:                            ;   in Loop: Header=BB192_6 Depth=1
                                        ; implicit-def: $sgpr22_sgpr23
	s_branch .LBB192_126
.LBB192_184:                            ;   in Loop: Header=BB192_6 Depth=1
                                        ; implicit-def: $sgpr18_sgpr19
	s_branch .LBB192_143
.LBB192_185:                            ;   in Loop: Header=BB192_6 Depth=1
	s_inst_prefetch 0x2
	s_or_b32 exec_lo, exec_lo, s22
	s_and_b32 s22, s26, exec_lo
.LBB192_186:                            ;   in Loop: Header=BB192_6 Depth=1
	s_or_b32 exec_lo, exec_lo, s23
.LBB192_187:                            ;   in Loop: Header=BB192_6 Depth=1
	s_and_b32 vcc_lo, exec_lo, s6
	s_cbranch_vccz .LBB192_202
; %bb.188:                              ;   in Loop: Header=BB192_6 Depth=1
	s_mov_b32 s54, s27
	s_cmp_lg_u64 s[54:55], 0
	s_cbranch_scc0 .LBB192_221
; %bb.189:                              ;   in Loop: Header=BB192_6 Depth=1
	v_cvt_f32_u32_e32 v2, s33
	s_sub_u32 s19, 0, s33
	s_subb_u32 s20, 0, 0
	v_fmac_f32_e64 v2, 0x4f800000, 0
	v_rcp_f32_e32 v2, v2
	v_mul_f32_e32 v2, 0x5f7ffffc, v2
	v_mul_f32_e32 v3, 0x2f800000, v2
	v_trunc_f32_e32 v3, v3
	v_fmac_f32_e32 v2, 0xcf800000, v3
	v_cvt_u32_f32_e32 v3, v3
	v_cvt_u32_f32_e32 v2, v2
	v_readfirstlane_b32 s6, v3
	v_readfirstlane_b32 s18, v2
	s_mul_i32 s21, s19, s6
	s_mul_hi_u32 s26, s19, s18
	s_mul_i32 s23, s20, s18
	s_add_i32 s21, s26, s21
	s_mul_i32 s44, s19, s18
	s_add_i32 s21, s21, s23
	s_mul_hi_u32 s26, s18, s44
	s_mul_i32 s54, s18, s21
	s_mul_hi_u32 s45, s6, s44
	s_mul_i32 s23, s6, s44
	s_mul_hi_u32 s44, s18, s21
	s_add_u32 s26, s26, s54
	s_addc_u32 s44, 0, s44
	s_mul_hi_u32 s71, s6, s21
	s_add_u32 s23, s26, s23
	s_mul_i32 s21, s6, s21
	s_addc_u32 s23, s44, s45
	s_addc_u32 s26, s71, 0
	s_add_u32 s21, s23, s21
	s_addc_u32 s23, 0, s26
	s_add_u32 s18, s18, s21
	s_cselect_b32 s21, -1, 0
	s_mul_hi_u32 s26, s19, s18
	s_cmp_lg_u32 s21, 0
	s_mul_i32 s21, s19, s18
	s_addc_u32 s6, s6, s23
	s_mul_i32 s20, s20, s18
	s_mul_i32 s19, s19, s6
	s_mul_hi_u32 s23, s18, s21
	s_add_i32 s19, s26, s19
	s_mul_hi_u32 s26, s6, s21
	s_add_i32 s19, s19, s20
	s_mul_i32 s20, s6, s21
	s_mul_i32 s45, s18, s19
	s_mul_hi_u32 s44, s18, s19
	s_add_u32 s23, s23, s45
	s_addc_u32 s44, 0, s44
	s_mul_hi_u32 s21, s6, s19
	s_add_u32 s20, s23, s20
	s_mul_i32 s19, s6, s19
	s_addc_u32 s20, s44, s26
	s_addc_u32 s21, s21, 0
	s_add_u32 s19, s20, s19
	s_addc_u32 s20, 0, s21
	s_add_u32 s18, s18, s19
	s_cselect_b32 s19, -1, 0
	s_mul_hi_u32 s21, s82, s18
	s_cmp_lg_u32 s19, 0
	s_mul_hi_u32 s19, s55, s18
	s_addc_u32 s6, s6, s20
	s_mul_i32 s18, s55, s18
	s_mul_i32 s23, s82, s6
	s_mul_hi_u32 s20, s82, s6
	s_add_u32 s21, s21, s23
	s_addc_u32 s20, 0, s20
	s_mul_hi_u32 s26, s55, s6
	s_add_u32 s18, s21, s18
	s_mul_i32 s6, s55, s6
	s_addc_u32 s18, s20, s19
	s_addc_u32 s19, s26, 0
	s_add_u32 s6, s18, s6
	s_addc_u32 s18, 0, s19
	s_mul_hi_u32 s19, s33, s6
	s_mul_i32 s18, s33, s18
	s_mul_i32 s6, s33, s6
	s_add_i32 s19, s19, s18
	s_sub_u32 s6, s82, s6
	s_cselect_b32 s18, -1, 0
	s_cmp_lg_u32 s18, 0
	s_subb_u32 s18, s55, s19
	s_sub_u32 s19, s6, s33
	s_cselect_b32 s20, -1, 0
	s_cmp_lg_u32 s20, 0
	s_subb_u32 s20, s18, 0
	;; [unrolled: 4-line block ×3, first 2 shown]
	s_cmp_ge_u32 s19, s33
	s_cselect_b32 s26, -1, 0
	s_cmp_eq_u32 s20, 0
	s_cselect_b32 s26, s26, -1
	s_cmp_lg_u32 s26, 0
	s_cselect_b32 s20, s23, s20
	s_cselect_b32 s21, s21, s19
	s_cmp_ge_u32 s6, s33
	s_cselect_b32 s19, -1, 0
	s_cmp_eq_u32 s18, 0
	s_cselect_b32 s19, s19, -1
	s_cmp_lg_u32 s19, 0
	s_cselect_b32 s19, s20, s18
	s_cselect_b32 s18, s21, s6
	s_cbranch_execnz .LBB192_191
.LBB192_190:                            ;   in Loop: Header=BB192_6 Depth=1
	v_cvt_f32_u32_e32 v2, s33
	s_sub_i32 s18, 0, s33
	v_rcp_iflag_f32_e32 v2, v2
	v_mul_f32_e32 v2, 0x4f7ffffe, v2
	v_cvt_u32_f32_e32 v2, v2
	v_readfirstlane_b32 s6, v2
	s_mul_i32 s18, s18, s6
	s_mul_hi_u32 s18, s6, s18
	s_add_i32 s6, s6, s18
	s_mul_hi_u32 s6, s82, s6
	s_mul_i32 s6, s6, s33
	s_sub_i32 s6, s82, s6
	s_sub_i32 s18, s6, s33
	s_cmp_ge_u32 s6, s33
	s_cselect_b32 s6, s18, s6
	s_sub_i32 s18, s6, s33
	s_cmp_ge_u32 s6, s33
	s_cselect_b32 s26, s18, s6
	s_mov_b64 s[18:19], s[26:27]
.LBB192_191:                            ;   in Loop: Header=BB192_6 Depth=1
	s_sub_u32 s18, s82, s18
	s_subb_u32 s19, s55, s19
	s_mov_b32 s20, exec_lo
                                        ; implicit-def: $vgpr5
	v_cmpx_gt_u64_e64 s[18:19], v[0:1]
	s_cbranch_execz .LBB192_201
; %bb.192:                              ;   in Loop: Header=BB192_6 Depth=1
	v_mov_b32_e32 v2, v10
	v_mov_b32_e32 v9, v1
	v_mov_b32_e32 v3, v11
	v_mov_b32_e32 v8, v0
	s_mov_b32 s21, 0
                                        ; implicit-def: $sgpr23
	s_branch .LBB192_196
.LBB192_193:                            ;   in Loop: Header=BB192_196 Depth=2
	s_or_b32 exec_lo, exec_lo, s6
	s_waitcnt lgkmcnt(0)
	s_barrier
	buffer_gl0_inv
	ds_read_b64 v[4:5], v13 offset:3072
	s_waitcnt lgkmcnt(0)
	s_barrier
	buffer_gl0_inv
	v_cmp_eq_f32_e32 vcc_lo, 0, v4
	s_cbranch_vccz .LBB192_199
; %bb.194:                              ;   in Loop: Header=BB192_196 Depth=2
	v_add_co_u32 v8, vcc_lo, v8, s33
	v_add_co_ci_u32_e64 v9, null, 0, v9, vcc_lo
	v_add_co_u32 v2, s6, v2, s34
	v_add_co_ci_u32_e64 v3, null, s35, v3, s6
	v_cmp_le_u64_e32 vcc_lo, s[18:19], v[8:9]
	s_mov_b32 s6, 0
	s_orn2_b32 s26, vcc_lo, exec_lo
.LBB192_195:                            ;   in Loop: Header=BB192_196 Depth=2
	s_and_b32 s26, exec_lo, s26
	s_or_b32 s21, s26, s21
	s_andn2_b32 s23, s23, exec_lo
	s_and_b32 s6, s6, exec_lo
	s_or_b32 s23, s23, s6
	s_andn2_b32 exec_lo, exec_lo, s21
	s_cbranch_execz .LBB192_200
.LBB192_196:                            ;   Parent Loop BB192_6 Depth=1
                                        ; =>  This Inner Loop Header: Depth=2
	s_mov_b32 s6, exec_lo
	v_cmpx_gt_u64_e64 s[28:29], v[8:9]
	s_cbranch_execz .LBB192_193
; %bb.197:                              ;   in Loop: Header=BB192_196 Depth=2
	global_load_dword v24, v[2:3], off
	s_waitcnt vmcnt(0)
	v_cmp_lt_i32_e32 vcc_lo, -1, v24
	v_cndmask_b32_e64 v4, -1, 0x80000000, vcc_lo
	v_cmp_o_f32_e32 vcc_lo, v24, v24
	v_xor_b32_e32 v4, v4, v24
	v_cndmask_b32_e32 v4, -1, v4, vcc_lo
	v_and_b32_e32 v4, v4, v29
	v_cmp_eq_u32_e32 vcc_lo, v4, v28
	s_and_b32 exec_lo, exec_lo, vcc_lo
	s_cbranch_execz .LBB192_193
; %bb.198:                              ;   in Loop: Header=BB192_196 Depth=2
	ds_write_b64 v13, v[23:24] offset:3072
	s_branch .LBB192_193
.LBB192_199:                            ;   in Loop: Header=BB192_196 Depth=2
	s_mov_b32 s26, -1
	s_mov_b32 s6, -1
                                        ; implicit-def: $vgpr8_vgpr9
                                        ; implicit-def: $vgpr2_vgpr3
	s_branch .LBB192_195
.LBB192_200:                            ;   in Loop: Header=BB192_6 Depth=1
	s_or_b32 exec_lo, exec_lo, s21
	s_andn2_b32 s6, s22, exec_lo
	s_and_b32 s18, s23, exec_lo
	s_or_b32 s22, s6, s18
.LBB192_201:                            ;   in Loop: Header=BB192_6 Depth=1
	s_or_b32 exec_lo, exec_lo, s20
	s_mov_b32 s71, 0
	s_mov_b32 s72, -1
.LBB192_202:                            ;   in Loop: Header=BB192_6 Depth=1
	s_orn2_b32 s6, s22, exec_lo
.LBB192_203:                            ;   in Loop: Header=BB192_6 Depth=1
	s_or_b32 exec_lo, exec_lo, s73
	s_mov_b32 s18, 0
	s_and_saveexec_b32 s73, s6
	s_cbranch_execz .LBB192_267
; %bb.204:                              ;   in Loop: Header=BB192_6 Depth=1
	v_mov_b32_e32 v2, 1
	v_mov_b32_e32 v3, 0
	;; [unrolled: 1-line block ×3, first 2 shown]
	s_xor_b32 s18, s74, -1
	s_mov_b32 s19, 0
	s_and_saveexec_b32 s6, s18
	s_cbranch_execz .LBB192_213
; %bb.205:                              ;   in Loop: Header=BB192_6 Depth=1
	s_mov_b32 s18, exec_lo
	v_cmpx_ge_u64_e64 s[14:15], v[6:7]
	s_xor_b32 s18, exec_lo, s18
	s_cbranch_execz .LBB192_210
; %bb.206:                              ;   in Loop: Header=BB192_6 Depth=1
	ds_read_b64 v[2:3], v13 offset:5120
	s_lshl_b32 s19, 2, s93
	v_or_b32_e32 v29, s9, v29
	v_and_or_b32 v28, v28, s24, s19
	s_waitcnt lgkmcnt(0)
	v_cmp_ne_u64_e32 vcc_lo, 0, v[2:3]
	s_cbranch_vccnz .LBB192_210
; %bb.207:                              ;   in Loop: Header=BB192_6 Depth=1
	s_and_saveexec_b32 s19, s3
; %bb.208:                              ;   in Loop: Header=BB192_6 Depth=1
	v_mov_b32_e32 v2, s14
	v_mov_b32_e32 v3, s15
	ds_write_b64 v13, v[2:3] offset:5128
; %bb.209:                              ;   in Loop: Header=BB192_6 Depth=1
	s_or_b32 exec_lo, exec_lo, s19
	s_waitcnt lgkmcnt(0)
	s_barrier
	buffer_gl0_inv
.LBB192_210:                            ;   in Loop: Header=BB192_6 Depth=1
	s_or_saveexec_b32 s18, s18
	v_mov_b32_e32 v12, 8
	s_mov_b32 s19, 0
	s_xor_b32 exec_lo, exec_lo, s18
; %bb.211:                              ;   in Loop: Header=BB192_6 Depth=1
	v_sub_co_u32 v6, vcc_lo, v6, s14
	v_subrev_co_ci_u32_e64 v7, null, s15, v7, vcc_lo
	v_mov_b32_e32 v12, 0
	s_mov_b32 s19, exec_lo
; %bb.212:                              ;   in Loop: Header=BB192_6 Depth=1
	s_or_b32 exec_lo, exec_lo, s18
	v_mov_b32_e32 v2, v6
	v_mov_b32_e32 v3, v7
	s_and_b32 s19, s19, exec_lo
.LBB192_213:                            ;   in Loop: Header=BB192_6 Depth=1
	s_or_b32 exec_lo, exec_lo, s6
	s_mov_b32 s18, -1
                                        ; implicit-def: $sgpr54
                                        ; implicit-def: $sgpr6
	s_and_saveexec_b32 s74, s19
	s_cbranch_execz .LBB192_266
; %bb.214:                              ;   in Loop: Header=BB192_6 Depth=1
	v_cmp_eq_u64_e32 vcc_lo, 1, v[2:3]
	s_cmp_eq_u64 s[16:17], 1
	s_mov_b32 s19, -1
	s_cselect_b32 s6, -1, 0
                                        ; implicit-def: $sgpr54
	s_and_b32 s75, s6, vcc_lo
                                        ; implicit-def: $sgpr6
	s_and_saveexec_b32 s104, s75
	s_cbranch_execz .LBB192_254
; %bb.215:                              ;   in Loop: Header=BB192_6 Depth=1
	ds_read_b64 v[4:5], v13 offset:5120
	s_waitcnt lgkmcnt(0)
	s_barrier
	buffer_gl0_inv
	v_readfirstlane_b32 s18, v4
	v_readfirstlane_b32 s19, v5
	s_and_saveexec_b32 s6, s8
; %bb.216:                              ;   in Loop: Header=BB192_6 Depth=1
	ds_write_b32 v32, v13
; %bb.217:                              ;   in Loop: Header=BB192_6 Depth=1
	s_or_b32 exec_lo, exec_lo, s6
	v_or_b32_e32 v28, s9, v28
	v_or_b32_e32 v29, s9, v29
	s_mov_b32 s6, -1
	s_mov_b32 s54, 0
	s_cmp_eq_u64 s[18:19], 0
	s_mov_b32 s22, 0
	s_mov_b32 s23, -1
	s_waitcnt lgkmcnt(0)
	s_barrier
	buffer_gl0_inv
                                        ; implicit-def: $vgpr5
	s_cbranch_scc1 .LBB192_236
; %bb.218:                              ;   in Loop: Header=BB192_6 Depth=1
	s_add_u32 s44, s18, s80
	s_addc_u32 s21, s19, s81
	s_mov_b32 s20, s27
	s_cmp_lg_u64 s[20:21], 0
	s_cbranch_scc0 .LBB192_222
; %bb.219:                              ;   in Loop: Header=BB192_6 Depth=1
	v_cvt_f32_u32_e32 v4, s33
	s_sub_u32 s23, 0, s33
	s_subb_u32 s26, 0, 0
	v_fmac_f32_e64 v4, 0x4f800000, 0
	v_rcp_f32_e32 v4, v4
	v_mul_f32_e32 v4, 0x5f7ffffc, v4
	v_mul_f32_e32 v5, 0x2f800000, v4
	v_trunc_f32_e32 v5, v5
	v_fmac_f32_e32 v4, 0xcf800000, v5
	v_cvt_u32_f32_e32 v5, v5
	v_cvt_u32_f32_e32 v4, v4
	v_readfirstlane_b32 s20, v5
	v_readfirstlane_b32 s22, v4
	s_mul_i32 s45, s23, s20
	s_mul_hi_u32 vcc_hi, s23, s22
	s_mul_i32 vcc_lo, s26, s22
	s_add_i32 s45, vcc_hi, s45
	s_mul_i32 s48, s23, s22
	s_add_i32 s45, s45, vcc_lo
	s_mul_hi_u32 s49, s22, s48
	s_mul_i32 s46, s22, s45
	s_mul_hi_u32 vcc_lo, s22, s45
	s_mul_hi_u32 vcc_hi, s20, s48
	s_mul_i32 s48, s20, s48
	s_add_u32 s46, s49, s46
	s_addc_u32 s49, 0, vcc_lo
	s_mul_hi_u32 s47, s20, s45
	s_add_u32 s46, s46, s48
	s_mul_i32 s45, s20, s45
	s_addc_u32 s46, s49, vcc_hi
	s_addc_u32 s47, s47, 0
	s_add_u32 s45, s46, s45
	s_addc_u32 s46, 0, s47
	s_add_u32 s22, s22, s45
	s_cselect_b32 s45, -1, 0
	s_mul_hi_u32 s47, s23, s22
	s_cmp_lg_u32 s45, 0
	s_mul_i32 s45, s23, s22
	s_addc_u32 s20, s20, s46
	s_mul_i32 s26, s26, s22
	s_mul_i32 s23, s23, s20
	s_mul_hi_u32 s46, s22, s45
	s_add_i32 s23, s47, s23
	s_mul_hi_u32 s47, s20, s45
	s_add_i32 s23, s23, s26
	s_mul_i32 s26, s20, s45
	s_mul_i32 s49, s22, s23
	s_mul_hi_u32 s48, s22, s23
	s_add_u32 s46, s46, s49
	s_addc_u32 s48, 0, s48
	s_mul_hi_u32 s45, s20, s23
	s_add_u32 s26, s46, s26
	s_mul_i32 s23, s20, s23
	s_addc_u32 s26, s48, s47
	s_addc_u32 s45, s45, 0
	s_add_u32 s23, s26, s23
	s_addc_u32 s26, 0, s45
	s_add_u32 s22, s22, s23
	s_cselect_b32 s23, -1, 0
	s_mul_hi_u32 s45, s44, s22
	s_cmp_lg_u32 s23, 0
	s_mul_hi_u32 s23, s21, s22
	s_addc_u32 s20, s20, s26
	s_mul_i32 s22, s21, s22
	s_mul_i32 s46, s44, s20
	s_mul_hi_u32 s26, s44, s20
	s_add_u32 s45, s45, s46
	s_addc_u32 s26, 0, s26
	s_mul_hi_u32 s47, s21, s20
	s_add_u32 s22, s45, s22
	s_mul_i32 s20, s21, s20
	s_addc_u32 s22, s26, s23
	s_addc_u32 s23, s47, 0
	s_add_u32 s20, s22, s20
	s_addc_u32 s22, 0, s23
	s_mul_hi_u32 s23, s33, s20
	s_mul_i32 s22, s33, s22
	s_mul_i32 s20, s33, s20
	s_add_i32 s23, s23, s22
	s_sub_u32 s20, s44, s20
	s_cselect_b32 s22, -1, 0
	s_cmp_lg_u32 s22, 0
	s_subb_u32 s22, s21, s23
	s_sub_u32 s23, s20, s33
	s_cselect_b32 s26, -1, 0
	s_cmp_lg_u32 s26, 0
	s_subb_u32 s26, s22, 0
	;; [unrolled: 4-line block ×3, first 2 shown]
	s_cmp_ge_u32 s23, s33
	s_cselect_b32 s47, -1, 0
	s_cmp_eq_u32 s26, 0
	s_cselect_b32 s47, s47, -1
	s_cmp_lg_u32 s47, 0
	s_cselect_b32 s26, s46, s26
	s_cselect_b32 s45, s45, s23
	s_cmp_ge_u32 s20, s33
	s_cselect_b32 s23, -1, 0
	s_cmp_eq_u32 s22, 0
	s_cselect_b32 s23, s23, -1
	s_cmp_lg_u32 s23, 0
	s_cselect_b32 s23, s26, s22
	s_cselect_b32 s22, s45, s20
	s_mov_b32 s20, 0
	s_branch .LBB192_223
.LBB192_220:                            ;   in Loop: Header=BB192_6 Depth=1
                                        ; implicit-def: $sgpr22_sgpr23
	s_branch .LBB192_173
.LBB192_221:                            ;   in Loop: Header=BB192_6 Depth=1
                                        ; implicit-def: $sgpr18_sgpr19
	s_branch .LBB192_190
.LBB192_222:                            ;   in Loop: Header=BB192_6 Depth=1
	s_mov_b32 s20, -1
                                        ; implicit-def: $sgpr22_sgpr23
.LBB192_223:                            ;   in Loop: Header=BB192_6 Depth=1
	s_andn2_b32 vcc_lo, exec_lo, s20
	s_cbranch_vccnz .LBB192_225
; %bb.224:                              ;   in Loop: Header=BB192_6 Depth=1
	v_cvt_f32_u32_e32 v4, s33
	s_sub_i32 s22, 0, s33
	v_rcp_iflag_f32_e32 v4, v4
	v_mul_f32_e32 v4, 0x4f7ffffe, v4
	v_cvt_u32_f32_e32 v4, v4
	v_readfirstlane_b32 s20, v4
	s_mul_i32 s22, s22, s20
	s_mul_hi_u32 s22, s20, s22
	s_add_i32 s20, s20, s22
	s_mul_hi_u32 s20, s44, s20
	s_mul_i32 s20, s20, s33
	s_sub_i32 s20, s44, s20
	s_sub_i32 s22, s20, s33
	s_cmp_ge_u32 s20, s33
	s_cselect_b32 s20, s22, s20
	s_sub_i32 s22, s20, s33
	s_cmp_ge_u32 s20, s33
	s_cselect_b32 s26, s22, s20
	s_mov_b64 s[22:23], s[26:27]
.LBB192_225:                            ;   in Loop: Header=BB192_6 Depth=1
	s_sub_u32 s20, s44, s22
	s_subb_u32 s21, s21, s23
	s_mov_b32 s23, 0
	s_mov_b32 s22, 0
	s_mov_b32 s26, exec_lo
                                        ; implicit-def: $vgpr5
	v_cmpx_gt_u64_e64 s[20:21], v[0:1]
	s_cbranch_execz .LBB192_235
; %bb.226:                              ;   in Loop: Header=BB192_6 Depth=1
	v_mov_b32_e32 v7, v1
	v_mov_b32_e32 v8, v14
	;; [unrolled: 1-line block ×3, first 2 shown]
                                        ; implicit-def: $sgpr44
	s_inst_prefetch 0x1
	s_branch .LBB192_230
	.p2align	6
.LBB192_227:                            ;   in Loop: Header=BB192_230 Depth=2
	s_or_b32 exec_lo, exec_lo, s45
	s_waitcnt lgkmcnt(0)
	s_barrier
	buffer_gl0_inv
	ds_read_b64 v[4:5], v13 offset:3072
	s_waitcnt lgkmcnt(0)
	s_barrier
	buffer_gl0_inv
	v_cmp_neq_f32_e32 vcc_lo, 0, v4
	s_cbranch_vccnz .LBB192_233
; %bb.228:                              ;   in Loop: Header=BB192_230 Depth=2
	v_add_co_u32 v6, vcc_lo, v6, s33
	v_add_co_ci_u32_e64 v7, null, 0, v7, vcc_lo
	v_add_nc_u32_e32 v8, s86, v8
	s_mov_b32 s45, 0
	v_cmp_le_u64_e32 vcc_lo, s[20:21], v[6:7]
	s_orn2_b32 vcc_lo, vcc_lo, exec_lo
.LBB192_229:                            ;   in Loop: Header=BB192_230 Depth=2
	s_and_b32 s46, exec_lo, vcc_lo
	s_or_b32 s22, s46, s22
	s_andn2_b32 s44, s44, exec_lo
	s_and_b32 s45, s45, exec_lo
	s_or_b32 s44, s44, s45
	s_andn2_b32 exec_lo, exec_lo, s22
	s_cbranch_execz .LBB192_234
.LBB192_230:                            ;   Parent Loop BB192_6 Depth=1
                                        ; =>  This Inner Loop Header: Depth=2
	s_mov_b32 s45, exec_lo
	v_cmpx_gt_u64_e64 s[18:19], v[6:7]
	s_cbranch_execz .LBB192_227
; %bb.231:                              ;   in Loop: Header=BB192_230 Depth=2
	ds_read_b32 v24, v8
	s_waitcnt lgkmcnt(0)
	v_cmp_lt_i32_e32 vcc_lo, -1, v24
	v_cndmask_b32_e64 v4, -1, 0x80000000, vcc_lo
	v_cmp_o_f32_e32 vcc_lo, v24, v24
	v_xor_b32_e32 v4, v4, v24
	v_cndmask_b32_e32 v4, -1, v4, vcc_lo
	v_and_b32_e32 v4, v4, v29
	v_cmp_eq_u32_e32 vcc_lo, v4, v28
	s_and_b32 exec_lo, exec_lo, vcc_lo
	s_cbranch_execz .LBB192_227
; %bb.232:                              ;   in Loop: Header=BB192_230 Depth=2
	ds_write_b64 v13, v[23:24] offset:3072
	s_branch .LBB192_227
.LBB192_233:                            ;   in Loop: Header=BB192_230 Depth=2
	s_mov_b32 vcc_lo, -1
	s_mov_b32 s45, -1
                                        ; implicit-def: $vgpr6_vgpr7
                                        ; implicit-def: $vgpr8
	s_branch .LBB192_229
.LBB192_234:                            ;   in Loop: Header=BB192_6 Depth=1
	s_inst_prefetch 0x2
	s_or_b32 exec_lo, exec_lo, s22
	s_and_b32 s22, s44, exec_lo
.LBB192_235:                            ;   in Loop: Header=BB192_6 Depth=1
	s_or_b32 exec_lo, exec_lo, s26
.LBB192_236:                            ;   in Loop: Header=BB192_6 Depth=1
	s_and_b32 vcc_lo, exec_lo, s23
	s_cbranch_vccz .LBB192_253
; %bb.237:                              ;   in Loop: Header=BB192_6 Depth=1
	s_mov_b32 s54, s27
	s_cmp_lg_u64 s[54:55], 0
	s_cbranch_scc0 .LBB192_239
; %bb.238:                              ;   in Loop: Header=BB192_6 Depth=1
	v_cvt_f32_u32_e32 v4, s33
	s_sub_u32 s19, 0, s33
	s_subb_u32 s20, 0, 0
	v_fmac_f32_e64 v4, 0x4f800000, 0
	v_rcp_f32_e32 v4, v4
	v_mul_f32_e32 v4, 0x5f7ffffc, v4
	v_mul_f32_e32 v5, 0x2f800000, v4
	v_trunc_f32_e32 v5, v5
	v_fmac_f32_e32 v4, 0xcf800000, v5
	v_cvt_u32_f32_e32 v5, v5
	v_cvt_u32_f32_e32 v4, v4
	v_readfirstlane_b32 s6, v5
	v_readfirstlane_b32 s18, v4
	s_mul_i32 s21, s19, s6
	s_mul_hi_u32 s26, s19, s18
	s_mul_i32 s23, s20, s18
	s_add_i32 s21, s26, s21
	s_mul_i32 s44, s19, s18
	s_add_i32 s21, s21, s23
	s_mul_hi_u32 s26, s18, s44
	s_mul_i32 s46, s18, s21
	s_mul_hi_u32 s45, s6, s44
	s_mul_i32 s23, s6, s44
	s_mul_hi_u32 s44, s18, s21
	s_add_u32 s26, s26, s46
	s_addc_u32 s44, 0, s44
	s_mul_hi_u32 s47, s6, s21
	s_add_u32 s23, s26, s23
	s_mul_i32 s21, s6, s21
	s_addc_u32 s23, s44, s45
	s_addc_u32 s26, s47, 0
	s_add_u32 s21, s23, s21
	s_addc_u32 s23, 0, s26
	s_add_u32 s18, s18, s21
	s_cselect_b32 s21, -1, 0
	s_mul_hi_u32 s26, s19, s18
	s_cmp_lg_u32 s21, 0
	s_mul_i32 s21, s19, s18
	s_addc_u32 s6, s6, s23
	s_mul_i32 s20, s20, s18
	s_mul_i32 s19, s19, s6
	s_mul_hi_u32 s23, s18, s21
	s_add_i32 s19, s26, s19
	s_mul_hi_u32 s26, s6, s21
	s_add_i32 s19, s19, s20
	s_mul_i32 s20, s6, s21
	s_mul_i32 s45, s18, s19
	s_mul_hi_u32 s44, s18, s19
	s_add_u32 s23, s23, s45
	s_addc_u32 s44, 0, s44
	s_mul_hi_u32 s21, s6, s19
	s_add_u32 s20, s23, s20
	s_mul_i32 s19, s6, s19
	s_addc_u32 s20, s44, s26
	s_addc_u32 s21, s21, 0
	s_add_u32 s19, s20, s19
	s_addc_u32 s20, 0, s21
	s_add_u32 s18, s18, s19
	s_cselect_b32 s19, -1, 0
	s_mul_hi_u32 s21, s82, s18
	s_cmp_lg_u32 s19, 0
	s_mul_hi_u32 s19, s55, s18
	s_addc_u32 s6, s6, s20
	s_mul_i32 s18, s55, s18
	s_mul_i32 s23, s82, s6
	s_mul_hi_u32 s20, s82, s6
	s_add_u32 s21, s21, s23
	s_addc_u32 s20, 0, s20
	s_mul_hi_u32 s26, s55, s6
	s_add_u32 s18, s21, s18
	s_mul_i32 s6, s55, s6
	s_addc_u32 s18, s20, s19
	s_addc_u32 s19, s26, 0
	s_add_u32 s6, s18, s6
	s_addc_u32 s18, 0, s19
	s_mul_hi_u32 s19, s33, s6
	s_mul_i32 s18, s33, s18
	s_mul_i32 s6, s33, s6
	s_add_i32 s19, s19, s18
	s_sub_u32 s6, s82, s6
	s_cselect_b32 s18, -1, 0
	s_cmp_lg_u32 s18, 0
	s_subb_u32 s18, s55, s19
	s_sub_u32 s19, s6, s33
	s_cselect_b32 s20, -1, 0
	s_cmp_lg_u32 s20, 0
	s_subb_u32 s20, s18, 0
	;; [unrolled: 4-line block ×3, first 2 shown]
	s_cmp_ge_u32 s19, s33
	s_cselect_b32 s26, -1, 0
	s_cmp_eq_u32 s20, 0
	s_cselect_b32 s26, s26, -1
	s_cmp_lg_u32 s26, 0
	s_cselect_b32 s20, s23, s20
	s_cselect_b32 s21, s21, s19
	s_cmp_ge_u32 s6, s33
	s_cselect_b32 s19, -1, 0
	s_cmp_eq_u32 s18, 0
	s_cselect_b32 s19, s19, -1
	s_cmp_lg_u32 s19, 0
	s_cselect_b32 s19, s20, s18
	s_cselect_b32 s18, s21, s6
	s_mov_b32 s6, 0
	s_branch .LBB192_240
.LBB192_239:                            ;   in Loop: Header=BB192_6 Depth=1
	s_mov_b32 s6, -1
                                        ; implicit-def: $sgpr18_sgpr19
.LBB192_240:                            ;   in Loop: Header=BB192_6 Depth=1
	s_andn2_b32 vcc_lo, exec_lo, s6
	s_cbranch_vccnz .LBB192_242
; %bb.241:                              ;   in Loop: Header=BB192_6 Depth=1
	v_cvt_f32_u32_e32 v4, s33
	s_sub_i32 s18, 0, s33
	v_rcp_iflag_f32_e32 v4, v4
	v_mul_f32_e32 v4, 0x4f7ffffe, v4
	v_cvt_u32_f32_e32 v4, v4
	v_readfirstlane_b32 s6, v4
	s_mul_i32 s18, s18, s6
	s_mul_hi_u32 s18, s6, s18
	s_add_i32 s6, s6, s18
	s_mul_hi_u32 s6, s82, s6
	s_mul_i32 s6, s6, s33
	s_sub_i32 s6, s82, s6
	s_sub_i32 s18, s6, s33
	s_cmp_ge_u32 s6, s33
	s_cselect_b32 s6, s18, s6
	s_sub_i32 s18, s6, s33
	s_cmp_ge_u32 s6, s33
	s_cselect_b32 s26, s18, s6
	s_mov_b64 s[18:19], s[26:27]
.LBB192_242:                            ;   in Loop: Header=BB192_6 Depth=1
	s_sub_u32 s18, s82, s18
	s_subb_u32 s19, s55, s19
	s_mov_b32 s20, exec_lo
                                        ; implicit-def: $vgpr5
	v_cmpx_gt_u64_e64 s[18:19], v[0:1]
	s_cbranch_execz .LBB192_252
; %bb.243:                              ;   in Loop: Header=BB192_6 Depth=1
	v_mov_b32_e32 v6, v10
	v_mov_b32_e32 v9, v1
	;; [unrolled: 1-line block ×4, first 2 shown]
	s_mov_b32 s21, 0
                                        ; implicit-def: $sgpr23
	s_branch .LBB192_247
.LBB192_244:                            ;   in Loop: Header=BB192_247 Depth=2
	s_or_b32 exec_lo, exec_lo, s6
	s_waitcnt lgkmcnt(0)
	s_barrier
	buffer_gl0_inv
	ds_read_b64 v[4:5], v13 offset:3072
	s_waitcnt lgkmcnt(0)
	s_barrier
	buffer_gl0_inv
	v_cmp_eq_f32_e32 vcc_lo, 0, v4
	s_cbranch_vccz .LBB192_250
; %bb.245:                              ;   in Loop: Header=BB192_247 Depth=2
	v_add_co_u32 v8, vcc_lo, v8, s33
	v_add_co_ci_u32_e64 v9, null, 0, v9, vcc_lo
	v_add_co_u32 v6, s6, v6, s34
	v_add_co_ci_u32_e64 v7, null, s35, v7, s6
	v_cmp_le_u64_e32 vcc_lo, s[18:19], v[8:9]
	s_mov_b32 s6, 0
	s_orn2_b32 s26, vcc_lo, exec_lo
.LBB192_246:                            ;   in Loop: Header=BB192_247 Depth=2
	s_and_b32 s26, exec_lo, s26
	s_or_b32 s21, s26, s21
	s_andn2_b32 s23, s23, exec_lo
	s_and_b32 s6, s6, exec_lo
	s_or_b32 s23, s23, s6
	s_andn2_b32 exec_lo, exec_lo, s21
	s_cbranch_execz .LBB192_251
.LBB192_247:                            ;   Parent Loop BB192_6 Depth=1
                                        ; =>  This Inner Loop Header: Depth=2
	s_mov_b32 s6, exec_lo
	v_cmpx_gt_u64_e64 s[28:29], v[8:9]
	s_cbranch_execz .LBB192_244
; %bb.248:                              ;   in Loop: Header=BB192_247 Depth=2
	global_load_dword v24, v[6:7], off
	s_waitcnt vmcnt(0)
	v_cmp_lt_i32_e32 vcc_lo, -1, v24
	v_cndmask_b32_e64 v4, -1, 0x80000000, vcc_lo
	v_cmp_o_f32_e32 vcc_lo, v24, v24
	v_xor_b32_e32 v4, v4, v24
	v_cndmask_b32_e32 v4, -1, v4, vcc_lo
	v_and_b32_e32 v4, v4, v29
	v_cmp_eq_u32_e32 vcc_lo, v4, v28
	s_and_b32 exec_lo, exec_lo, vcc_lo
	s_cbranch_execz .LBB192_244
; %bb.249:                              ;   in Loop: Header=BB192_247 Depth=2
	ds_write_b64 v13, v[23:24] offset:3072
	s_branch .LBB192_244
.LBB192_250:                            ;   in Loop: Header=BB192_247 Depth=2
	s_mov_b32 s26, -1
	s_mov_b32 s6, -1
                                        ; implicit-def: $vgpr8_vgpr9
                                        ; implicit-def: $vgpr6_vgpr7
	s_branch .LBB192_246
.LBB192_251:                            ;   in Loop: Header=BB192_6 Depth=1
	s_or_b32 exec_lo, exec_lo, s21
	s_andn2_b32 s6, s22, exec_lo
	s_and_b32 s18, s23, exec_lo
	s_or_b32 s22, s6, s18
.LBB192_252:                            ;   in Loop: Header=BB192_6 Depth=1
	s_or_b32 exec_lo, exec_lo, s20
	s_mov_b32 s6, 0
	s_mov_b32 s54, -1
.LBB192_253:                            ;   in Loop: Header=BB192_6 Depth=1
	s_orn2_b32 s19, s22, exec_lo
.LBB192_254:                            ;   in Loop: Header=BB192_6 Depth=1
	s_or_b32 exec_lo, exec_lo, s104
	s_mov_b32 s20, 0
	s_and_saveexec_b32 s18, s19
	s_cbranch_execz .LBB192_265
; %bb.255:                              ;   in Loop: Header=BB192_6 Depth=1
	v_mov_b32_e32 v6, 1
	v_mov_b32_e32 v7, 0
	;; [unrolled: 1-line block ×3, first 2 shown]
	s_xor_b32 s20, s75, -1
	s_and_saveexec_b32 s19, s20
	s_cbranch_execz .LBB192_264
; %bb.256:                              ;   in Loop: Header=BB192_6 Depth=1
	s_mov_b32 s20, exec_lo
	v_cmpx_ge_u64_e64 s[16:17], v[2:3]
	s_xor_b32 s20, exec_lo, s20
	s_cbranch_execz .LBB192_261
; %bb.257:                              ;   in Loop: Header=BB192_6 Depth=1
	ds_read_b64 v[6:7], v13 offset:5120
	v_or_b32_e32 v28, s9, v28
	v_or_b32_e32 v29, s9, v29
	s_waitcnt lgkmcnt(0)
	v_cmp_ne_u64_e32 vcc_lo, 0, v[6:7]
	s_cbranch_vccnz .LBB192_261
; %bb.258:                              ;   in Loop: Header=BB192_6 Depth=1
	s_and_saveexec_b32 s21, s3
; %bb.259:                              ;   in Loop: Header=BB192_6 Depth=1
	v_mov_b32_e32 v6, s16
	v_mov_b32_e32 v7, s17
	ds_write_b64 v13, v[6:7] offset:5128
; %bb.260:                              ;   in Loop: Header=BB192_6 Depth=1
	s_or_b32 exec_lo, exec_lo, s21
	s_waitcnt lgkmcnt(0)
	s_barrier
	buffer_gl0_inv
.LBB192_261:                            ;   in Loop: Header=BB192_6 Depth=1
	s_andn2_saveexec_b32 s20, s20
; %bb.262:                              ;   in Loop: Header=BB192_6 Depth=1
	v_sub_co_u32 v2, vcc_lo, v2, s16
	v_subrev_co_ci_u32_e64 v3, null, s17, v3, vcc_lo
; %bb.263:                              ;   in Loop: Header=BB192_6 Depth=1
	s_or_b32 exec_lo, exec_lo, s20
	v_mov_b32_e32 v7, v3
	v_mov_b32_e32 v12, 8
	v_mov_b32_e32 v6, v2
.LBB192_264:                            ;   in Loop: Header=BB192_6 Depth=1
	s_or_b32 exec_lo, exec_lo, s19
	v_mov_b32_e32 v2, v6
	v_mov_b32_e32 v3, v7
	s_mov_b32 s20, exec_lo
.LBB192_265:                            ;   in Loop: Header=BB192_6 Depth=1
	s_or_b32 exec_lo, exec_lo, s18
	s_orn2_b32 s18, s20, exec_lo
.LBB192_266:                            ;   in Loop: Header=BB192_6 Depth=1
	s_or_b32 exec_lo, exec_lo, s74
	v_mov_b32_e32 v7, v3
	v_mov_b32_e32 v6, v2
	s_andn2_b32 s19, s72, exec_lo
	s_and_b32 s20, s54, exec_lo
	s_andn2_b32 s21, s71, exec_lo
	s_and_b32 s6, s6, exec_lo
	s_or_b32 s72, s19, s20
	s_or_b32 s71, s21, s6
	s_and_b32 s18, s18, exec_lo
.LBB192_267:                            ;   in Loop: Header=BB192_6 Depth=1
	s_or_b32 exec_lo, exec_lo, s73
	s_orn2_b32 s6, s18, exec_lo
.LBB192_268:                            ;   in Loop: Header=BB192_6 Depth=1
	s_or_b32 exec_lo, exec_lo, s70
	v_mov_b32_e32 v2, v6
	v_mov_b32_e32 v3, v7
	s_andn2_b32 s18, s68, exec_lo
	s_and_b32 s19, s72, exec_lo
	s_andn2_b32 s20, s67, exec_lo
	s_and_b32 s21, s71, exec_lo
	s_or_b32 s68, s18, s19
	s_or_b32 s67, s20, s21
	s_and_b32 s18, s6, exec_lo
.LBB192_269:                            ;   in Loop: Header=BB192_6 Depth=1
	s_or_b32 exec_lo, exec_lo, s69
	s_orn2_b32 s6, s18, exec_lo
.LBB192_270:                            ;   in Loop: Header=BB192_6 Depth=1
	s_or_b32 exec_lo, exec_lo, s66
	s_mov_b32 s18, 0
	s_mov_b32 s19, 0
	s_and_saveexec_b32 s20, s6
	s_xor_b32 s20, exec_lo, s20
; %bb.271:                              ;   in Loop: Header=BB192_6 Depth=1
	v_cmp_ne_u32_e32 vcc_lo, 8, v12
	v_cmp_eq_u32_e64 s6, 8, v12
	s_and_b32 s19, vcc_lo, exec_lo
	s_and_b32 s18, s6, exec_lo
; %bb.272:                              ;   in Loop: Header=BB192_6 Depth=1
	s_or_b32 exec_lo, exec_lo, s20
	s_andn2_b32 s6, s63, exec_lo
	s_and_b32 s20, s68, exec_lo
	s_andn2_b32 s21, s62, exec_lo
	s_and_b32 s22, s67, exec_lo
	s_or_b32 s63, s6, s20
	s_or_b32 s62, s21, s22
	s_and_b32 s22, s19, exec_lo
	s_and_b32 s23, s18, exec_lo
.LBB192_273:                            ;   in Loop: Header=BB192_6 Depth=1
	s_or_b32 exec_lo, exec_lo, s65
.LBB192_274:                            ;   in Loop: Header=BB192_6 Depth=1
	s_and_b32 vcc_lo, exec_lo, s64
	s_cbranch_vccz .LBB192_291
; %bb.275:                              ;   in Loop: Header=BB192_6 Depth=1
	s_cmp_eq_u64 s[16:17], 1
                                        ; implicit-def: $sgpr64
                                        ; implicit-def: $sgpr25
	s_cselect_b32 s6, -1, 0
	s_and_b32 s62, s6, s7
	s_mov_b32 s6, -1
	s_and_saveexec_b32 s63, s62
	s_cbranch_execz .LBB192_310
; %bb.276:                              ;   in Loop: Header=BB192_6 Depth=1
	ds_read_b64 v[2:3], v13 offset:5120
	s_waitcnt lgkmcnt(0)
	s_barrier
	buffer_gl0_inv
	v_readfirstlane_b32 s6, v2
	v_readfirstlane_b32 s7, v3
	s_and_saveexec_b32 s18, s8
; %bb.277:                              ;   in Loop: Header=BB192_6 Depth=1
	ds_write_b32 v32, v13
; %bb.278:                              ;   in Loop: Header=BB192_6 Depth=1
	s_or_b32 exec_lo, exec_lo, s18
	v_or_b32_e32 v17, s9, v17
	v_or_b32_e32 v38, s9, v38
	s_mov_b32 s25, -1
	s_mov_b32 s64, 0
	s_cmp_eq_u64 s[6:7], 0
	s_mov_b32 s20, 0
	s_mov_b32 s21, -1
	s_waitcnt lgkmcnt(0)
	s_barrier
	buffer_gl0_inv
                                        ; implicit-def: $vgpr25
	s_cbranch_scc1 .LBB192_294
; %bb.279:                              ;   in Loop: Header=BB192_6 Depth=1
	s_add_u32 s44, s6, s80
	s_addc_u32 s19, s7, s81
	s_mov_b32 s18, s27
	s_cmp_lg_u64 s[18:19], 0
	s_cbranch_scc0 .LBB192_337
; %bb.280:                              ;   in Loop: Header=BB192_6 Depth=1
	v_cvt_f32_u32_e32 v2, s33
	s_sub_u32 s21, 0, s33
	s_subb_u32 s26, 0, 0
	v_fmac_f32_e64 v2, 0x4f800000, 0
	v_rcp_f32_e32 v2, v2
	v_mul_f32_e32 v2, 0x5f7ffffc, v2
	v_mul_f32_e32 v3, 0x2f800000, v2
	v_trunc_f32_e32 v3, v3
	v_fmac_f32_e32 v2, 0xcf800000, v3
	v_cvt_u32_f32_e32 v3, v3
	v_cvt_u32_f32_e32 v2, v2
	v_readfirstlane_b32 s18, v3
	v_readfirstlane_b32 s20, v2
	s_mul_i32 s45, s21, s18
	s_mul_hi_u32 s65, s21, s20
	s_mul_i32 s54, s26, s20
	s_add_i32 s45, s65, s45
	s_mul_i32 s66, s21, s20
	s_add_i32 s45, s45, s54
	s_mul_hi_u32 s65, s20, s66
	s_mul_i32 s68, s20, s45
	s_mul_hi_u32 s67, s18, s66
	s_mul_i32 s54, s18, s66
	s_mul_hi_u32 s66, s20, s45
	s_add_u32 s65, s65, s68
	s_addc_u32 s66, 0, s66
	s_mul_hi_u32 s69, s18, s45
	s_add_u32 s54, s65, s54
	s_mul_i32 s45, s18, s45
	s_addc_u32 s54, s66, s67
	s_addc_u32 s65, s69, 0
	s_add_u32 s45, s54, s45
	s_addc_u32 s54, 0, s65
	s_add_u32 s20, s20, s45
	s_cselect_b32 s45, -1, 0
	s_mul_hi_u32 s65, s21, s20
	s_cmp_lg_u32 s45, 0
	s_mul_i32 s45, s21, s20
	s_addc_u32 s18, s18, s54
	s_mul_i32 s26, s26, s20
	s_mul_i32 s21, s21, s18
	s_mul_hi_u32 s54, s20, s45
	s_add_i32 s21, s65, s21
	s_mul_hi_u32 s65, s18, s45
	s_add_i32 s21, s21, s26
	s_mul_i32 s26, s18, s45
	s_mul_i32 s67, s20, s21
	s_mul_hi_u32 s66, s20, s21
	s_add_u32 s54, s54, s67
	s_addc_u32 s66, 0, s66
	s_mul_hi_u32 s45, s18, s21
	s_add_u32 s26, s54, s26
	s_mul_i32 s21, s18, s21
	s_addc_u32 s26, s66, s65
	s_addc_u32 s45, s45, 0
	s_add_u32 s21, s26, s21
	s_addc_u32 s26, 0, s45
	s_add_u32 s20, s20, s21
	s_cselect_b32 s21, -1, 0
	s_mul_hi_u32 s45, s44, s20
	s_cmp_lg_u32 s21, 0
	s_mul_hi_u32 s21, s19, s20
	s_addc_u32 s18, s18, s26
	s_mul_i32 s20, s19, s20
	s_mul_i32 s54, s44, s18
	s_mul_hi_u32 s26, s44, s18
	s_add_u32 s45, s45, s54
	s_addc_u32 s26, 0, s26
	s_mul_hi_u32 s65, s19, s18
	s_add_u32 s20, s45, s20
	s_mul_i32 s18, s19, s18
	s_addc_u32 s20, s26, s21
	s_addc_u32 s21, s65, 0
	s_add_u32 s18, s20, s18
	s_addc_u32 s20, 0, s21
	s_mul_hi_u32 s21, s33, s18
	s_mul_i32 s20, s33, s20
	s_mul_i32 s18, s33, s18
	s_add_i32 s21, s21, s20
	s_sub_u32 s18, s44, s18
	s_cselect_b32 s20, -1, 0
	s_cmp_lg_u32 s20, 0
	s_subb_u32 s20, s19, s21
	s_sub_u32 s21, s18, s33
	s_cselect_b32 s26, -1, 0
	s_cmp_lg_u32 s26, 0
	s_subb_u32 s26, s20, 0
	;; [unrolled: 4-line block ×3, first 2 shown]
	s_cmp_ge_u32 s21, s33
	s_cselect_b32 s65, -1, 0
	s_cmp_eq_u32 s26, 0
	s_cselect_b32 s65, s65, -1
	s_cmp_lg_u32 s65, 0
	s_cselect_b32 s26, s54, s26
	s_cselect_b32 s45, s45, s21
	s_cmp_ge_u32 s18, s33
	s_cselect_b32 s21, -1, 0
	s_cmp_eq_u32 s20, 0
	s_cselect_b32 s21, s21, -1
	s_cmp_lg_u32 s21, 0
	s_cselect_b32 s21, s26, s20
	s_cselect_b32 s20, s45, s18
	s_cbranch_execnz .LBB192_282
.LBB192_281:                            ;   in Loop: Header=BB192_6 Depth=1
	v_cvt_f32_u32_e32 v2, s33
	s_sub_i32 s20, 0, s33
	v_rcp_iflag_f32_e32 v2, v2
	v_mul_f32_e32 v2, 0x4f7ffffe, v2
	v_cvt_u32_f32_e32 v2, v2
	v_readfirstlane_b32 s18, v2
	s_mul_i32 s20, s20, s18
	s_mul_hi_u32 s20, s18, s20
	s_add_i32 s18, s18, s20
	s_mul_hi_u32 s18, s44, s18
	s_mul_i32 s18, s18, s33
	s_sub_i32 s18, s44, s18
	s_sub_i32 s20, s18, s33
	s_cmp_ge_u32 s18, s33
	s_cselect_b32 s18, s20, s18
	s_sub_i32 s20, s18, s33
	s_cmp_ge_u32 s18, s33
	s_cselect_b32 s26, s20, s18
	s_mov_b64 s[20:21], s[26:27]
.LBB192_282:                            ;   in Loop: Header=BB192_6 Depth=1
	s_sub_u32 s18, s44, s20
	s_subb_u32 s19, s19, s21
	s_mov_b32 s21, 0
	s_mov_b32 s20, 0
	s_mov_b32 s26, exec_lo
                                        ; implicit-def: $vgpr25
	v_cmpx_gt_u64_e64 s[18:19], v[0:1]
	s_cbranch_execz .LBB192_293
; %bb.283:                              ;   in Loop: Header=BB192_6 Depth=1
	v_mov_b32_e32 v3, v1
	v_mov_b32_e32 v4, v14
	;; [unrolled: 1-line block ×3, first 2 shown]
                                        ; implicit-def: $sgpr44
	s_inst_prefetch 0x1
	s_branch .LBB192_287
	.p2align	6
.LBB192_284:                            ;   in Loop: Header=BB192_287 Depth=2
	s_or_b32 exec_lo, exec_lo, s45
	s_waitcnt lgkmcnt(0)
	s_barrier
	buffer_gl0_inv
	ds_read_b64 v[24:25], v13 offset:3072
	s_waitcnt lgkmcnt(0)
	s_barrier
	buffer_gl0_inv
	v_cmp_neq_f32_e32 vcc_lo, 0, v24
	s_cbranch_vccnz .LBB192_290
; %bb.285:                              ;   in Loop: Header=BB192_287 Depth=2
	v_add_co_u32 v2, vcc_lo, v2, s33
	v_add_co_ci_u32_e64 v3, null, 0, v3, vcc_lo
	v_add_nc_u32_e32 v4, s86, v4
	s_mov_b32 s45, 0
	v_cmp_le_u64_e32 vcc_lo, s[18:19], v[2:3]
	s_orn2_b32 s54, vcc_lo, exec_lo
.LBB192_286:                            ;   in Loop: Header=BB192_287 Depth=2
	s_and_b32 s46, exec_lo, s54
	s_or_b32 s20, s46, s20
	s_andn2_b32 s44, s44, exec_lo
	s_and_b32 s45, s45, exec_lo
	s_or_b32 s44, s44, s45
	s_andn2_b32 exec_lo, exec_lo, s20
	s_cbranch_execz .LBB192_292
.LBB192_287:                            ;   Parent Loop BB192_6 Depth=1
                                        ; =>  This Inner Loop Header: Depth=2
	s_mov_b32 s45, exec_lo
	v_cmpx_gt_u64_e64 s[6:7], v[2:3]
	s_cbranch_execz .LBB192_284
; %bb.288:                              ;   in Loop: Header=BB192_287 Depth=2
	ds_read_b32 v24, v4
	s_waitcnt lgkmcnt(0)
	v_cmp_lt_i32_e32 vcc_lo, -1, v24
	v_cndmask_b32_e64 v5, -1, 0x80000000, vcc_lo
	v_cmp_o_f32_e32 vcc_lo, v24, v24
	v_xor_b32_e32 v5, v5, v24
	v_cndmask_b32_e32 v5, -1, v5, vcc_lo
	v_and_b32_e32 v5, v5, v38
	v_cmp_eq_u32_e32 vcc_lo, v5, v17
	s_and_b32 exec_lo, exec_lo, vcc_lo
	s_cbranch_execz .LBB192_284
; %bb.289:                              ;   in Loop: Header=BB192_287 Depth=2
	ds_write_b64 v13, v[23:24] offset:3072
	s_branch .LBB192_284
.LBB192_290:                            ;   in Loop: Header=BB192_287 Depth=2
	s_mov_b32 s54, -1
	s_mov_b32 s45, -1
                                        ; implicit-def: $vgpr2_vgpr3
                                        ; implicit-def: $vgpr4
	s_branch .LBB192_286
.LBB192_291:                            ;   in Loop: Header=BB192_6 Depth=1
	v_mov_b32_e32 v17, v28
	v_mov_b32_e32 v38, v29
	;; [unrolled: 1-line block ×3, first 2 shown]
	s_mov_b32 s64, 0
	s_and_saveexec_b32 s6, s23
	s_cbranch_execnz .LBB192_475
	s_branch .LBB192_476
.LBB192_292:                            ;   in Loop: Header=BB192_6 Depth=1
	s_inst_prefetch 0x2
	s_or_b32 exec_lo, exec_lo, s20
	s_and_b32 s20, s44, exec_lo
.LBB192_293:                            ;   in Loop: Header=BB192_6 Depth=1
	s_or_b32 exec_lo, exec_lo, s26
.LBB192_294:                            ;   in Loop: Header=BB192_6 Depth=1
	s_and_b32 vcc_lo, exec_lo, s21
	s_cbranch_vccz .LBB192_309
; %bb.295:                              ;   in Loop: Header=BB192_6 Depth=1
	s_mov_b32 s54, s27
	s_cmp_lg_u64 s[54:55], 0
	s_cbranch_scc0 .LBB192_338
; %bb.296:                              ;   in Loop: Header=BB192_6 Depth=1
	v_cvt_f32_u32_e32 v2, s33
	s_sub_u32 s18, 0, s33
	s_subb_u32 s19, 0, 0
	v_fmac_f32_e64 v2, 0x4f800000, 0
	v_rcp_f32_e32 v2, v2
	v_mul_f32_e32 v2, 0x5f7ffffc, v2
	v_mul_f32_e32 v3, 0x2f800000, v2
	v_trunc_f32_e32 v3, v3
	v_fmac_f32_e32 v2, 0xcf800000, v3
	v_cvt_u32_f32_e32 v3, v3
	v_cvt_u32_f32_e32 v2, v2
	v_readfirstlane_b32 s6, v3
	v_readfirstlane_b32 s7, v2
	s_mul_i32 s21, s18, s6
	s_mul_hi_u32 s26, s18, s7
	s_mul_i32 s25, s19, s7
	s_add_i32 s21, s26, s21
	s_mul_i32 s44, s18, s7
	s_add_i32 s21, s21, s25
	s_mul_hi_u32 s26, s7, s44
	s_mul_i32 s54, s7, s21
	s_mul_hi_u32 s45, s6, s44
	s_mul_i32 s25, s6, s44
	s_mul_hi_u32 s44, s7, s21
	s_add_u32 s26, s26, s54
	s_addc_u32 s44, 0, s44
	s_mul_hi_u32 s64, s6, s21
	s_add_u32 s25, s26, s25
	s_mul_i32 s21, s6, s21
	s_addc_u32 s25, s44, s45
	s_addc_u32 s26, s64, 0
	s_add_u32 s21, s25, s21
	s_addc_u32 s25, 0, s26
	s_add_u32 s7, s7, s21
	s_cselect_b32 s21, -1, 0
	s_mul_hi_u32 s26, s18, s7
	s_cmp_lg_u32 s21, 0
	s_mul_i32 s21, s18, s7
	s_addc_u32 s6, s6, s25
	s_mul_i32 s19, s19, s7
	s_mul_i32 s18, s18, s6
	s_mul_hi_u32 s25, s7, s21
	s_add_i32 s18, s26, s18
	s_mul_hi_u32 s26, s6, s21
	s_add_i32 s18, s18, s19
	s_mul_i32 s19, s6, s21
	s_mul_i32 s45, s7, s18
	s_mul_hi_u32 s44, s7, s18
	s_add_u32 s25, s25, s45
	s_addc_u32 s44, 0, s44
	s_mul_hi_u32 s21, s6, s18
	s_add_u32 s19, s25, s19
	s_mul_i32 s18, s6, s18
	s_addc_u32 s19, s44, s26
	s_addc_u32 s21, s21, 0
	s_add_u32 s18, s19, s18
	s_addc_u32 s19, 0, s21
	s_add_u32 s7, s7, s18
	s_cselect_b32 s18, -1, 0
	s_mul_hi_u32 s21, s82, s7
	s_cmp_lg_u32 s18, 0
	s_mul_hi_u32 s18, s55, s7
	s_addc_u32 s6, s6, s19
	s_mul_i32 s7, s55, s7
	s_mul_i32 s25, s82, s6
	s_mul_hi_u32 s19, s82, s6
	s_add_u32 s21, s21, s25
	s_addc_u32 s19, 0, s19
	s_mul_hi_u32 s26, s55, s6
	s_add_u32 s7, s21, s7
	s_mul_i32 s6, s55, s6
	s_addc_u32 s7, s19, s18
	s_addc_u32 s18, s26, 0
	s_add_u32 s6, s7, s6
	s_addc_u32 s7, 0, s18
	s_mul_hi_u32 s18, s33, s6
	s_mul_i32 s7, s33, s7
	s_mul_i32 s6, s33, s6
	s_add_i32 s18, s18, s7
	s_sub_u32 s6, s82, s6
	s_cselect_b32 s7, -1, 0
	s_cmp_lg_u32 s7, 0
	s_subb_u32 s7, s55, s18
	s_sub_u32 s18, s6, s33
	s_cselect_b32 s19, -1, 0
	s_cmp_lg_u32 s19, 0
	s_subb_u32 s19, s7, 0
	s_sub_u32 s21, s18, s33
	s_cselect_b32 s25, -1, 0
	s_cmp_lg_u32 s25, 0
	s_subb_u32 s25, s19, 0
	s_cmp_ge_u32 s18, s33
	s_cselect_b32 s26, -1, 0
	s_cmp_eq_u32 s19, 0
	s_cselect_b32 s26, s26, -1
	s_cmp_lg_u32 s26, 0
	s_cselect_b32 s19, s25, s19
	s_cselect_b32 s18, s21, s18
	s_cmp_ge_u32 s6, s33
	s_cselect_b32 s21, -1, 0
	s_cmp_eq_u32 s7, 0
	s_cselect_b32 s21, s21, -1
	s_cmp_lg_u32 s21, 0
	s_cselect_b32 s7, s19, s7
	s_cselect_b32 s6, s18, s6
	s_cbranch_execnz .LBB192_298
.LBB192_297:                            ;   in Loop: Header=BB192_6 Depth=1
	v_cvt_f32_u32_e32 v2, s33
	s_sub_i32 s7, 0, s33
	v_rcp_iflag_f32_e32 v2, v2
	v_mul_f32_e32 v2, 0x4f7ffffe, v2
	v_cvt_u32_f32_e32 v2, v2
	v_readfirstlane_b32 s6, v2
	s_mul_i32 s7, s7, s6
	s_mul_hi_u32 s7, s6, s7
	s_add_i32 s6, s6, s7
	s_mul_hi_u32 s6, s82, s6
	s_mul_i32 s6, s6, s33
	s_sub_i32 s6, s82, s6
	s_sub_i32 s7, s6, s33
	s_cmp_ge_u32 s6, s33
	s_cselect_b32 s6, s7, s6
	s_sub_i32 s7, s6, s33
	s_cmp_ge_u32 s6, s33
	s_cselect_b32 s26, s7, s6
	s_mov_b64 s[6:7], s[26:27]
.LBB192_298:                            ;   in Loop: Header=BB192_6 Depth=1
	s_sub_u32 s18, s82, s6
	s_subb_u32 s19, s55, s7
	s_mov_b32 s7, exec_lo
                                        ; implicit-def: $vgpr25
	v_cmpx_gt_u64_e64 s[18:19], v[0:1]
	s_cbranch_execz .LBB192_308
; %bb.299:                              ;   in Loop: Header=BB192_6 Depth=1
	v_mov_b32_e32 v2, v10
	v_mov_b32_e32 v5, v1
	;; [unrolled: 1-line block ×4, first 2 shown]
	s_mov_b32 s21, 0
                                        ; implicit-def: $sgpr25
	s_branch .LBB192_303
.LBB192_300:                            ;   in Loop: Header=BB192_303 Depth=2
	s_or_b32 exec_lo, exec_lo, s6
	s_waitcnt lgkmcnt(0)
	s_barrier
	buffer_gl0_inv
	ds_read_b64 v[24:25], v13 offset:3072
	s_waitcnt lgkmcnt(0)
	s_barrier
	buffer_gl0_inv
	v_cmp_neq_f32_e32 vcc_lo, 0, v24
	s_cbranch_vccnz .LBB192_306
; %bb.301:                              ;   in Loop: Header=BB192_303 Depth=2
	v_add_co_u32 v4, vcc_lo, v4, s33
	v_add_co_ci_u32_e64 v5, null, 0, v5, vcc_lo
	v_add_co_u32 v2, s6, v2, s34
	v_add_co_ci_u32_e64 v3, null, s35, v3, s6
	v_cmp_le_u64_e32 vcc_lo, s[18:19], v[4:5]
	s_mov_b32 s6, 0
	s_orn2_b32 s26, vcc_lo, exec_lo
.LBB192_302:                            ;   in Loop: Header=BB192_303 Depth=2
	s_and_b32 s26, exec_lo, s26
	s_or_b32 s21, s26, s21
	s_andn2_b32 s25, s25, exec_lo
	s_and_b32 s6, s6, exec_lo
	s_or_b32 s25, s25, s6
	s_andn2_b32 exec_lo, exec_lo, s21
	s_cbranch_execz .LBB192_307
.LBB192_303:                            ;   Parent Loop BB192_6 Depth=1
                                        ; =>  This Inner Loop Header: Depth=2
	s_mov_b32 s6, exec_lo
	v_cmpx_gt_u64_e64 s[28:29], v[4:5]
	s_cbranch_execz .LBB192_300
; %bb.304:                              ;   in Loop: Header=BB192_303 Depth=2
	global_load_dword v24, v[2:3], off
	s_waitcnt vmcnt(0)
	v_cmp_lt_i32_e32 vcc_lo, -1, v24
	v_cndmask_b32_e64 v6, -1, 0x80000000, vcc_lo
	v_cmp_o_f32_e32 vcc_lo, v24, v24
	v_xor_b32_e32 v6, v6, v24
	v_cndmask_b32_e32 v6, -1, v6, vcc_lo
	v_and_b32_e32 v6, v6, v38
	v_cmp_eq_u32_e32 vcc_lo, v6, v17
	s_and_b32 exec_lo, exec_lo, vcc_lo
	s_cbranch_execz .LBB192_300
; %bb.305:                              ;   in Loop: Header=BB192_303 Depth=2
	ds_write_b64 v13, v[23:24] offset:3072
	s_branch .LBB192_300
.LBB192_306:                            ;   in Loop: Header=BB192_303 Depth=2
	s_mov_b32 s26, -1
	s_mov_b32 s6, -1
                                        ; implicit-def: $vgpr4_vgpr5
                                        ; implicit-def: $vgpr2_vgpr3
	s_branch .LBB192_302
.LBB192_307:                            ;   in Loop: Header=BB192_6 Depth=1
	s_or_b32 exec_lo, exec_lo, s21
	s_andn2_b32 s6, s20, exec_lo
	s_and_b32 s18, s25, exec_lo
	s_or_b32 s20, s6, s18
.LBB192_308:                            ;   in Loop: Header=BB192_6 Depth=1
	s_or_b32 exec_lo, exec_lo, s7
	s_mov_b32 s25, 0
	s_mov_b32 s64, -1
.LBB192_309:                            ;   in Loop: Header=BB192_6 Depth=1
	s_orn2_b32 s6, s20, exec_lo
.LBB192_310:                            ;   in Loop: Header=BB192_6 Depth=1
	s_or_b32 exec_lo, exec_lo, s63
                                        ; implicit-def: $vgpr2_vgpr3
                                        ; implicit-def: $vgpr12
	s_and_saveexec_b32 s20, s6
	s_cbranch_execz .LBB192_474
; %bb.311:                              ;   in Loop: Header=BB192_6 Depth=1
	v_mov_b32_e32 v2, 1
	v_mov_b32_e32 v3, 0
	;; [unrolled: 1-line block ×3, first 2 shown]
	s_xor_b32 s18, s62, -1
	s_mov_b32 s7, 0
	s_and_saveexec_b32 s6, s18
	s_cbranch_execz .LBB192_320
; %bb.312:                              ;   in Loop: Header=BB192_6 Depth=1
	s_mov_b32 s7, exec_lo
	v_cmpx_ge_u64_e64 s[16:17], v[26:27]
	s_xor_b32 s7, exec_lo, s7
	s_cbranch_execz .LBB192_317
; %bb.313:                              ;   in Loop: Header=BB192_6 Depth=1
	ds_read_b64 v[2:3], v13 offset:5120
	v_or_b32_e32 v17, s9, v17
	v_or_b32_e32 v38, s9, v38
	s_waitcnt lgkmcnt(0)
	v_cmp_ne_u64_e32 vcc_lo, 0, v[2:3]
	s_cbranch_vccnz .LBB192_317
; %bb.314:                              ;   in Loop: Header=BB192_6 Depth=1
	s_and_saveexec_b32 s18, s3
; %bb.315:                              ;   in Loop: Header=BB192_6 Depth=1
	v_mov_b32_e32 v2, s16
	v_mov_b32_e32 v3, s17
	ds_write_b64 v13, v[2:3] offset:5128
; %bb.316:                              ;   in Loop: Header=BB192_6 Depth=1
	s_or_b32 exec_lo, exec_lo, s18
	s_waitcnt lgkmcnt(0)
	s_barrier
	buffer_gl0_inv
.LBB192_317:                            ;   in Loop: Header=BB192_6 Depth=1
	s_or_saveexec_b32 s7, s7
	v_mov_b32_e32 v12, 5
	s_mov_b32 s18, 0
	s_xor_b32 exec_lo, exec_lo, s7
; %bb.318:                              ;   in Loop: Header=BB192_6 Depth=1
	v_sub_co_u32 v26, vcc_lo, v26, s16
	v_subrev_co_ci_u32_e64 v27, null, s17, v27, vcc_lo
	v_mov_b32_e32 v12, 0
	s_mov_b32 s18, exec_lo
; %bb.319:                              ;   in Loop: Header=BB192_6 Depth=1
	s_or_b32 exec_lo, exec_lo, s7
	v_mov_b32_e32 v2, v26
	v_mov_b32_e32 v3, v27
	s_and_b32 s7, s18, exec_lo
.LBB192_320:                            ;   in Loop: Header=BB192_6 Depth=1
	s_or_b32 exec_lo, exec_lo, s6
	s_mov_b32 s6, -1
                                        ; implicit-def: $sgpr62
                                        ; implicit-def: $sgpr63
	s_and_saveexec_b32 s16, s7
	s_xor_b32 s21, exec_lo, s16
	s_cbranch_execz .LBB192_471
; %bb.321:                              ;   in Loop: Header=BB192_6 Depth=1
	v_cmp_eq_u64_e32 vcc_lo, 1, v[2:3]
	s_cmp_eq_u64 s[14:15], 1
                                        ; implicit-def: $sgpr63
                                        ; implicit-def: $sgpr62
	s_cselect_b32 s6, -1, 0
	s_and_b32 s65, s6, vcc_lo
	s_mov_b32 s6, -1
	s_and_saveexec_b32 s66, s65
	s_cbranch_execz .LBB192_357
; %bb.322:                              ;   in Loop: Header=BB192_6 Depth=1
	ds_read_b64 v[4:5], v13 offset:5120
	s_waitcnt lgkmcnt(0)
	s_barrier
	buffer_gl0_inv
	v_readfirstlane_b32 s6, v4
	v_readfirstlane_b32 s7, v5
	s_and_saveexec_b32 s16, s8
; %bb.323:                              ;   in Loop: Header=BB192_6 Depth=1
	ds_write_b32 v32, v13
; %bb.324:                              ;   in Loop: Header=BB192_6 Depth=1
	s_or_b32 exec_lo, exec_lo, s16
	s_lshl_b32 s16, 2, s93
	v_or_b32_e32 v38, s9, v38
	v_and_or_b32 v17, v17, s24, s16
	s_mov_b32 s62, -1
	s_mov_b32 s63, 0
	s_cmp_eq_u64 s[6:7], 0
	s_mov_b32 s18, 0
	s_mov_b32 s19, -1
	s_waitcnt lgkmcnt(0)
	s_barrier
	buffer_gl0_inv
                                        ; implicit-def: $vgpr25
	s_cbranch_scc1 .LBB192_341
; %bb.325:                              ;   in Loop: Header=BB192_6 Depth=1
	s_add_u32 s44, s6, s80
	s_addc_u32 s17, s7, s81
	s_mov_b32 s16, s27
	s_cmp_lg_u64 s[16:17], 0
	s_cbranch_scc0 .LBB192_384
; %bb.326:                              ;   in Loop: Header=BB192_6 Depth=1
	v_cvt_f32_u32_e32 v4, s33
	s_sub_u32 s19, 0, s33
	s_subb_u32 s26, 0, 0
	v_fmac_f32_e64 v4, 0x4f800000, 0
	v_rcp_f32_e32 v4, v4
	v_mul_f32_e32 v4, 0x5f7ffffc, v4
	v_mul_f32_e32 v5, 0x2f800000, v4
	v_trunc_f32_e32 v5, v5
	v_fmac_f32_e32 v4, 0xcf800000, v5
	v_cvt_u32_f32_e32 v5, v5
	v_cvt_u32_f32_e32 v4, v4
	v_readfirstlane_b32 s16, v5
	v_readfirstlane_b32 s18, v4
	s_mul_i32 s45, s19, s16
	s_mul_hi_u32 s67, s19, s18
	s_mul_i32 s54, s26, s18
	s_add_i32 s45, s67, s45
	s_mul_i32 s68, s19, s18
	s_add_i32 s45, s45, s54
	s_mul_hi_u32 s67, s18, s68
	s_mul_i32 s70, s18, s45
	s_mul_hi_u32 s69, s16, s68
	s_mul_i32 s54, s16, s68
	s_mul_hi_u32 s68, s18, s45
	s_add_u32 s67, s67, s70
	s_addc_u32 s68, 0, s68
	s_mul_hi_u32 s71, s16, s45
	s_add_u32 s54, s67, s54
	s_mul_i32 s45, s16, s45
	s_addc_u32 s54, s68, s69
	s_addc_u32 s67, s71, 0
	s_add_u32 s45, s54, s45
	s_addc_u32 s54, 0, s67
	s_add_u32 s18, s18, s45
	s_cselect_b32 s45, -1, 0
	s_mul_hi_u32 s67, s19, s18
	s_cmp_lg_u32 s45, 0
	s_mul_i32 s45, s19, s18
	s_addc_u32 s16, s16, s54
	s_mul_i32 s26, s26, s18
	s_mul_i32 s19, s19, s16
	s_mul_hi_u32 s54, s18, s45
	s_add_i32 s19, s67, s19
	s_mul_hi_u32 s67, s16, s45
	s_add_i32 s19, s19, s26
	s_mul_i32 s26, s16, s45
	s_mul_i32 s69, s18, s19
	s_mul_hi_u32 s68, s18, s19
	s_add_u32 s54, s54, s69
	s_addc_u32 s68, 0, s68
	s_mul_hi_u32 s45, s16, s19
	s_add_u32 s26, s54, s26
	s_mul_i32 s19, s16, s19
	s_addc_u32 s26, s68, s67
	s_addc_u32 s45, s45, 0
	s_add_u32 s19, s26, s19
	s_addc_u32 s26, 0, s45
	s_add_u32 s18, s18, s19
	s_cselect_b32 s19, -1, 0
	s_mul_hi_u32 s45, s44, s18
	s_cmp_lg_u32 s19, 0
	s_mul_hi_u32 s19, s17, s18
	s_addc_u32 s16, s16, s26
	s_mul_i32 s18, s17, s18
	s_mul_i32 s54, s44, s16
	s_mul_hi_u32 s26, s44, s16
	s_add_u32 s45, s45, s54
	s_addc_u32 s26, 0, s26
	s_mul_hi_u32 s67, s17, s16
	s_add_u32 s18, s45, s18
	s_mul_i32 s16, s17, s16
	s_addc_u32 s18, s26, s19
	s_addc_u32 s19, s67, 0
	s_add_u32 s16, s18, s16
	s_addc_u32 s18, 0, s19
	s_mul_hi_u32 s19, s33, s16
	s_mul_i32 s18, s33, s18
	s_mul_i32 s16, s33, s16
	s_add_i32 s19, s19, s18
	s_sub_u32 s16, s44, s16
	s_cselect_b32 s18, -1, 0
	s_cmp_lg_u32 s18, 0
	s_subb_u32 s18, s17, s19
	s_sub_u32 s19, s16, s33
	s_cselect_b32 s26, -1, 0
	s_cmp_lg_u32 s26, 0
	s_subb_u32 s26, s18, 0
	;; [unrolled: 4-line block ×3, first 2 shown]
	s_cmp_ge_u32 s19, s33
	s_cselect_b32 s67, -1, 0
	s_cmp_eq_u32 s26, 0
	s_cselect_b32 s67, s67, -1
	s_cmp_lg_u32 s67, 0
	s_cselect_b32 s26, s54, s26
	s_cselect_b32 s45, s45, s19
	s_cmp_ge_u32 s16, s33
	s_cselect_b32 s19, -1, 0
	s_cmp_eq_u32 s18, 0
	s_cselect_b32 s19, s19, -1
	s_cmp_lg_u32 s19, 0
	s_cselect_b32 s19, s26, s18
	s_cselect_b32 s18, s45, s16
	s_cbranch_execnz .LBB192_328
.LBB192_327:                            ;   in Loop: Header=BB192_6 Depth=1
	v_cvt_f32_u32_e32 v4, s33
	s_sub_i32 s18, 0, s33
	v_rcp_iflag_f32_e32 v4, v4
	v_mul_f32_e32 v4, 0x4f7ffffe, v4
	v_cvt_u32_f32_e32 v4, v4
	v_readfirstlane_b32 s16, v4
	s_mul_i32 s18, s18, s16
	s_mul_hi_u32 s18, s16, s18
	s_add_i32 s16, s16, s18
	s_mul_hi_u32 s16, s44, s16
	s_mul_i32 s16, s16, s33
	s_sub_i32 s16, s44, s16
	s_sub_i32 s18, s16, s33
	s_cmp_ge_u32 s16, s33
	s_cselect_b32 s16, s18, s16
	s_sub_i32 s18, s16, s33
	s_cmp_ge_u32 s16, s33
	s_cselect_b32 s26, s18, s16
	s_mov_b64 s[18:19], s[26:27]
.LBB192_328:                            ;   in Loop: Header=BB192_6 Depth=1
	s_sub_u32 s16, s44, s18
	s_subb_u32 s17, s17, s19
	s_mov_b32 s19, 0
	s_mov_b32 s18, 0
	s_mov_b32 s26, exec_lo
                                        ; implicit-def: $vgpr25
	v_cmpx_gt_u64_e64 s[16:17], v[0:1]
	s_cbranch_execz .LBB192_340
; %bb.329:                              ;   in Loop: Header=BB192_6 Depth=1
	v_mov_b32_e32 v5, v1
	v_mov_b32_e32 v6, v14
	v_mov_b32_e32 v4, v0
                                        ; implicit-def: $sgpr44
	s_inst_prefetch 0x1
	s_branch .LBB192_333
	.p2align	6
.LBB192_330:                            ;   in Loop: Header=BB192_333 Depth=2
	s_or_b32 exec_lo, exec_lo, s45
	s_waitcnt lgkmcnt(0)
	s_barrier
	buffer_gl0_inv
	ds_read_b64 v[24:25], v13 offset:3072
	s_waitcnt lgkmcnt(0)
	s_barrier
	buffer_gl0_inv
	v_cmp_neq_f32_e32 vcc_lo, 0, v24
	s_cbranch_vccnz .LBB192_336
; %bb.331:                              ;   in Loop: Header=BB192_333 Depth=2
	v_add_co_u32 v4, vcc_lo, v4, s33
	v_add_co_ci_u32_e64 v5, null, 0, v5, vcc_lo
	v_add_nc_u32_e32 v6, s86, v6
	s_mov_b32 s45, 0
	v_cmp_le_u64_e32 vcc_lo, s[16:17], v[4:5]
	s_orn2_b32 s54, vcc_lo, exec_lo
.LBB192_332:                            ;   in Loop: Header=BB192_333 Depth=2
	s_and_b32 s46, exec_lo, s54
	s_or_b32 s18, s46, s18
	s_andn2_b32 s44, s44, exec_lo
	s_and_b32 s45, s45, exec_lo
	s_or_b32 s44, s44, s45
	s_andn2_b32 exec_lo, exec_lo, s18
	s_cbranch_execz .LBB192_339
.LBB192_333:                            ;   Parent Loop BB192_6 Depth=1
                                        ; =>  This Inner Loop Header: Depth=2
	s_mov_b32 s45, exec_lo
	v_cmpx_gt_u64_e64 s[6:7], v[4:5]
	s_cbranch_execz .LBB192_330
; %bb.334:                              ;   in Loop: Header=BB192_333 Depth=2
	ds_read_b32 v24, v6
	s_waitcnt lgkmcnt(0)
	v_cmp_lt_i32_e32 vcc_lo, -1, v24
	v_cndmask_b32_e64 v7, -1, 0x80000000, vcc_lo
	v_cmp_o_f32_e32 vcc_lo, v24, v24
	v_xor_b32_e32 v7, v7, v24
	v_cndmask_b32_e32 v7, -1, v7, vcc_lo
	v_and_b32_e32 v7, v7, v38
	v_cmp_eq_u32_e32 vcc_lo, v7, v17
	s_and_b32 exec_lo, exec_lo, vcc_lo
	s_cbranch_execz .LBB192_330
; %bb.335:                              ;   in Loop: Header=BB192_333 Depth=2
	ds_write_b64 v13, v[23:24] offset:3072
	s_branch .LBB192_330
.LBB192_336:                            ;   in Loop: Header=BB192_333 Depth=2
	s_mov_b32 s54, -1
	s_mov_b32 s45, -1
                                        ; implicit-def: $vgpr4_vgpr5
                                        ; implicit-def: $vgpr6
	s_branch .LBB192_332
.LBB192_337:                            ;   in Loop: Header=BB192_6 Depth=1
                                        ; implicit-def: $sgpr20_sgpr21
	s_branch .LBB192_281
.LBB192_338:                            ;   in Loop: Header=BB192_6 Depth=1
                                        ; implicit-def: $sgpr6_sgpr7
	s_branch .LBB192_297
.LBB192_339:                            ;   in Loop: Header=BB192_6 Depth=1
	s_inst_prefetch 0x2
	s_or_b32 exec_lo, exec_lo, s18
	s_and_b32 s18, s44, exec_lo
.LBB192_340:                            ;   in Loop: Header=BB192_6 Depth=1
	s_or_b32 exec_lo, exec_lo, s26
.LBB192_341:                            ;   in Loop: Header=BB192_6 Depth=1
	s_and_b32 vcc_lo, exec_lo, s19
	s_cbranch_vccz .LBB192_356
; %bb.342:                              ;   in Loop: Header=BB192_6 Depth=1
	s_mov_b32 s54, s27
	s_cmp_lg_u64 s[54:55], 0
	s_cbranch_scc0 .LBB192_385
; %bb.343:                              ;   in Loop: Header=BB192_6 Depth=1
	v_cvt_f32_u32_e32 v4, s33
	s_sub_u32 s16, 0, s33
	s_subb_u32 s17, 0, 0
	v_fmac_f32_e64 v4, 0x4f800000, 0
	v_rcp_f32_e32 v4, v4
	v_mul_f32_e32 v4, 0x5f7ffffc, v4
	v_mul_f32_e32 v5, 0x2f800000, v4
	v_trunc_f32_e32 v5, v5
	v_fmac_f32_e32 v4, 0xcf800000, v5
	v_cvt_u32_f32_e32 v5, v5
	v_cvt_u32_f32_e32 v4, v4
	v_readfirstlane_b32 s6, v5
	v_readfirstlane_b32 s7, v4
	s_mul_i32 s19, s16, s6
	s_mul_hi_u32 s44, s16, s7
	s_mul_i32 s26, s17, s7
	s_add_i32 s19, s44, s19
	s_mul_i32 s45, s16, s7
	s_add_i32 s19, s19, s26
	s_mul_hi_u32 s44, s7, s45
	s_mul_i32 s62, s7, s19
	s_mul_hi_u32 s54, s6, s45
	s_mul_i32 s26, s6, s45
	s_mul_hi_u32 s45, s7, s19
	s_add_u32 s44, s44, s62
	s_addc_u32 s45, 0, s45
	s_mul_hi_u32 s63, s6, s19
	s_add_u32 s26, s44, s26
	s_mul_i32 s19, s6, s19
	s_addc_u32 s26, s45, s54
	s_addc_u32 s44, s63, 0
	s_add_u32 s19, s26, s19
	s_addc_u32 s26, 0, s44
	s_add_u32 s7, s7, s19
	s_cselect_b32 s19, -1, 0
	s_mul_hi_u32 s44, s16, s7
	s_cmp_lg_u32 s19, 0
	s_mul_i32 s19, s16, s7
	s_addc_u32 s6, s6, s26
	s_mul_i32 s17, s17, s7
	s_mul_i32 s16, s16, s6
	s_mul_hi_u32 s26, s7, s19
	s_add_i32 s16, s44, s16
	s_mul_hi_u32 s44, s6, s19
	s_add_i32 s16, s16, s17
	s_mul_i32 s17, s6, s19
	s_mul_i32 s54, s7, s16
	s_mul_hi_u32 s45, s7, s16
	s_add_u32 s26, s26, s54
	s_addc_u32 s45, 0, s45
	s_mul_hi_u32 s19, s6, s16
	s_add_u32 s17, s26, s17
	s_mul_i32 s16, s6, s16
	s_addc_u32 s17, s45, s44
	s_addc_u32 s19, s19, 0
	s_add_u32 s16, s17, s16
	s_addc_u32 s17, 0, s19
	s_add_u32 s7, s7, s16
	s_cselect_b32 s16, -1, 0
	s_mul_hi_u32 s19, s82, s7
	s_cmp_lg_u32 s16, 0
	s_mul_hi_u32 s16, s55, s7
	s_addc_u32 s6, s6, s17
	s_mul_i32 s7, s55, s7
	s_mul_i32 s26, s82, s6
	s_mul_hi_u32 s17, s82, s6
	s_add_u32 s19, s19, s26
	s_addc_u32 s17, 0, s17
	s_mul_hi_u32 s44, s55, s6
	s_add_u32 s7, s19, s7
	s_mul_i32 s6, s55, s6
	s_addc_u32 s7, s17, s16
	s_addc_u32 s16, s44, 0
	s_add_u32 s6, s7, s6
	s_addc_u32 s7, 0, s16
	s_mul_hi_u32 s16, s33, s6
	s_mul_i32 s7, s33, s7
	s_mul_i32 s6, s33, s6
	s_add_i32 s16, s16, s7
	s_sub_u32 s6, s82, s6
	s_cselect_b32 s7, -1, 0
	s_cmp_lg_u32 s7, 0
	s_subb_u32 s7, s55, s16
	s_sub_u32 s16, s6, s33
	s_cselect_b32 s17, -1, 0
	s_cmp_lg_u32 s17, 0
	s_subb_u32 s17, s7, 0
	;; [unrolled: 4-line block ×3, first 2 shown]
	s_cmp_ge_u32 s16, s33
	s_cselect_b32 s44, -1, 0
	s_cmp_eq_u32 s17, 0
	s_cselect_b32 s44, s44, -1
	s_cmp_lg_u32 s44, 0
	s_cselect_b32 s17, s26, s17
	s_cselect_b32 s16, s19, s16
	s_cmp_ge_u32 s6, s33
	s_cselect_b32 s19, -1, 0
	s_cmp_eq_u32 s7, 0
	s_cselect_b32 s19, s19, -1
	s_cmp_lg_u32 s19, 0
	s_cselect_b32 s7, s17, s7
	s_cselect_b32 s6, s16, s6
	s_cbranch_execnz .LBB192_345
.LBB192_344:                            ;   in Loop: Header=BB192_6 Depth=1
	v_cvt_f32_u32_e32 v4, s33
	s_sub_i32 s7, 0, s33
	v_rcp_iflag_f32_e32 v4, v4
	v_mul_f32_e32 v4, 0x4f7ffffe, v4
	v_cvt_u32_f32_e32 v4, v4
	v_readfirstlane_b32 s6, v4
	s_mul_i32 s7, s7, s6
	s_mul_hi_u32 s7, s6, s7
	s_add_i32 s6, s6, s7
	s_mul_hi_u32 s6, s82, s6
	s_mul_i32 s6, s6, s33
	s_sub_i32 s6, s82, s6
	s_sub_i32 s7, s6, s33
	s_cmp_ge_u32 s6, s33
	s_cselect_b32 s6, s7, s6
	s_sub_i32 s7, s6, s33
	s_cmp_ge_u32 s6, s33
	s_cselect_b32 s26, s7, s6
	s_mov_b64 s[6:7], s[26:27]
.LBB192_345:                            ;   in Loop: Header=BB192_6 Depth=1
	s_sub_u32 s16, s82, s6
	s_subb_u32 s17, s55, s7
	s_mov_b32 s7, exec_lo
                                        ; implicit-def: $vgpr25
	v_cmpx_gt_u64_e64 s[16:17], v[0:1]
	s_cbranch_execz .LBB192_355
; %bb.346:                              ;   in Loop: Header=BB192_6 Depth=1
	v_mov_b32_e32 v4, v10
	v_mov_b32_e32 v7, v1
	;; [unrolled: 1-line block ×4, first 2 shown]
	s_mov_b32 s19, 0
                                        ; implicit-def: $sgpr26
	s_branch .LBB192_350
.LBB192_347:                            ;   in Loop: Header=BB192_350 Depth=2
	s_or_b32 exec_lo, exec_lo, s6
	s_waitcnt lgkmcnt(0)
	s_barrier
	buffer_gl0_inv
	ds_read_b64 v[24:25], v13 offset:3072
	s_waitcnt lgkmcnt(0)
	s_barrier
	buffer_gl0_inv
	v_cmp_eq_f32_e32 vcc_lo, 0, v24
	s_cbranch_vccz .LBB192_353
; %bb.348:                              ;   in Loop: Header=BB192_350 Depth=2
	v_add_co_u32 v6, vcc_lo, v6, s33
	v_add_co_ci_u32_e64 v7, null, 0, v7, vcc_lo
	v_add_co_u32 v4, s6, v4, s34
	v_add_co_ci_u32_e64 v5, null, s35, v5, s6
	v_cmp_le_u64_e32 vcc_lo, s[16:17], v[6:7]
	s_mov_b32 s6, 0
	s_orn2_b32 s44, vcc_lo, exec_lo
.LBB192_349:                            ;   in Loop: Header=BB192_350 Depth=2
	s_and_b32 s44, exec_lo, s44
	s_or_b32 s19, s44, s19
	s_andn2_b32 s26, s26, exec_lo
	s_and_b32 s6, s6, exec_lo
	s_or_b32 s26, s26, s6
	s_andn2_b32 exec_lo, exec_lo, s19
	s_cbranch_execz .LBB192_354
.LBB192_350:                            ;   Parent Loop BB192_6 Depth=1
                                        ; =>  This Inner Loop Header: Depth=2
	s_mov_b32 s6, exec_lo
	v_cmpx_gt_u64_e64 s[28:29], v[6:7]
	s_cbranch_execz .LBB192_347
; %bb.351:                              ;   in Loop: Header=BB192_350 Depth=2
	global_load_dword v24, v[4:5], off
	s_waitcnt vmcnt(0)
	v_cmp_lt_i32_e32 vcc_lo, -1, v24
	v_cndmask_b32_e64 v8, -1, 0x80000000, vcc_lo
	v_cmp_o_f32_e32 vcc_lo, v24, v24
	v_xor_b32_e32 v8, v8, v24
	v_cndmask_b32_e32 v8, -1, v8, vcc_lo
	v_and_b32_e32 v8, v8, v38
	v_cmp_eq_u32_e32 vcc_lo, v8, v17
	s_and_b32 exec_lo, exec_lo, vcc_lo
	s_cbranch_execz .LBB192_347
; %bb.352:                              ;   in Loop: Header=BB192_350 Depth=2
	ds_write_b64 v13, v[23:24] offset:3072
	s_branch .LBB192_347
.LBB192_353:                            ;   in Loop: Header=BB192_350 Depth=2
	s_mov_b32 s44, -1
	s_mov_b32 s6, -1
                                        ; implicit-def: $vgpr6_vgpr7
                                        ; implicit-def: $vgpr4_vgpr5
	s_branch .LBB192_349
.LBB192_354:                            ;   in Loop: Header=BB192_6 Depth=1
	s_or_b32 exec_lo, exec_lo, s19
	s_andn2_b32 s6, s18, exec_lo
	s_and_b32 s16, s26, exec_lo
	s_or_b32 s18, s6, s16
.LBB192_355:                            ;   in Loop: Header=BB192_6 Depth=1
	s_or_b32 exec_lo, exec_lo, s7
	s_mov_b32 s62, 0
	s_mov_b32 s63, -1
.LBB192_356:                            ;   in Loop: Header=BB192_6 Depth=1
	s_orn2_b32 s6, s18, exec_lo
.LBB192_357:                            ;   in Loop: Header=BB192_6 Depth=1
	s_or_b32 exec_lo, exec_lo, s66
	s_mov_b32 s7, 0
	s_and_saveexec_b32 s18, s6
	s_cbranch_execz .LBB192_470
; %bb.358:                              ;   in Loop: Header=BB192_6 Depth=1
	v_mov_b32_e32 v4, 1
	v_mov_b32_e32 v5, 0
	;; [unrolled: 1-line block ×3, first 2 shown]
	s_xor_b32 s16, s65, -1
	s_and_saveexec_b32 s6, s16
	s_cbranch_execz .LBB192_367
; %bb.359:                              ;   in Loop: Header=BB192_6 Depth=1
	s_mov_b32 s7, exec_lo
	v_cmpx_ge_u64_e64 s[14:15], v[2:3]
	s_xor_b32 s7, exec_lo, s7
	s_cbranch_execz .LBB192_364
; %bb.360:                              ;   in Loop: Header=BB192_6 Depth=1
	ds_read_b64 v[4:5], v13 offset:5120
	s_lshl_b32 s16, 2, s93
	v_or_b32_e32 v38, s9, v38
	v_and_or_b32 v17, v17, s24, s16
	s_waitcnt lgkmcnt(0)
	v_cmp_ne_u64_e32 vcc_lo, 0, v[4:5]
	s_cbranch_vccnz .LBB192_364
; %bb.361:                              ;   in Loop: Header=BB192_6 Depth=1
	s_and_saveexec_b32 s16, s3
; %bb.362:                              ;   in Loop: Header=BB192_6 Depth=1
	v_mov_b32_e32 v4, s14
	v_mov_b32_e32 v5, s15
	ds_write_b64 v13, v[4:5] offset:5128
; %bb.363:                              ;   in Loop: Header=BB192_6 Depth=1
	s_or_b32 exec_lo, exec_lo, s16
	s_waitcnt lgkmcnt(0)
	s_barrier
	buffer_gl0_inv
.LBB192_364:                            ;   in Loop: Header=BB192_6 Depth=1
	s_or_saveexec_b32 s7, s7
	v_mov_b32_e32 v12, 5
	s_mov_b32 s16, 0
	s_xor_b32 exec_lo, exec_lo, s7
; %bb.365:                              ;   in Loop: Header=BB192_6 Depth=1
	v_sub_co_u32 v2, vcc_lo, v2, s14
	v_subrev_co_ci_u32_e64 v3, null, s15, v3, vcc_lo
	v_mov_b32_e32 v12, 0
	s_mov_b32 s16, exec_lo
; %bb.366:                              ;   in Loop: Header=BB192_6 Depth=1
	s_or_b32 exec_lo, exec_lo, s7
	v_mov_b32_e32 v5, v3
	v_mov_b32_e32 v4, v2
	s_and_b32 s7, s16, exec_lo
.LBB192_367:                            ;   in Loop: Header=BB192_6 Depth=1
	s_or_b32 exec_lo, exec_lo, s6
	s_mov_b32 s6, -1
                                        ; implicit-def: $sgpr65
                                        ; implicit-def: $sgpr66
	s_and_saveexec_b32 s19, s7
	s_cbranch_execz .LBB192_469
; %bb.368:                              ;   in Loop: Header=BB192_6 Depth=1
	v_cmp_eq_u64_e32 vcc_lo, 1, v[4:5]
	s_cmp_eq_u64 s[12:13], 1
                                        ; implicit-def: $sgpr66
                                        ; implicit-def: $sgpr65
	s_cselect_b32 s6, -1, 0
	s_and_b32 s67, s6, vcc_lo
	s_mov_b32 s6, -1
	s_and_saveexec_b32 s68, s67
	s_cbranch_execz .LBB192_404
; %bb.369:                              ;   in Loop: Header=BB192_6 Depth=1
	ds_read_b64 v[2:3], v13 offset:5120
	s_waitcnt lgkmcnt(0)
	s_barrier
	buffer_gl0_inv
	v_readfirstlane_b32 s6, v2
	v_readfirstlane_b32 s7, v3
	s_and_saveexec_b32 s14, s8
; %bb.370:                              ;   in Loop: Header=BB192_6 Depth=1
	ds_write_b32 v32, v13
; %bb.371:                              ;   in Loop: Header=BB192_6 Depth=1
	s_or_b32 exec_lo, exec_lo, s14
	s_lshl_b32 s14, 1, s93
	v_or_b32_e32 v38, s9, v38
	v_and_or_b32 v17, v17, s24, s14
	s_mov_b32 s65, -1
	s_mov_b32 s66, 0
	s_cmp_eq_u64 s[6:7], 0
	s_mov_b32 s16, 0
	s_mov_b32 s17, -1
	s_waitcnt lgkmcnt(0)
	s_barrier
	buffer_gl0_inv
                                        ; implicit-def: $vgpr25
	s_cbranch_scc1 .LBB192_388
; %bb.372:                              ;   in Loop: Header=BB192_6 Depth=1
	s_add_u32 s44, s6, s80
	s_addc_u32 s15, s7, s81
	s_mov_b32 s14, s27
	s_cmp_lg_u64 s[14:15], 0
	s_cbranch_scc0 .LBB192_421
; %bb.373:                              ;   in Loop: Header=BB192_6 Depth=1
	v_cvt_f32_u32_e32 v2, s33
	s_sub_u32 s17, 0, s33
	s_subb_u32 s26, 0, 0
	v_fmac_f32_e64 v2, 0x4f800000, 0
	v_rcp_f32_e32 v2, v2
	v_mul_f32_e32 v2, 0x5f7ffffc, v2
	v_mul_f32_e32 v3, 0x2f800000, v2
	v_trunc_f32_e32 v3, v3
	v_fmac_f32_e32 v2, 0xcf800000, v3
	v_cvt_u32_f32_e32 v3, v3
	v_cvt_u32_f32_e32 v2, v2
	v_readfirstlane_b32 s14, v3
	v_readfirstlane_b32 s16, v2
	s_mul_i32 s45, s17, s14
	s_mul_hi_u32 s69, s17, s16
	s_mul_i32 s54, s26, s16
	s_add_i32 s45, s69, s45
	s_mul_i32 s70, s17, s16
	s_add_i32 s45, s45, s54
	s_mul_hi_u32 s69, s16, s70
	s_mul_i32 s72, s16, s45
	s_mul_hi_u32 s71, s14, s70
	s_mul_i32 s54, s14, s70
	s_mul_hi_u32 s70, s16, s45
	s_add_u32 s69, s69, s72
	s_addc_u32 s70, 0, s70
	s_mul_hi_u32 s73, s14, s45
	s_add_u32 s54, s69, s54
	s_mul_i32 s45, s14, s45
	s_addc_u32 s54, s70, s71
	s_addc_u32 s69, s73, 0
	s_add_u32 s45, s54, s45
	s_addc_u32 s54, 0, s69
	s_add_u32 s16, s16, s45
	s_cselect_b32 s45, -1, 0
	s_mul_hi_u32 s69, s17, s16
	s_cmp_lg_u32 s45, 0
	s_mul_i32 s45, s17, s16
	s_addc_u32 s14, s14, s54
	s_mul_i32 s26, s26, s16
	s_mul_i32 s17, s17, s14
	s_mul_hi_u32 s54, s16, s45
	s_add_i32 s17, s69, s17
	s_mul_hi_u32 s69, s14, s45
	s_add_i32 s17, s17, s26
	s_mul_i32 s26, s14, s45
	s_mul_i32 s71, s16, s17
	s_mul_hi_u32 s70, s16, s17
	s_add_u32 s54, s54, s71
	s_addc_u32 s70, 0, s70
	s_mul_hi_u32 s45, s14, s17
	s_add_u32 s26, s54, s26
	s_mul_i32 s17, s14, s17
	s_addc_u32 s26, s70, s69
	s_addc_u32 s45, s45, 0
	s_add_u32 s17, s26, s17
	s_addc_u32 s26, 0, s45
	s_add_u32 s16, s16, s17
	s_cselect_b32 s17, -1, 0
	s_mul_hi_u32 s45, s44, s16
	s_cmp_lg_u32 s17, 0
	s_mul_hi_u32 s17, s15, s16
	s_addc_u32 s14, s14, s26
	s_mul_i32 s16, s15, s16
	s_mul_i32 s54, s44, s14
	s_mul_hi_u32 s26, s44, s14
	s_add_u32 s45, s45, s54
	s_addc_u32 s26, 0, s26
	s_mul_hi_u32 s69, s15, s14
	s_add_u32 s16, s45, s16
	s_mul_i32 s14, s15, s14
	s_addc_u32 s16, s26, s17
	s_addc_u32 s17, s69, 0
	s_add_u32 s14, s16, s14
	s_addc_u32 s16, 0, s17
	s_mul_hi_u32 s17, s33, s14
	s_mul_i32 s16, s33, s16
	s_mul_i32 s14, s33, s14
	s_add_i32 s17, s17, s16
	s_sub_u32 s14, s44, s14
	s_cselect_b32 s16, -1, 0
	s_cmp_lg_u32 s16, 0
	s_subb_u32 s16, s15, s17
	s_sub_u32 s17, s14, s33
	s_cselect_b32 s26, -1, 0
	s_cmp_lg_u32 s26, 0
	s_subb_u32 s26, s16, 0
	;; [unrolled: 4-line block ×3, first 2 shown]
	s_cmp_ge_u32 s17, s33
	s_cselect_b32 s69, -1, 0
	s_cmp_eq_u32 s26, 0
	s_cselect_b32 s69, s69, -1
	s_cmp_lg_u32 s69, 0
	s_cselect_b32 s26, s54, s26
	s_cselect_b32 s45, s45, s17
	s_cmp_ge_u32 s14, s33
	s_cselect_b32 s17, -1, 0
	s_cmp_eq_u32 s16, 0
	s_cselect_b32 s17, s17, -1
	s_cmp_lg_u32 s17, 0
	s_cselect_b32 s17, s26, s16
	s_cselect_b32 s16, s45, s14
	s_cbranch_execnz .LBB192_375
.LBB192_374:                            ;   in Loop: Header=BB192_6 Depth=1
	v_cvt_f32_u32_e32 v2, s33
	s_sub_i32 s16, 0, s33
	v_rcp_iflag_f32_e32 v2, v2
	v_mul_f32_e32 v2, 0x4f7ffffe, v2
	v_cvt_u32_f32_e32 v2, v2
	v_readfirstlane_b32 s14, v2
	s_mul_i32 s16, s16, s14
	s_mul_hi_u32 s16, s14, s16
	s_add_i32 s14, s14, s16
	s_mul_hi_u32 s14, s44, s14
	s_mul_i32 s14, s14, s33
	s_sub_i32 s14, s44, s14
	s_sub_i32 s16, s14, s33
	s_cmp_ge_u32 s14, s33
	s_cselect_b32 s14, s16, s14
	s_sub_i32 s16, s14, s33
	s_cmp_ge_u32 s14, s33
	s_cselect_b32 s26, s16, s14
	s_mov_b64 s[16:17], s[26:27]
.LBB192_375:                            ;   in Loop: Header=BB192_6 Depth=1
	s_sub_u32 s14, s44, s16
	s_subb_u32 s15, s15, s17
	s_mov_b32 s17, 0
	s_mov_b32 s16, 0
	s_mov_b32 s26, exec_lo
                                        ; implicit-def: $vgpr25
	v_cmpx_gt_u64_e64 s[14:15], v[0:1]
	s_cbranch_execz .LBB192_387
; %bb.376:                              ;   in Loop: Header=BB192_6 Depth=1
	v_mov_b32_e32 v3, v1
	v_mov_b32_e32 v6, v14
	;; [unrolled: 1-line block ×3, first 2 shown]
                                        ; implicit-def: $sgpr44
	s_inst_prefetch 0x1
	s_branch .LBB192_380
	.p2align	6
.LBB192_377:                            ;   in Loop: Header=BB192_380 Depth=2
	s_or_b32 exec_lo, exec_lo, s45
	s_waitcnt lgkmcnt(0)
	s_barrier
	buffer_gl0_inv
	ds_read_b64 v[24:25], v13 offset:3072
	s_waitcnt lgkmcnt(0)
	s_barrier
	buffer_gl0_inv
	v_cmp_neq_f32_e32 vcc_lo, 0, v24
	s_cbranch_vccnz .LBB192_383
; %bb.378:                              ;   in Loop: Header=BB192_380 Depth=2
	v_add_co_u32 v2, vcc_lo, v2, s33
	v_add_co_ci_u32_e64 v3, null, 0, v3, vcc_lo
	v_add_nc_u32_e32 v6, s86, v6
	s_mov_b32 s45, 0
	v_cmp_le_u64_e32 vcc_lo, s[14:15], v[2:3]
	s_orn2_b32 s54, vcc_lo, exec_lo
.LBB192_379:                            ;   in Loop: Header=BB192_380 Depth=2
	s_and_b32 s46, exec_lo, s54
	s_or_b32 s16, s46, s16
	s_andn2_b32 s44, s44, exec_lo
	s_and_b32 s45, s45, exec_lo
	s_or_b32 s44, s44, s45
	s_andn2_b32 exec_lo, exec_lo, s16
	s_cbranch_execz .LBB192_386
.LBB192_380:                            ;   Parent Loop BB192_6 Depth=1
                                        ; =>  This Inner Loop Header: Depth=2
	s_mov_b32 s45, exec_lo
	v_cmpx_gt_u64_e64 s[6:7], v[2:3]
	s_cbranch_execz .LBB192_377
; %bb.381:                              ;   in Loop: Header=BB192_380 Depth=2
	ds_read_b32 v24, v6
	s_waitcnt lgkmcnt(0)
	v_cmp_lt_i32_e32 vcc_lo, -1, v24
	v_cndmask_b32_e64 v7, -1, 0x80000000, vcc_lo
	v_cmp_o_f32_e32 vcc_lo, v24, v24
	v_xor_b32_e32 v7, v7, v24
	v_cndmask_b32_e32 v7, -1, v7, vcc_lo
	v_and_b32_e32 v7, v7, v38
	v_cmp_eq_u32_e32 vcc_lo, v7, v17
	s_and_b32 exec_lo, exec_lo, vcc_lo
	s_cbranch_execz .LBB192_377
; %bb.382:                              ;   in Loop: Header=BB192_380 Depth=2
	ds_write_b64 v13, v[23:24] offset:3072
	s_branch .LBB192_377
.LBB192_383:                            ;   in Loop: Header=BB192_380 Depth=2
	s_mov_b32 s54, -1
	s_mov_b32 s45, -1
                                        ; implicit-def: $vgpr2_vgpr3
                                        ; implicit-def: $vgpr6
	s_branch .LBB192_379
.LBB192_384:                            ;   in Loop: Header=BB192_6 Depth=1
                                        ; implicit-def: $sgpr18_sgpr19
	s_branch .LBB192_327
.LBB192_385:                            ;   in Loop: Header=BB192_6 Depth=1
                                        ; implicit-def: $sgpr6_sgpr7
	s_branch .LBB192_344
.LBB192_386:                            ;   in Loop: Header=BB192_6 Depth=1
	s_inst_prefetch 0x2
	s_or_b32 exec_lo, exec_lo, s16
	s_and_b32 s16, s44, exec_lo
.LBB192_387:                            ;   in Loop: Header=BB192_6 Depth=1
	s_or_b32 exec_lo, exec_lo, s26
.LBB192_388:                            ;   in Loop: Header=BB192_6 Depth=1
	s_and_b32 vcc_lo, exec_lo, s17
	s_cbranch_vccz .LBB192_403
; %bb.389:                              ;   in Loop: Header=BB192_6 Depth=1
	s_mov_b32 s54, s27
	s_cmp_lg_u64 s[54:55], 0
	s_cbranch_scc0 .LBB192_422
; %bb.390:                              ;   in Loop: Header=BB192_6 Depth=1
	v_cvt_f32_u32_e32 v2, s33
	s_sub_u32 s14, 0, s33
	s_subb_u32 s15, 0, 0
	v_fmac_f32_e64 v2, 0x4f800000, 0
	v_rcp_f32_e32 v2, v2
	v_mul_f32_e32 v2, 0x5f7ffffc, v2
	v_mul_f32_e32 v3, 0x2f800000, v2
	v_trunc_f32_e32 v3, v3
	v_fmac_f32_e32 v2, 0xcf800000, v3
	v_cvt_u32_f32_e32 v3, v3
	v_cvt_u32_f32_e32 v2, v2
	v_readfirstlane_b32 s6, v3
	v_readfirstlane_b32 s7, v2
	s_mul_i32 s17, s14, s6
	s_mul_hi_u32 s44, s14, s7
	s_mul_i32 s26, s15, s7
	s_add_i32 s17, s44, s17
	s_mul_i32 s45, s14, s7
	s_add_i32 s17, s17, s26
	s_mul_hi_u32 s44, s7, s45
	s_mul_i32 s65, s7, s17
	s_mul_hi_u32 s54, s6, s45
	s_mul_i32 s26, s6, s45
	s_mul_hi_u32 s45, s7, s17
	s_add_u32 s44, s44, s65
	s_addc_u32 s45, 0, s45
	s_mul_hi_u32 s66, s6, s17
	s_add_u32 s26, s44, s26
	s_mul_i32 s17, s6, s17
	s_addc_u32 s26, s45, s54
	s_addc_u32 s44, s66, 0
	s_add_u32 s17, s26, s17
	s_addc_u32 s26, 0, s44
	s_add_u32 s7, s7, s17
	s_cselect_b32 s17, -1, 0
	s_mul_hi_u32 s44, s14, s7
	s_cmp_lg_u32 s17, 0
	s_mul_i32 s17, s14, s7
	s_addc_u32 s6, s6, s26
	s_mul_i32 s15, s15, s7
	s_mul_i32 s14, s14, s6
	s_mul_hi_u32 s26, s7, s17
	s_add_i32 s14, s44, s14
	s_mul_hi_u32 s44, s6, s17
	s_add_i32 s14, s14, s15
	s_mul_i32 s15, s6, s17
	s_mul_i32 s54, s7, s14
	s_mul_hi_u32 s45, s7, s14
	s_add_u32 s26, s26, s54
	s_addc_u32 s45, 0, s45
	s_mul_hi_u32 s17, s6, s14
	s_add_u32 s15, s26, s15
	s_mul_i32 s14, s6, s14
	s_addc_u32 s15, s45, s44
	s_addc_u32 s17, s17, 0
	s_add_u32 s14, s15, s14
	s_addc_u32 s15, 0, s17
	s_add_u32 s7, s7, s14
	s_cselect_b32 s14, -1, 0
	s_mul_hi_u32 s17, s82, s7
	s_cmp_lg_u32 s14, 0
	s_mul_hi_u32 s14, s55, s7
	s_addc_u32 s6, s6, s15
	s_mul_i32 s7, s55, s7
	s_mul_i32 s26, s82, s6
	s_mul_hi_u32 s15, s82, s6
	s_add_u32 s17, s17, s26
	s_addc_u32 s15, 0, s15
	s_mul_hi_u32 s44, s55, s6
	s_add_u32 s7, s17, s7
	s_mul_i32 s6, s55, s6
	s_addc_u32 s7, s15, s14
	s_addc_u32 s14, s44, 0
	s_add_u32 s6, s7, s6
	s_addc_u32 s7, 0, s14
	s_mul_hi_u32 s14, s33, s6
	s_mul_i32 s7, s33, s7
	s_mul_i32 s6, s33, s6
	s_add_i32 s14, s14, s7
	s_sub_u32 s6, s82, s6
	s_cselect_b32 s7, -1, 0
	s_cmp_lg_u32 s7, 0
	s_subb_u32 s7, s55, s14
	s_sub_u32 s14, s6, s33
	s_cselect_b32 s15, -1, 0
	s_cmp_lg_u32 s15, 0
	s_subb_u32 s15, s7, 0
	;; [unrolled: 4-line block ×3, first 2 shown]
	s_cmp_ge_u32 s14, s33
	s_cselect_b32 s44, -1, 0
	s_cmp_eq_u32 s15, 0
	s_cselect_b32 s44, s44, -1
	s_cmp_lg_u32 s44, 0
	s_cselect_b32 s15, s26, s15
	s_cselect_b32 s14, s17, s14
	s_cmp_ge_u32 s6, s33
	s_cselect_b32 s17, -1, 0
	s_cmp_eq_u32 s7, 0
	s_cselect_b32 s17, s17, -1
	s_cmp_lg_u32 s17, 0
	s_cselect_b32 s7, s15, s7
	s_cselect_b32 s6, s14, s6
	s_cbranch_execnz .LBB192_392
.LBB192_391:                            ;   in Loop: Header=BB192_6 Depth=1
	v_cvt_f32_u32_e32 v2, s33
	s_sub_i32 s7, 0, s33
	v_rcp_iflag_f32_e32 v2, v2
	v_mul_f32_e32 v2, 0x4f7ffffe, v2
	v_cvt_u32_f32_e32 v2, v2
	v_readfirstlane_b32 s6, v2
	s_mul_i32 s7, s7, s6
	s_mul_hi_u32 s7, s6, s7
	s_add_i32 s6, s6, s7
	s_mul_hi_u32 s6, s82, s6
	s_mul_i32 s6, s6, s33
	s_sub_i32 s6, s82, s6
	s_sub_i32 s7, s6, s33
	s_cmp_ge_u32 s6, s33
	s_cselect_b32 s6, s7, s6
	s_sub_i32 s7, s6, s33
	s_cmp_ge_u32 s6, s33
	s_cselect_b32 s26, s7, s6
	s_mov_b64 s[6:7], s[26:27]
.LBB192_392:                            ;   in Loop: Header=BB192_6 Depth=1
	s_sub_u32 s14, s82, s6
	s_subb_u32 s15, s55, s7
	s_mov_b32 s7, exec_lo
                                        ; implicit-def: $vgpr25
	v_cmpx_gt_u64_e64 s[14:15], v[0:1]
	s_cbranch_execz .LBB192_402
; %bb.393:                              ;   in Loop: Header=BB192_6 Depth=1
	v_mov_b32_e32 v2, v10
	v_mov_b32_e32 v7, v1
	;; [unrolled: 1-line block ×4, first 2 shown]
	s_mov_b32 s17, 0
                                        ; implicit-def: $sgpr26
	s_branch .LBB192_397
.LBB192_394:                            ;   in Loop: Header=BB192_397 Depth=2
	s_or_b32 exec_lo, exec_lo, s6
	s_waitcnt lgkmcnt(0)
	s_barrier
	buffer_gl0_inv
	ds_read_b64 v[24:25], v13 offset:3072
	s_waitcnt lgkmcnt(0)
	s_barrier
	buffer_gl0_inv
	v_cmp_eq_f32_e32 vcc_lo, 0, v24
	s_cbranch_vccz .LBB192_400
; %bb.395:                              ;   in Loop: Header=BB192_397 Depth=2
	v_add_co_u32 v6, vcc_lo, v6, s33
	v_add_co_ci_u32_e64 v7, null, 0, v7, vcc_lo
	v_add_co_u32 v2, s6, v2, s34
	v_add_co_ci_u32_e64 v3, null, s35, v3, s6
	v_cmp_le_u64_e32 vcc_lo, s[14:15], v[6:7]
	s_mov_b32 s6, 0
	s_orn2_b32 s44, vcc_lo, exec_lo
.LBB192_396:                            ;   in Loop: Header=BB192_397 Depth=2
	s_and_b32 s44, exec_lo, s44
	s_or_b32 s17, s44, s17
	s_andn2_b32 s26, s26, exec_lo
	s_and_b32 s6, s6, exec_lo
	s_or_b32 s26, s26, s6
	s_andn2_b32 exec_lo, exec_lo, s17
	s_cbranch_execz .LBB192_401
.LBB192_397:                            ;   Parent Loop BB192_6 Depth=1
                                        ; =>  This Inner Loop Header: Depth=2
	s_mov_b32 s6, exec_lo
	v_cmpx_gt_u64_e64 s[28:29], v[6:7]
	s_cbranch_execz .LBB192_394
; %bb.398:                              ;   in Loop: Header=BB192_397 Depth=2
	global_load_dword v24, v[2:3], off
	s_waitcnt vmcnt(0)
	v_cmp_lt_i32_e32 vcc_lo, -1, v24
	v_cndmask_b32_e64 v8, -1, 0x80000000, vcc_lo
	v_cmp_o_f32_e32 vcc_lo, v24, v24
	v_xor_b32_e32 v8, v8, v24
	v_cndmask_b32_e32 v8, -1, v8, vcc_lo
	v_and_b32_e32 v8, v8, v38
	v_cmp_eq_u32_e32 vcc_lo, v8, v17
	s_and_b32 exec_lo, exec_lo, vcc_lo
	s_cbranch_execz .LBB192_394
; %bb.399:                              ;   in Loop: Header=BB192_397 Depth=2
	ds_write_b64 v13, v[23:24] offset:3072
	s_branch .LBB192_394
.LBB192_400:                            ;   in Loop: Header=BB192_397 Depth=2
	s_mov_b32 s44, -1
	s_mov_b32 s6, -1
                                        ; implicit-def: $vgpr6_vgpr7
                                        ; implicit-def: $vgpr2_vgpr3
	s_branch .LBB192_396
.LBB192_401:                            ;   in Loop: Header=BB192_6 Depth=1
	s_or_b32 exec_lo, exec_lo, s17
	s_andn2_b32 s6, s16, exec_lo
	s_and_b32 s14, s26, exec_lo
	s_or_b32 s16, s6, s14
.LBB192_402:                            ;   in Loop: Header=BB192_6 Depth=1
	s_or_b32 exec_lo, exec_lo, s7
	s_mov_b32 s65, 0
	s_mov_b32 s66, -1
.LBB192_403:                            ;   in Loop: Header=BB192_6 Depth=1
	s_orn2_b32 s6, s16, exec_lo
.LBB192_404:                            ;   in Loop: Header=BB192_6 Depth=1
	s_or_b32 exec_lo, exec_lo, s68
	s_mov_b32 s7, 0
	s_and_saveexec_b32 s16, s6
	s_cbranch_execz .LBB192_468
; %bb.405:                              ;   in Loop: Header=BB192_6 Depth=1
	v_mov_b32_e32 v2, 1
	v_mov_b32_e32 v3, 0
	;; [unrolled: 1-line block ×3, first 2 shown]
	s_xor_b32 s14, s67, -1
	s_and_saveexec_b32 s6, s14
	s_cbranch_execz .LBB192_414
; %bb.406:                              ;   in Loop: Header=BB192_6 Depth=1
	s_mov_b32 s7, exec_lo
	v_cmpx_ge_u64_e64 s[12:13], v[4:5]
	s_xor_b32 s7, exec_lo, s7
	s_cbranch_execz .LBB192_411
; %bb.407:                              ;   in Loop: Header=BB192_6 Depth=1
	ds_read_b64 v[2:3], v13 offset:5120
	s_lshl_b32 s14, 1, s93
	v_or_b32_e32 v38, s9, v38
	v_and_or_b32 v17, v17, s24, s14
	s_waitcnt lgkmcnt(0)
	v_cmp_ne_u64_e32 vcc_lo, 0, v[2:3]
	s_cbranch_vccnz .LBB192_411
; %bb.408:                              ;   in Loop: Header=BB192_6 Depth=1
	s_and_saveexec_b32 s14, s3
; %bb.409:                              ;   in Loop: Header=BB192_6 Depth=1
	v_mov_b32_e32 v2, s12
	v_mov_b32_e32 v3, s13
	ds_write_b64 v13, v[2:3] offset:5128
; %bb.410:                              ;   in Loop: Header=BB192_6 Depth=1
	s_or_b32 exec_lo, exec_lo, s14
	s_waitcnt lgkmcnt(0)
	s_barrier
	buffer_gl0_inv
.LBB192_411:                            ;   in Loop: Header=BB192_6 Depth=1
	s_or_saveexec_b32 s7, s7
	v_mov_b32_e32 v12, 5
	s_mov_b32 s14, 0
	s_xor_b32 exec_lo, exec_lo, s7
; %bb.412:                              ;   in Loop: Header=BB192_6 Depth=1
	v_sub_co_u32 v4, vcc_lo, v4, s12
	v_subrev_co_ci_u32_e64 v5, null, s13, v5, vcc_lo
	v_mov_b32_e32 v12, 0
	s_mov_b32 s14, exec_lo
; %bb.413:                              ;   in Loop: Header=BB192_6 Depth=1
	s_or_b32 exec_lo, exec_lo, s7
	v_mov_b32_e32 v2, v4
	v_mov_b32_e32 v3, v5
	s_and_b32 s7, s14, exec_lo
.LBB192_414:                            ;   in Loop: Header=BB192_6 Depth=1
	s_or_b32 exec_lo, exec_lo, s6
	s_mov_b32 s6, -1
                                        ; implicit-def: $sgpr69
                                        ; implicit-def: $sgpr54
	s_and_saveexec_b32 s17, s7
	s_cbranch_execz .LBB192_467
; %bb.415:                              ;   in Loop: Header=BB192_6 Depth=1
	v_cmp_eq_u64_e32 vcc_lo, 1, v[2:3]
	s_cmp_eq_u64 s[10:11], 1
	s_mov_b32 s7, -1
	s_cselect_b32 s6, -1, 0
                                        ; implicit-def: $sgpr69
                                        ; implicit-def: $sgpr54
	s_and_b32 s67, s6, vcc_lo
	s_and_saveexec_b32 s68, s67
	s_cbranch_execz .LBB192_455
; %bb.416:                              ;   in Loop: Header=BB192_6 Depth=1
	ds_read_b64 v[4:5], v13 offset:5120
	s_waitcnt lgkmcnt(0)
	s_barrier
	buffer_gl0_inv
	v_readfirstlane_b32 s6, v4
	v_readfirstlane_b32 s7, v5
	s_and_saveexec_b32 s12, s8
; %bb.417:                              ;   in Loop: Header=BB192_6 Depth=1
	ds_write_b32 v32, v13
; %bb.418:                              ;   in Loop: Header=BB192_6 Depth=1
	s_or_b32 exec_lo, exec_lo, s12
	v_and_b32_e32 v17, s24, v17
	v_or_b32_e32 v38, s9, v38
	s_mov_b32 s54, -1
	s_mov_b32 s69, 0
	s_cmp_eq_u64 s[6:7], 0
	s_mov_b32 s14, 0
	s_mov_b32 s15, -1
	s_waitcnt lgkmcnt(0)
	s_barrier
	buffer_gl0_inv
                                        ; implicit-def: $vgpr25
	s_cbranch_scc1 .LBB192_437
; %bb.419:                              ;   in Loop: Header=BB192_6 Depth=1
	s_add_u32 s44, s6, s80
	s_addc_u32 s13, s7, s81
	s_mov_b32 s12, s27
	s_cmp_lg_u64 s[12:13], 0
	s_cbranch_scc0 .LBB192_423
; %bb.420:                              ;   in Loop: Header=BB192_6 Depth=1
	v_cvt_f32_u32_e32 v4, s33
	s_sub_u32 s15, 0, s33
	s_subb_u32 s26, 0, 0
	v_fmac_f32_e64 v4, 0x4f800000, 0
	v_rcp_f32_e32 v4, v4
	v_mul_f32_e32 v4, 0x5f7ffffc, v4
	v_mul_f32_e32 v5, 0x2f800000, v4
	v_trunc_f32_e32 v5, v5
	v_fmac_f32_e32 v4, 0xcf800000, v5
	v_cvt_u32_f32_e32 v5, v5
	v_cvt_u32_f32_e32 v4, v4
	v_readfirstlane_b32 s12, v5
	v_readfirstlane_b32 s14, v4
	s_mul_i32 s45, s15, s12
	s_mul_hi_u32 s71, s15, s14
	s_mul_i32 s70, s26, s14
	s_add_i32 s45, s71, s45
	s_mul_i32 s72, s15, s14
	s_add_i32 s45, s45, s70
	s_mul_hi_u32 s71, s14, s72
	s_mul_i32 s74, s14, s45
	s_mul_hi_u32 s73, s12, s72
	s_mul_i32 s70, s12, s72
	s_mul_hi_u32 s72, s14, s45
	s_add_u32 s71, s71, s74
	s_addc_u32 s72, 0, s72
	s_mul_hi_u32 s75, s12, s45
	s_add_u32 s70, s71, s70
	s_mul_i32 s45, s12, s45
	s_addc_u32 s70, s72, s73
	s_addc_u32 s71, s75, 0
	s_add_u32 s45, s70, s45
	s_addc_u32 s70, 0, s71
	s_add_u32 s14, s14, s45
	s_cselect_b32 s45, -1, 0
	s_mul_hi_u32 s71, s15, s14
	s_cmp_lg_u32 s45, 0
	s_mul_i32 s45, s15, s14
	s_addc_u32 s12, s12, s70
	s_mul_i32 s26, s26, s14
	s_mul_i32 s15, s15, s12
	s_mul_hi_u32 s70, s14, s45
	s_add_i32 s15, s71, s15
	s_mul_hi_u32 s71, s12, s45
	s_add_i32 s15, s15, s26
	s_mul_i32 s26, s12, s45
	s_mul_i32 s73, s14, s15
	s_mul_hi_u32 s72, s14, s15
	s_add_u32 s70, s70, s73
	s_addc_u32 s72, 0, s72
	s_mul_hi_u32 s45, s12, s15
	s_add_u32 s26, s70, s26
	s_mul_i32 s15, s12, s15
	s_addc_u32 s26, s72, s71
	s_addc_u32 s45, s45, 0
	s_add_u32 s15, s26, s15
	s_addc_u32 s26, 0, s45
	s_add_u32 s14, s14, s15
	s_cselect_b32 s15, -1, 0
	s_mul_hi_u32 s45, s44, s14
	s_cmp_lg_u32 s15, 0
	s_mul_hi_u32 s15, s13, s14
	s_addc_u32 s12, s12, s26
	s_mul_i32 s14, s13, s14
	s_mul_i32 s70, s44, s12
	s_mul_hi_u32 s26, s44, s12
	s_add_u32 s45, s45, s70
	s_addc_u32 s26, 0, s26
	s_mul_hi_u32 s71, s13, s12
	s_add_u32 s14, s45, s14
	s_mul_i32 s12, s13, s12
	s_addc_u32 s14, s26, s15
	s_addc_u32 s15, s71, 0
	s_add_u32 s12, s14, s12
	s_addc_u32 s14, 0, s15
	s_mul_hi_u32 s15, s33, s12
	s_mul_i32 s14, s33, s14
	s_mul_i32 s12, s33, s12
	s_add_i32 s15, s15, s14
	s_sub_u32 s12, s44, s12
	s_cselect_b32 s14, -1, 0
	s_cmp_lg_u32 s14, 0
	s_subb_u32 s14, s13, s15
	s_sub_u32 s15, s12, s33
	s_cselect_b32 s26, -1, 0
	s_cmp_lg_u32 s26, 0
	s_subb_u32 s26, s14, 0
	;; [unrolled: 4-line block ×3, first 2 shown]
	s_cmp_ge_u32 s15, s33
	s_cselect_b32 s71, -1, 0
	s_cmp_eq_u32 s26, 0
	s_cselect_b32 s71, s71, -1
	s_cmp_lg_u32 s71, 0
	s_cselect_b32 s26, s70, s26
	s_cselect_b32 s45, s45, s15
	s_cmp_ge_u32 s12, s33
	s_cselect_b32 s15, -1, 0
	s_cmp_eq_u32 s14, 0
	s_cselect_b32 s15, s15, -1
	s_cmp_lg_u32 s15, 0
	s_cselect_b32 s15, s26, s14
	s_cselect_b32 s14, s45, s12
	s_mov_b32 s12, 0
	s_branch .LBB192_424
.LBB192_421:                            ;   in Loop: Header=BB192_6 Depth=1
                                        ; implicit-def: $sgpr16_sgpr17
	s_branch .LBB192_374
.LBB192_422:                            ;   in Loop: Header=BB192_6 Depth=1
                                        ; implicit-def: $sgpr6_sgpr7
	s_branch .LBB192_391
.LBB192_423:                            ;   in Loop: Header=BB192_6 Depth=1
	s_mov_b32 s12, -1
                                        ; implicit-def: $sgpr14_sgpr15
.LBB192_424:                            ;   in Loop: Header=BB192_6 Depth=1
	s_andn2_b32 vcc_lo, exec_lo, s12
	s_cbranch_vccnz .LBB192_426
; %bb.425:                              ;   in Loop: Header=BB192_6 Depth=1
	v_cvt_f32_u32_e32 v4, s33
	s_sub_i32 s14, 0, s33
	v_rcp_iflag_f32_e32 v4, v4
	v_mul_f32_e32 v4, 0x4f7ffffe, v4
	v_cvt_u32_f32_e32 v4, v4
	v_readfirstlane_b32 s12, v4
	s_mul_i32 s14, s14, s12
	s_mul_hi_u32 s14, s12, s14
	s_add_i32 s12, s12, s14
	s_mul_hi_u32 s12, s44, s12
	s_mul_i32 s12, s12, s33
	s_sub_i32 s12, s44, s12
	s_sub_i32 s14, s12, s33
	s_cmp_ge_u32 s12, s33
	s_cselect_b32 s12, s14, s12
	s_sub_i32 s14, s12, s33
	s_cmp_ge_u32 s12, s33
	s_cselect_b32 s26, s14, s12
	s_mov_b64 s[14:15], s[26:27]
.LBB192_426:                            ;   in Loop: Header=BB192_6 Depth=1
	s_sub_u32 s12, s44, s14
	s_subb_u32 s13, s13, s15
	s_mov_b32 s15, 0
	s_mov_b32 s14, 0
	s_mov_b32 s26, exec_lo
                                        ; implicit-def: $vgpr25
	v_cmpx_gt_u64_e64 s[12:13], v[0:1]
	s_cbranch_execz .LBB192_436
; %bb.427:                              ;   in Loop: Header=BB192_6 Depth=1
	v_mov_b32_e32 v5, v1
	v_mov_b32_e32 v6, v14
	;; [unrolled: 1-line block ×3, first 2 shown]
                                        ; implicit-def: $sgpr44
	s_inst_prefetch 0x1
	s_branch .LBB192_431
	.p2align	6
.LBB192_428:                            ;   in Loop: Header=BB192_431 Depth=2
	s_or_b32 exec_lo, exec_lo, s45
	s_waitcnt lgkmcnt(0)
	s_barrier
	buffer_gl0_inv
	ds_read_b64 v[24:25], v13 offset:3072
	s_waitcnt lgkmcnt(0)
	s_barrier
	buffer_gl0_inv
	v_cmp_neq_f32_e32 vcc_lo, 0, v24
	s_cbranch_vccnz .LBB192_434
; %bb.429:                              ;   in Loop: Header=BB192_431 Depth=2
	v_add_co_u32 v4, vcc_lo, v4, s33
	v_add_co_ci_u32_e64 v5, null, 0, v5, vcc_lo
	v_add_nc_u32_e32 v6, s86, v6
	s_mov_b32 s45, 0
	v_cmp_le_u64_e32 vcc_lo, s[12:13], v[4:5]
	s_orn2_b32 s70, vcc_lo, exec_lo
.LBB192_430:                            ;   in Loop: Header=BB192_431 Depth=2
	s_and_b32 s46, exec_lo, s70
	s_or_b32 s14, s46, s14
	s_andn2_b32 s44, s44, exec_lo
	s_and_b32 s45, s45, exec_lo
	s_or_b32 s44, s44, s45
	s_andn2_b32 exec_lo, exec_lo, s14
	s_cbranch_execz .LBB192_435
.LBB192_431:                            ;   Parent Loop BB192_6 Depth=1
                                        ; =>  This Inner Loop Header: Depth=2
	s_mov_b32 s45, exec_lo
	v_cmpx_gt_u64_e64 s[6:7], v[4:5]
	s_cbranch_execz .LBB192_428
; %bb.432:                              ;   in Loop: Header=BB192_431 Depth=2
	ds_read_b32 v24, v6
	s_waitcnt lgkmcnt(0)
	v_cmp_lt_i32_e32 vcc_lo, -1, v24
	v_cndmask_b32_e64 v7, -1, 0x80000000, vcc_lo
	v_cmp_o_f32_e32 vcc_lo, v24, v24
	v_xor_b32_e32 v7, v7, v24
	v_cndmask_b32_e32 v7, -1, v7, vcc_lo
	v_and_b32_e32 v7, v7, v38
	v_cmp_eq_u32_e32 vcc_lo, v7, v17
	s_and_b32 exec_lo, exec_lo, vcc_lo
	s_cbranch_execz .LBB192_428
; %bb.433:                              ;   in Loop: Header=BB192_431 Depth=2
	ds_write_b64 v13, v[23:24] offset:3072
	s_branch .LBB192_428
.LBB192_434:                            ;   in Loop: Header=BB192_431 Depth=2
	s_mov_b32 s70, -1
	s_mov_b32 s45, -1
                                        ; implicit-def: $vgpr4_vgpr5
                                        ; implicit-def: $vgpr6
	s_branch .LBB192_430
.LBB192_435:                            ;   in Loop: Header=BB192_6 Depth=1
	s_inst_prefetch 0x2
	s_or_b32 exec_lo, exec_lo, s14
	s_and_b32 s14, s44, exec_lo
.LBB192_436:                            ;   in Loop: Header=BB192_6 Depth=1
	s_or_b32 exec_lo, exec_lo, s26
.LBB192_437:                            ;   in Loop: Header=BB192_6 Depth=1
	s_and_b32 vcc_lo, exec_lo, s15
	s_cbranch_vccz .LBB192_454
; %bb.438:                              ;   in Loop: Header=BB192_6 Depth=1
	s_mov_b32 s54, s27
	s_cmp_lg_u64 s[54:55], 0
	s_cbranch_scc0 .LBB192_440
; %bb.439:                              ;   in Loop: Header=BB192_6 Depth=1
	v_cvt_f32_u32_e32 v4, s33
	s_sub_u32 s12, 0, s33
	s_subb_u32 s13, 0, 0
	v_fmac_f32_e64 v4, 0x4f800000, 0
	v_rcp_f32_e32 v4, v4
	v_mul_f32_e32 v4, 0x5f7ffffc, v4
	v_mul_f32_e32 v5, 0x2f800000, v4
	v_trunc_f32_e32 v5, v5
	v_fmac_f32_e32 v4, 0xcf800000, v5
	v_cvt_u32_f32_e32 v5, v5
	v_cvt_u32_f32_e32 v4, v4
	v_readfirstlane_b32 s6, v5
	v_readfirstlane_b32 s7, v4
	s_mul_i32 s15, s12, s6
	s_mul_hi_u32 s44, s12, s7
	s_mul_i32 s26, s13, s7
	s_add_i32 s15, s44, s15
	s_mul_i32 s45, s12, s7
	s_add_i32 s15, s15, s26
	s_mul_hi_u32 s44, s7, s45
	s_mul_i32 s69, s7, s15
	s_mul_hi_u32 s54, s6, s45
	s_mul_i32 s26, s6, s45
	s_mul_hi_u32 s45, s7, s15
	s_add_u32 s44, s44, s69
	s_addc_u32 s45, 0, s45
	s_mul_hi_u32 s70, s6, s15
	s_add_u32 s26, s44, s26
	s_mul_i32 s15, s6, s15
	s_addc_u32 s26, s45, s54
	s_addc_u32 s44, s70, 0
	s_add_u32 s15, s26, s15
	s_addc_u32 s26, 0, s44
	s_add_u32 s7, s7, s15
	s_cselect_b32 s15, -1, 0
	s_mul_hi_u32 s44, s12, s7
	s_cmp_lg_u32 s15, 0
	s_mul_i32 s15, s12, s7
	s_addc_u32 s6, s6, s26
	s_mul_i32 s13, s13, s7
	s_mul_i32 s12, s12, s6
	s_mul_hi_u32 s26, s7, s15
	s_add_i32 s12, s44, s12
	s_mul_hi_u32 s44, s6, s15
	s_add_i32 s12, s12, s13
	s_mul_i32 s13, s6, s15
	s_mul_i32 s54, s7, s12
	s_mul_hi_u32 s45, s7, s12
	s_add_u32 s26, s26, s54
	s_addc_u32 s45, 0, s45
	s_mul_hi_u32 s15, s6, s12
	s_add_u32 s13, s26, s13
	s_mul_i32 s12, s6, s12
	s_addc_u32 s13, s45, s44
	s_addc_u32 s15, s15, 0
	s_add_u32 s12, s13, s12
	s_addc_u32 s13, 0, s15
	s_add_u32 s7, s7, s12
	s_cselect_b32 s12, -1, 0
	s_mul_hi_u32 s15, s82, s7
	s_cmp_lg_u32 s12, 0
	s_mul_hi_u32 s12, s55, s7
	s_addc_u32 s6, s6, s13
	s_mul_i32 s7, s55, s7
	s_mul_i32 s26, s82, s6
	s_mul_hi_u32 s13, s82, s6
	s_add_u32 s15, s15, s26
	s_addc_u32 s13, 0, s13
	s_mul_hi_u32 s44, s55, s6
	s_add_u32 s7, s15, s7
	s_mul_i32 s6, s55, s6
	s_addc_u32 s7, s13, s12
	s_addc_u32 s12, s44, 0
	s_add_u32 s6, s7, s6
	s_addc_u32 s7, 0, s12
	s_mul_hi_u32 s12, s33, s6
	s_mul_i32 s7, s33, s7
	s_mul_i32 s6, s33, s6
	s_add_i32 s12, s12, s7
	s_sub_u32 s6, s82, s6
	s_cselect_b32 s7, -1, 0
	s_cmp_lg_u32 s7, 0
	s_subb_u32 s7, s55, s12
	s_sub_u32 s12, s6, s33
	s_cselect_b32 s13, -1, 0
	s_cmp_lg_u32 s13, 0
	s_subb_u32 s13, s7, 0
	;; [unrolled: 4-line block ×3, first 2 shown]
	s_cmp_ge_u32 s12, s33
	s_cselect_b32 s44, -1, 0
	s_cmp_eq_u32 s13, 0
	s_cselect_b32 s44, s44, -1
	s_cmp_lg_u32 s44, 0
	s_cselect_b32 s13, s26, s13
	s_cselect_b32 s12, s15, s12
	s_cmp_ge_u32 s6, s33
	s_cselect_b32 s15, -1, 0
	s_cmp_eq_u32 s7, 0
	s_cselect_b32 s15, s15, -1
	s_cmp_lg_u32 s15, 0
	s_cselect_b32 s7, s13, s7
	s_cselect_b32 s6, s12, s6
	s_mov_b32 s12, 0
	s_branch .LBB192_441
.LBB192_440:                            ;   in Loop: Header=BB192_6 Depth=1
	s_mov_b32 s12, -1
                                        ; implicit-def: $sgpr6_sgpr7
.LBB192_441:                            ;   in Loop: Header=BB192_6 Depth=1
	s_andn2_b32 vcc_lo, exec_lo, s12
	s_cbranch_vccnz .LBB192_443
; %bb.442:                              ;   in Loop: Header=BB192_6 Depth=1
	v_cvt_f32_u32_e32 v4, s33
	s_sub_i32 s7, 0, s33
	v_rcp_iflag_f32_e32 v4, v4
	v_mul_f32_e32 v4, 0x4f7ffffe, v4
	v_cvt_u32_f32_e32 v4, v4
	v_readfirstlane_b32 s6, v4
	s_mul_i32 s7, s7, s6
	s_mul_hi_u32 s7, s6, s7
	s_add_i32 s6, s6, s7
	s_mul_hi_u32 s6, s82, s6
	s_mul_i32 s6, s6, s33
	s_sub_i32 s6, s82, s6
	s_sub_i32 s7, s6, s33
	s_cmp_ge_u32 s6, s33
	s_cselect_b32 s6, s7, s6
	s_sub_i32 s7, s6, s33
	s_cmp_ge_u32 s6, s33
	s_cselect_b32 s26, s7, s6
	s_mov_b64 s[6:7], s[26:27]
.LBB192_443:                            ;   in Loop: Header=BB192_6 Depth=1
	s_sub_u32 s12, s82, s6
	s_subb_u32 s13, s55, s7
	s_mov_b32 s7, exec_lo
                                        ; implicit-def: $vgpr25
	v_cmpx_gt_u64_e64 s[12:13], v[0:1]
	s_cbranch_execz .LBB192_453
; %bb.444:                              ;   in Loop: Header=BB192_6 Depth=1
	v_mov_b32_e32 v4, v10
	v_mov_b32_e32 v7, v1
	;; [unrolled: 1-line block ×4, first 2 shown]
	s_mov_b32 s15, 0
                                        ; implicit-def: $sgpr26
	s_branch .LBB192_448
.LBB192_445:                            ;   in Loop: Header=BB192_448 Depth=2
	s_or_b32 exec_lo, exec_lo, s6
	s_waitcnt lgkmcnt(0)
	s_barrier
	buffer_gl0_inv
	ds_read_b64 v[24:25], v13 offset:3072
	s_waitcnt lgkmcnt(0)
	s_barrier
	buffer_gl0_inv
	v_cmp_eq_f32_e32 vcc_lo, 0, v24
	s_cbranch_vccz .LBB192_451
; %bb.446:                              ;   in Loop: Header=BB192_448 Depth=2
	v_add_co_u32 v6, vcc_lo, v6, s33
	v_add_co_ci_u32_e64 v7, null, 0, v7, vcc_lo
	v_add_co_u32 v4, s6, v4, s34
	v_add_co_ci_u32_e64 v5, null, s35, v5, s6
	v_cmp_le_u64_e32 vcc_lo, s[12:13], v[6:7]
	s_mov_b32 s6, 0
	s_orn2_b32 s44, vcc_lo, exec_lo
.LBB192_447:                            ;   in Loop: Header=BB192_448 Depth=2
	s_and_b32 s44, exec_lo, s44
	s_or_b32 s15, s44, s15
	s_andn2_b32 s26, s26, exec_lo
	s_and_b32 s6, s6, exec_lo
	s_or_b32 s26, s26, s6
	s_andn2_b32 exec_lo, exec_lo, s15
	s_cbranch_execz .LBB192_452
.LBB192_448:                            ;   Parent Loop BB192_6 Depth=1
                                        ; =>  This Inner Loop Header: Depth=2
	s_mov_b32 s6, exec_lo
	v_cmpx_gt_u64_e64 s[28:29], v[6:7]
	s_cbranch_execz .LBB192_445
; %bb.449:                              ;   in Loop: Header=BB192_448 Depth=2
	global_load_dword v24, v[4:5], off
	s_waitcnt vmcnt(0)
	v_cmp_lt_i32_e32 vcc_lo, -1, v24
	v_cndmask_b32_e64 v8, -1, 0x80000000, vcc_lo
	v_cmp_o_f32_e32 vcc_lo, v24, v24
	v_xor_b32_e32 v8, v8, v24
	v_cndmask_b32_e32 v8, -1, v8, vcc_lo
	v_and_b32_e32 v8, v8, v38
	v_cmp_eq_u32_e32 vcc_lo, v8, v17
	s_and_b32 exec_lo, exec_lo, vcc_lo
	s_cbranch_execz .LBB192_445
; %bb.450:                              ;   in Loop: Header=BB192_448 Depth=2
	ds_write_b64 v13, v[23:24] offset:3072
	s_branch .LBB192_445
.LBB192_451:                            ;   in Loop: Header=BB192_448 Depth=2
	s_mov_b32 s44, -1
	s_mov_b32 s6, -1
                                        ; implicit-def: $vgpr6_vgpr7
                                        ; implicit-def: $vgpr4_vgpr5
	s_branch .LBB192_447
.LBB192_452:                            ;   in Loop: Header=BB192_6 Depth=1
	s_or_b32 exec_lo, exec_lo, s15
	s_andn2_b32 s6, s14, exec_lo
	s_and_b32 s12, s26, exec_lo
	s_or_b32 s14, s6, s12
.LBB192_453:                            ;   in Loop: Header=BB192_6 Depth=1
	s_or_b32 exec_lo, exec_lo, s7
	s_mov_b32 s54, 0
	s_mov_b32 s69, -1
.LBB192_454:                            ;   in Loop: Header=BB192_6 Depth=1
	s_orn2_b32 s7, s14, exec_lo
.LBB192_455:                            ;   in Loop: Header=BB192_6 Depth=1
	s_or_b32 exec_lo, exec_lo, s68
	s_mov_b32 s12, 0
	s_and_saveexec_b32 s6, s7
	s_cbranch_execz .LBB192_466
; %bb.456:                              ;   in Loop: Header=BB192_6 Depth=1
	v_mov_b32_e32 v4, 1
	v_mov_b32_e32 v5, 0
	;; [unrolled: 1-line block ×3, first 2 shown]
	s_xor_b32 s12, s67, -1
	s_and_saveexec_b32 s7, s12
	s_cbranch_execz .LBB192_465
; %bb.457:                              ;   in Loop: Header=BB192_6 Depth=1
	s_mov_b32 s12, exec_lo
	v_cmpx_ge_u64_e64 s[10:11], v[2:3]
	s_xor_b32 s12, exec_lo, s12
	s_cbranch_execz .LBB192_462
; %bb.458:                              ;   in Loop: Header=BB192_6 Depth=1
	ds_read_b64 v[4:5], v13 offset:5120
	v_and_b32_e32 v17, s24, v17
	v_or_b32_e32 v38, s9, v38
	s_waitcnt lgkmcnt(0)
	v_cmp_ne_u64_e32 vcc_lo, 0, v[4:5]
	s_cbranch_vccnz .LBB192_462
; %bb.459:                              ;   in Loop: Header=BB192_6 Depth=1
	s_and_saveexec_b32 s9, s3
; %bb.460:                              ;   in Loop: Header=BB192_6 Depth=1
	v_mov_b32_e32 v4, s10
	v_mov_b32_e32 v5, s11
	ds_write_b64 v13, v[4:5] offset:5128
; %bb.461:                              ;   in Loop: Header=BB192_6 Depth=1
	s_or_b32 exec_lo, exec_lo, s9
	s_waitcnt lgkmcnt(0)
	s_barrier
	buffer_gl0_inv
.LBB192_462:                            ;   in Loop: Header=BB192_6 Depth=1
	s_andn2_saveexec_b32 s9, s12
; %bb.463:                              ;   in Loop: Header=BB192_6 Depth=1
	v_sub_co_u32 v2, vcc_lo, v2, s10
	v_subrev_co_ci_u32_e64 v3, null, s11, v3, vcc_lo
; %bb.464:                              ;   in Loop: Header=BB192_6 Depth=1
	s_or_b32 exec_lo, exec_lo, s9
	v_mov_b32_e32 v5, v3
	v_mov_b32_e32 v12, 5
	;; [unrolled: 1-line block ×3, first 2 shown]
.LBB192_465:                            ;   in Loop: Header=BB192_6 Depth=1
	s_or_b32 exec_lo, exec_lo, s7
	v_mov_b32_e32 v2, v4
	v_mov_b32_e32 v3, v5
	s_mov_b32 s12, exec_lo
.LBB192_466:                            ;   in Loop: Header=BB192_6 Depth=1
	s_or_b32 exec_lo, exec_lo, s6
	s_orn2_b32 s6, s12, exec_lo
.LBB192_467:                            ;   in Loop: Header=BB192_6 Depth=1
	s_or_b32 exec_lo, exec_lo, s17
	s_andn2_b32 s7, s66, exec_lo
	s_and_b32 s9, s69, exec_lo
	s_andn2_b32 s10, s65, exec_lo
	s_and_b32 s11, s54, exec_lo
	v_mov_b32_e32 v5, v3
	v_mov_b32_e32 v4, v2
	s_or_b32 s66, s7, s9
	s_or_b32 s65, s10, s11
	s_and_b32 s7, s6, exec_lo
.LBB192_468:                            ;   in Loop: Header=BB192_6 Depth=1
	s_or_b32 exec_lo, exec_lo, s16
	s_orn2_b32 s6, s7, exec_lo
.LBB192_469:                            ;   in Loop: Header=BB192_6 Depth=1
	s_or_b32 exec_lo, exec_lo, s19
	s_andn2_b32 s7, s63, exec_lo
	s_and_b32 s9, s66, exec_lo
	s_andn2_b32 s10, s62, exec_lo
	s_and_b32 s11, s65, exec_lo
	v_mov_b32_e32 v2, v4
	v_mov_b32_e32 v3, v5
	s_or_b32 s63, s7, s9
	s_or_b32 s62, s10, s11
	s_and_b32 s7, s6, exec_lo
.LBB192_470:                            ;   in Loop: Header=BB192_6 Depth=1
	s_or_b32 exec_lo, exec_lo, s18
	s_orn2_b32 s6, s7, exec_lo
.LBB192_471:                            ;   in Loop: Header=BB192_6 Depth=1
	s_or_b32 exec_lo, exec_lo, s21
	s_mov_b32 s7, s23
	s_mov_b32 s9, s22
	s_and_saveexec_b32 s10, s6
; %bb.472:                              ;   in Loop: Header=BB192_6 Depth=1
	v_cmp_ne_u32_e32 vcc_lo, 5, v12
	v_cmp_eq_u32_e64 s6, 5, v12
	s_andn2_b32 s7, s22, exec_lo
	s_andn2_b32 s11, s23, exec_lo
	s_and_b32 s9, vcc_lo, exec_lo
	s_and_b32 s6, s6, exec_lo
	s_or_b32 s9, s7, s9
	s_or_b32 s7, s11, s6
; %bb.473:                              ;   in Loop: Header=BB192_6 Depth=1
	s_or_b32 exec_lo, exec_lo, s10
	s_andn2_b32 s6, s64, exec_lo
	s_and_b32 s10, s63, exec_lo
	s_andn2_b32 s11, s25, exec_lo
	s_and_b32 s12, s62, exec_lo
	s_or_b32 s64, s6, s10
	s_andn2_b32 s6, s22, exec_lo
	s_and_b32 s9, s9, exec_lo
	s_andn2_b32 s10, s23, exec_lo
	s_and_b32 s7, s7, exec_lo
	s_or_b32 s25, s11, s12
	s_or_b32 s22, s6, s9
	;; [unrolled: 1-line block ×3, first 2 shown]
.LBB192_474:                            ;   in Loop: Header=BB192_6 Depth=1
	s_or_b32 exec_lo, exec_lo, s20
	s_mov_b32 s62, 0
	s_mov_b32 s63, 0
	s_and_saveexec_b32 s6, s23
.LBB192_475:                            ;   in Loop: Header=BB192_6 Depth=1
	v_mov_b32_e32 v12, 0
	s_or_b32 s22, s22, exec_lo
.LBB192_476:                            ;   in Loop: Header=BB192_6 Depth=1
	s_or_b32 exec_lo, exec_lo, s6
	s_andn2_b32 s6, s97, exec_lo
	s_and_b32 s9, s64, exec_lo
	s_andn2_b32 s10, s95, exec_lo
	s_and_b32 s11, s25, exec_lo
	v_mov_b32_e32 v27, v3
	v_mov_b32_e32 v26, v2
	s_or_b32 s97, s6, s9
	s_or_b32 s95, s10, s11
	s_andn2_b32 s6, s99, exec_lo
	s_and_b32 s9, s63, exec_lo
	s_andn2_b32 s10, s98, exec_lo
	s_and_b32 s11, s62, exec_lo
	s_mov_b32 s7, -1
	s_andn2_b32 s96, s96, exec_lo
	s_or_b32 s99, s6, s9
	s_or_b32 s98, s10, s11
	s_and_saveexec_b32 s6, s22
	s_xor_b32 s6, exec_lo, s6
	s_cbranch_execz .LBB192_5
; %bb.477:                              ;   in Loop: Header=BB192_6 Depth=1
	s_mov_b32 s9, -1
	s_mov_b32 s10, exec_lo
	v_cmpx_eq_u32_e32 0, v12
	s_cbranch_execz .LBB192_4
; %bb.478:                              ;   in Loop: Header=BB192_6 Depth=1
	s_xor_b32 s89, s89, 1
	s_add_i32 s11, s93, -2
	s_cmp_eq_u32 s93, 0
	s_mov_b32 s93, s11
	s_cselect_b32 s7, -1, 0
	s_xor_b32 s9, exec_lo, -1
	s_orn2_b32 s7, s7, exec_lo
	s_branch .LBB192_4
.LBB192_479:
	s_or_b32 exec_lo, exec_lo, s87
	s_xor_b32 s7, s94, -1
	s_xor_b32 s9, s91, -1
	;; [unrolled: 1-line block ×5, first 2 shown]
	s_mov_b32 s8, 0
	s_and_saveexec_b32 s12, s11
	s_xor_b32 s12, exec_lo, s12
	s_cbranch_execnz .LBB192_484
; %bb.480:
	s_andn2_saveexec_b32 s0, s12
	s_cbranch_execnz .LBB192_503
.LBB192_481:
	s_or_b32 exec_lo, exec_lo, s0
	s_and_saveexec_b32 s0, s8
.LBB192_482:
	; divergent unreachable
.LBB192_483:
	s_endpgm
.LBB192_484:
	s_and_saveexec_b32 s11, s10
	s_xor_b32 s13, exec_lo, s11
	s_cbranch_execz .LBB192_501
; %bb.485:
	s_and_saveexec_b32 s10, s9
	s_xor_b32 s14, exec_lo, s10
	s_cbranch_execz .LBB192_499
; %bb.486:
	s_and_saveexec_b32 s9, s7
	s_xor_b32 s15, exec_lo, s9
	s_cbranch_execz .LBB192_497
; %bb.487:
	s_and_saveexec_b32 s7, s6
	s_xor_b32 s6, exec_lo, s7
; %bb.488:
	v_cmp_lt_i32_e32 vcc_lo, -1, v17
	v_cndmask_b32_e64 v2, 0x80000000, -1, vcc_lo
	v_xor_b32_e32 v25, v2, v17
; %bb.489:
	s_or_b32 exec_lo, exec_lo, s6
	s_and_saveexec_b32 s6, s3
; %bb.490:
	v_mov_b32_e32 v2, 0
	v_mov_b32_e32 v3, v2
	ds_write_b64 v2, v[2:3] offset:5136
; %bb.491:
	s_or_b32 exec_lo, exec_lo, s6
	v_mov_b32_e32 v17, 0
	s_waitcnt lgkmcnt(0)
	s_barrier
	buffer_gl0_inv
	s_and_saveexec_b32 s3, s1
	s_cbranch_execz .LBB192_493
; %bb.492:
	global_load_dword v17, v[10:11], off
.LBB192_493:
	s_or_b32 exec_lo, exec_lo, s3
	v_cmp_lt_i32_e32 vcc_lo, -1, v25
	s_clause 0x1
	s_load_dwordx2 s[8:9], s[4:5], 0x368
	s_load_dwordx2 s[10:11], s[4:5], 0x510
	v_readlane_b32 s18, v47, 0
	v_readlane_b32 s19, v47, 1
	s_add_u32 s3, s28, 31
	v_cndmask_b32_e64 v2, -1, 0x80000000, vcc_lo
	s_addc_u32 s7, s29, 0
	s_and_b32 s6, s3, 0xffffffe0
	s_mul_i32 s3, s51, s42
	s_mul_hi_u32 s4, s50, s42
	v_readlane_b32 s22, v47, 4
	s_add_i32 s5, s4, s3
	s_mul_i32 s3, s19, s42
	s_mul_hi_u32 s16, s18, s42
	s_mul_i32 s4, s50, s42
	v_readlane_b32 s23, v47, 5
	v_xor_b32_e32 v2, v2, v25
	v_cmp_o_f32_e32 vcc_lo, v25, v25
	s_add_i32 s19, s16, s3
	s_lshl_b64 s[16:17], s[4:5], 2
	s_mul_i32 s18, s18, s42
	s_add_u32 s5, s22, s16
	s_addc_u32 s16, s23, s17
	v_readlane_b32 s22, v47, 2
	v_readlane_b32 s23, v47, 3
	v_cndmask_b32_e32 v16, -1, v2, vcc_lo
	v_cmp_gt_u64_e32 vcc_lo, s[6:7], v[0:1]
	s_lshl_b64 s[18:19], s[18:19], 3
	s_mov_b32 s21, -1
	s_add_u32 s17, s22, s18
	s_addc_u32 s18, s23, s19
	s_mov_b32 s19, 0
	s_mov_b32 s3, 0
	s_and_saveexec_b32 s20, vcc_lo
	s_cbranch_execnz .LBB192_504
; %bb.494:
	s_or_b32 exec_lo, exec_lo, s20
	s_and_saveexec_b32 s2, s21
	s_cbranch_execnz .LBB192_521
.LBB192_495:
	s_or_b32 exec_lo, exec_lo, s2
	s_and_saveexec_b32 s0, s3
	s_xor_b32 s0, exec_lo, s0
	s_cbranch_execnz .LBB192_544
.LBB192_496:
	s_or_b32 exec_lo, exec_lo, s0
	s_waitcnt lgkmcnt(0)
	s_and_b32 s8, s19, exec_lo
.LBB192_497:
	s_andn2_saveexec_b32 s0, s15
	s_cbranch_execnz .LBB192_546
.LBB192_498:
	s_or_b32 exec_lo, exec_lo, s0
	s_and_b32 s8, s8, exec_lo
.LBB192_499:
	s_andn2_saveexec_b32 s0, s14
	s_cbranch_execnz .LBB192_545
.LBB192_500:
	s_or_b32 exec_lo, exec_lo, s0
	s_and_b32 s8, s8, exec_lo
.LBB192_501:
	s_andn2_saveexec_b32 s0, s13
	s_cbranch_execnz .LBB192_540
.LBB192_502:
	s_or_b32 exec_lo, exec_lo, s0
	s_and_b32 s8, s8, exec_lo
	s_andn2_saveexec_b32 s0, s12
	s_cbranch_execz .LBB192_481
.LBB192_503:
	s_or_b32 s8, s8, exec_lo
	s_trap 2
	s_or_b32 exec_lo, exec_lo, s0
	s_and_saveexec_b32 s0, s8
	s_cbranch_execnz .LBB192_482
	s_branch .LBB192_483
.LBB192_504:
	v_add_nc_u32_e32 v4, s33, v0
	s_add_u32 s3, s36, s40
	s_addc_u32 s4, s37, s41
	v_mov_b32_e32 v13, v1
	v_mov_b32_e32 v12, v0
	v_mad_u64_u32 v[2:3], null, s38, v4, 0
	s_mov_b32 s21, 0
                                        ; implicit-def: $sgpr22
                                        ; implicit-def: $vgpr8_vgpr9
	v_mad_u64_u32 v[3:4], null, s39, v4, v[3:4]
	v_lshlrev_b64 v[4:5], 2, v[2:3]
	v_mov_b32_e32 v3, 0
	v_add_co_u32 v4, s3, s3, v4
	v_add_co_ci_u32_e64 v5, null, s4, v5, s3
	s_branch .LBB192_506
.LBB192_505:                            ;   in Loop: Header=BB192_506 Depth=1
	s_or_b32 exec_lo, exec_lo, s23
	s_xor_b32 s3, s24, -1
	s_and_b32 s4, exec_lo, s4
	v_mov_b32_e32 v13, v7
	s_waitcnt vmcnt(0)
	v_mov_b32_e32 v17, v18
	s_or_b32 s21, s4, s21
	v_mov_b32_e32 v12, v6
	s_andn2_b32 s4, s22, exec_lo
	s_and_b32 s3, s3, exec_lo
	s_or_b32 s22, s4, s3
	s_andn2_b32 exec_lo, exec_lo, s21
	s_cbranch_execz .LBB192_520
.LBB192_506:                            ; =>This Inner Loop Header: Depth=1
	v_add_co_u32 v6, s3, v12, s33
	v_add_co_ci_u32_e64 v7, null, 0, v13, s3
	v_mov_b32_e32 v18, 0
	s_mov_b32 s4, exec_lo
	v_cmpx_gt_u64_e64 s[28:29], v[6:7]
	s_cbranch_execz .LBB192_508
; %bb.507:                              ;   in Loop: Header=BB192_506 Depth=1
	global_load_dword v18, v[4:5], off
.LBB192_508:                            ;   in Loop: Header=BB192_506 Depth=1
	s_or_b32 exec_lo, exec_lo, s4
	s_mov_b32 s23, 0
	s_mov_b32 s4, exec_lo
	v_cmpx_gt_u64_e64 s[28:29], v[12:13]
	s_cbranch_execz .LBB192_510
; %bb.509:                              ;   in Loop: Header=BB192_506 Depth=1
	s_waitcnt vmcnt(0)
	v_cmp_lt_i32_e64 s3, -1, v17
	v_cndmask_b32_e64 v2, -1, 0x80000000, s3
	v_cmp_o_f32_e64 s3, v17, v17
	v_xor_b32_e32 v2, v2, v17
	v_cndmask_b32_e64 v2, -1, v2, s3
	v_cmp_gt_u32_e64 s3, v2, v16
	v_cndmask_b32_e64 v14, 0, 1, s3
	v_cmp_lt_u32_e64 s3, v2, v16
	v_cndmask_b32_e64 v2, 0, 1, s3
	v_cndmask_b32_e64 v2, v2, v14, s2
	v_and_b32_e32 v2, 1, v2
	v_cmp_eq_u32_e64 s3, 1, v2
	s_and_b32 s23, s3, exec_lo
.LBB192_510:                            ;   in Loop: Header=BB192_506 Depth=1
	s_or_b32 exec_lo, exec_lo, s4
	v_cndmask_b32_e64 v2, 0, 1, s23
	v_cmp_ne_u32_e64 s3, 0, v2
	s_cmp_lg_u32 s3, 0
	s_cselect_b32 s4, -1, 0
	s_and_b32 s4, s0, s4
	s_and_saveexec_b32 s24, s4
	s_cbranch_execz .LBB192_514
; %bb.511:                              ;   in Loop: Header=BB192_506 Depth=1
	s_mov_b32 s27, exec_lo
	s_bcnt1_i32_b32 s25, s3
	v_mbcnt_lo_u32_b32 v14, s27, 0
	s_mov_b32 s26, exec_lo
                                        ; implicit-def: $vgpr8_vgpr9
	v_cmpx_eq_u32_e32 0, v14
	s_cbranch_execz .LBB192_513
; %bb.512:                              ;   in Loop: Header=BB192_506 Depth=1
	s_bcnt1_i32_b32 s4, s27
	s_mul_i32 s4, s25, s4
	v_mov_b32_e32 v2, s4
	s_waitcnt lgkmcnt(0)
	ds_add_rtn_u64 v[8:9], v3, v[2:3] offset:5136
.LBB192_513:                            ;   in Loop: Header=BB192_506 Depth=1
	s_or_b32 exec_lo, exec_lo, s26
	s_waitcnt lgkmcnt(0)
	v_readfirstlane_b32 s27, v9
	v_readfirstlane_b32 s26, v8
	v_mad_u64_u32 v[8:9], null, s25, v14, s[26:27]
.LBB192_514:                            ;   in Loop: Header=BB192_506 Depth=1
	s_or_b32 exec_lo, exec_lo, s24
	s_waitcnt lgkmcnt(0)
	ds_bpermute_b32 v8, v3, v8
	ds_bpermute_b32 v9, v3, v9
	s_mov_b32 s4, -1
	s_mov_b32 s25, -1
	s_and_saveexec_b32 s24, s23
	s_cbranch_execz .LBB192_518
; %bb.515:                              ;   in Loop: Header=BB192_506 Depth=1
	v_and_b32_e32 v2, s3, v30
	s_mov_b32 s23, 0
	s_mov_b32 s25, exec_lo
	v_bcnt_u32_b32 v2, v2, 0
	s_waitcnt lgkmcnt(0)
	v_add_co_u32 v14, s3, v8, v2
	v_add_co_ci_u32_e64 v15, null, 0, v9, s3
	v_cmpx_gt_u64_e64 s[30:31], v[14:15]
	s_cbranch_execz .LBB192_517
; %bb.516:                              ;   in Loop: Header=BB192_506 Depth=1
	v_mul_lo_u32 v2, v15, s8
	v_mul_lo_u32 v21, v14, s9
	v_mad_u64_u32 v[19:20], null, v14, s8, 0
	v_mul_lo_u32 v22, v15, s10
	v_mul_lo_u32 v23, v14, s11
	v_mad_u64_u32 v[14:15], null, v14, s10, 0
	s_mov_b32 s23, exec_lo
	v_add3_u32 v20, v20, v21, v2
	v_add3_u32 v15, v15, v23, v22
	v_lshlrev_b64 v[19:20], 2, v[19:20]
	v_lshlrev_b64 v[14:15], 3, v[14:15]
	v_add_co_u32 v19, s3, s5, v19
	v_add_co_ci_u32_e64 v20, null, s16, v20, s3
	v_add_co_u32 v14, s3, s17, v14
	v_add_co_ci_u32_e64 v15, null, s18, v15, s3
	s_waitcnt vmcnt(0)
	global_store_dword v[19:20], v17, off
	global_store_dwordx2 v[14:15], v[12:13], off
.LBB192_517:                            ;   in Loop: Header=BB192_506 Depth=1
	s_or_b32 exec_lo, exec_lo, s25
	s_orn2_b32 s25, s23, exec_lo
.LBB192_518:                            ;   in Loop: Header=BB192_506 Depth=1
	s_or_b32 exec_lo, exec_lo, s24
	s_mov_b32 s24, -1
	s_and_saveexec_b32 s23, s25
	s_cbranch_execz .LBB192_505
; %bb.519:                              ;   in Loop: Header=BB192_506 Depth=1
	v_cmp_le_u64_e64 s3, s[6:7], v[6:7]
	v_add_co_u32 v4, s4, v4, s34
	v_add_co_ci_u32_e64 v5, null, s35, v5, s4
	s_xor_b32 s24, exec_lo, -1
	s_orn2_b32 s4, s3, exec_lo
	s_branch .LBB192_505
.LBB192_520:
	s_or_b32 exec_lo, exec_lo, s21
	s_mov_b32 s3, exec_lo
	s_orn2_b32 s21, s22, exec_lo
	s_or_b32 exec_lo, exec_lo, s20
	s_and_saveexec_b32 s2, s21
	s_cbranch_execz .LBB192_495
.LBB192_521:
	v_mov_b32_e32 v13, 0
	s_waitcnt vmcnt(0) lgkmcnt(0)
	s_waitcnt_vscnt null, 0x0
	s_barrier
	buffer_gl0_inv
	s_and_saveexec_b32 s4, s1
	s_cbranch_execz .LBB192_523
; %bb.522:
	global_load_dword v13, v[10:11], off
.LBB192_523:
	s_or_b32 exec_lo, exec_lo, s4
	s_mov_b32 s1, 0
	s_and_saveexec_b32 s4, vcc_lo
	s_cbranch_execz .LBB192_543
; %bb.524:
	v_add_nc_u32_e32 v4, s33, v0
	s_add_u32 s1, s36, s40
	s_addc_u32 s19, s37, s41
	v_mov_b32_e32 v5, 0
                                        ; implicit-def: $sgpr20
                                        ; implicit-def: $vgpr8_vgpr9
	v_mad_u64_u32 v[2:3], null, s38, v4, 0
	v_mad_u64_u32 v[3:4], null, s39, v4, v[3:4]
	v_lshlrev_b64 v[2:3], 2, v[2:3]
	v_add_co_u32 v2, vcc_lo, s1, v2
	v_add_co_ci_u32_e64 v3, null, s19, v3, vcc_lo
	s_mov_b32 s19, 0
	s_branch .LBB192_527
.LBB192_525:                            ;   in Loop: Header=BB192_527 Depth=1
	s_or_b32 exec_lo, exec_lo, s22
	s_orn2_b32 s24, s23, exec_lo
	s_orn2_b32 s23, s1, exec_lo
.LBB192_526:                            ;   in Loop: Header=BB192_527 Depth=1
	s_or_b32 exec_lo, exec_lo, s21
	s_xor_b32 s1, s24, -1
	s_and_b32 s21, exec_lo, s23
	v_mov_b32_e32 v0, v6
	v_mov_b32_e32 v1, v7
	s_or_b32 s19, s21, s19
	v_mov_b32_e32 v13, v12
	s_andn2_b32 s20, s20, exec_lo
	s_and_b32 s1, s1, exec_lo
	s_or_b32 s20, s20, s1
	s_andn2_b32 exec_lo, exec_lo, s19
	s_cbranch_execz .LBB192_541
.LBB192_527:                            ; =>This Inner Loop Header: Depth=1
	v_add_co_u32 v6, vcc_lo, v0, s33
	v_add_co_ci_u32_e64 v7, null, 0, v1, vcc_lo
	v_mov_b32_e32 v12, 0
	s_mov_b32 s1, exec_lo
	v_cmpx_gt_u64_e64 s[28:29], v[6:7]
	s_cbranch_execz .LBB192_529
; %bb.528:                              ;   in Loop: Header=BB192_527 Depth=1
	global_load_dword v12, v[2:3], off
.LBB192_529:                            ;   in Loop: Header=BB192_527 Depth=1
	s_or_b32 exec_lo, exec_lo, s1
	s_waitcnt vmcnt(0)
	v_cmp_lt_i32_e32 vcc_lo, -1, v13
	v_cndmask_b32_e64 v4, -1, 0x80000000, vcc_lo
	v_cmp_o_f32_e32 vcc_lo, v13, v13
	v_xor_b32_e32 v4, v4, v13
	v_cndmask_b32_e32 v4, -1, v4, vcc_lo
	v_cmp_gt_u64_e32 vcc_lo, s[28:29], v[0:1]
	v_cmp_eq_u32_e64 s1, v4, v16
	s_and_b32 s22, vcc_lo, s1
	v_cndmask_b32_e64 v4, 0, 1, s22
	v_cmp_ne_u32_e32 vcc_lo, 0, v4
	s_cmp_lg_u32 vcc_lo, 0
	s_cselect_b32 s1, -1, 0
	s_and_b32 s1, s0, s1
	s_and_saveexec_b32 s21, s1
	s_cbranch_execz .LBB192_533
; %bb.530:                              ;   in Loop: Header=BB192_527 Depth=1
	s_mov_b32 s25, exec_lo
	s_bcnt1_i32_b32 s23, vcc_lo
	v_mbcnt_lo_u32_b32 v10, s25, 0
	s_mov_b32 s24, exec_lo
                                        ; implicit-def: $vgpr8_vgpr9
	v_cmpx_eq_u32_e32 0, v10
; %bb.531:                              ;   in Loop: Header=BB192_527 Depth=1
	s_bcnt1_i32_b32 s1, s25
	s_mul_i32 s1, s23, s1
	v_mov_b32_e32 v4, s1
	ds_add_rtn_u64 v[8:9], v5, v[4:5] offset:5136
; %bb.532:                              ;   in Loop: Header=BB192_527 Depth=1
	s_or_b32 exec_lo, exec_lo, s24
	s_waitcnt lgkmcnt(0)
	v_readfirstlane_b32 s25, v9
	v_readfirstlane_b32 s24, v8
	v_mad_u64_u32 v[8:9], null, s23, v10, s[24:25]
.LBB192_533:                            ;   in Loop: Header=BB192_527 Depth=1
	s_or_b32 exec_lo, exec_lo, s21
	ds_bpermute_b32 v8, v5, v8
	ds_bpermute_b32 v9, v5, v9
	s_cmp_eq_u32 vcc_lo, 0
	s_mov_b32 s23, -1
	s_cselect_b32 s21, -1, 0
	s_mov_b32 s24, -1
	s_waitcnt lgkmcnt(0)
	v_cmp_gt_u64_e64 s1, s[30:31], v[8:9]
	s_or_b32 s1, s21, s1
	s_and_saveexec_b32 s21, s1
	s_cbranch_execz .LBB192_526
; %bb.534:                              ;   in Loop: Header=BB192_527 Depth=1
	v_and_b32_e32 v4, vcc_lo, v30
	v_sub_co_u32 v10, vcc_lo, s30, v8
	v_sub_co_ci_u32_e64 v11, null, s31, v9, vcc_lo
	v_bcnt_u32_b32 v4, v4, 0
	s_mov_b32 s1, -1
	v_bcnt_u32_b32 v4, 0, v4
	v_cmp_gt_u64_e32 vcc_lo, v[10:11], v[4:5]
	s_and_b32 s25, s22, vcc_lo
	s_and_saveexec_b32 s22, s25
	s_cbranch_execz .LBB192_538
; %bb.535:                              ;   in Loop: Header=BB192_527 Depth=1
	v_add_co_u32 v10, vcc_lo, v8, v4
	v_add_co_ci_u32_e64 v11, null, 0, v9, vcc_lo
	s_mov_b32 s24, 0
	s_mov_b32 s23, exec_lo
	v_cmpx_gt_u64_e64 s[30:31], v[10:11]
; %bb.536:                              ;   in Loop: Header=BB192_527 Depth=1
	v_mul_lo_u32 v4, v11, s8
	v_mul_lo_u32 v17, v10, s9
	v_mad_u64_u32 v[14:15], null, v10, s8, 0
	v_mul_lo_u32 v18, v11, s10
	v_mul_lo_u32 v19, v10, s11
	v_mad_u64_u32 v[10:11], null, v10, s10, 0
	s_mov_b32 s24, exec_lo
	v_add3_u32 v15, v15, v17, v4
	v_add3_u32 v11, v11, v19, v18
	v_lshlrev_b64 v[14:15], 2, v[14:15]
	v_lshlrev_b64 v[10:11], 3, v[10:11]
	v_add_co_u32 v14, vcc_lo, s5, v14
	v_add_co_ci_u32_e64 v15, null, s16, v15, vcc_lo
	v_add_co_u32 v10, vcc_lo, s17, v10
	v_add_co_ci_u32_e64 v11, null, s18, v11, vcc_lo
	global_store_dword v[14:15], v13, off
	global_store_dwordx2 v[10:11], v[0:1], off
; %bb.537:                              ;   in Loop: Header=BB192_527 Depth=1
	s_or_b32 exec_lo, exec_lo, s23
	s_xor_b32 s23, exec_lo, -1
	s_orn2_b32 s24, s24, exec_lo
.LBB192_538:                            ;   in Loop: Header=BB192_527 Depth=1
	s_or_b32 exec_lo, exec_lo, s22
	s_and_saveexec_b32 s22, s24
	s_cbranch_execz .LBB192_525
; %bb.539:                              ;   in Loop: Header=BB192_527 Depth=1
	v_cmp_le_u64_e32 vcc_lo, s[6:7], v[6:7]
	v_add_co_u32 v2, s1, v2, s34
	v_add_co_ci_u32_e64 v3, null, s35, v3, s1
	s_or_b32 s23, s23, exec_lo
	s_orn2_b32 s1, vcc_lo, exec_lo
	s_branch .LBB192_525
.LBB192_540:
	s_or_b32 s8, s8, exec_lo
	s_trap 2
	s_branch .LBB192_502
.LBB192_541:
	s_or_b32 exec_lo, exec_lo, s19
	s_mov_b32 s0, 0
	s_and_saveexec_b32 s1, s20
	s_xor_b32 s1, exec_lo, s1
	s_cbranch_execnz .LBB192_547
.LBB192_542:
	s_or_b32 exec_lo, exec_lo, s1
	s_and_b32 s1, s0, exec_lo
.LBB192_543:
	s_or_b32 exec_lo, exec_lo, s4
	s_and_b32 s19, s1, exec_lo
	s_andn2_b32 s3, s3, exec_lo
	s_or_b32 exec_lo, exec_lo, s2
	s_and_saveexec_b32 s0, s3
	s_xor_b32 s0, exec_lo, s0
	s_cbranch_execz .LBB192_496
.LBB192_544:
	s_or_b32 s19, s19, exec_lo
	s_trap 2
	s_branch .LBB192_496
.LBB192_545:
	s_or_b32 s8, s8, exec_lo
	s_trap 2
	s_branch .LBB192_500
.LBB192_546:
	s_or_b32 s8, s8, exec_lo
	s_trap 2
	s_branch .LBB192_498
.LBB192_547:
	s_mov_b32 s0, exec_lo
	s_trap 2
	s_branch .LBB192_542
	.section	.rodata,"a",@progbits
	.p2align	6, 0x0
	.amdhsa_kernel _ZN2at6native6sbtopk10gatherTopKIfmLi1ELb0EEEvNS_4cuda6detail10TensorInfoIKT_T0_EES8_S8_bS8_S8_NS5_IS6_S8_EES8_NS5_IlS8_EES8_PS6_
		.amdhsa_group_segment_fixed_size 5152
		.amdhsa_private_segment_fixed_size 0
		.amdhsa_kernarg_size 1568
		.amdhsa_user_sgpr_count 6
		.amdhsa_user_sgpr_private_segment_buffer 1
		.amdhsa_user_sgpr_dispatch_ptr 0
		.amdhsa_user_sgpr_queue_ptr 0
		.amdhsa_user_sgpr_kernarg_segment_ptr 1
		.amdhsa_user_sgpr_dispatch_id 0
		.amdhsa_user_sgpr_flat_scratch_init 0
		.amdhsa_user_sgpr_private_segment_size 0
		.amdhsa_wavefront_size32 1
		.amdhsa_uses_dynamic_stack 0
		.amdhsa_system_sgpr_private_segment_wavefront_offset 0
		.amdhsa_system_sgpr_workgroup_id_x 1
		.amdhsa_system_sgpr_workgroup_id_y 1
		.amdhsa_system_sgpr_workgroup_id_z 1
		.amdhsa_system_sgpr_workgroup_info 0
		.amdhsa_system_vgpr_workitem_id 0
		.amdhsa_next_free_vgpr 48
		.amdhsa_next_free_sgpr 105
		.amdhsa_reserve_vcc 1
		.amdhsa_reserve_flat_scratch 0
		.amdhsa_float_round_mode_32 0
		.amdhsa_float_round_mode_16_64 0
		.amdhsa_float_denorm_mode_32 3
		.amdhsa_float_denorm_mode_16_64 3
		.amdhsa_dx10_clamp 1
		.amdhsa_ieee_mode 1
		.amdhsa_fp16_overflow 0
		.amdhsa_workgroup_processor_mode 1
		.amdhsa_memory_ordered 1
		.amdhsa_forward_progress 1
		.amdhsa_shared_vgpr_count 0
		.amdhsa_exception_fp_ieee_invalid_op 0
		.amdhsa_exception_fp_denorm_src 0
		.amdhsa_exception_fp_ieee_div_zero 0
		.amdhsa_exception_fp_ieee_overflow 0
		.amdhsa_exception_fp_ieee_underflow 0
		.amdhsa_exception_fp_ieee_inexact 0
		.amdhsa_exception_int_div_zero 0
	.end_amdhsa_kernel
	.section	.text._ZN2at6native6sbtopk10gatherTopKIfmLi1ELb0EEEvNS_4cuda6detail10TensorInfoIKT_T0_EES8_S8_bS8_S8_NS5_IS6_S8_EES8_NS5_IlS8_EES8_PS6_,"axG",@progbits,_ZN2at6native6sbtopk10gatherTopKIfmLi1ELb0EEEvNS_4cuda6detail10TensorInfoIKT_T0_EES8_S8_bS8_S8_NS5_IS6_S8_EES8_NS5_IlS8_EES8_PS6_,comdat
.Lfunc_end192:
	.size	_ZN2at6native6sbtopk10gatherTopKIfmLi1ELb0EEEvNS_4cuda6detail10TensorInfoIKT_T0_EES8_S8_bS8_S8_NS5_IS6_S8_EES8_NS5_IlS8_EES8_PS6_, .Lfunc_end192-_ZN2at6native6sbtopk10gatherTopKIfmLi1ELb0EEEvNS_4cuda6detail10TensorInfoIKT_T0_EES8_S8_bS8_S8_NS5_IS6_S8_EES8_NS5_IlS8_EES8_PS6_
                                        ; -- End function
	.set _ZN2at6native6sbtopk10gatherTopKIfmLi1ELb0EEEvNS_4cuda6detail10TensorInfoIKT_T0_EES8_S8_bS8_S8_NS5_IS6_S8_EES8_NS5_IlS8_EES8_PS6_.num_vgpr, 48
	.set _ZN2at6native6sbtopk10gatherTopKIfmLi1ELb0EEEvNS_4cuda6detail10TensorInfoIKT_T0_EES8_S8_bS8_S8_NS5_IS6_S8_EES8_NS5_IlS8_EES8_PS6_.num_agpr, 0
	.set _ZN2at6native6sbtopk10gatherTopKIfmLi1ELb0EEEvNS_4cuda6detail10TensorInfoIKT_T0_EES8_S8_bS8_S8_NS5_IS6_S8_EES8_NS5_IlS8_EES8_PS6_.numbered_sgpr, 105
	.set _ZN2at6native6sbtopk10gatherTopKIfmLi1ELb0EEEvNS_4cuda6detail10TensorInfoIKT_T0_EES8_S8_bS8_S8_NS5_IS6_S8_EES8_NS5_IlS8_EES8_PS6_.num_named_barrier, 0
	.set _ZN2at6native6sbtopk10gatherTopKIfmLi1ELb0EEEvNS_4cuda6detail10TensorInfoIKT_T0_EES8_S8_bS8_S8_NS5_IS6_S8_EES8_NS5_IlS8_EES8_PS6_.private_seg_size, 0
	.set _ZN2at6native6sbtopk10gatherTopKIfmLi1ELb0EEEvNS_4cuda6detail10TensorInfoIKT_T0_EES8_S8_bS8_S8_NS5_IS6_S8_EES8_NS5_IlS8_EES8_PS6_.uses_vcc, 1
	.set _ZN2at6native6sbtopk10gatherTopKIfmLi1ELb0EEEvNS_4cuda6detail10TensorInfoIKT_T0_EES8_S8_bS8_S8_NS5_IS6_S8_EES8_NS5_IlS8_EES8_PS6_.uses_flat_scratch, 0
	.set _ZN2at6native6sbtopk10gatherTopKIfmLi1ELb0EEEvNS_4cuda6detail10TensorInfoIKT_T0_EES8_S8_bS8_S8_NS5_IS6_S8_EES8_NS5_IlS8_EES8_PS6_.has_dyn_sized_stack, 0
	.set _ZN2at6native6sbtopk10gatherTopKIfmLi1ELb0EEEvNS_4cuda6detail10TensorInfoIKT_T0_EES8_S8_bS8_S8_NS5_IS6_S8_EES8_NS5_IlS8_EES8_PS6_.has_recursion, 0
	.set _ZN2at6native6sbtopk10gatherTopKIfmLi1ELb0EEEvNS_4cuda6detail10TensorInfoIKT_T0_EES8_S8_bS8_S8_NS5_IS6_S8_EES8_NS5_IlS8_EES8_PS6_.has_indirect_call, 0
	.section	.AMDGPU.csdata,"",@progbits
; Kernel info:
; codeLenInByte = 24988
; TotalNumSgprs: 107
; NumVgprs: 48
; ScratchSize: 0
; MemoryBound: 0
; FloatMode: 240
; IeeeMode: 1
; LDSByteSize: 5152 bytes/workgroup (compile time only)
; SGPRBlocks: 0
; VGPRBlocks: 5
; NumSGPRsForWavesPerEU: 107
; NumVGPRsForWavesPerEU: 48
; Occupancy: 16
; WaveLimiterHint : 1
; COMPUTE_PGM_RSRC2:SCRATCH_EN: 0
; COMPUTE_PGM_RSRC2:USER_SGPR: 6
; COMPUTE_PGM_RSRC2:TRAP_HANDLER: 0
; COMPUTE_PGM_RSRC2:TGID_X_EN: 1
; COMPUTE_PGM_RSRC2:TGID_Y_EN: 1
; COMPUTE_PGM_RSRC2:TGID_Z_EN: 1
; COMPUTE_PGM_RSRC2:TIDIG_COMP_CNT: 0
	.section	.text._ZN2at6native6mbtopk23computeBlockDigitCountsIfmjLi2EEEvNS_4cuda6detail10TensorInfoIKT_T0_EEjPjjS8_iijT1_PSB_Ps,"axG",@progbits,_ZN2at6native6mbtopk23computeBlockDigitCountsIfmjLi2EEEvNS_4cuda6detail10TensorInfoIKT_T0_EEjPjjS8_iijT1_PSB_Ps,comdat
	.protected	_ZN2at6native6mbtopk23computeBlockDigitCountsIfmjLi2EEEvNS_4cuda6detail10TensorInfoIKT_T0_EEjPjjS8_iijT1_PSB_Ps ; -- Begin function _ZN2at6native6mbtopk23computeBlockDigitCountsIfmjLi2EEEvNS_4cuda6detail10TensorInfoIKT_T0_EEjPjjS8_iijT1_PSB_Ps
	.globl	_ZN2at6native6mbtopk23computeBlockDigitCountsIfmjLi2EEEvNS_4cuda6detail10TensorInfoIKT_T0_EEjPjjS8_iijT1_PSB_Ps
	.p2align	8
	.type	_ZN2at6native6mbtopk23computeBlockDigitCountsIfmjLi2EEEvNS_4cuda6detail10TensorInfoIKT_T0_EEjPjjS8_iijT1_PSB_Ps,@function
_ZN2at6native6mbtopk23computeBlockDigitCountsIfmjLi2EEEvNS_4cuda6detail10TensorInfoIKT_T0_EEjPjjS8_iijT1_PSB_Ps: ; @_ZN2at6native6mbtopk23computeBlockDigitCountsIfmjLi2EEEvNS_4cuda6detail10TensorInfoIKT_T0_EEjPjjS8_iijT1_PSB_Ps
; %bb.0:
	s_clause 0x2
	s_load_dwordx4 s[0:3], s[4:5], 0x1c0
	s_load_dword s12, s[4:5], 0x1b0
	s_load_dwordx2 s[10:11], s[4:5], 0x1e0
	s_waitcnt lgkmcnt(0)
	v_cvt_f32_u32_e32 v1, s2
	s_mul_i32 s8, s11, s8
	s_sub_i32 s11, 0, s2
	s_add_i32 s7, s8, s7
	v_rcp_iflag_f32_e32 v1, v1
	s_mul_i32 s16, s7, s10
	s_add_i32 s16, s16, s6
	v_mul_f32_e32 v1, 0x4f7ffffe, v1
	v_cvt_u32_f32_e32 v1, v1
	v_readfirstlane_b32 s9, v1
	s_mul_i32 s11, s11, s9
	s_mul_hi_u32 s7, s9, s11
	s_add_i32 s9, s9, s7
	s_mul_hi_u32 s6, s16, s9
	s_mul_i32 s7, s6, s2
	s_add_i32 s8, s6, 1
	s_sub_i32 s7, s16, s7
	s_sub_i32 s9, s7, s2
	s_cmp_ge_u32 s7, s2
	s_cselect_b32 s6, s8, s6
	s_cselect_b32 s7, s9, s7
	s_add_i32 s8, s6, 1
	s_cmp_ge_u32 s7, s2
	s_mov_b32 s7, 0
	s_cselect_b32 s6, s8, s6
	s_cmp_ge_u32 s6, s12
	s_cbranch_scc1 .LBB193_23
; %bb.1:
	s_clause 0x1
	s_load_dwordx2 s[12:13], s[4:5], 0x10
	s_load_dwordx4 s[8:11], s[4:5], 0x1d0
	s_lshl_b64 s[14:15], s[6:7], 2
	s_waitcnt lgkmcnt(0)
	v_cmp_lt_u64_e64 s17, s[6:7], s[12:13]
	s_add_u32 s14, s8, s14
	s_addc_u32 s15, s9, s15
	s_mov_b64 s[8:9], 0
	s_and_b32 vcc_lo, exec_lo, s17
	s_cbranch_vccnz .LBB193_3
; %bb.2:
	v_cvt_f32_u32_e32 v1, s12
	s_sub_i32 s8, 0, s12
	v_rcp_iflag_f32_e32 v1, v1
	v_mul_f32_e32 v1, 0x4f7ffffe, v1
	v_cvt_u32_f32_e32 v1, v1
	v_readfirstlane_b32 s7, v1
	s_mul_i32 s8, s8, s7
	s_mul_hi_u32 s8, s7, s8
	s_add_i32 s7, s7, s8
	s_mul_hi_u32 s7, s6, s7
	s_mul_i32 s8, s7, s12
	s_add_i32 s9, s7, 1
	s_sub_i32 s8, s6, s8
	s_sub_i32 s17, s8, s12
	s_cmp_ge_u32 s8, s12
	s_cselect_b32 s7, s9, s7
	s_cselect_b32 s8, s17, s8
	s_add_i32 s9, s7, 1
	s_cmp_ge_u32 s8, s12
	s_cselect_b32 s8, s9, s7
.LBB193_3:
	v_cmp_gt_u32_e32 vcc_lo, 0x100, v0
	v_lshlrev_b32_e32 v1, 2, v0
	s_and_saveexec_b32 s7, vcc_lo
; %bb.4:
	v_mov_b32_e32 v2, 0
	ds_write_b32 v1, v2
; %bb.5:
	s_or_b32 exec_lo, exec_lo, s7
	s_load_dword s7, s[4:5], 0x1a0
	s_mul_i32 s9, s6, s2
	s_waitcnt lgkmcnt(0)
	s_sub_i32 s17, s16, s9
	s_barrier
	s_mul_i32 s9, s1, s17
	s_add_i32 s17, s17, 1
	s_lshl_b32 s9, s9, 8
	buffer_gl0_inv
	s_sub_i32 s18, s7, s9
	s_add_u32 s18, s18, 0xff
	s_addc_u32 s19, 0, 0
	s_lshr_b64 s[18:19], s[18:19], 8
	s_cmp_lt_u32 s17, s2
	s_mov_b32 s17, 0
	s_cselect_b32 s2, s1, s18
	s_cmp_lt_i32 s2, 1
	s_cbranch_scc1 .LBB193_21
; %bb.6:
	s_clause 0x1
	s_load_dwordx4 s[20:23], s[4:5], 0xd0
	s_load_dwordx2 s[18:19], s[4:5], 0x0
	s_load_dword s1, s[14:15], 0x0
	s_load_dwordx2 s[4:5], s[4:5], 0x1b8
	s_mul_i32 s13, s8, s13
	s_mul_hi_u32 s14, s8, s12
	s_mul_i32 s12, s8, s12
	s_add_i32 s14, s14, s13
	s_sub_u32 s6, s6, s12
	s_subb_u32 s12, 0, s14
	v_add_nc_u32_e32 v2, s9, v0
	s_waitcnt lgkmcnt(0)
	s_mul_i32 s13, s6, s23
	s_mul_hi_u32 s23, s6, s22
	s_mul_i32 s24, s12, s22
	s_mul_i32 s12, s6, s22
	;; [unrolled: 1-line block ×3, first 2 shown]
	s_mul_hi_u32 s15, s8, s20
	s_mul_i32 s14, s8, s20
	s_add_i32 s15, s15, s6
	s_add_i32 s6, s23, s13
	s_lshl_b64 s[14:15], s[14:15], 2
	s_add_i32 s13, s6, s24
	s_add_u32 s6, s18, s14
	s_addc_u32 s14, s19, s15
	s_lshl_b64 s[12:13], s[12:13], 2
	s_add_u32 s8, s6, s12
	s_addc_u32 s9, s14, s13
	s_and_b32 s6, s0, 0xff
	s_cmp_eq_u32 s2, 1
	s_cbranch_scc1 .LBB193_16
; %bb.7:
	v_mov_b32_e32 v3, 1
	v_mov_b32_e32 v4, v2
	s_and_b32 s12, s2, 0x7ffffffe
	s_mov_b32 s13, 0
	s_branch .LBB193_9
.LBB193_8:                              ;   in Loop: Header=BB193_9 Depth=1
	s_or_b32 exec_lo, exec_lo, s14
	v_add_nc_u32_e32 v4, 0x200, v4
	s_add_i32 s13, s13, 2
	s_cmp_eq_u32 s12, s13
	s_cbranch_scc1 .LBB193_15
.LBB193_9:                              ; =>This Inner Loop Header: Depth=1
	s_mov_b32 s14, exec_lo
	v_cmpx_gt_u32_e64 s7, v4
	s_cbranch_execz .LBB193_12
; %bb.10:                               ;   in Loop: Header=BB193_9 Depth=1
	v_mad_u64_u32 v[5:6], null, s4, v4, 0
	v_mad_u64_u32 v[6:7], null, s5, v4, v[6:7]
	v_lshlrev_b64 v[5:6], 2, v[5:6]
	v_add_co_u32 v5, s0, s8, v5
	v_add_co_ci_u32_e64 v6, null, s9, v6, s0
	global_load_dword v5, v[5:6], off
	s_waitcnt vmcnt(0)
	v_cmp_lt_i32_e64 s0, -1, v5
	v_cndmask_b32_e64 v6, -1, 0x80000000, s0
	v_cmp_o_f32_e64 s0, v5, v5
	v_xor_b32_e32 v6, v6, v5
	v_cndmask_b32_e64 v5, -1, v6, s0
	v_xor_b32_e32 v6, s1, v5
	v_and_b32_e32 v6, s3, v6
	v_cmp_eq_u32_e64 s0, 0, v6
	s_and_b32 exec_lo, exec_lo, s0
; %bb.11:                               ;   in Loop: Header=BB193_9 Depth=1
	v_bfe_u32 v5, v5, s6, 8
	v_lshlrev_b32_e32 v5, 2, v5
	ds_add_u32 v5, v3
.LBB193_12:                             ;   in Loop: Header=BB193_9 Depth=1
	s_or_b32 exec_lo, exec_lo, s14
	v_add_nc_u32_e32 v5, 0x100, v4
	s_mov_b32 s14, exec_lo
	v_cmpx_gt_u32_e64 s7, v5
	s_cbranch_execz .LBB193_8
; %bb.13:                               ;   in Loop: Header=BB193_9 Depth=1
	v_mad_u64_u32 v[6:7], null, s4, v5, 0
	v_mad_u64_u32 v[7:8], null, s5, v5, v[7:8]
	v_lshlrev_b64 v[5:6], 2, v[6:7]
	v_add_co_u32 v5, s0, s8, v5
	v_add_co_ci_u32_e64 v6, null, s9, v6, s0
	global_load_dword v5, v[5:6], off
	s_waitcnt vmcnt(0)
	v_cmp_lt_i32_e64 s0, -1, v5
	v_cndmask_b32_e64 v6, -1, 0x80000000, s0
	v_cmp_o_f32_e64 s0, v5, v5
	v_xor_b32_e32 v6, v6, v5
	v_cndmask_b32_e64 v5, -1, v6, s0
	v_xor_b32_e32 v6, s1, v5
	v_and_b32_e32 v6, s3, v6
	v_cmp_eq_u32_e64 s0, 0, v6
	s_and_b32 exec_lo, exec_lo, s0
	s_cbranch_execz .LBB193_8
; %bb.14:                               ;   in Loop: Header=BB193_9 Depth=1
	v_bfe_u32 v5, v5, s6, 8
	v_lshlrev_b32_e32 v5, 2, v5
	ds_add_u32 v5, v3
	s_branch .LBB193_8
.LBB193_15:
	s_lshl_b32 s17, s12, 8
.LBB193_16:
	s_bitcmp0_b32 s2, 0
	s_cbranch_scc1 .LBB193_21
; %bb.17:
	v_add_nc_u32_e32 v2, s17, v2
	s_mov_b32 s2, exec_lo
	v_cmpx_gt_u32_e64 s7, v2
	s_cbranch_execz .LBB193_20
; %bb.18:
	v_mad_u64_u32 v[3:4], null, s4, v2, 0
	v_mad_u64_u32 v[4:5], null, s5, v2, v[4:5]
	v_lshlrev_b64 v[2:3], 2, v[3:4]
	v_add_co_u32 v2, s0, s8, v2
	v_add_co_ci_u32_e64 v3, null, s9, v3, s0
	global_load_dword v2, v[2:3], off
	s_waitcnt vmcnt(0)
	v_cmp_lt_i32_e64 s0, -1, v2
	v_cndmask_b32_e64 v3, -1, 0x80000000, s0
	v_cmp_o_f32_e64 s0, v2, v2
	v_xor_b32_e32 v3, v3, v2
	v_cndmask_b32_e64 v2, -1, v3, s0
	v_xor_b32_e32 v3, s1, v2
	v_and_b32_e32 v3, s3, v3
	v_cmp_eq_u32_e64 s0, 0, v3
	s_and_b32 exec_lo, exec_lo, s0
	s_cbranch_execz .LBB193_20
; %bb.19:
	v_bfe_u32 v2, v2, s6, 8
	v_mov_b32_e32 v3, 1
	v_lshlrev_b32_e32 v2, 2, v2
	ds_add_u32 v2, v3
.LBB193_20:
	s_or_b32 exec_lo, exec_lo, s2
.LBB193_21:
	s_waitcnt lgkmcnt(0)
	s_barrier
	buffer_gl0_inv
	s_and_saveexec_b32 s0, vcc_lo
	s_cbranch_execz .LBB193_23
; %bb.22:
	ds_read_b32 v2, v1
	v_lshl_or_b32 v0, s16, 8, v0
	v_mov_b32_e32 v1, 0
	v_lshlrev_b64 v[0:1], 1, v[0:1]
	v_add_co_u32 v0, vcc_lo, s10, v0
	v_add_co_ci_u32_e64 v1, null, s11, v1, vcc_lo
	s_waitcnt lgkmcnt(0)
	global_store_short v[0:1], v2, off
.LBB193_23:
	s_endpgm
	.section	.rodata,"a",@progbits
	.p2align	6, 0x0
	.amdhsa_kernel _ZN2at6native6mbtopk23computeBlockDigitCountsIfmjLi2EEEvNS_4cuda6detail10TensorInfoIKT_T0_EEjPjjS8_iijT1_PSB_Ps
		.amdhsa_group_segment_fixed_size 1024
		.amdhsa_private_segment_fixed_size 0
		.amdhsa_kernarg_size 736
		.amdhsa_user_sgpr_count 6
		.amdhsa_user_sgpr_private_segment_buffer 1
		.amdhsa_user_sgpr_dispatch_ptr 0
		.amdhsa_user_sgpr_queue_ptr 0
		.amdhsa_user_sgpr_kernarg_segment_ptr 1
		.amdhsa_user_sgpr_dispatch_id 0
		.amdhsa_user_sgpr_flat_scratch_init 0
		.amdhsa_user_sgpr_private_segment_size 0
		.amdhsa_wavefront_size32 1
		.amdhsa_uses_dynamic_stack 0
		.amdhsa_system_sgpr_private_segment_wavefront_offset 0
		.amdhsa_system_sgpr_workgroup_id_x 1
		.amdhsa_system_sgpr_workgroup_id_y 1
		.amdhsa_system_sgpr_workgroup_id_z 1
		.amdhsa_system_sgpr_workgroup_info 0
		.amdhsa_system_vgpr_workitem_id 0
		.amdhsa_next_free_vgpr 9
		.amdhsa_next_free_sgpr 25
		.amdhsa_reserve_vcc 1
		.amdhsa_reserve_flat_scratch 0
		.amdhsa_float_round_mode_32 0
		.amdhsa_float_round_mode_16_64 0
		.amdhsa_float_denorm_mode_32 3
		.amdhsa_float_denorm_mode_16_64 3
		.amdhsa_dx10_clamp 1
		.amdhsa_ieee_mode 1
		.amdhsa_fp16_overflow 0
		.amdhsa_workgroup_processor_mode 1
		.amdhsa_memory_ordered 1
		.amdhsa_forward_progress 1
		.amdhsa_shared_vgpr_count 0
		.amdhsa_exception_fp_ieee_invalid_op 0
		.amdhsa_exception_fp_denorm_src 0
		.amdhsa_exception_fp_ieee_div_zero 0
		.amdhsa_exception_fp_ieee_overflow 0
		.amdhsa_exception_fp_ieee_underflow 0
		.amdhsa_exception_fp_ieee_inexact 0
		.amdhsa_exception_int_div_zero 0
	.end_amdhsa_kernel
	.section	.text._ZN2at6native6mbtopk23computeBlockDigitCountsIfmjLi2EEEvNS_4cuda6detail10TensorInfoIKT_T0_EEjPjjS8_iijT1_PSB_Ps,"axG",@progbits,_ZN2at6native6mbtopk23computeBlockDigitCountsIfmjLi2EEEvNS_4cuda6detail10TensorInfoIKT_T0_EEjPjjS8_iijT1_PSB_Ps,comdat
.Lfunc_end193:
	.size	_ZN2at6native6mbtopk23computeBlockDigitCountsIfmjLi2EEEvNS_4cuda6detail10TensorInfoIKT_T0_EEjPjjS8_iijT1_PSB_Ps, .Lfunc_end193-_ZN2at6native6mbtopk23computeBlockDigitCountsIfmjLi2EEEvNS_4cuda6detail10TensorInfoIKT_T0_EEjPjjS8_iijT1_PSB_Ps
                                        ; -- End function
	.set _ZN2at6native6mbtopk23computeBlockDigitCountsIfmjLi2EEEvNS_4cuda6detail10TensorInfoIKT_T0_EEjPjjS8_iijT1_PSB_Ps.num_vgpr, 9
	.set _ZN2at6native6mbtopk23computeBlockDigitCountsIfmjLi2EEEvNS_4cuda6detail10TensorInfoIKT_T0_EEjPjjS8_iijT1_PSB_Ps.num_agpr, 0
	.set _ZN2at6native6mbtopk23computeBlockDigitCountsIfmjLi2EEEvNS_4cuda6detail10TensorInfoIKT_T0_EEjPjjS8_iijT1_PSB_Ps.numbered_sgpr, 25
	.set _ZN2at6native6mbtopk23computeBlockDigitCountsIfmjLi2EEEvNS_4cuda6detail10TensorInfoIKT_T0_EEjPjjS8_iijT1_PSB_Ps.num_named_barrier, 0
	.set _ZN2at6native6mbtopk23computeBlockDigitCountsIfmjLi2EEEvNS_4cuda6detail10TensorInfoIKT_T0_EEjPjjS8_iijT1_PSB_Ps.private_seg_size, 0
	.set _ZN2at6native6mbtopk23computeBlockDigitCountsIfmjLi2EEEvNS_4cuda6detail10TensorInfoIKT_T0_EEjPjjS8_iijT1_PSB_Ps.uses_vcc, 1
	.set _ZN2at6native6mbtopk23computeBlockDigitCountsIfmjLi2EEEvNS_4cuda6detail10TensorInfoIKT_T0_EEjPjjS8_iijT1_PSB_Ps.uses_flat_scratch, 0
	.set _ZN2at6native6mbtopk23computeBlockDigitCountsIfmjLi2EEEvNS_4cuda6detail10TensorInfoIKT_T0_EEjPjjS8_iijT1_PSB_Ps.has_dyn_sized_stack, 0
	.set _ZN2at6native6mbtopk23computeBlockDigitCountsIfmjLi2EEEvNS_4cuda6detail10TensorInfoIKT_T0_EEjPjjS8_iijT1_PSB_Ps.has_recursion, 0
	.set _ZN2at6native6mbtopk23computeBlockDigitCountsIfmjLi2EEEvNS_4cuda6detail10TensorInfoIKT_T0_EEjPjjS8_iijT1_PSB_Ps.has_indirect_call, 0
	.section	.AMDGPU.csdata,"",@progbits
; Kernel info:
; codeLenInByte = 1172
; TotalNumSgprs: 27
; NumVgprs: 9
; ScratchSize: 0
; MemoryBound: 0
; FloatMode: 240
; IeeeMode: 1
; LDSByteSize: 1024 bytes/workgroup (compile time only)
; SGPRBlocks: 0
; VGPRBlocks: 1
; NumSGPRsForWavesPerEU: 27
; NumVGPRsForWavesPerEU: 9
; Occupancy: 16
; WaveLimiterHint : 1
; COMPUTE_PGM_RSRC2:SCRATCH_EN: 0
; COMPUTE_PGM_RSRC2:USER_SGPR: 6
; COMPUTE_PGM_RSRC2:TRAP_HANDLER: 0
; COMPUTE_PGM_RSRC2:TGID_X_EN: 1
; COMPUTE_PGM_RSRC2:TGID_Y_EN: 1
; COMPUTE_PGM_RSRC2:TGID_Z_EN: 1
; COMPUTE_PGM_RSRC2:TIDIG_COMP_CNT: 0
	.section	.text._ZN2at6native6mbtopk10gatherTopKIfmLi2EEEvNS_4cuda6detail10TensorInfoIKT_T0_EES8_S8_bjS8_NS5_IS6_S8_EES8_NS5_IlS8_EES8_jjPS6_PjSD_j,"axG",@progbits,_ZN2at6native6mbtopk10gatherTopKIfmLi2EEEvNS_4cuda6detail10TensorInfoIKT_T0_EES8_S8_bjS8_NS5_IS6_S8_EES8_NS5_IlS8_EES8_jjPS6_PjSD_j,comdat
	.protected	_ZN2at6native6mbtopk10gatherTopKIfmLi2EEEvNS_4cuda6detail10TensorInfoIKT_T0_EES8_S8_bjS8_NS5_IS6_S8_EES8_NS5_IlS8_EES8_jjPS6_PjSD_j ; -- Begin function _ZN2at6native6mbtopk10gatherTopKIfmLi2EEEvNS_4cuda6detail10TensorInfoIKT_T0_EES8_S8_bjS8_NS5_IS6_S8_EES8_NS5_IlS8_EES8_jjPS6_PjSD_j
	.globl	_ZN2at6native6mbtopk10gatherTopKIfmLi2EEEvNS_4cuda6detail10TensorInfoIKT_T0_EES8_S8_bjS8_NS5_IS6_S8_EES8_NS5_IlS8_EES8_jjPS6_PjSD_j
	.p2align	8
	.type	_ZN2at6native6mbtopk10gatherTopKIfmLi2EEEvNS_4cuda6detail10TensorInfoIKT_T0_EES8_S8_bjS8_NS5_IS6_S8_EES8_NS5_IlS8_EES8_jjPS6_PjSD_j,@function
_ZN2at6native6mbtopk10gatherTopKIfmLi2EEEvNS_4cuda6detail10TensorInfoIKT_T0_EES8_S8_bjS8_NS5_IS6_S8_EES8_NS5_IlS8_EES8_jjPS6_PjSD_j: ; @_ZN2at6native6mbtopk10gatherTopKIfmLi2EEEvNS_4cuda6detail10TensorInfoIKT_T0_EES8_S8_bjS8_NS5_IS6_S8_EES8_NS5_IlS8_EES8_jjPS6_PjSD_j
; %bb.0:
	s_clause 0x1
	s_load_dwordx2 s[0:1], s[4:5], 0x538
	s_load_dword s2, s[4:5], 0x530
	s_waitcnt lgkmcnt(0)
	s_mul_i32 s1, s1, s8
	s_add_i32 s1, s1, s7
	s_mul_i32 s0, s1, s0
	s_add_i32 s0, s0, s6
	s_cmp_ge_u32 s0, s2
	s_cbranch_scc1 .LBB194_48
; %bb.1:
	s_clause 0x3
	s_load_dwordx2 s[6:7], s[4:5], 0x510
	s_load_dwordx2 s[38:39], s[4:5], 0x1d0
	s_load_dwordx4 s[8:11], s[4:5], 0x1a0
	s_load_dwordx2 s[36:37], s[4:5], 0x10
	s_mov_b32 s35, 0
	s_waitcnt lgkmcnt(0)
	v_cvt_f32_u32_e32 v1, s7
	s_sub_i32 s2, 0, s7
	s_lshl_b32 s33, s6, 8
	v_rcp_iflag_f32_e32 v1, v1
	v_mul_f32_e32 v1, 0x4f7ffffe, v1
	v_cvt_u32_f32_e32 v1, v1
	v_readfirstlane_b32 s1, v1
	s_mul_i32 s2, s2, s1
	s_mul_hi_u32 s2, s1, s2
	s_add_i32 s1, s1, s2
	s_mul_hi_u32 s1, s0, s1
	s_mul_i32 s2, s1, s7
	s_add_i32 s3, s1, 1
	s_sub_i32 s2, s0, s2
	s_sub_i32 s12, s2, s7
	s_cmp_ge_u32 s2, s7
	s_cselect_b32 s1, s3, s1
	s_cselect_b32 s2, s12, s2
	s_add_i32 s3, s1, 1
	s_cmp_ge_u32 s2, s7
	s_cselect_b32 s34, s3, s1
	s_mul_i32 s16, s34, s7
	s_sub_i32 s50, s0, s16
	s_add_i32 s0, s50, 1
	s_cmp_lt_u32 s0, s7
	s_cbranch_scc1 .LBB194_3
; %bb.2:
	s_mul_i32 s0, s50, s33
	s_sub_u32 s0, s8, s0
	s_subb_u32 s1, s9, 0
	s_add_u32 s0, s0, 0xff
	s_addc_u32 s1, s1, 0
	s_ashr_i32 s2, s1, 31
	s_lshr_b32 s2, s2, 24
	s_add_u32 s0, s0, s2
	s_addc_u32 s1, s1, 0
	s_lshr_b64 s[0:1], s[0:1], 8
	s_mov_b32 s6, s0
.LBB194_3:
	s_load_dwordx2 s[40:41], s[4:5], 0x378
	v_cmp_lt_u64_e64 s0, s[34:35], s[36:37]
	s_mov_b64 s[42:43], 0
	s_mov_b64 s[44:45], 0
	s_and_b32 vcc_lo, exec_lo, s0
	s_cbranch_vccz .LBB194_20
; %bb.4:
	v_cmp_lt_u64_e64 s0, s[34:35], s[38:39]
	s_and_b32 vcc_lo, exec_lo, s0
	s_cbranch_vccz .LBB194_21
.LBB194_5:
	s_waitcnt lgkmcnt(0)
	v_cmp_lt_u64_e64 s0, s[34:35], s[40:41]
	s_mov_b64 s[46:47], 0
	s_and_b32 vcc_lo, exec_lo, s0
	s_cbranch_vccnz .LBB194_7
.LBB194_6:
	v_cvt_f32_u32_e32 v1, s40
	s_sub_i32 s1, 0, s40
	v_rcp_iflag_f32_e32 v1, v1
	v_mul_f32_e32 v1, 0x4f7ffffe, v1
	v_cvt_u32_f32_e32 v1, v1
	v_readfirstlane_b32 s0, v1
	s_mul_i32 s1, s1, s0
	s_mul_hi_u32 s1, s0, s1
	s_add_i32 s0, s0, s1
	s_mul_hi_u32 s0, s34, s0
	s_mul_i32 s1, s0, s40
	s_add_i32 s2, s0, 1
	s_sub_i32 s1, s34, s1
	s_sub_i32 s3, s1, s40
	s_cmp_ge_u32 s1, s40
	s_cselect_b32 s0, s2, s0
	s_cselect_b32 s1, s3, s1
	s_add_i32 s2, s0, 1
	s_cmp_ge_u32 s1, s40
	s_cselect_b32 s46, s2, s0
.LBB194_7:
	s_load_dwordx4 s[0:3], s[4:5], 0x518
	s_lshl_b64 s[12:13], s[34:35], 2
	s_mov_b32 s17, 0
	s_waitcnt lgkmcnt(0)
	s_add_u32 s0, s0, s12
	s_addc_u32 s1, s1, s13
	s_load_dwordx2 s[48:49], s[4:5], 0x0
	s_load_dword s35, s[0:1], 0x0
	v_cmp_ne_u32_e64 s0, 0, v0
	v_cmp_eq_u32_e64 s1, 0, v0
	s_and_saveexec_b32 s24, s1
	s_cbranch_execz .LBB194_25
; %bb.8:
	s_load_dwordx2 s[18:19], s[4:5], 0x528
	s_lshl_b64 s[20:21], s[16:17], 2
	s_mov_b32 s16, 0
	s_add_u32 s12, s2, s20
	s_addc_u32 s13, s3, s21
	s_mov_b32 s25, 0
	s_waitcnt lgkmcnt(0)
	s_add_u32 s14, s18, s20
	s_addc_u32 s15, s19, s21
	s_cmp_lt_u32 s7, 4
	s_cbranch_scc1 .LBB194_22
; %bb.9:
	s_mov_b32 s26, 0
.LBB194_10:                             ; =>This Inner Loop Header: Depth=1
	s_add_u32 s12, s2, s20
	s_addc_u32 s13, s3, s21
	s_add_u32 s22, s18, s20
	s_load_dwordx4 s[12:15], s[12:13], 0x0
	s_addc_u32 s23, s19, s21
	s_cmp_ge_u32 s26, s50
	s_cbranch_scc0 .LBB194_17
; %bb.11:                               ;   in Loop: Header=BB194_10 Depth=1
	s_add_i32 s27, s26, 1
	s_cmp_ge_u32 s27, s50
	s_cbranch_scc0 .LBB194_18
.LBB194_12:                             ;   in Loop: Header=BB194_10 Depth=1
	s_add_i32 s27, s27, 1
	s_cmp_ge_u32 s27, s50
	s_cbranch_scc0 .LBB194_19
.LBB194_13:                             ;   in Loop: Header=BB194_10 Depth=1
	s_add_i32 s27, s27, 1
	s_cmp_ge_u32 s27, s50
	s_cbranch_scc1 .LBB194_15
.LBB194_14:                             ;   in Loop: Header=BB194_10 Depth=1
	s_load_dword s22, s[22:23], 0xc
	s_waitcnt lgkmcnt(0)
	s_add_i32 s17, s17, s15
	s_add_i32 s16, s22, s16
.LBB194_15:                             ;   in Loop: Header=BB194_10 Depth=1
	s_waitcnt lgkmcnt(0)
	s_add_i32 s12, s12, s25
	s_add_i32 s12, s12, s13
	;; [unrolled: 1-line block ×4, first 2 shown]
	s_add_u32 s2, s2, 16
	s_addc_u32 s3, s3, 0
	s_add_u32 s18, s18, 16
	s_addc_u32 s19, s19, 0
	s_add_i32 s23, s27, 4
	s_add_u32 s14, s18, s20
	s_addc_u32 s15, s19, s21
	s_add_u32 s12, s2, s20
	s_addc_u32 s13, s3, s21
	s_add_i32 s22, s27, 1
	s_cmp_ge_u32 s23, s7
	s_cbranch_scc1 .LBB194_23
; %bb.16:                               ;   in Loop: Header=BB194_10 Depth=1
	s_mov_b32 s26, s22
	s_branch .LBB194_10
.LBB194_17:                             ;   in Loop: Header=BB194_10 Depth=1
	s_load_dword s27, s[22:23], 0x0
	s_waitcnt lgkmcnt(0)
	s_add_i32 s17, s12, s17
	s_add_i32 s16, s27, s16
	;; [unrolled: 1-line block ×3, first 2 shown]
	s_cmp_ge_u32 s27, s50
	s_cbranch_scc1 .LBB194_12
.LBB194_18:                             ;   in Loop: Header=BB194_10 Depth=1
	s_load_dword s28, s[22:23], 0x4
	s_waitcnt lgkmcnt(0)
	s_add_i32 s17, s17, s13
	s_add_i32 s16, s28, s16
	;; [unrolled: 1-line block ×3, first 2 shown]
	s_cmp_ge_u32 s27, s50
	s_cbranch_scc1 .LBB194_13
.LBB194_19:                             ;   in Loop: Header=BB194_10 Depth=1
	s_load_dword s28, s[22:23], 0x8
	s_waitcnt lgkmcnt(0)
	s_add_i32 s17, s17, s14
	s_add_i32 s16, s28, s16
	;; [unrolled: 1-line block ×3, first 2 shown]
	s_cmp_ge_u32 s27, s50
	s_cbranch_scc0 .LBB194_14
	s_branch .LBB194_15
.LBB194_20:
	v_cvt_f32_u32_e32 v1, s36
	s_sub_i32 s1, 0, s36
	v_rcp_iflag_f32_e32 v1, v1
	v_mul_f32_e32 v1, 0x4f7ffffe, v1
	v_cvt_u32_f32_e32 v1, v1
	v_readfirstlane_b32 s0, v1
	s_mul_i32 s1, s1, s0
	s_mul_hi_u32 s1, s0, s1
	s_add_i32 s0, s0, s1
	s_mul_hi_u32 s0, s34, s0
	s_mul_i32 s1, s0, s36
	s_add_i32 s2, s0, 1
	s_sub_i32 s1, s34, s1
	s_sub_i32 s3, s1, s36
	s_cmp_ge_u32 s1, s36
	s_cselect_b32 s0, s2, s0
	s_cselect_b32 s1, s3, s1
	s_add_i32 s2, s0, 1
	s_cmp_ge_u32 s1, s36
	s_cselect_b32 s44, s2, s0
	v_cmp_lt_u64_e64 s0, s[34:35], s[38:39]
	s_and_b32 vcc_lo, exec_lo, s0
	s_cbranch_vccnz .LBB194_5
.LBB194_21:
	v_cvt_f32_u32_e32 v1, s38
	s_sub_i32 s1, 0, s38
	v_rcp_iflag_f32_e32 v1, v1
	v_mul_f32_e32 v1, 0x4f7ffffe, v1
	v_cvt_u32_f32_e32 v1, v1
	v_readfirstlane_b32 s0, v1
	s_mul_i32 s1, s1, s0
	s_mul_hi_u32 s1, s0, s1
	s_add_i32 s0, s0, s1
	s_mul_hi_u32 s0, s34, s0
	s_mul_i32 s1, s0, s38
	s_add_i32 s2, s0, 1
	s_sub_i32 s1, s34, s1
	s_sub_i32 s3, s1, s38
	s_cmp_ge_u32 s1, s38
	s_cselect_b32 s0, s2, s0
	s_cselect_b32 s1, s3, s1
	s_add_i32 s2, s0, 1
	s_cmp_ge_u32 s1, s38
	s_cselect_b32 s42, s2, s0
	s_waitcnt lgkmcnt(0)
	v_cmp_lt_u64_e64 s0, s[34:35], s[40:41]
	s_mov_b64 s[46:47], 0
	s_and_b32 vcc_lo, exec_lo, s0
	s_cbranch_vccz .LBB194_6
	s_branch .LBB194_7
.LBB194_22:
	s_mov_b32 s2, 0
	s_cmp_ge_u32 s2, s7
	s_cbranch_scc0 .LBB194_46
	s_branch .LBB194_24
.LBB194_23:
	s_add_i32 s2, s26, 4
	s_cmp_ge_u32 s2, s7
	s_cbranch_scc0 .LBB194_46
.LBB194_24:
	v_mov_b32_e32 v1, s16
	v_mov_b32_e32 v2, s25
	;; [unrolled: 1-line block ×4, first 2 shown]
	ds_write_b96 v4, v[1:3] offset:1056
.LBB194_25:
	s_or_b32 exec_lo, exec_lo, s24
	s_clause 0x4
	s_load_dwordx4 s[12:15], s[4:5], 0x1b8
	s_load_dwordx4 s[28:31], s[4:5], 0xd0
	s_load_dwordx4 s[16:19], s[4:5], 0x360
	s_load_dwordx4 s[24:27], s[4:5], 0x290
	s_load_dwordx4 s[20:23], s[4:5], 0x438
	s_cmp_eq_u32 s6, 0
	s_waitcnt lgkmcnt(0)
	s_barrier
	buffer_gl0_inv
	s_cbranch_scc1 .LBB194_48
; %bb.26:
	s_mul_i32 s2, s42, s39
	s_mul_hi_u32 s3, s42, s38
	s_mul_i32 s7, s42, s38
	s_add_i32 s3, s3, s2
	s_sub_u32 s2, s34, s7
	s_subb_u32 s3, 0, s3
	s_mul_i32 s7, s2, s27
	s_mul_hi_u32 s27, s2, s26
	s_mul_i32 s3, s3, s26
	s_add_i32 s7, s27, s7
	s_mul_i32 s25, s42, s25
	s_mul_hi_u32 s27, s42, s24
	s_add_i32 s3, s7, s3
	s_add_i32 s25, s27, s25
	s_mul_i32 s7, s44, s37
	s_mul_hi_u32 s27, s44, s36
	s_mul_i32 s36, s44, s36
	s_add_i32 s27, s27, s7
	s_sub_u32 s7, s34, s36
	s_mul_i32 s2, s2, s26
	s_mul_i32 s26, s7, s31
	s_mul_hi_u32 s31, s7, s30
	s_subb_u32 s27, 0, s27
	s_add_i32 s26, s31, s26
	s_mul_i32 s27, s27, s30
	s_mul_i32 s29, s44, s29
	s_mul_hi_u32 s31, s44, s28
	s_add_i32 s27, s26, s27
	s_add_i32 s29, s31, s29
	s_mul_i32 s26, s46, s41
	s_mul_hi_u32 s31, s46, s40
	s_mul_i32 s36, s46, s40
	s_add_i32 s31, s31, s26
	s_sub_u32 s34, s34, s36
	s_mul_i32 s26, s7, s30
	s_mul_i32 s7, s34, s23
	s_mul_hi_u32 s23, s34, s22
	s_subb_u32 s30, 0, s31
	v_mov_b32_e32 v5, 0
	s_add_i32 s7, s23, s7
	s_mul_i32 s30, s30, s22
	s_mul_i32 s28, s44, s28
	s_add_i32 s23, s7, s30
	s_mul_i32 s7, s46, s21
	s_mul_hi_u32 s21, s46, s20
	s_lshl_b64 s[28:29], s[28:29], 2
	s_add_i32 s31, s21, s7
	ds_read_b96 v[1:3], v5 offset:1056
	s_add_u32 s7, s48, s28
	s_addc_u32 s21, s49, s29
	s_lshl_b64 s[26:27], s[26:27], 2
	s_mul_i32 s24, s42, s24
	s_add_u32 s7, s7, s26
	s_addc_u32 s21, s21, s27
	s_lshl_b64 s[24:25], s[24:25], 2
	s_mul_i32 s30, s46, s20
	;; [unrolled: 4-line block ×3, first 2 shown]
	s_add_u32 s14, s14, s2
	s_addc_u32 s15, s15, s3
	s_lshl_b64 s[2:3], s[30:31], 3
	v_add_nc_u32_e32 v4, -1, v0
	s_add_u32 s18, s18, s2
	s_addc_u32 s19, s19, s3
	s_lshl_b64 s[2:3], s[22:23], 3
	s_clause 0x1
	s_load_dword s22, s[4:5], 0x1b0
	s_load_dwordx2 s[4:5], s[4:5], 0x508
	v_lshrrev_b32_e32 v6, 3, v0
	v_lshrrev_b32_e32 v7, 3, v4
	s_waitcnt lgkmcnt(0)
	v_add_nc_u32_e32 v1, v1, v2
	s_add_u32 s18, s18, s2
	s_addc_u32 s19, s19, s3
	v_and_b32_e32 v2, 28, v6
	v_and_b32_e32 v12, 0x1ffffffc, v7
	v_mad_u64_u32 v[6:7], null, s50, s33, v[0:1]
	s_cmp_gt_i32 s35, -1
	v_cmp_o_f32_e64 s2, s35, s35
	v_and_b32_e32 v10, 0xfc, v0
	v_lshlrev_b32_e32 v11, 5, v0
	v_mbcnt_lo_u32_b32 v8, -1, 0
	s_cselect_b32 s3, 0x80000000, -1
	v_lshl_add_u32 v9, v0, 2, v2
	s_xor_b32 s3, s3, s35
	s_and_b32 s2, s2, exec_lo
	v_cmp_gt_u32_e64 s2, 32, v0
	v_lshl_add_u32 v0, v4, 2, v12
	v_add_nc_u32_e32 v10, v10, v11
	v_and_b32_e32 v11, 15, v8
	v_bfe_i32 v12, v8, 4, 1
	v_add_nc_u32_e32 v13, -1, v8
	v_mov_b32_e32 v4, v6
	s_cselect_b32 s20, s3, -1
	s_bitcmp1_b32 s22, 0
                                        ; implicit-def: $vgpr14
	s_cselect_b32 s3, -1, 0
	s_branch .LBB194_29
.LBB194_27:                             ;   in Loop: Header=BB194_29 Depth=1
	s_or_b32 exec_lo, exec_lo, s22
	v_add_nc_u32_e32 v1, v2, v1
.LBB194_28:                             ;   in Loop: Header=BB194_29 Depth=1
	v_add_nc_u32_e32 v3, v15, v3
	v_add_nc_u32_e32 v4, 0x100, v4
	s_add_i32 s6, s6, -1
	s_cmp_lg_u32 s6, 0
	s_cbranch_scc0 .LBB194_48
.LBB194_29:                             ; =>This Inner Loop Header: Depth=1
	v_mov_b32_e32 v2, v5
	v_mov_b32_e32 v6, v5
	s_mov_b32 s22, exec_lo
	v_cmpx_gt_u64_e64 s[8:9], v[4:5]
	s_cbranch_execz .LBB194_31
; %bb.30:                               ;   in Loop: Header=BB194_29 Depth=1
	v_mad_u64_u32 v[6:7], null, s12, v4, 0
	v_mov_b32_e32 v2, v7
	v_mad_u64_u32 v[14:15], null, s13, v4, v[2:3]
	v_mov_b32_e32 v7, v14
	v_lshlrev_b64 v[6:7], 2, v[6:7]
	v_add_co_u32 v6, vcc_lo, s7, v6
	v_add_co_ci_u32_e64 v7, null, s21, v7, vcc_lo
	global_load_dword v14, v[6:7], off
	s_waitcnt vmcnt(0)
	v_cmp_lt_i32_e32 vcc_lo, -1, v14
	v_cndmask_b32_e64 v2, -1, 0x80000000, vcc_lo
	v_cmp_o_f32_e32 vcc_lo, v14, v14
	v_xor_b32_e32 v2, v2, v14
	v_cndmask_b32_e32 v6, -1, v2, vcc_lo
	v_cmp_lt_u32_e32 vcc_lo, s20, v6
	v_cndmask_b32_e64 v2, 0, 1, vcc_lo
	v_cmp_gt_u32_e32 vcc_lo, s20, v6
	v_cndmask_b32_e64 v7, 0, 1, vcc_lo
	v_cmp_eq_u32_e32 vcc_lo, s20, v6
	v_cndmask_b32_e64 v2, v7, v2, s3
	v_cndmask_b32_e64 v6, 0, 1, vcc_lo
	v_and_b32_e32 v2, 1, v2
.LBB194_31:                             ;   in Loop: Header=BB194_29 Depth=1
	s_or_b32 exec_lo, exec_lo, s22
	ds_write_b32 v9, v2
	s_waitcnt lgkmcnt(0)
	s_barrier
	buffer_gl0_inv
	s_and_saveexec_b32 s22, s2
	s_cbranch_execz .LBB194_33
; %bb.32:                               ;   in Loop: Header=BB194_29 Depth=1
	ds_read2_b32 v[15:16], v10 offset1:1
	ds_read2_b32 v[17:18], v10 offset0:2 offset1:3
	ds_read2_b32 v[19:20], v10 offset0:4 offset1:5
	;; [unrolled: 1-line block ×3, first 2 shown]
	v_cmp_ne_u32_e32 vcc_lo, 0, v11
	; wave barrier
	s_waitcnt lgkmcnt(3)
	v_add_nc_u32_e32 v7, v16, v15
	s_waitcnt lgkmcnt(2)
	v_add3_u32 v7, v7, v17, v18
	s_waitcnt lgkmcnt(1)
	v_add3_u32 v7, v7, v19, v20
	;; [unrolled: 2-line block ×3, first 2 shown]
	v_mov_b32_dpp v16, v7 row_shr:1 row_mask:0xf bank_mask:0xf
	v_cndmask_b32_e32 v16, 0, v16, vcc_lo
	v_cmp_lt_u32_e32 vcc_lo, 1, v11
	v_add_nc_u32_e32 v7, v16, v7
	v_mov_b32_dpp v16, v7 row_shr:2 row_mask:0xf bank_mask:0xf
	v_cndmask_b32_e32 v16, 0, v16, vcc_lo
	v_cmp_lt_u32_e32 vcc_lo, 3, v11
	v_add_nc_u32_e32 v7, v7, v16
	;; [unrolled: 4-line block ×3, first 2 shown]
	v_mov_b32_dpp v16, v7 row_shr:8 row_mask:0xf bank_mask:0xf
	v_cndmask_b32_e32 v16, 0, v16, vcc_lo
	v_cmp_gt_i32_e32 vcc_lo, 0, v13
	v_add_nc_u32_e32 v7, v7, v16
	v_cndmask_b32_e32 v17, v13, v8, vcc_lo
	ds_swizzle_b32 v16, v7 offset:swizzle(BROADCAST,32,15)
	v_lshlrev_b32_e32 v17, 2, v17
	s_waitcnt lgkmcnt(0)
	v_and_b32_e32 v16, v12, v16
	v_add_nc_u32_e32 v7, v7, v16
	ds_bpermute_b32 v7, v17, v7
	s_waitcnt lgkmcnt(0)
	v_add_nc_u32_e32 v7, v7, v15
	v_cndmask_b32_e64 v7, v7, v2, s1
	ds_write_b32 v10, v7
	; wave barrier
	ds_read2_b32 v[15:16], v10 offset0:1 offset1:2
	ds_read2_b32 v[17:18], v10 offset0:3 offset1:4
	;; [unrolled: 1-line block ×3, first 2 shown]
	ds_read_b32 v21, v10 offset:28
	s_waitcnt lgkmcnt(3)
	v_add_nc_u32_e32 v7, v15, v7
	v_add_nc_u32_e32 v15, v16, v7
	s_waitcnt lgkmcnt(2)
	v_add_nc_u32_e32 v16, v17, v15
	v_add_nc_u32_e32 v17, v18, v16
	s_waitcnt lgkmcnt(1)
	v_add_nc_u32_e32 v18, v19, v17
	v_add_nc_u32_e32 v19, v20, v18
	s_waitcnt lgkmcnt(0)
	v_add_nc_u32_e32 v20, v21, v19
	ds_write2_b32 v10, v7, v15 offset0:1 offset1:2
	ds_write2_b32 v10, v16, v17 offset0:3 offset1:4
	;; [unrolled: 1-line block ×3, first 2 shown]
	ds_write_b32 v10, v20 offset:28
.LBB194_33:                             ;   in Loop: Header=BB194_29 Depth=1
	s_or_b32 exec_lo, exec_lo, s22
	v_mov_b32_e32 v7, 0
	s_waitcnt lgkmcnt(0)
	s_barrier
	buffer_gl0_inv
	s_and_saveexec_b32 s22, s0
; %bb.34:                               ;   in Loop: Header=BB194_29 Depth=1
	ds_read_b32 v7, v0
; %bb.35:                               ;   in Loop: Header=BB194_29 Depth=1
	s_or_b32 exec_lo, exec_lo, s22
	ds_read_b32 v15, v5 offset:1048
	s_mov_b32 s22, exec_lo
	s_waitcnt lgkmcnt(0)
	s_barrier
	buffer_gl0_inv
	v_cmpx_ne_u32_e32 0, v2
	s_cbranch_execz .LBB194_37
; %bb.36:                               ;   in Loop: Header=BB194_29 Depth=1
	v_add_nc_u32_e32 v21, v7, v3
	v_mad_u64_u32 v[16:17], null, s16, v21, 0
	v_mad_u64_u32 v[18:19], null, s4, v21, 0
	v_mov_b32_e32 v2, v17
	v_mov_b32_e32 v7, v19
	v_mad_u64_u32 v[19:20], null, s17, v21, v[2:3]
	v_mad_u64_u32 v[20:21], null, s5, v21, v[7:8]
	v_mov_b32_e32 v17, v19
	v_mov_b32_e32 v19, v20
	v_lshlrev_b64 v[16:17], 2, v[16:17]
	v_lshlrev_b64 v[18:19], 3, v[18:19]
	v_add_co_u32 v16, vcc_lo, s14, v16
	v_add_co_ci_u32_e64 v17, null, s15, v17, vcc_lo
	v_add_co_u32 v18, vcc_lo, s18, v18
	v_add_co_ci_u32_e64 v19, null, s19, v19, vcc_lo
	global_store_dword v[16:17], v14, off
	global_store_dwordx2 v[18:19], v[4:5], off
.LBB194_37:                             ;   in Loop: Header=BB194_29 Depth=1
	s_or_b32 exec_lo, exec_lo, s22
	v_mov_b32_e32 v2, v5
	v_cmp_le_u64_e32 vcc_lo, s[10:11], v[1:2]
	s_cbranch_vccnz .LBB194_28
; %bb.38:                               ;   in Loop: Header=BB194_29 Depth=1
	ds_write_b32 v9, v6
	s_waitcnt lgkmcnt(0)
	s_waitcnt_vscnt null, 0x0
	s_barrier
	buffer_gl0_inv
	s_and_saveexec_b32 s22, s2
	s_cbranch_execz .LBB194_40
; %bb.39:                               ;   in Loop: Header=BB194_29 Depth=1
	ds_read2_b32 v[16:17], v10 offset1:1
	ds_read2_b32 v[18:19], v10 offset0:2 offset1:3
	ds_read2_b32 v[20:21], v10 offset0:4 offset1:5
	ds_read2_b32 v[22:23], v10 offset0:6 offset1:7
	v_cmp_ne_u32_e32 vcc_lo, 0, v11
	; wave barrier
	s_waitcnt lgkmcnt(3)
	v_add_nc_u32_e32 v2, v17, v16
	s_waitcnt lgkmcnt(2)
	v_add3_u32 v2, v2, v18, v19
	s_waitcnt lgkmcnt(1)
	v_add3_u32 v2, v2, v20, v21
	;; [unrolled: 2-line block ×3, first 2 shown]
	v_mov_b32_dpp v7, v2 row_shr:1 row_mask:0xf bank_mask:0xf
	v_cndmask_b32_e32 v7, 0, v7, vcc_lo
	v_cmp_lt_u32_e32 vcc_lo, 1, v11
	v_add_nc_u32_e32 v2, v7, v2
	v_mov_b32_dpp v7, v2 row_shr:2 row_mask:0xf bank_mask:0xf
	v_cndmask_b32_e32 v7, 0, v7, vcc_lo
	v_cmp_lt_u32_e32 vcc_lo, 3, v11
	v_add_nc_u32_e32 v2, v2, v7
	;; [unrolled: 4-line block ×3, first 2 shown]
	v_mov_b32_dpp v7, v2 row_shr:8 row_mask:0xf bank_mask:0xf
	v_cndmask_b32_e32 v7, 0, v7, vcc_lo
	v_cmp_gt_i32_e32 vcc_lo, 0, v13
	v_add_nc_u32_e32 v2, v2, v7
	v_cndmask_b32_e32 v17, v13, v8, vcc_lo
	ds_swizzle_b32 v7, v2 offset:swizzle(BROADCAST,32,15)
	v_lshlrev_b32_e32 v17, 2, v17
	s_waitcnt lgkmcnt(0)
	v_and_b32_e32 v7, v12, v7
	v_add_nc_u32_e32 v2, v2, v7
	ds_bpermute_b32 v2, v17, v2
	s_waitcnt lgkmcnt(0)
	v_add_nc_u32_e32 v2, v2, v16
	v_cndmask_b32_e64 v2, v2, v6, s1
	ds_write_b32 v10, v2
	; wave barrier
	ds_read2_b32 v[16:17], v10 offset0:1 offset1:2
	ds_read2_b32 v[18:19], v10 offset0:3 offset1:4
	;; [unrolled: 1-line block ×3, first 2 shown]
	ds_read_b32 v7, v10 offset:28
	s_waitcnt lgkmcnt(3)
	v_add_nc_u32_e32 v2, v16, v2
	v_add_nc_u32_e32 v16, v17, v2
	s_waitcnt lgkmcnt(2)
	v_add_nc_u32_e32 v17, v18, v16
	v_add_nc_u32_e32 v18, v19, v17
	;; [unrolled: 3-line block ×3, first 2 shown]
	s_waitcnt lgkmcnt(0)
	v_add_nc_u32_e32 v7, v7, v20
	ds_write2_b32 v10, v2, v16 offset0:1 offset1:2
	ds_write2_b32 v10, v17, v18 offset0:3 offset1:4
	ds_write2_b32 v10, v19, v20 offset0:5 offset1:6
	ds_write_b32 v10, v7 offset:28
.LBB194_40:                             ;   in Loop: Header=BB194_29 Depth=1
	s_or_b32 exec_lo, exec_lo, s22
	v_mov_b32_e32 v7, 0
	s_waitcnt lgkmcnt(0)
	s_barrier
	buffer_gl0_inv
	s_and_saveexec_b32 s22, s0
; %bb.41:                               ;   in Loop: Header=BB194_29 Depth=1
	ds_read_b32 v7, v0
; %bb.42:                               ;   in Loop: Header=BB194_29 Depth=1
	s_or_b32 exec_lo, exec_lo, s22
	ds_read_b32 v2, v5 offset:1048
	s_mov_b32 s22, exec_lo
	s_waitcnt lgkmcnt(0)
	s_barrier
	buffer_gl0_inv
	v_cmpx_ne_u32_e32 0, v6
	s_cbranch_execz .LBB194_27
; %bb.43:                               ;   in Loop: Header=BB194_29 Depth=1
	v_add_nc_u32_e32 v6, v7, v1
	v_mov_b32_e32 v7, v5
	v_cmp_gt_u64_e32 vcc_lo, s[10:11], v[6:7]
	s_and_b32 exec_lo, exec_lo, vcc_lo
	s_cbranch_execz .LBB194_27
; %bb.44:                               ;   in Loop: Header=BB194_29 Depth=1
	v_mad_u64_u32 v[16:17], null, s16, v6, 0
	v_mad_u64_u32 v[18:19], null, s4, v6, 0
	v_mov_b32_e32 v7, v17
	v_mov_b32_e32 v17, v19
	v_mad_u64_u32 v[19:20], null, s17, v6, v[7:8]
	v_mad_u64_u32 v[6:7], null, s5, v6, v[17:18]
	v_mov_b32_e32 v17, v19
	v_mov_b32_e32 v19, v6
	v_lshlrev_b64 v[6:7], 2, v[16:17]
	v_lshlrev_b64 v[16:17], 3, v[18:19]
	v_add_co_u32 v6, vcc_lo, s14, v6
	v_add_co_ci_u32_e64 v7, null, s15, v7, vcc_lo
	v_add_co_u32 v16, vcc_lo, s18, v16
	v_add_co_ci_u32_e64 v17, null, s19, v17, vcc_lo
	global_store_dword v[6:7], v14, off
	global_store_dwordx2 v[16:17], v[4:5], off
	s_branch .LBB194_27
	.p2align	6
.LBB194_45:                             ;   in Loop: Header=BB194_46 Depth=1
	s_add_u32 s12, s12, 4
	s_addc_u32 s13, s13, 0
	s_waitcnt lgkmcnt(0)
	s_add_i32 s25, s3, s25
	s_add_u32 s14, s14, 4
	s_addc_u32 s15, s15, 0
	s_add_i32 s2, s2, 1
	s_cmp_lt_u32 s2, s7
	s_cbranch_scc0 .LBB194_24
.LBB194_46:                             ; =>This Inner Loop Header: Depth=1
	s_load_dword s3, s[12:13], 0x0
	s_cmp_ge_u32 s2, s50
	s_cbranch_scc1 .LBB194_45
; %bb.47:                               ;   in Loop: Header=BB194_46 Depth=1
	s_load_dword s18, s[14:15], 0x0
	s_waitcnt lgkmcnt(0)
	s_add_i32 s17, s3, s17
	s_add_i32 s16, s18, s16
	s_branch .LBB194_45
.LBB194_48:
	s_endpgm
	.section	.rodata,"a",@progbits
	.p2align	6, 0x0
	.amdhsa_kernel _ZN2at6native6mbtopk10gatherTopKIfmLi2EEEvNS_4cuda6detail10TensorInfoIKT_T0_EES8_S8_bjS8_NS5_IS6_S8_EES8_NS5_IlS8_EES8_jjPS6_PjSD_j
		.amdhsa_group_segment_fixed_size 1068
		.amdhsa_private_segment_fixed_size 0
		.amdhsa_kernarg_size 1592
		.amdhsa_user_sgpr_count 6
		.amdhsa_user_sgpr_private_segment_buffer 1
		.amdhsa_user_sgpr_dispatch_ptr 0
		.amdhsa_user_sgpr_queue_ptr 0
		.amdhsa_user_sgpr_kernarg_segment_ptr 1
		.amdhsa_user_sgpr_dispatch_id 0
		.amdhsa_user_sgpr_flat_scratch_init 0
		.amdhsa_user_sgpr_private_segment_size 0
		.amdhsa_wavefront_size32 1
		.amdhsa_uses_dynamic_stack 0
		.amdhsa_system_sgpr_private_segment_wavefront_offset 0
		.amdhsa_system_sgpr_workgroup_id_x 1
		.amdhsa_system_sgpr_workgroup_id_y 1
		.amdhsa_system_sgpr_workgroup_id_z 1
		.amdhsa_system_sgpr_workgroup_info 0
		.amdhsa_system_vgpr_workitem_id 0
		.amdhsa_next_free_vgpr 24
		.amdhsa_next_free_sgpr 51
		.amdhsa_reserve_vcc 1
		.amdhsa_reserve_flat_scratch 0
		.amdhsa_float_round_mode_32 0
		.amdhsa_float_round_mode_16_64 0
		.amdhsa_float_denorm_mode_32 3
		.amdhsa_float_denorm_mode_16_64 3
		.amdhsa_dx10_clamp 1
		.amdhsa_ieee_mode 1
		.amdhsa_fp16_overflow 0
		.amdhsa_workgroup_processor_mode 1
		.amdhsa_memory_ordered 1
		.amdhsa_forward_progress 1
		.amdhsa_shared_vgpr_count 0
		.amdhsa_exception_fp_ieee_invalid_op 0
		.amdhsa_exception_fp_denorm_src 0
		.amdhsa_exception_fp_ieee_div_zero 0
		.amdhsa_exception_fp_ieee_overflow 0
		.amdhsa_exception_fp_ieee_underflow 0
		.amdhsa_exception_fp_ieee_inexact 0
		.amdhsa_exception_int_div_zero 0
	.end_amdhsa_kernel
	.section	.text._ZN2at6native6mbtopk10gatherTopKIfmLi2EEEvNS_4cuda6detail10TensorInfoIKT_T0_EES8_S8_bjS8_NS5_IS6_S8_EES8_NS5_IlS8_EES8_jjPS6_PjSD_j,"axG",@progbits,_ZN2at6native6mbtopk10gatherTopKIfmLi2EEEvNS_4cuda6detail10TensorInfoIKT_T0_EES8_S8_bjS8_NS5_IS6_S8_EES8_NS5_IlS8_EES8_jjPS6_PjSD_j,comdat
.Lfunc_end194:
	.size	_ZN2at6native6mbtopk10gatherTopKIfmLi2EEEvNS_4cuda6detail10TensorInfoIKT_T0_EES8_S8_bjS8_NS5_IS6_S8_EES8_NS5_IlS8_EES8_jjPS6_PjSD_j, .Lfunc_end194-_ZN2at6native6mbtopk10gatherTopKIfmLi2EEEvNS_4cuda6detail10TensorInfoIKT_T0_EES8_S8_bjS8_NS5_IS6_S8_EES8_NS5_IlS8_EES8_jjPS6_PjSD_j
                                        ; -- End function
	.set _ZN2at6native6mbtopk10gatherTopKIfmLi2EEEvNS_4cuda6detail10TensorInfoIKT_T0_EES8_S8_bjS8_NS5_IS6_S8_EES8_NS5_IlS8_EES8_jjPS6_PjSD_j.num_vgpr, 24
	.set _ZN2at6native6mbtopk10gatherTopKIfmLi2EEEvNS_4cuda6detail10TensorInfoIKT_T0_EES8_S8_bjS8_NS5_IS6_S8_EES8_NS5_IlS8_EES8_jjPS6_PjSD_j.num_agpr, 0
	.set _ZN2at6native6mbtopk10gatherTopKIfmLi2EEEvNS_4cuda6detail10TensorInfoIKT_T0_EES8_S8_bjS8_NS5_IS6_S8_EES8_NS5_IlS8_EES8_jjPS6_PjSD_j.numbered_sgpr, 51
	.set _ZN2at6native6mbtopk10gatherTopKIfmLi2EEEvNS_4cuda6detail10TensorInfoIKT_T0_EES8_S8_bjS8_NS5_IS6_S8_EES8_NS5_IlS8_EES8_jjPS6_PjSD_j.num_named_barrier, 0
	.set _ZN2at6native6mbtopk10gatherTopKIfmLi2EEEvNS_4cuda6detail10TensorInfoIKT_T0_EES8_S8_bjS8_NS5_IS6_S8_EES8_NS5_IlS8_EES8_jjPS6_PjSD_j.private_seg_size, 0
	.set _ZN2at6native6mbtopk10gatherTopKIfmLi2EEEvNS_4cuda6detail10TensorInfoIKT_T0_EES8_S8_bjS8_NS5_IS6_S8_EES8_NS5_IlS8_EES8_jjPS6_PjSD_j.uses_vcc, 1
	.set _ZN2at6native6mbtopk10gatherTopKIfmLi2EEEvNS_4cuda6detail10TensorInfoIKT_T0_EES8_S8_bjS8_NS5_IS6_S8_EES8_NS5_IlS8_EES8_jjPS6_PjSD_j.uses_flat_scratch, 0
	.set _ZN2at6native6mbtopk10gatherTopKIfmLi2EEEvNS_4cuda6detail10TensorInfoIKT_T0_EES8_S8_bjS8_NS5_IS6_S8_EES8_NS5_IlS8_EES8_jjPS6_PjSD_j.has_dyn_sized_stack, 0
	.set _ZN2at6native6mbtopk10gatherTopKIfmLi2EEEvNS_4cuda6detail10TensorInfoIKT_T0_EES8_S8_bjS8_NS5_IS6_S8_EES8_NS5_IlS8_EES8_jjPS6_PjSD_j.has_recursion, 0
	.set _ZN2at6native6mbtopk10gatherTopKIfmLi2EEEvNS_4cuda6detail10TensorInfoIKT_T0_EES8_S8_bjS8_NS5_IS6_S8_EES8_NS5_IlS8_EES8_jjPS6_PjSD_j.has_indirect_call, 0
	.section	.AMDGPU.csdata,"",@progbits
; Kernel info:
; codeLenInByte = 3024
; TotalNumSgprs: 53
; NumVgprs: 24
; ScratchSize: 0
; MemoryBound: 0
; FloatMode: 240
; IeeeMode: 1
; LDSByteSize: 1068 bytes/workgroup (compile time only)
; SGPRBlocks: 0
; VGPRBlocks: 2
; NumSGPRsForWavesPerEU: 53
; NumVGPRsForWavesPerEU: 24
; Occupancy: 16
; WaveLimiterHint : 1
; COMPUTE_PGM_RSRC2:SCRATCH_EN: 0
; COMPUTE_PGM_RSRC2:USER_SGPR: 6
; COMPUTE_PGM_RSRC2:TRAP_HANDLER: 0
; COMPUTE_PGM_RSRC2:TGID_X_EN: 1
; COMPUTE_PGM_RSRC2:TGID_Y_EN: 1
; COMPUTE_PGM_RSRC2:TGID_Z_EN: 1
; COMPUTE_PGM_RSRC2:TIDIG_COMP_CNT: 0
	.section	.text._ZN2at6native6sbtopk10gatherTopKIfmLi2ELb0EEEvNS_4cuda6detail10TensorInfoIKT_T0_EES8_S8_bS8_S8_NS5_IS6_S8_EES8_NS5_IlS8_EES8_PS6_,"axG",@progbits,_ZN2at6native6sbtopk10gatherTopKIfmLi2ELb0EEEvNS_4cuda6detail10TensorInfoIKT_T0_EES8_S8_bS8_S8_NS5_IS6_S8_EES8_NS5_IlS8_EES8_PS6_,comdat
	.protected	_ZN2at6native6sbtopk10gatherTopKIfmLi2ELb0EEEvNS_4cuda6detail10TensorInfoIKT_T0_EES8_S8_bS8_S8_NS5_IS6_S8_EES8_NS5_IlS8_EES8_PS6_ ; -- Begin function _ZN2at6native6sbtopk10gatherTopKIfmLi2ELb0EEEvNS_4cuda6detail10TensorInfoIKT_T0_EES8_S8_bS8_S8_NS5_IS6_S8_EES8_NS5_IlS8_EES8_PS6_
	.globl	_ZN2at6native6sbtopk10gatherTopKIfmLi2ELb0EEEvNS_4cuda6detail10TensorInfoIKT_T0_EES8_S8_bS8_S8_NS5_IS6_S8_EES8_NS5_IlS8_EES8_PS6_
	.p2align	8
	.type	_ZN2at6native6sbtopk10gatherTopKIfmLi2ELb0EEEvNS_4cuda6detail10TensorInfoIKT_T0_EES8_S8_bS8_S8_NS5_IS6_S8_EES8_NS5_IlS8_EES8_PS6_,@function
_ZN2at6native6sbtopk10gatherTopKIfmLi2ELb0EEEvNS_4cuda6detail10TensorInfoIKT_T0_EES8_S8_bS8_S8_NS5_IS6_S8_EES8_NS5_IlS8_EES8_PS6_: ; @_ZN2at6native6sbtopk10gatherTopKIfmLi2ELb0EEEvNS_4cuda6detail10TensorInfoIKT_T0_EES8_S8_bS8_S8_NS5_IS6_S8_EES8_NS5_IlS8_EES8_PS6_
; %bb.0:
	s_clause 0x1
	s_load_dwordx2 s[14:15], s[4:5], 0x520
	s_load_dwordx4 s[28:31], s[4:5], 0x1b8
	s_add_u32 s12, s4, 0x520
	s_addc_u32 s13, s5, 0
	s_mov_b32 s35, 0
	s_waitcnt lgkmcnt(0)
	s_mul_i32 s0, s15, s8
	s_add_i32 s0, s0, s7
	s_mul_i32 s0, s0, s14
	s_add_i32 s34, s0, s6
	v_cmp_le_u64_e64 s0, s[28:29], s[34:35]
	s_and_b32 vcc_lo, exec_lo, s0
	s_cbranch_vccnz .LBB195_489
; %bb.1:
	s_clause 0x2
	s_load_dwordx2 s[16:17], s[4:5], 0x10
	s_load_dwordx2 s[28:29], s[4:5], 0x380
	;; [unrolled: 1-line block ×3, first 2 shown]
	s_mov_b64 s[48:49], 0
	s_waitcnt lgkmcnt(0)
	v_cmp_lt_u64_e64 s0, s[34:35], s[16:17]
	s_and_b32 vcc_lo, exec_lo, s0
	s_mov_b64 s[0:1], 0
	s_cbranch_vccnz .LBB195_3
; %bb.2:
	v_cvt_f32_u32_e32 v1, s16
	s_sub_i32 s1, 0, s16
	v_rcp_iflag_f32_e32 v1, v1
	v_mul_f32_e32 v1, 0x4f7ffffe, v1
	v_cvt_u32_f32_e32 v1, v1
	v_readfirstlane_b32 s0, v1
	s_mul_i32 s1, s1, s0
	s_mul_hi_u32 s1, s0, s1
	s_add_i32 s0, s0, s1
	s_mul_hi_u32 s0, s34, s0
	s_mul_i32 s1, s0, s16
	s_add_i32 s2, s0, 1
	s_sub_i32 s1, s34, s1
	s_sub_i32 s3, s1, s16
	s_cmp_ge_u32 s1, s16
	s_cselect_b32 s0, s2, s0
	s_cselect_b32 s1, s3, s1
	s_add_i32 s2, s0, 1
	s_cmp_ge_u32 s1, s16
	s_cselect_b32 s0, s2, s0
.LBB195_3:
	v_cmp_lt_u64_e64 s1, s[34:35], s[50:51]
	s_and_b32 vcc_lo, exec_lo, s1
	s_cbranch_vccnz .LBB195_5
; %bb.4:
	v_cvt_f32_u32_e32 v1, s50
	s_sub_i32 s2, 0, s50
	v_rcp_iflag_f32_e32 v1, v1
	v_mul_f32_e32 v1, 0x4f7ffffe, v1
	v_cvt_u32_f32_e32 v1, v1
	v_readfirstlane_b32 s1, v1
	s_mul_i32 s2, s2, s1
	s_mul_hi_u32 s2, s1, s2
	s_add_i32 s1, s1, s2
	s_mul_hi_u32 s1, s34, s1
	s_mul_i32 s2, s1, s50
	s_add_i32 s3, s1, 1
	s_sub_i32 s2, s34, s2
	s_sub_i32 s7, s2, s50
	s_cmp_ge_u32 s2, s50
	s_cselect_b32 s1, s3, s1
	s_cselect_b32 s2, s7, s2
	s_add_i32 s3, s1, 1
	s_cmp_ge_u32 s2, s50
	s_cselect_b32 s48, s3, s1
.LBB195_5:
	s_load_dwordx2 s[18:19], s[4:5], 0x0
	v_cmp_lt_u64_e64 s1, s[34:35], s[28:29]
	s_mov_b64 s[52:53], 0
	s_and_b32 vcc_lo, exec_lo, s1
	s_cbranch_vccnz .LBB195_7
; %bb.6:
	v_cvt_f32_u32_e32 v1, s28
	s_sub_i32 s2, 0, s28
	v_rcp_iflag_f32_e32 v1, v1
	v_mul_f32_e32 v1, 0x4f7ffffe, v1
	v_cvt_u32_f32_e32 v1, v1
	v_readfirstlane_b32 s1, v1
	s_mul_i32 s2, s2, s1
	s_mul_hi_u32 s2, s1, s2
	s_add_i32 s1, s1, s2
	s_mul_hi_u32 s1, s34, s1
	s_mul_i32 s2, s1, s28
	s_add_i32 s3, s1, 1
	s_sub_i32 s2, s34, s2
	s_sub_i32 s7, s2, s28
	s_cmp_ge_u32 s2, s28
	s_cselect_b32 s1, s3, s1
	s_cselect_b32 s2, s7, s2
	s_add_i32 s3, s1, 1
	s_cmp_ge_u32 s2, s28
	s_cselect_b32 s52, s3, s1
.LBB195_7:
	s_clause 0x3
	s_load_dwordx2 s[2:3], s[4:5], 0x370
	s_load_dwordx2 s[56:57], s[4:5], 0x1c8
	s_load_dwordx4 s[8:11], s[4:5], 0xd0
	s_load_dwordx4 s[36:39], s[4:5], 0x1a0
                                        ; implicit-def: $vgpr39 : SGPR spill to VGPR lane
	s_mov_b32 s27, 0
	s_waitcnt lgkmcnt(0)
	v_writelane_b32 v39, s2, 0
	v_writelane_b32 v39, s3, 1
	v_cmp_eq_u32_e64 s3, 0, v0
	s_and_saveexec_b32 s1, s3
	s_cbranch_execz .LBB195_9
; %bb.8:
	v_mov_b32_e32 v1, 0
	v_mov_b32_e32 v3, s36
	;; [unrolled: 1-line block ×4, first 2 shown]
	ds_write_b32 v1, v1 offset:5144
	ds_write_b128 v1, v[1:4] offset:5120
.LBB195_9:
	s_or_b32 exec_lo, exec_lo, s1
	s_mul_i32 s1, s0, s17
	s_mul_hi_u32 s2, s0, s16
	s_mul_i32 s7, s0, s16
	s_add_i32 s2, s2, s1
	s_sub_u32 s7, s34, s7
	s_subb_u32 s2, 0, s2
	s_mul_i32 s1, s7, s11
	s_mul_hi_u32 s11, s7, s10
	s_mul_i32 s2, s2, s10
	s_add_i32 s11, s11, s1
	s_mul_i32 s1, s0, s9
	s_mul_hi_u32 s9, s0, s8
	s_mul_i32 s0, s0, s8
	s_add_i32 s1, s9, s1
	s_clause 0x1
	s_load_dwordx4 s[40:43], s[4:5], 0x440
	s_load_dword s15, s[4:5], 0x1b0
	s_lshl_b64 s[0:1], s[0:1], 2
	s_add_i32 s9, s11, s2
	s_mul_i32 s8, s7, s10
	s_add_u32 s2, s18, s0
	s_addc_u32 s7, s19, s1
	s_lshl_b64 s[0:1], s[8:9], 2
	s_waitcnt lgkmcnt(0)
	s_barrier
	buffer_gl0_inv
	s_load_dword s8, s[12:13], 0xc
	v_mad_u64_u32 v[2:3], null, s30, v0, 0
	v_mbcnt_lo_u32_b32 v24, -1, 0
	s_add_u32 s33, s2, s0
	s_addc_u32 s35, s7, s1
	v_cmp_gt_u32_e32 vcc_lo, 32, v0
	v_mov_b32_e32 v13, 0
	v_cmp_gt_i32_e64 s1, 4, v24
	v_mov_b32_e32 v1, v3
	s_bitcmp1_b32 s15, 0
	v_lshlrev_b32_e32 v14, 2, v0
	s_cselect_b32 s2, -1, 0
	s_and_b32 s76, vcc_lo, s1
	v_mad_u64_u32 v[3:4], null, s31, v0, v[1:2]
	s_xor_b32 s53, s2, -1
	v_mov_b32_e32 v1, v13
	v_cmp_lt_u64_e64 s77, 0x300, s[36:37]
	v_mov_b32_e32 v19, s38
	s_waitcnt lgkmcnt(0)
	s_and_b32 s49, s8, 0xffff
	v_cmp_eq_u32_e64 s0, 0, v24
	s_bfe_u32 s7, s49, 0x80008
	v_lshlrev_b64 v[2:3], 2, v[2:3]
	s_lshl_b32 s78, s7, 3
	s_bfe_u32 s7, s8, 0xb0005
	s_cmp_gt_u32 s49, 31
	v_cmp_gt_u64_e64 s1, s[36:37], v[0:1]
	s_cselect_b32 s79, -1, 0
	s_add_u32 s80, s49, -1
	s_addc_u32 s81, 0, -1
	s_add_u32 s82, s80, s36
	s_addc_u32 s59, s81, s37
	s_cmp_lt_u32 s6, s14
	v_add_co_u32 v10, vcc_lo, s33, v2
	s_cselect_b32 s6, 12, 18
	v_add_co_ci_u32_e64 v11, null, s35, v3, vcc_lo
	s_add_u32 s60, s12, s6
	v_lshlrev_b64 v[2:3], v24, -1
	s_addc_u32 s61, s13, 0
	s_add_i32 s7, s7, -1
	s_bfe_u32 s83, s49, 0x30005
	s_and_b32 s6, s7, 0xffff
	v_mov_b32_e32 v15, v13
	s_cmp_gt_u32 s6, 6
	s_movk_i32 s6, 0x3e0
	v_cmp_gt_u32_e64 s8, 2, v0
	v_add_nc_u32_e32 v26, 0xc00, v14
	v_not_b32_e32 v23, v2
	v_and_or_b32 v27, v0, s6, 0xc00
	v_lshlrev_b32_e32 v28, 4, v0
	v_lshl_or_b32 v29, v24, 3, 0xc00
	v_mov_b32_e32 v20, s39
	v_mov_b32_e32 v16, 1.0
	v_mov_b32_e32 v18, 0
	v_mov_b32_e32 v25, 0
	;; [unrolled: 1-line block ×3, first 2 shown]
	s_cselect_b32 s84, -1, 0
	s_cmp_lg_u32 s83, 0
	s_mov_b32 s93, 30
	s_cselect_b32 s85, -1, 0
	s_lshl_b32 s86, s49, 2
	s_mov_b32 s87, 0
	s_mov_b32 s89, 0
                                        ; implicit-def: $sgpr88
                                        ; implicit-def: $sgpr92
                                        ; implicit-def: $sgpr91
                                        ; implicit-def: $sgpr94
                                        ; implicit-def: $sgpr90
                                        ; implicit-def: $sgpr98
                                        ; implicit-def: $sgpr99
                                        ; implicit-def: $sgpr95
                                        ; implicit-def: $sgpr97
                                        ; implicit-def: $sgpr96
	s_branch .LBB195_12
.LBB195_10:                             ;   in Loop: Header=BB195_12 Depth=1
	s_or_b32 exec_lo, exec_lo, s10
	v_mov_b32_e32 v20, v3
	v_mov_b32_e32 v19, v2
	s_andn2_b32 s10, s96, exec_lo
	s_and_b32 s9, s9, exec_lo
	s_andn2_b32 s97, s97, exec_lo
	s_or_b32 s96, s10, s9
	s_andn2_b32 s95, s95, exec_lo
	s_andn2_b32 s99, s99, exec_lo
	;; [unrolled: 1-line block ×3, first 2 shown]
	s_orn2_b32 s7, s7, exec_lo
.LBB195_11:                             ;   in Loop: Header=BB195_12 Depth=1
	s_or_b32 exec_lo, exec_lo, s6
	s_and_b32 s6, exec_lo, s7
	s_or_b32 s87, s6, s87
	s_andn2_b32 s6, s90, exec_lo
	s_and_b32 s7, s96, exec_lo
	s_andn2_b32 s9, s94, exec_lo
	s_or_b32 s90, s6, s7
	s_and_b32 s6, s97, exec_lo
	s_andn2_b32 s7, s91, exec_lo
	s_and_b32 s10, s95, exec_lo
	s_or_b32 s94, s9, s6
	s_or_b32 s91, s7, s10
	s_andn2_b32 s6, s92, exec_lo
	s_and_b32 s7, s99, exec_lo
	s_andn2_b32 s9, s88, exec_lo
	s_and_b32 s10, s98, exec_lo
	s_or_b32 s92, s6, s7
	s_or_b32 s88, s9, s10
	s_andn2_b32 exec_lo, exec_lo, s87
	s_cbranch_execz .LBB195_485
.LBB195_12:                             ; =>This Loop Header: Depth=1
                                        ;     Child Loop BB195_18 Depth 2
                                        ;     Child Loop BB195_31 Depth 2
	;; [unrolled: 1-line block ×24, first 2 shown]
	ds_read_b128 v[2:5], v13 offset:5120
	s_waitcnt lgkmcnt(0)
	v_readfirstlane_b32 s63, v3
	v_readfirstlane_b32 s62, v2
	s_cmp_lg_u64 s[62:63], 0
	s_cbranch_scc1 .LBB195_39
; %bb.13:                               ;   in Loop: Header=BB195_12 Depth=1
	s_and_b32 vcc_lo, exec_lo, s77
	s_cbranch_vccz .LBB195_26
; %bb.14:                               ;   in Loop: Header=BB195_12 Depth=1
	v_cmp_gt_u64_e32 vcc_lo, 0x301, v[4:5]
	s_mov_b32 s9, 0
	s_mov_b32 s6, 0
	s_cbranch_vccz .LBB195_27
; %bb.15:                               ;   in Loop: Header=BB195_12 Depth=1
	s_and_saveexec_b32 s10, s1
	s_cbranch_execz .LBB195_94
; %bb.16:                               ;   in Loop: Header=BB195_12 Depth=1
	global_load_ushort v2, v13, s[60:61]
	global_load_dword v5, v[10:11], off
	s_mov_b32 s11, 0
	s_waitcnt vmcnt(1)
	v_and_b32_e32 v4, 0xffff, v2
	v_mov_b32_e32 v3, v1
	v_mov_b32_e32 v2, v0
	s_branch .LBB195_18
.LBB195_17:                             ;   in Loop: Header=BB195_18 Depth=2
	s_or_b32 exec_lo, exec_lo, s7
	v_mov_b32_e32 v5, v6
	s_andn2_b32 exec_lo, exec_lo, s11
	s_cbranch_execz .LBB195_94
.LBB195_18:                             ;   Parent Loop BB195_12 Depth=1
                                        ; =>  This Inner Loop Header: Depth=2
	v_add_co_u32 v2, vcc_lo, v2, v4
	v_add_co_ci_u32_e64 v3, null, 0, v3, vcc_lo
	s_waitcnt lgkmcnt(0)
	v_mov_b32_e32 v7, 0
	v_mov_b32_e32 v6, 0
	s_mov_b32 s7, exec_lo
	v_cmp_le_u64_e32 vcc_lo, s[36:37], v[2:3]
	v_cmpx_gt_u64_e64 s[36:37], v[2:3]
	s_cbranch_execz .LBB195_20
; %bb.19:                               ;   in Loop: Header=BB195_18 Depth=2
	v_mul_lo_u32 v6, v3, s30
	v_mul_lo_u32 v12, v2, s31
	v_mad_u64_u32 v[8:9], null, v2, s30, 0
	v_add3_u32 v9, v9, v12, v6
	v_lshlrev_b64 v[8:9], 2, v[8:9]
	v_add_co_u32 v8, s6, s33, v8
	v_add_co_ci_u32_e64 v9, null, s35, v9, s6
	global_load_dword v6, v[8:9], off
.LBB195_20:                             ;   in Loop: Header=BB195_18 Depth=2
	s_or_b32 exec_lo, exec_lo, s7
	s_waitcnt vmcnt(0)
	v_cmp_lt_i32_e64 s6, -1, v5
	v_cndmask_b32_e64 v8, -1, 0x80000000, s6
	v_cmp_o_f32_e64 s6, v5, v5
	v_xor_b32_e32 v8, v8, v5
	v_cndmask_b32_e64 v8, -1, v8, s6
	v_and_b32_e32 v8, v8, v30
	v_cmp_eq_u32_e64 s6, v8, v25
	s_cmp_lg_u32 s6, 0
	s_cselect_b32 s7, -1, 0
	s_and_b32 s7, s0, s7
	s_and_saveexec_b32 s12, s7
	s_cbranch_execz .LBB195_24
; %bb.21:                               ;   in Loop: Header=BB195_18 Depth=2
	s_mov_b32 s15, exec_lo
	s_bcnt1_i32_b32 s13, s6
	v_mbcnt_lo_u32_b32 v7, s15, 0
	s_mov_b32 s14, exec_lo
                                        ; implicit-def: $vgpr8
	v_cmpx_eq_u32_e32 0, v7
; %bb.22:                               ;   in Loop: Header=BB195_18 Depth=2
	s_bcnt1_i32_b32 s7, s15
	s_mul_i32 s7, s13, s7
	v_mov_b32_e32 v8, s7
	ds_add_rtn_u32 v8, v13, v8 offset:5144
; %bb.23:                               ;   in Loop: Header=BB195_18 Depth=2
	s_or_b32 exec_lo, exec_lo, s14
	s_waitcnt lgkmcnt(0)
	v_readfirstlane_b32 s7, v8
	v_mad_u32_u24 v7, s13, v7, s7
.LBB195_24:                             ;   in Loop: Header=BB195_18 Depth=2
	s_or_b32 exec_lo, exec_lo, s12
	ds_bpermute_b32 v7, v13, v7
	s_and_b32 s7, exec_lo, vcc_lo
	s_or_b32 s11, s7, s11
	s_and_saveexec_b32 s7, s6
	s_cbranch_execz .LBB195_17
; %bb.25:                               ;   in Loop: Header=BB195_18 Depth=2
	v_and_b32_e32 v8, s6, v23
	v_bcnt_u32_b32 v8, v8, 0
	v_lshlrev_b32_e32 v8, 2, v8
	s_waitcnt lgkmcnt(0)
	v_lshl_add_u32 v7, v7, 2, v8
	ds_write_b32 v7, v5
	s_branch .LBB195_17
.LBB195_26:                             ;   in Loop: Header=BB195_12 Depth=1
	s_mov_b32 s9, -1
	s_mov_b32 s6, 0
.LBB195_27:                             ;   in Loop: Header=BB195_12 Depth=1
	s_and_b32 vcc_lo, exec_lo, s9
	s_cbranch_vccz .LBB195_37
.LBB195_28:                             ;   in Loop: Header=BB195_12 Depth=1
	s_and_saveexec_b32 s6, s1
	s_cbranch_execz .LBB195_34
; %bb.29:                               ;   in Loop: Header=BB195_12 Depth=1
	global_load_ushort v2, v13, s[60:61]
	global_load_dword v6, v[10:11], off
	s_mov_b32 s7, exec_lo
	s_waitcnt vmcnt(1)
	v_and_b32_e32 v7, 0xffff, v2
	v_mov_b32_e32 v2, v0
	v_add_nc_u32_e32 v12, v7, v0
	v_cmpx_gt_u64_e64 s[36:37], v[12:13]
	s_cbranch_execz .LBB195_33
; %bb.30:                               ;   in Loop: Header=BB195_12 Depth=1
	v_mov_b32_e32 v4, v12
	v_mov_b32_e32 v3, v1
	v_mov_b32_e32 v5, v13
	v_mov_b32_e32 v2, v0
	s_mov_b32 s9, 0
	.p2align	6
.LBB195_31:                             ;   Parent Loop BB195_12 Depth=1
                                        ; =>  This Inner Loop Header: Depth=2
	v_mov_b32_e32 v22, v5
	v_mov_b32_e32 v21, v4
	v_lshlrev_b32_e32 v2, 2, v2
	v_mul_lo_u32 v5, v22, s30
	v_mul_lo_u32 v8, v21, s31
	v_mad_u64_u32 v[3:4], null, v21, s30, 0
	s_waitcnt vmcnt(0)
	ds_write_b32 v2, v6
	v_add3_u32 v4, v4, v8, v5
	v_lshlrev_b64 v[3:4], 2, v[3:4]
	v_add_co_u32 v3, vcc_lo, s33, v3
	v_add_co_ci_u32_e64 v4, null, s35, v4, vcc_lo
	global_load_dword v8, v[3:4], off
	v_add_co_u32 v4, vcc_lo, v21, v7
	v_add_co_ci_u32_e64 v5, null, 0, v22, vcc_lo
	v_mov_b32_e32 v2, v21
	v_mov_b32_e32 v3, v22
	v_cmp_le_u64_e32 vcc_lo, s[36:37], v[4:5]
	s_or_b32 s9, vcc_lo, s9
	s_waitcnt vmcnt(0)
	v_mov_b32_e32 v6, v8
	s_andn2_b32 exec_lo, exec_lo, s9
	s_cbranch_execnz .LBB195_31
; %bb.32:                               ;   in Loop: Header=BB195_12 Depth=1
	s_or_b32 exec_lo, exec_lo, s9
	v_sub_nc_u32_e32 v2, v4, v7
	v_mov_b32_e32 v6, v8
.LBB195_33:                             ;   in Loop: Header=BB195_12 Depth=1
	s_or_b32 exec_lo, exec_lo, s7
	v_lshlrev_b32_e32 v2, 2, v2
	s_waitcnt vmcnt(0)
	ds_write_b32 v2, v6
.LBB195_34:                             ;   in Loop: Header=BB195_12 Depth=1
	s_or_b32 exec_lo, exec_lo, s6
	s_waitcnt lgkmcnt(0)
	s_barrier
	buffer_gl0_inv
	s_and_saveexec_b32 s6, s3
; %bb.35:                               ;   in Loop: Header=BB195_12 Depth=1
	v_mov_b32_e32 v2, s36
	v_mov_b32_e32 v3, s37
	ds_write_b64 v13, v[2:3] offset:5120
; %bb.36:                               ;   in Loop: Header=BB195_12 Depth=1
	s_or_b32 exec_lo, exec_lo, s6
	s_mov_b32 s6, -1
	s_waitcnt lgkmcnt(0)
	s_barrier
.LBB195_37:                             ;   in Loop: Header=BB195_12 Depth=1
	s_and_b32 vcc_lo, exec_lo, s6
	s_mov_b64 s[62:63], 0
	s_cbranch_vccz .LBB195_39
; %bb.38:                               ;   in Loop: Header=BB195_12 Depth=1
	buffer_gl0_inv
	ds_read_b64 v[2:3], v13 offset:5120
	s_waitcnt lgkmcnt(0)
	v_readfirstlane_b32 s62, v2
.LBB195_39:                             ;   in Loop: Header=BB195_12 Depth=1
	s_cmp_lt_i32 s62, 1
	s_mov_b32 s6, -1
                                        ; implicit-def: $vgpr2_vgpr3
                                        ; implicit-def: $vgpr6_vgpr7
	s_cbranch_scc1 .LBB195_49
; %bb.40:                               ;   in Loop: Header=BB195_12 Depth=1
	s_and_b32 vcc_lo, exec_lo, s6
	s_cbranch_vccnz .LBB195_63
.LBB195_41:                             ;   in Loop: Header=BB195_12 Depth=1
	s_lshl_b32 s6, s89, 7
	s_and_saveexec_b32 s7, s0
	s_cbranch_execz .LBB195_43
.LBB195_42:                             ;   in Loop: Header=BB195_12 Depth=1
	v_lshl_add_u32 v12, s6, 3, v27
	ds_write_b128 v12, v[2:5]
	ds_write_b128 v12, v[6:9] offset:16
.LBB195_43:                             ;   in Loop: Header=BB195_12 Depth=1
	s_or_b32 exec_lo, exec_lo, s7
	s_waitcnt lgkmcnt(0)
	s_barrier
	buffer_gl0_inv
	s_and_saveexec_b32 s7, s76
	s_cbranch_execz .LBB195_77
; %bb.44:                               ;   in Loop: Header=BB195_12 Depth=1
	v_mov_b32_e32 v2, 0
	v_mov_b32_e32 v3, 0
	s_andn2_b32 vcc_lo, exec_lo, s79
	s_cbranch_vccnz .LBB195_76
; %bb.45:                               ;   in Loop: Header=BB195_12 Depth=1
	v_mov_b32_e32 v2, 0
	v_mov_b32_e32 v3, 0
	s_andn2_b32 vcc_lo, exec_lo, s84
	s_cbranch_vccnz .LBB195_73
; %bb.46:                               ;   in Loop: Header=BB195_12 Depth=1
	v_lshl_add_u32 v4, s89, 10, v29
	s_mov_b32 s9, 0
	s_inst_prefetch 0x1
	.p2align	6
.LBB195_47:                             ;   Parent Loop BB195_12 Depth=1
                                        ; =>  This Inner Loop Header: Depth=2
	ds_read2_b64 v[5:8], v4 offset1:4
	ds_read2_b64 v[31:34], v4 offset0:8 offset1:12
	ds_read2_b64 v[35:38], v4 offset0:16 offset1:20
	s_add_i32 s9, s9, 8
	s_cmp_eq_u32 s78, s9
	s_waitcnt lgkmcnt(2)
	v_add_co_u32 v2, vcc_lo, v5, v2
	v_add_co_ci_u32_e64 v3, null, v6, v3, vcc_lo
	v_add_co_u32 v2, vcc_lo, v7, v2
	v_add_co_ci_u32_e64 v3, null, v8, v3, vcc_lo
	ds_read2_b64 v[5:8], v4 offset0:24 offset1:28
	s_waitcnt lgkmcnt(2)
	v_add_co_u32 v2, vcc_lo, v31, v2
	v_add_co_ci_u32_e64 v3, null, v32, v3, vcc_lo
	v_add_nc_u32_e32 v4, 0x100, v4
	v_add_co_u32 v2, vcc_lo, v33, v2
	v_add_co_ci_u32_e64 v3, null, v34, v3, vcc_lo
	s_waitcnt lgkmcnt(1)
	v_add_co_u32 v2, vcc_lo, v35, v2
	v_add_co_ci_u32_e64 v3, null, v36, v3, vcc_lo
	v_add_co_u32 v2, vcc_lo, v37, v2
	v_add_co_ci_u32_e64 v3, null, v38, v3, vcc_lo
	s_waitcnt lgkmcnt(0)
	v_add_co_u32 v2, vcc_lo, v5, v2
	v_add_co_ci_u32_e64 v3, null, v6, v3, vcc_lo
	v_add_co_u32 v2, vcc_lo, v7, v2
	v_add_co_ci_u32_e64 v3, null, v8, v3, vcc_lo
	s_cbranch_scc0 .LBB195_47
; %bb.48:                               ;   in Loop: Header=BB195_12 Depth=1
	s_inst_prefetch 0x2
	s_mov_b32 s9, s78
	s_andn2_b32 vcc_lo, exec_lo, s85
	s_cbranch_vccz .LBB195_74
	s_branch .LBB195_76
.LBB195_49:                             ;   in Loop: Header=BB195_12 Depth=1
	global_load_ushort v12, v13, s[60:61]
	s_mov_b32 s7, s37
	s_waitcnt vmcnt(0)
	v_readfirstlane_b32 s6, v12
	s_and_b32 s9, 0xffff, s6
	s_mov_b32 s6, s27
	s_lshl_b32 s25, s9, 2
	s_cmp_lg_u64 s[6:7], 0
	s_cbranch_scc0 .LBB195_72
; %bb.50:                               ;   in Loop: Header=BB195_12 Depth=1
	v_cvt_f32_u32_e32 v2, s25
	s_sub_u32 s9, 0, s25
	s_subb_u32 s10, 0, 0
	v_fmac_f32_e64 v2, 0x4f800000, 0
	v_rcp_f32_e32 v2, v2
	v_mul_f32_e32 v2, 0x5f7ffffc, v2
	v_mul_f32_e32 v3, 0x2f800000, v2
	v_trunc_f32_e32 v3, v3
	v_fmac_f32_e32 v2, 0xcf800000, v3
	v_cvt_u32_f32_e32 v3, v3
	v_cvt_u32_f32_e32 v2, v2
	v_readfirstlane_b32 s6, v3
	v_readfirstlane_b32 s7, v2
	s_mul_i32 s11, s9, s6
	s_mul_hi_u32 s13, s9, s7
	s_mul_i32 s12, s10, s7
	s_add_i32 s11, s13, s11
	s_mul_i32 s14, s9, s7
	s_add_i32 s11, s11, s12
	s_mul_hi_u32 s13, s7, s14
	s_mul_i32 s16, s7, s11
	s_mul_hi_u32 s15, s6, s14
	s_mul_i32 s12, s6, s14
	s_mul_hi_u32 s14, s7, s11
	s_add_u32 s13, s13, s16
	s_addc_u32 s14, 0, s14
	s_mul_hi_u32 s17, s6, s11
	s_add_u32 s12, s13, s12
	s_mul_i32 s11, s6, s11
	s_addc_u32 s12, s14, s15
	s_addc_u32 s13, s17, 0
	s_add_u32 s11, s12, s11
	s_addc_u32 s12, 0, s13
	s_add_u32 s7, s7, s11
	s_cselect_b32 s11, -1, 0
	s_mul_hi_u32 s13, s9, s7
	s_cmp_lg_u32 s11, 0
	s_mul_i32 s11, s9, s7
	s_addc_u32 s6, s6, s12
	s_mul_i32 s10, s10, s7
	s_mul_i32 s9, s9, s6
	s_mul_hi_u32 s12, s7, s11
	s_add_i32 s9, s13, s9
	s_mul_hi_u32 s13, s6, s11
	s_add_i32 s9, s9, s10
	s_mul_i32 s10, s6, s11
	s_mul_i32 s15, s7, s9
	s_mul_hi_u32 s14, s7, s9
	s_add_u32 s12, s12, s15
	s_addc_u32 s14, 0, s14
	s_mul_hi_u32 s11, s6, s9
	s_add_u32 s10, s12, s10
	s_mul_i32 s9, s6, s9
	s_addc_u32 s10, s14, s13
	s_addc_u32 s11, s11, 0
	s_add_u32 s9, s10, s9
	s_addc_u32 s10, 0, s11
	s_add_u32 s7, s7, s9
	s_cselect_b32 s9, -1, 0
	s_mul_hi_u32 s11, s36, s7
	s_cmp_lg_u32 s9, 0
	s_mul_hi_u32 s9, s37, s7
	s_addc_u32 s6, s6, s10
	s_mul_i32 s7, s37, s7
	s_mul_i32 s12, s36, s6
	s_mul_hi_u32 s10, s36, s6
	s_add_u32 s11, s11, s12
	s_addc_u32 s10, 0, s10
	s_mul_hi_u32 s13, s37, s6
	s_add_u32 s7, s11, s7
	s_mul_i32 s6, s37, s6
	s_addc_u32 s7, s10, s9
	s_addc_u32 s9, s13, 0
	s_add_u32 s6, s7, s6
	s_addc_u32 s7, 0, s9
	s_mul_hi_u32 s9, s25, s6
	s_mul_i32 s7, s25, s7
	s_mul_i32 s6, s25, s6
	s_add_i32 s9, s9, s7
	s_sub_u32 s6, s36, s6
	s_cselect_b32 s7, -1, 0
	s_cmp_lg_u32 s7, 0
	s_subb_u32 s7, s37, s9
	s_sub_u32 s9, s6, s25
	s_cselect_b32 s10, -1, 0
	s_cmp_lg_u32 s10, 0
	s_subb_u32 s10, s7, 0
	;; [unrolled: 4-line block ×3, first 2 shown]
	s_cmp_ge_u32 s9, s25
	s_cselect_b32 s13, -1, 0
	s_cmp_eq_u32 s10, 0
	s_cselect_b32 s13, s13, -1
	s_cmp_lg_u32 s13, 0
	s_cselect_b32 s10, s12, s10
	s_cselect_b32 s9, s11, s9
	s_cmp_ge_u32 s6, s25
	s_cselect_b32 s11, -1, 0
	s_cmp_eq_u32 s7, 0
	s_cselect_b32 s11, s11, -1
	s_cmp_lg_u32 s11, 0
	s_cselect_b32 s7, s10, s7
	s_cselect_b32 s6, s9, s6
	s_cbranch_execnz .LBB195_52
.LBB195_51:                             ;   in Loop: Header=BB195_12 Depth=1
	v_cvt_f32_u32_e32 v2, s25
	s_sub_i32 s7, 0, s25
	v_rcp_iflag_f32_e32 v2, v2
	v_mul_f32_e32 v2, 0x4f7ffffe, v2
	v_cvt_u32_f32_e32 v2, v2
	v_readfirstlane_b32 s6, v2
	s_mul_i32 s7, s7, s6
	s_mul_hi_u32 s7, s6, s7
	s_add_i32 s6, s6, s7
	s_mul_hi_u32 s6, s36, s6
	s_mul_i32 s6, s6, s25
	s_sub_i32 s6, s36, s6
	s_sub_i32 s7, s6, s25
	s_cmp_ge_u32 s6, s25
	s_cselect_b32 s6, s7, s6
	s_sub_i32 s7, s6, s25
	s_cmp_ge_u32 s6, s25
	s_cselect_b32 s26, s7, s6
	s_mov_b64 s[6:7], s[26:27]
.LBB195_52:                             ;   in Loop: Header=BB195_12 Depth=1
	v_mov_b32_e32 v2, 0
	v_mov_b32_e32 v4, 0
	;; [unrolled: 1-line block ×8, first 2 shown]
	s_sub_u32 s64, s36, s6
	s_subb_u32 s65, s37, s7
	s_mov_b32 s26, exec_lo
	v_cmpx_gt_u64_e64 s[64:65], v[14:15]
	s_cbranch_execz .LBB195_56
; %bb.53:                               ;   in Loop: Header=BB195_12 Depth=1
	v_mov_b32_e32 v22, v15
	v_mov_b32_e32 v21, v14
	s_mov_b64 s[66:67], 0
	s_mov_b32 s58, 0
	s_mov_b64 s[68:69], 0
	s_mov_b64 s[70:71], 0
	;; [unrolled: 1-line block ×3, first 2 shown]
.LBB195_54:                             ;   Parent Loop BB195_12 Depth=1
                                        ; =>  This Inner Loop Header: Depth=2
	v_mul_lo_u32 v4, v22, s30
	v_mul_lo_u32 v5, v21, s31
	v_mad_u64_u32 v[2:3], null, v21, s30, 0
	s_lshl_b64 s[6:7], s[30:31], 2
	v_add3_u32 v3, v3, v5, v4
	v_lshlrev_b64 v[2:3], 2, v[2:3]
	v_add_co_u32 v2, vcc_lo, s33, v2
	v_add_co_ci_u32_e64 v3, null, s35, v3, vcc_lo
	v_add_co_u32 v4, vcc_lo, v2, s6
	v_add_co_ci_u32_e64 v5, null, s7, v3, vcc_lo
	global_load_dword v6, v[2:3], off
	v_add_co_u32 v2, vcc_lo, v4, s6
	v_add_co_ci_u32_e64 v3, null, s7, v5, vcc_lo
	s_clause 0x1
	global_load_dword v4, v[4:5], off
	global_load_dword v5, v[2:3], off
	v_add_co_u32 v2, vcc_lo, v2, s6
	v_add_co_ci_u32_e64 v3, null, s7, v3, vcc_lo
	v_add_co_u32 v21, vcc_lo, v21, s25
	v_add_co_ci_u32_e64 v22, null, 0, v22, vcc_lo
	global_load_dword v2, v[2:3], off
	v_cmp_le_u64_e32 vcc_lo, s[64:65], v[21:22]
	s_waitcnt vmcnt(3)
	v_cmp_lt_i32_e64 s6, -1, v6
	v_cndmask_b32_e64 v3, -1, 0x80000000, s6
	s_waitcnt vmcnt(2)
	v_cmp_lt_i32_e64 s6, -1, v4
	s_waitcnt vmcnt(1)
	v_cmp_lt_i32_e64 s7, -1, v5
	v_xor_b32_e32 v3, v3, v6
	v_cndmask_b32_e64 v7, -1, 0x80000000, s6
	v_cmp_o_f32_e64 s6, v6, v6
	s_waitcnt vmcnt(0)
	v_cmp_o_f32_e64 s12, v2, v2
	v_xor_b32_e32 v6, v7, v4
	v_cndmask_b32_e64 v3, -1, v3, s6
	v_cmp_o_f32_e64 s6, v4, v4
	v_cndmask_b32_e64 v7, -1, 0x80000000, s7
	v_and_b32_e32 v8, v3, v30
	v_cndmask_b32_e64 v4, -1, v6, s6
	v_cmp_lt_i32_e64 s6, -1, v2
	v_xor_b32_e32 v6, v7, v5
	v_bfe_u32 v3, v3, s93, 2
	v_cndmask_b32_e64 v7, -1, 0x80000000, s6
	v_cmp_o_f32_e64 s6, v5, v5
	v_cmp_eq_u32_e64 s7, 0, v3
	v_cmp_eq_u32_e64 s9, 1, v3
	;; [unrolled: 1-line block ×4, first 2 shown]
	v_cndmask_b32_e64 v5, -1, v6, s6
	v_xor_b32_e32 v6, v7, v2
	v_cmp_eq_u32_e64 s6, v8, v25
	v_and_b32_e32 v7, v4, v30
	v_bfe_u32 v4, v4, s93, 2
	v_and_b32_e32 v3, v5, v30
	v_cndmask_b32_e64 v2, -1, v6, s12
	v_bfe_u32 v5, v5, s93, 2
	v_cmp_eq_u32_e64 s12, v7, v25
	v_cmp_eq_u32_e64 s13, 0, v4
	s_and_b32 s7, s6, s7
	v_cmp_eq_u32_e64 s16, v3, v25
	v_cndmask_b32_e64 v6, 0, 1, s7
	v_and_b32_e32 v3, v2, v30
	v_bfe_u32 v2, v2, s93, 2
	v_cmp_eq_u32_e64 s17, 0, v5
	s_and_b32 s13, s12, s13
	v_cmp_eq_u32_e64 s7, 1, v4
	v_cmp_eq_u32_e64 s14, 2, v4
	;; [unrolled: 1-line block ×3, first 2 shown]
	v_cmp_ne_u32_e64 s18, 0, v6
	v_cndmask_b32_e64 v4, 0, 1, s13
	v_cmp_eq_u32_e64 s21, v3, v25
	v_cmp_eq_u32_e64 s22, 0, v2
	s_and_b32 s17, s16, s17
	s_bcnt1_i32_b32 s44, s18
	v_cmp_ne_u32_e64 s18, 0, v4
	v_cndmask_b32_e64 v3, 0, 1, s17
	s_and_b32 s22, s21, s22
	v_cmp_eq_u32_e64 s17, 1, v2
	v_cmp_eq_u32_e64 s23, 2, v2
	;; [unrolled: 1-line block ×3, first 2 shown]
	v_cndmask_b32_e64 v2, 0, 1, s22
	s_bcnt1_i32_b32 s22, s18
	v_cmp_ne_u32_e64 s18, 0, v3
	s_add_i32 s44, s22, s44
	v_cmp_eq_u32_e64 s13, 1, v5
	v_cmp_ne_u32_e64 s22, 0, v2
	v_cmp_eq_u32_e64 s19, 2, v5
	s_bcnt1_i32_b32 s18, s18
	v_cmp_eq_u32_e64 s20, 3, v5
	s_add_i32 s18, s44, s18
	s_bcnt1_i32_b32 s22, s22
	s_add_i32 s18, s18, s22
	s_add_u32 s72, s72, s18
	s_addc_u32 s73, s73, 0
	s_and_b32 s9, s6, s9
	s_and_b32 s7, s12, s7
	v_cndmask_b32_e64 v2, 0, 1, s9
	v_cndmask_b32_e64 v3, 0, 1, s7
	s_and_b32 s7, s16, s13
	v_cndmask_b32_e64 v4, 0, 1, s7
	s_and_b32 s7, s21, s17
	v_cmp_ne_u32_e64 s9, 0, v3
	v_cndmask_b32_e64 v5, 0, 1, s7
	v_cmp_ne_u32_e64 s7, 0, v2
	v_cmp_ne_u32_e64 s13, 0, v4
	s_bcnt1_i32_b32 s9, s9
	v_cmp_ne_u32_e64 s17, 0, v5
	s_bcnt1_i32_b32 s7, s7
	s_bcnt1_i32_b32 s13, s13
	s_add_i32 s7, s9, s7
	s_bcnt1_i32_b32 s17, s17
	s_add_i32 s7, s7, s13
	s_add_i32 s7, s7, s17
	s_add_u32 s70, s70, s7
	s_addc_u32 s71, s71, 0
	s_and_b32 s7, s6, s10
	v_cndmask_b32_e64 v2, 0, 1, s7
	s_and_b32 s7, s12, s14
	v_cndmask_b32_e64 v3, 0, 1, s7
	;; [unrolled: 2-line block ×3, first 2 shown]
	s_and_b32 s7, s21, s23
	v_cmp_ne_u32_e64 s9, 0, v3
	v_cndmask_b32_e64 v5, 0, 1, s7
	v_cmp_ne_u32_e64 s7, 0, v2
	v_cmp_ne_u32_e64 s10, 0, v4
	s_bcnt1_i32_b32 s9, s9
	v_cmp_ne_u32_e64 s13, 0, v5
	s_bcnt1_i32_b32 s7, s7
	s_bcnt1_i32_b32 s10, s10
	s_add_i32 s7, s9, s7
	s_bcnt1_i32_b32 s13, s13
	s_add_i32 s7, s7, s10
	s_add_i32 s7, s7, s13
	s_add_u32 s68, s68, s7
	s_addc_u32 s69, s69, 0
	s_and_b32 s6, s6, s11
	v_mov_b32_e32 v6, s68
	v_cndmask_b32_e64 v2, 0, 1, s6
	s_and_b32 s6, s12, s15
	v_mov_b32_e32 v7, s69
	v_cndmask_b32_e64 v3, 0, 1, s6
	s_and_b32 s6, s16, s20
	v_cndmask_b32_e64 v4, 0, 1, s6
	s_and_b32 s6, s21, s24
	v_cmp_ne_u32_e64 s7, 0, v3
	v_cndmask_b32_e64 v5, 0, 1, s6
	v_cmp_ne_u32_e64 s6, 0, v2
	v_cmp_ne_u32_e64 s9, 0, v4
	v_mov_b32_e32 v2, s72
	s_bcnt1_i32_b32 s7, s7
	v_cmp_ne_u32_e64 s10, 0, v5
	s_bcnt1_i32_b32 s6, s6
	s_bcnt1_i32_b32 s9, s9
	s_add_i32 s6, s7, s6
	v_mov_b32_e32 v4, s70
	s_bcnt1_i32_b32 s7, s10
	s_add_i32 s6, s6, s9
	v_mov_b32_e32 v3, s73
	s_add_i32 s6, s6, s7
	v_mov_b32_e32 v5, s71
	s_add_u32 s66, s66, s6
	s_addc_u32 s67, s67, 0
	v_mov_b32_e32 v8, s66
	v_mov_b32_e32 v9, s67
	s_or_b32 s58, vcc_lo, s58
	s_andn2_b32 exec_lo, exec_lo, s58
	s_cbranch_execnz .LBB195_54
; %bb.55:                               ;   in Loop: Header=BB195_12 Depth=1
	s_or_b32 exec_lo, exec_lo, s58
.LBB195_56:                             ;   in Loop: Header=BB195_12 Depth=1
	s_or_b32 exec_lo, exec_lo, s26
	v_add_co_u32 v21, s6, s64, v0
	v_and_b32_e32 v12, 0xffff, v12
	v_add_co_ci_u32_e64 v22, null, s65, 0, s6
	s_mov_b32 s11, exec_lo
	v_cmpx_gt_u64_e64 s[36:37], v[21:22]
	s_cbranch_execz .LBB195_62
; %bb.57:                               ;   in Loop: Header=BB195_12 Depth=1
	v_mul_lo_u32 v17, v22, s30
	v_mul_lo_u32 v33, v21, s31
	v_mad_u64_u32 v[31:32], null, v21, s30, 0
	s_mov_b32 s12, 0
	v_add3_u32 v32, v32, v33, v17
	v_lshlrev_b64 v[31:32], 2, v[31:32]
	v_add_co_u32 v31, vcc_lo, s33, v31
	v_add_co_ci_u32_e64 v32, null, s35, v32, vcc_lo
	global_load_dword v31, v[31:32], off
	s_branch .LBB195_59
.LBB195_58:                             ;   in Loop: Header=BB195_59 Depth=2
	s_or_b32 exec_lo, exec_lo, s7
	s_waitcnt vmcnt(0)
	v_cmp_lt_i32_e64 s6, -1, v31
	s_and_b32 s7, exec_lo, vcc_lo
	s_or_b32 s12, s7, s12
	v_cndmask_b32_e64 v32, -1, 0x80000000, s6
	v_cmp_o_f32_e64 s6, v31, v31
	v_xor_b32_e32 v32, v32, v31
	v_cndmask_b32_e64 v31, -1, v32, s6
	v_and_b32_e32 v32, v31, v30
	v_bfe_u32 v31, v31, s93, 2
	v_cmp_eq_u32_e32 vcc_lo, v32, v25
	v_cmp_eq_u32_e64 s6, 0, v31
	v_cmp_eq_u32_e64 s7, 1, v31
	;; [unrolled: 1-line block ×4, first 2 shown]
	s_and_b32 s6, vcc_lo, s6
	v_cndmask_b32_e64 v31, 0, 1, s6
	s_and_b32 s6, vcc_lo, s7
	v_cndmask_b32_e64 v32, 0, 1, s6
	;; [unrolled: 2-line block ×3, first 2 shown]
	s_and_b32 s6, vcc_lo, s10
	v_cmp_ne_u32_e32 vcc_lo, 0, v31
	v_cndmask_b32_e64 v34, 0, 1, s6
	v_cmp_ne_u32_e64 s6, 0, v32
	v_cmp_ne_u32_e64 s7, 0, v33
	v_mov_b32_e32 v31, v17
	s_bcnt1_i32_b32 s10, vcc_lo
	v_cmp_ne_u32_e64 s9, 0, v34
	s_bcnt1_i32_b32 s6, s6
	v_add_co_u32 v2, vcc_lo, v2, s10
	s_bcnt1_i32_b32 s7, s7
	v_add_co_ci_u32_e64 v3, null, 0, v3, vcc_lo
	v_add_co_u32 v4, vcc_lo, v4, s6
	v_add_co_ci_u32_e64 v5, null, 0, v5, vcc_lo
	v_add_co_u32 v6, vcc_lo, v6, s7
	s_bcnt1_i32_b32 s6, s9
	v_add_co_ci_u32_e64 v7, null, 0, v7, vcc_lo
	v_add_co_u32 v8, vcc_lo, v8, s6
	v_add_co_ci_u32_e64 v9, null, 0, v9, vcc_lo
	s_andn2_b32 exec_lo, exec_lo, s12
	s_cbranch_execz .LBB195_61
.LBB195_59:                             ;   Parent Loop BB195_12 Depth=1
                                        ; =>  This Inner Loop Header: Depth=2
	v_add_co_u32 v21, vcc_lo, v21, v12
	v_add_co_ci_u32_e64 v22, null, 0, v22, vcc_lo
	v_mov_b32_e32 v17, 0
	s_mov_b32 s7, exec_lo
	v_cmp_le_u64_e32 vcc_lo, s[36:37], v[21:22]
	v_cmpx_gt_u64_e64 s[36:37], v[21:22]
	s_cbranch_execz .LBB195_58
; %bb.60:                               ;   in Loop: Header=BB195_59 Depth=2
	v_mul_lo_u32 v17, v22, s30
	v_mul_lo_u32 v34, v21, s31
	v_mad_u64_u32 v[32:33], null, v21, s30, 0
	v_add3_u32 v33, v33, v34, v17
	v_lshlrev_b64 v[32:33], 2, v[32:33]
	v_add_co_u32 v32, s6, s33, v32
	v_add_co_ci_u32_e64 v33, null, s35, v33, s6
	global_load_dword v17, v[32:33], off
	s_branch .LBB195_58
.LBB195_61:                             ;   in Loop: Header=BB195_12 Depth=1
	s_or_b32 exec_lo, exec_lo, s12
.LBB195_62:                             ;   in Loop: Header=BB195_12 Depth=1
	s_or_b32 exec_lo, exec_lo, s11
	s_branch .LBB195_41
.LBB195_63:                             ;   in Loop: Header=BB195_12 Depth=1
	global_load_ushort v12, v13, s[60:61]
	v_mov_b32_e32 v4, 0
	v_mov_b32_e32 v6, 0
	;; [unrolled: 1-line block ×6, first 2 shown]
	s_mov_b32 s63, exec_lo
	s_waitcnt vmcnt(0)
	v_readfirstlane_b32 s6, v12
	s_and_b32 s6, 0xffff, s6
	s_lshl_b32 s58, s6, 2
	v_cvt_f32_u32_e32 v2, s58
	s_sub_i32 s9, 0, s58
	v_rcp_iflag_f32_e32 v2, v2
	v_mul_f32_e32 v2, 0x4f7ffffe, v2
	v_cvt_u32_f32_e32 v2, v2
	v_readfirstlane_b32 s7, v2
	v_mov_b32_e32 v2, 0
	v_mov_b32_e32 v3, 0
	s_mul_i32 s9, s9, s7
	s_mul_hi_u32 s9, s7, s9
	s_add_i32 s7, s7, s9
	s_mul_hi_u32 s7, s62, s7
	s_mul_i32 s9, s7, s58
	s_add_i32 s10, s7, 1
	s_sub_i32 s9, s62, s9
	s_sub_i32 s11, s9, s58
	s_cmp_ge_u32 s9, s58
	s_cselect_b32 s7, s10, s7
	s_cselect_b32 s9, s11, s9
	s_add_i32 s10, s7, 1
	s_cmp_ge_u32 s9, s58
	s_cselect_b32 s7, s10, s7
	s_mul_hi_u32 s65, s6, s7
	s_mul_i32 s64, s6, s7
	s_lshl_b64 s[66:67], s[64:65], 2
	v_cmpx_gt_u64_e64 s[66:67], v[14:15]
	s_cbranch_execz .LBB195_67
; %bb.64:                               ;   in Loop: Header=BB195_12 Depth=1
	v_mov_b32_e32 v22, v15
	v_mov_b32_e32 v17, v28
	;; [unrolled: 1-line block ×3, first 2 shown]
	s_lshl_b32 s65, s6, 4
	s_mov_b64 s[68:69], 0
	s_mov_b32 s104, 0
	s_mov_b64 s[70:71], 0
	s_mov_b64 s[72:73], 0
	;; [unrolled: 1-line block ×3, first 2 shown]
.LBB195_65:                             ;   Parent Loop BB195_12 Depth=1
                                        ; =>  This Inner Loop Header: Depth=2
	ds_read_b128 v[2:5], v17
	v_add_co_u32 v21, vcc_lo, v21, s58
	v_add_co_ci_u32_e64 v22, null, 0, v22, vcc_lo
	v_add_nc_u32_e32 v17, s65, v17
	v_cmp_le_u64_e32 vcc_lo, s[66:67], v[21:22]
	s_waitcnt lgkmcnt(0)
	v_cmp_lt_i32_e64 s6, -1, v2
	v_cmp_o_f32_e64 s10, v2, v2
	v_cmp_o_f32_e64 s7, v4, v4
	;; [unrolled: 1-line block ×3, first 2 shown]
	v_cndmask_b32_e64 v6, -1, 0x80000000, s6
	v_cmp_lt_i32_e64 s6, -1, v3
	v_xor_b32_e32 v6, v6, v2
	v_cndmask_b32_e64 v7, -1, 0x80000000, s6
	v_cmp_lt_i32_e64 s6, -1, v4
	v_cndmask_b32_e64 v2, -1, v6, s10
	v_xor_b32_e32 v7, v7, v3
	v_cndmask_b32_e64 v8, -1, 0x80000000, s6
	v_cmp_lt_i32_e64 s6, -1, v5
	v_and_b32_e32 v6, v2, v30
	v_bfe_u32 v2, v2, s93, 2
	v_cndmask_b32_e64 v9, -1, 0x80000000, s6
	v_cmp_o_f32_e64 s6, v3, v3
	v_xor_b32_e32 v3, v8, v4
	v_cmp_eq_u32_e64 s11, 0, v2
	v_cmp_eq_u32_e64 s15, 1, v2
	v_xor_b32_e32 v4, v9, v5
	v_cndmask_b32_e64 v5, -1, v7, s6
	v_cndmask_b32_e64 v3, -1, v3, s7
	v_cmp_eq_u32_e64 s6, v6, v25
	v_cmp_eq_u32_e64 s19, 2, v2
	v_cndmask_b32_e64 v4, -1, v4, s9
	v_and_b32_e32 v7, v5, v30
	v_bfe_u32 v5, v5, s93, 2
	v_and_b32_e32 v8, v3, v30
	v_bfe_u32 v3, v3, s93, 2
	;; [unrolled: 2-line block ×3, first 2 shown]
	v_cmp_eq_u32_e64 s7, v7, v25
	v_cmp_eq_u32_e64 s12, 0, v5
	;; [unrolled: 1-line block ×4, first 2 shown]
	s_and_b32 s11, s6, s11
	v_cmp_eq_u32_e64 s10, v9, v25
	v_cmp_eq_u32_e64 s14, 0, v4
	v_cmp_eq_u32_e64 s23, 3, v2
	v_cndmask_b32_e64 v2, 0, 1, s11
	s_and_b32 s11, s7, s12
	v_cmp_eq_u32_e64 s17, 1, v3
	v_cmp_eq_u32_e64 s21, 2, v3
	v_cmp_eq_u32_e64 s25, 3, v3
	v_cndmask_b32_e64 v3, 0, 1, s11
	;; [unrolled: 5-line block ×4, first 2 shown]
	v_cmp_ne_u32_e64 s11, 0, v2
	v_cmp_ne_u32_e64 s12, 0, v3
	;; [unrolled: 1-line block ×4, first 2 shown]
	s_bcnt1_i32_b32 s11, s11
	s_bcnt1_i32_b32 s12, s12
	;; [unrolled: 1-line block ×3, first 2 shown]
	s_add_i32 s11, s12, s11
	s_bcnt1_i32_b32 s14, s14
	s_add_i32 s11, s11, s13
	s_add_i32 s11, s11, s14
	s_add_u32 s74, s74, s11
	s_addc_u32 s75, s75, 0
	s_and_b32 s11, s6, s15
	v_cndmask_b32_e64 v2, 0, 1, s11
	s_and_b32 s11, s7, s16
	v_cndmask_b32_e64 v3, 0, 1, s11
	;; [unrolled: 2-line block ×3, first 2 shown]
	s_and_b32 s11, s10, s18
	v_cmp_ne_u32_e64 s12, 0, v3
	v_cndmask_b32_e64 v5, 0, 1, s11
	v_cmp_ne_u32_e64 s11, 0, v2
	v_cmp_ne_u32_e64 s13, 0, v4
	s_bcnt1_i32_b32 s12, s12
	v_cmp_ne_u32_e64 s14, 0, v5
	s_bcnt1_i32_b32 s11, s11
	s_bcnt1_i32_b32 s13, s13
	s_add_i32 s11, s12, s11
	s_bcnt1_i32_b32 s14, s14
	s_add_i32 s11, s11, s13
	s_add_i32 s11, s11, s14
	s_add_u32 s72, s72, s11
	s_addc_u32 s73, s73, 0
	s_and_b32 s11, s6, s19
	v_cndmask_b32_e64 v2, 0, 1, s11
	s_and_b32 s11, s7, s20
	v_cndmask_b32_e64 v3, 0, 1, s11
	;; [unrolled: 2-line block ×3, first 2 shown]
	s_and_b32 s11, s10, s22
	v_cmp_ne_u32_e64 s12, 0, v3
	v_cndmask_b32_e64 v5, 0, 1, s11
	v_cmp_ne_u32_e64 s11, 0, v2
	v_cmp_ne_u32_e64 s13, 0, v4
	s_bcnt1_i32_b32 s12, s12
	v_cmp_ne_u32_e64 s14, 0, v5
	s_bcnt1_i32_b32 s11, s11
	s_bcnt1_i32_b32 s13, s13
	s_add_i32 s11, s12, s11
	s_bcnt1_i32_b32 s14, s14
	s_add_i32 s11, s11, s13
	s_add_i32 s11, s11, s14
	s_add_u32 s70, s70, s11
	s_addc_u32 s71, s71, 0
	s_and_b32 s6, s6, s23
	v_mov_b32_e32 v6, s70
	v_cndmask_b32_e64 v2, 0, 1, s6
	s_and_b32 s6, s7, s24
	v_mov_b32_e32 v7, s71
	v_cndmask_b32_e64 v3, 0, 1, s6
	s_and_b32 s6, s9, s25
	v_cndmask_b32_e64 v4, 0, 1, s6
	s_and_b32 s6, s10, s26
	v_cmp_ne_u32_e64 s7, 0, v3
	v_cndmask_b32_e64 v5, 0, 1, s6
	v_cmp_ne_u32_e64 s6, 0, v2
	v_cmp_ne_u32_e64 s9, 0, v4
	v_mov_b32_e32 v2, s74
	s_bcnt1_i32_b32 s7, s7
	v_cmp_ne_u32_e64 s10, 0, v5
	s_bcnt1_i32_b32 s6, s6
	s_bcnt1_i32_b32 s9, s9
	s_add_i32 s6, s7, s6
	v_mov_b32_e32 v4, s72
	s_bcnt1_i32_b32 s7, s10
	s_add_i32 s6, s6, s9
	v_mov_b32_e32 v3, s75
	s_add_i32 s6, s6, s7
	v_mov_b32_e32 v5, s73
	s_add_u32 s68, s68, s6
	s_addc_u32 s69, s69, 0
	v_mov_b32_e32 v8, s68
	v_mov_b32_e32 v9, s69
	s_or_b32 s104, vcc_lo, s104
	s_andn2_b32 exec_lo, exec_lo, s104
	s_cbranch_execnz .LBB195_65
; %bb.66:                               ;   in Loop: Header=BB195_12 Depth=1
	s_or_b32 exec_lo, exec_lo, s104
.LBB195_67:                             ;   in Loop: Header=BB195_12 Depth=1
	s_or_b32 exec_lo, exec_lo, s63
	v_add_co_u32 v21, s6, s66, v0
	v_and_b32_e32 v12, 0xffff, v12
	v_add_co_ci_u32_e64 v22, null, s67, 0, s6
	s_and_b32 s26, s62, 0x7fffffff
	s_mov_b32 s12, exec_lo
	v_cmpx_gt_u64_e64 s[26:27], v[21:22]
	s_cbranch_execz .LBB195_71
; %bb.68:                               ;   in Loop: Header=BB195_12 Depth=1
	v_lshl_add_u32 v17, s64, 4, v14
	s_mov_b32 s13, 0
.LBB195_69:                             ;   Parent Loop BB195_12 Depth=1
                                        ; =>  This Inner Loop Header: Depth=2
	ds_read_b32 v31, v17
	v_add_co_u32 v21, vcc_lo, v21, v12
	v_add_co_ci_u32_e64 v22, null, 0, v22, vcc_lo
	v_add_nc_u32_e32 v17, s58, v17
	v_cmp_le_u64_e32 vcc_lo, s[26:27], v[21:22]
	s_waitcnt lgkmcnt(0)
	v_cmp_lt_i32_e64 s6, -1, v31
	v_cndmask_b32_e64 v32, -1, 0x80000000, s6
	v_cmp_o_f32_e64 s6, v31, v31
	v_xor_b32_e32 v32, v32, v31
	v_cndmask_b32_e64 v31, -1, v32, s6
	v_and_b32_e32 v32, v31, v30
	v_bfe_u32 v31, v31, s93, 2
	v_cmp_eq_u32_e64 s6, v32, v25
	v_cmp_eq_u32_e64 s7, 0, v31
	;; [unrolled: 1-line block ×5, first 2 shown]
	s_and_b32 s7, s6, s7
	v_cndmask_b32_e64 v31, 0, 1, s7
	s_and_b32 s7, s6, s9
	v_cndmask_b32_e64 v32, 0, 1, s7
	s_and_b32 s7, s6, s10
	s_and_b32 s6, s6, s11
	v_cndmask_b32_e64 v33, 0, 1, s7
	v_cndmask_b32_e64 v34, 0, 1, s6
	v_cmp_ne_u32_e64 s6, 0, v31
	v_cmp_ne_u32_e64 s7, 0, v32
	;; [unrolled: 1-line block ×4, first 2 shown]
	s_bcnt1_i32_b32 s6, s6
	s_bcnt1_i32_b32 s7, s7
	v_add_co_u32 v2, s6, v2, s6
	s_bcnt1_i32_b32 s9, s9
	v_add_co_ci_u32_e64 v3, null, 0, v3, s6
	v_add_co_u32 v4, s6, v4, s7
	s_bcnt1_i32_b32 s10, s10
	v_add_co_ci_u32_e64 v5, null, 0, v5, s6
	v_add_co_u32 v6, s6, v6, s9
	v_add_co_ci_u32_e64 v7, null, 0, v7, s6
	v_add_co_u32 v8, s6, v8, s10
	v_add_co_ci_u32_e64 v9, null, 0, v9, s6
	s_or_b32 s13, vcc_lo, s13
	s_andn2_b32 exec_lo, exec_lo, s13
	s_cbranch_execnz .LBB195_69
; %bb.70:                               ;   in Loop: Header=BB195_12 Depth=1
	s_or_b32 exec_lo, exec_lo, s13
.LBB195_71:                             ;   in Loop: Header=BB195_12 Depth=1
	s_or_b32 exec_lo, exec_lo, s12
	s_lshl_b32 s6, s89, 7
	s_and_saveexec_b32 s7, s0
	s_cbranch_execnz .LBB195_42
	s_branch .LBB195_43
.LBB195_72:                             ;   in Loop: Header=BB195_12 Depth=1
                                        ; implicit-def: $sgpr6_sgpr7
	s_branch .LBB195_51
.LBB195_73:                             ;   in Loop: Header=BB195_12 Depth=1
	s_mov_b32 s9, 0
	s_andn2_b32 vcc_lo, exec_lo, s85
	s_cbranch_vccnz .LBB195_76
.LBB195_74:                             ;   in Loop: Header=BB195_12 Depth=1
	s_lshl_b32 s10, s89, 10
	s_lshl_b32 s9, s9, 5
	v_add3_u32 v4, s10, s9, v29
	s_mov_b32 s9, s83
.LBB195_75:                             ;   Parent Loop BB195_12 Depth=1
                                        ; =>  This Inner Loop Header: Depth=2
	ds_read_b64 v[5:6], v4
	v_add_nc_u32_e32 v4, 32, v4
	s_add_i32 s9, s9, -1
	s_cmp_lg_u32 s9, 0
	s_waitcnt lgkmcnt(0)
	v_add_co_u32 v2, vcc_lo, v5, v2
	v_add_co_ci_u32_e64 v3, null, v6, v3, vcc_lo
	s_cbranch_scc1 .LBB195_75
.LBB195_76:                             ;   in Loop: Header=BB195_12 Depth=1
	v_add_lshl_u32 v4, s6, v24, 3
	ds_write_b64 v4, v[2:3] offset:3072
.LBB195_77:                             ;   in Loop: Header=BB195_12 Depth=1
	s_or_b32 exec_lo, exec_lo, s7
	s_lshl_b32 s6, s6, 3
	s_waitcnt lgkmcnt(0)
	v_mov_b32_e32 v6, s6
	s_barrier
	buffer_gl0_inv
	v_cmp_eq_u64_e64 s7, 1, v[19:20]
	s_lshl_b32 s9, 3, s93
	ds_read_b128 v[2:5], v6 offset:3072
	ds_read_b128 v[6:9], v6 offset:3088
	s_mov_b32 s64, -1
	s_not_b32 s24, s9
	s_mov_b32 s25, 0
	s_andn2_b32 vcc_lo, exec_lo, s53
	s_mov_b32 s23, 0
	s_mov_b32 s22, 0
                                        ; implicit-def: $sgpr62
                                        ; implicit-def: $sgpr63
                                        ; implicit-def: $vgpr12
	s_waitcnt lgkmcnt(1)
	v_readfirstlane_b32 s11, v3
	v_readfirstlane_b32 s10, v2
	;; [unrolled: 1-line block ×4, first 2 shown]
	s_waitcnt lgkmcnt(0)
	v_readfirstlane_b32 s15, v7
	v_readfirstlane_b32 s14, v6
	;; [unrolled: 1-line block ×4, first 2 shown]
                                        ; implicit-def: $vgpr2_vgpr3
                                        ; implicit-def: $vgpr8
                                        ; implicit-def: $vgpr9
                                        ; implicit-def: $vgpr5
	s_cbranch_vccnz .LBB195_280
; %bb.78:                               ;   in Loop: Header=BB195_12 Depth=1
	s_cmp_eq_u64 s[10:11], 1
	v_mov_b32_e32 v9, v25
	v_mov_b32_e32 v12, v30
	;; [unrolled: 1-line block ×3, first 2 shown]
	s_cselect_b32 s6, -1, 0
	s_mov_b32 s18, -1
	s_and_b32 s6, s6, s7
                                        ; implicit-def: $sgpr63
                                        ; implicit-def: $sgpr62
	s_and_saveexec_b32 s64, s6
	s_cbranch_execz .LBB195_115
; %bb.79:                               ;   in Loop: Header=BB195_12 Depth=1
	ds_read_b64 v[2:3], v13 offset:5120
	s_waitcnt lgkmcnt(0)
	s_barrier
	buffer_gl0_inv
	v_readfirstlane_b32 s18, v2
	v_readfirstlane_b32 s19, v3
	s_and_saveexec_b32 s20, s8
; %bb.80:                               ;   in Loop: Header=BB195_12 Depth=1
	ds_write_b32 v26, v13
; %bb.81:                               ;   in Loop: Header=BB195_12 Depth=1
	s_or_b32 exec_lo, exec_lo, s20
	v_and_b32_e32 v9, s24, v25
	v_or_b32_e32 v12, s9, v30
	s_mov_b32 s62, -1
	s_mov_b32 s63, 0
	s_cmp_eq_u64 s[18:19], 0
	s_mov_b32 s23, -1
	s_waitcnt lgkmcnt(0)
	s_barrier
	buffer_gl0_inv
                                        ; implicit-def: $vgpr5
	s_cbranch_scc1 .LBB195_99
; %bb.82:                               ;   in Loop: Header=BB195_12 Depth=1
	s_add_u32 s58, s18, s80
	s_addc_u32 s21, s19, s81
	s_mov_b32 s20, s27
	s_cmp_lg_u64 s[20:21], 0
	s_cbranch_scc0 .LBB195_142
; %bb.83:                               ;   in Loop: Header=BB195_12 Depth=1
	v_cvt_f32_u32_e32 v2, s49
	s_sub_u32 s23, 0, s49
	s_subb_u32 s26, 0, 0
	v_fmac_f32_e64 v2, 0x4f800000, 0
	v_rcp_f32_e32 v2, v2
	v_mul_f32_e32 v2, 0x5f7ffffc, v2
	v_mul_f32_e32 v3, 0x2f800000, v2
	v_trunc_f32_e32 v3, v3
	v_fmac_f32_e32 v2, 0xcf800000, v3
	v_cvt_u32_f32_e32 v3, v3
	v_cvt_u32_f32_e32 v2, v2
	v_readfirstlane_b32 s20, v3
	v_readfirstlane_b32 s22, v2
	s_mul_i32 s44, s23, s20
	s_mul_hi_u32 s46, s23, s22
	s_mul_i32 s45, s26, s22
	s_add_i32 s44, s46, s44
	s_mul_i32 s47, s23, s22
	s_add_i32 s44, s44, s45
	s_mul_hi_u32 s46, s22, s47
	s_mul_i32 s55, s22, s44
	s_mul_hi_u32 s54, s20, s47
	s_mul_i32 s45, s20, s47
	s_mul_hi_u32 s47, s22, s44
	s_add_u32 s46, s46, s55
	s_addc_u32 s47, 0, s47
	s_mul_hi_u32 s65, s20, s44
	s_add_u32 s45, s46, s45
	s_mul_i32 s44, s20, s44
	s_addc_u32 s45, s47, s54
	s_addc_u32 s46, s65, 0
	s_add_u32 s44, s45, s44
	s_addc_u32 s45, 0, s46
	s_add_u32 s22, s22, s44
	s_cselect_b32 s44, -1, 0
	s_mul_hi_u32 s46, s23, s22
	s_cmp_lg_u32 s44, 0
	s_mul_i32 s44, s23, s22
	s_addc_u32 s20, s20, s45
	s_mul_i32 s26, s26, s22
	s_mul_i32 s23, s23, s20
	s_mul_hi_u32 s45, s22, s44
	s_add_i32 s23, s46, s23
	s_mul_hi_u32 s46, s20, s44
	s_add_i32 s23, s23, s26
	s_mul_i32 s26, s20, s44
	s_mul_i32 s54, s22, s23
	s_mul_hi_u32 s47, s22, s23
	s_add_u32 s45, s45, s54
	s_addc_u32 s47, 0, s47
	s_mul_hi_u32 s44, s20, s23
	s_add_u32 s26, s45, s26
	s_mul_i32 s23, s20, s23
	s_addc_u32 s26, s47, s46
	s_addc_u32 s44, s44, 0
	s_add_u32 s23, s26, s23
	s_addc_u32 s26, 0, s44
	s_add_u32 s22, s22, s23
	s_cselect_b32 s23, -1, 0
	s_mul_hi_u32 s44, s58, s22
	s_cmp_lg_u32 s23, 0
	s_mul_hi_u32 s23, s21, s22
	s_addc_u32 s20, s20, s26
	s_mul_i32 s22, s21, s22
	s_mul_i32 s45, s58, s20
	s_mul_hi_u32 s26, s58, s20
	s_add_u32 s44, s44, s45
	s_addc_u32 s26, 0, s26
	s_mul_hi_u32 s46, s21, s20
	s_add_u32 s22, s44, s22
	s_mul_i32 s20, s21, s20
	s_addc_u32 s22, s26, s23
	s_addc_u32 s23, s46, 0
	s_add_u32 s20, s22, s20
	s_addc_u32 s22, 0, s23
	s_mul_hi_u32 s23, s49, s20
	s_mul_i32 s22, s49, s22
	s_mul_i32 s20, s49, s20
	s_add_i32 s23, s23, s22
	s_sub_u32 s20, s58, s20
	s_cselect_b32 s22, -1, 0
	s_cmp_lg_u32 s22, 0
	s_subb_u32 s22, s21, s23
	s_sub_u32 s23, s20, s49
	s_cselect_b32 s26, -1, 0
	s_cmp_lg_u32 s26, 0
	s_subb_u32 s26, s22, 0
	;; [unrolled: 4-line block ×3, first 2 shown]
	s_cmp_ge_u32 s23, s49
	s_cselect_b32 s46, -1, 0
	s_cmp_eq_u32 s26, 0
	s_cselect_b32 s46, s46, -1
	s_cmp_lg_u32 s46, 0
	s_cselect_b32 s26, s45, s26
	s_cselect_b32 s44, s44, s23
	s_cmp_ge_u32 s20, s49
	s_cselect_b32 s23, -1, 0
	s_cmp_eq_u32 s22, 0
	s_cselect_b32 s23, s23, -1
	s_cmp_lg_u32 s23, 0
	s_cselect_b32 s23, s26, s22
	s_cselect_b32 s22, s44, s20
	s_cbranch_execnz .LBB195_85
.LBB195_84:                             ;   in Loop: Header=BB195_12 Depth=1
	v_cvt_f32_u32_e32 v2, s49
	s_sub_i32 s22, 0, s49
	v_rcp_iflag_f32_e32 v2, v2
	v_mul_f32_e32 v2, 0x4f7ffffe, v2
	v_cvt_u32_f32_e32 v2, v2
	v_readfirstlane_b32 s20, v2
	s_mul_i32 s22, s22, s20
	s_mul_hi_u32 s22, s20, s22
	s_add_i32 s20, s20, s22
	s_mul_hi_u32 s20, s58, s20
	s_mul_i32 s20, s20, s49
	s_sub_i32 s20, s58, s20
	s_sub_i32 s22, s20, s49
	s_cmp_ge_u32 s20, s49
	s_cselect_b32 s20, s22, s20
	s_sub_i32 s22, s20, s49
	s_cmp_ge_u32 s20, s49
	s_cselect_b32 s26, s22, s20
	s_mov_b64 s[22:23], s[26:27]
.LBB195_85:                             ;   in Loop: Header=BB195_12 Depth=1
	s_sub_u32 s20, s58, s22
	s_subb_u32 s21, s21, s23
	s_mov_b32 s23, 0
	s_mov_b32 s22, 0
	s_mov_b32 s26, exec_lo
                                        ; implicit-def: $vgpr5
	v_cmpx_gt_u64_e64 s[20:21], v[0:1]
	s_cbranch_execz .LBB195_98
; %bb.86:                               ;   in Loop: Header=BB195_12 Depth=1
	v_mov_b32_e32 v3, v1
	v_mov_b32_e32 v6, v14
	;; [unrolled: 1-line block ×3, first 2 shown]
                                        ; implicit-def: $sgpr58
	s_inst_prefetch 0x1
	s_branch .LBB195_90
	.p2align	6
.LBB195_87:                             ;   in Loop: Header=BB195_90 Depth=2
	s_or_b32 exec_lo, exec_lo, s44
	s_waitcnt lgkmcnt(0)
	s_barrier
	buffer_gl0_inv
	ds_read_b64 v[4:5], v13 offset:3072
	s_waitcnt lgkmcnt(0)
	s_barrier
	buffer_gl0_inv
	v_cmp_neq_f32_e32 vcc_lo, 0, v4
	s_cbranch_vccnz .LBB195_93
; %bb.88:                               ;   in Loop: Header=BB195_90 Depth=2
	v_add_co_u32 v2, vcc_lo, v2, s49
	v_add_co_ci_u32_e64 v3, null, 0, v3, vcc_lo
	v_add_nc_u32_e32 v6, s86, v6
	s_mov_b32 s44, 0
	v_cmp_le_u64_e32 vcc_lo, s[20:21], v[2:3]
	s_orn2_b32 s45, vcc_lo, exec_lo
.LBB195_89:                             ;   in Loop: Header=BB195_90 Depth=2
	s_and_b32 s45, exec_lo, s45
	s_or_b32 s22, s45, s22
	s_andn2_b32 s45, s58, exec_lo
	s_and_b32 s44, s44, exec_lo
	s_or_b32 s58, s45, s44
	s_andn2_b32 exec_lo, exec_lo, s22
	s_cbranch_execz .LBB195_97
.LBB195_90:                             ;   Parent Loop BB195_12 Depth=1
                                        ; =>  This Inner Loop Header: Depth=2
	s_mov_b32 s44, exec_lo
	v_cmpx_gt_u64_e64 s[18:19], v[2:3]
	s_cbranch_execz .LBB195_87
; %bb.91:                               ;   in Loop: Header=BB195_90 Depth=2
	ds_read_b32 v17, v6
	s_waitcnt lgkmcnt(0)
	v_cmp_lt_i32_e32 vcc_lo, -1, v17
	v_cndmask_b32_e64 v4, -1, 0x80000000, vcc_lo
	v_cmp_o_f32_e32 vcc_lo, v17, v17
	v_xor_b32_e32 v4, v4, v17
	v_cndmask_b32_e32 v4, -1, v4, vcc_lo
	v_and_b32_e32 v4, v4, v12
	v_cmp_eq_u32_e32 vcc_lo, v4, v9
	s_and_b32 exec_lo, exec_lo, vcc_lo
	s_cbranch_execz .LBB195_87
; %bb.92:                               ;   in Loop: Header=BB195_90 Depth=2
	ds_write_b64 v13, v[16:17] offset:3072
	s_branch .LBB195_87
.LBB195_93:                             ;   in Loop: Header=BB195_90 Depth=2
	s_mov_b32 s45, -1
	s_mov_b32 s44, -1
                                        ; implicit-def: $vgpr2_vgpr3
                                        ; implicit-def: $vgpr6
	s_branch .LBB195_89
.LBB195_94:                             ;   in Loop: Header=BB195_12 Depth=1
	s_or_b32 exec_lo, exec_lo, s10
	s_waitcnt lgkmcnt(0)
	s_barrier
	buffer_gl0_inv
	s_and_saveexec_b32 s6, s3
	s_cbranch_execz .LBB195_96
; %bb.95:                               ;   in Loop: Header=BB195_12 Depth=1
	ds_read_b32 v2, v13 offset:5144
	s_waitcnt lgkmcnt(0)
	v_ashrrev_i32_e32 v3, 31, v2
	ds_write_b64 v13, v[2:3] offset:5120
.LBB195_96:                             ;   in Loop: Header=BB195_12 Depth=1
	s_or_b32 exec_lo, exec_lo, s6
	s_waitcnt lgkmcnt(0)
	s_mov_b32 s6, -1
	s_barrier
	s_and_b32 vcc_lo, exec_lo, s9
	s_cbranch_vccnz .LBB195_28
	s_branch .LBB195_37
.LBB195_97:                             ;   in Loop: Header=BB195_12 Depth=1
	s_inst_prefetch 0x2
	s_or_b32 exec_lo, exec_lo, s22
	s_and_b32 s22, s58, exec_lo
.LBB195_98:                             ;   in Loop: Header=BB195_12 Depth=1
	s_or_b32 exec_lo, exec_lo, s26
.LBB195_99:                             ;   in Loop: Header=BB195_12 Depth=1
	s_and_b32 vcc_lo, exec_lo, s23
	s_cbranch_vccz .LBB195_114
; %bb.100:                              ;   in Loop: Header=BB195_12 Depth=1
	s_mov_b32 s58, s27
	s_cmp_lg_u64 s[58:59], 0
	s_cbranch_scc0 .LBB195_143
; %bb.101:                              ;   in Loop: Header=BB195_12 Depth=1
	v_cvt_f32_u32_e32 v2, s49
	s_sub_u32 s20, 0, s49
	s_subb_u32 s21, 0, 0
	v_fmac_f32_e64 v2, 0x4f800000, 0
	v_rcp_f32_e32 v2, v2
	v_mul_f32_e32 v2, 0x5f7ffffc, v2
	v_mul_f32_e32 v3, 0x2f800000, v2
	v_trunc_f32_e32 v3, v3
	v_fmac_f32_e32 v2, 0xcf800000, v3
	v_cvt_u32_f32_e32 v3, v3
	v_cvt_u32_f32_e32 v2, v2
	v_readfirstlane_b32 s18, v3
	v_readfirstlane_b32 s19, v2
	s_mul_i32 s23, s20, s18
	s_mul_hi_u32 s44, s20, s19
	s_mul_i32 s26, s21, s19
	s_add_i32 s23, s44, s23
	s_mul_i32 s45, s20, s19
	s_add_i32 s23, s23, s26
	s_mul_hi_u32 s44, s19, s45
	s_mul_i32 s47, s19, s23
	s_mul_hi_u32 s46, s18, s45
	s_mul_i32 s26, s18, s45
	s_mul_hi_u32 s45, s19, s23
	s_add_u32 s44, s44, s47
	s_addc_u32 s45, 0, s45
	s_mul_hi_u32 s54, s18, s23
	s_add_u32 s26, s44, s26
	s_mul_i32 s23, s18, s23
	s_addc_u32 s26, s45, s46
	s_addc_u32 s44, s54, 0
	s_add_u32 s23, s26, s23
	s_addc_u32 s26, 0, s44
	s_add_u32 s19, s19, s23
	s_cselect_b32 s23, -1, 0
	s_mul_hi_u32 s44, s20, s19
	s_cmp_lg_u32 s23, 0
	s_mul_i32 s23, s20, s19
	s_addc_u32 s18, s18, s26
	s_mul_i32 s21, s21, s19
	s_mul_i32 s20, s20, s18
	s_mul_hi_u32 s26, s19, s23
	s_add_i32 s20, s44, s20
	s_mul_hi_u32 s44, s18, s23
	s_add_i32 s20, s20, s21
	s_mul_i32 s21, s18, s23
	s_mul_i32 s46, s19, s20
	s_mul_hi_u32 s45, s19, s20
	s_add_u32 s26, s26, s46
	s_addc_u32 s45, 0, s45
	s_mul_hi_u32 s23, s18, s20
	s_add_u32 s21, s26, s21
	s_mul_i32 s20, s18, s20
	s_addc_u32 s21, s45, s44
	s_addc_u32 s23, s23, 0
	s_add_u32 s20, s21, s20
	s_addc_u32 s21, 0, s23
	s_add_u32 s19, s19, s20
	s_cselect_b32 s20, -1, 0
	s_mul_hi_u32 s23, s82, s19
	s_cmp_lg_u32 s20, 0
	s_mul_hi_u32 s20, s59, s19
	s_addc_u32 s18, s18, s21
	s_mul_i32 s19, s59, s19
	s_mul_i32 s26, s82, s18
	s_mul_hi_u32 s21, s82, s18
	s_add_u32 s23, s23, s26
	s_addc_u32 s21, 0, s21
	s_mul_hi_u32 s44, s59, s18
	s_add_u32 s19, s23, s19
	s_mul_i32 s18, s59, s18
	s_addc_u32 s19, s21, s20
	s_addc_u32 s20, s44, 0
	s_add_u32 s18, s19, s18
	s_addc_u32 s19, 0, s20
	s_mul_hi_u32 s20, s49, s18
	s_mul_i32 s19, s49, s19
	s_mul_i32 s18, s49, s18
	s_add_i32 s20, s20, s19
	s_sub_u32 s18, s82, s18
	s_cselect_b32 s19, -1, 0
	s_cmp_lg_u32 s19, 0
	s_subb_u32 s19, s59, s20
	s_sub_u32 s20, s18, s49
	s_cselect_b32 s21, -1, 0
	s_cmp_lg_u32 s21, 0
	s_subb_u32 s21, s19, 0
	;; [unrolled: 4-line block ×3, first 2 shown]
	s_cmp_ge_u32 s20, s49
	s_cselect_b32 s44, -1, 0
	s_cmp_eq_u32 s21, 0
	s_cselect_b32 s44, s44, -1
	s_cmp_lg_u32 s44, 0
	s_cselect_b32 s21, s26, s21
	s_cselect_b32 s20, s23, s20
	s_cmp_ge_u32 s18, s49
	s_cselect_b32 s23, -1, 0
	s_cmp_eq_u32 s19, 0
	s_cselect_b32 s23, s23, -1
	s_cmp_lg_u32 s23, 0
	s_cselect_b32 s19, s21, s19
	s_cselect_b32 s18, s20, s18
	s_cbranch_execnz .LBB195_103
.LBB195_102:                            ;   in Loop: Header=BB195_12 Depth=1
	v_cvt_f32_u32_e32 v2, s49
	s_sub_i32 s19, 0, s49
	v_rcp_iflag_f32_e32 v2, v2
	v_mul_f32_e32 v2, 0x4f7ffffe, v2
	v_cvt_u32_f32_e32 v2, v2
	v_readfirstlane_b32 s18, v2
	s_mul_i32 s19, s19, s18
	s_mul_hi_u32 s19, s18, s19
	s_add_i32 s18, s18, s19
	s_mul_hi_u32 s18, s82, s18
	s_mul_i32 s18, s18, s49
	s_sub_i32 s18, s82, s18
	s_sub_i32 s19, s18, s49
	s_cmp_ge_u32 s18, s49
	s_cselect_b32 s18, s19, s18
	s_sub_i32 s19, s18, s49
	s_cmp_ge_u32 s18, s49
	s_cselect_b32 s26, s19, s18
	s_mov_b64 s[18:19], s[26:27]
.LBB195_103:                            ;   in Loop: Header=BB195_12 Depth=1
	s_sub_u32 s18, s82, s18
	s_subb_u32 s19, s59, s19
	s_mov_b32 s20, exec_lo
                                        ; implicit-def: $vgpr5
	v_cmpx_gt_u64_e64 s[18:19], v[0:1]
	s_cbranch_execz .LBB195_113
; %bb.104:                              ;   in Loop: Header=BB195_12 Depth=1
	v_mov_b32_e32 v3, v1
	v_mov_b32_e32 v2, v0
	s_mov_b32 s21, 0
                                        ; implicit-def: $sgpr23
	s_branch .LBB195_108
.LBB195_105:                            ;   in Loop: Header=BB195_108 Depth=2
	s_or_b32 exec_lo, exec_lo, s26
	s_waitcnt lgkmcnt(0)
	s_barrier
	buffer_gl0_inv
	ds_read_b64 v[4:5], v13 offset:3072
	s_waitcnt lgkmcnt(0)
	s_barrier
	buffer_gl0_inv
	v_cmp_neq_f32_e32 vcc_lo, 0, v4
	s_cbranch_vccnz .LBB195_111
; %bb.106:                              ;   in Loop: Header=BB195_108 Depth=2
	v_add_co_u32 v2, vcc_lo, v2, s49
	v_add_co_ci_u32_e64 v3, null, 0, v3, vcc_lo
	s_mov_b32 s26, 0
	v_cmp_le_u64_e32 vcc_lo, s[18:19], v[2:3]
	s_orn2_b32 s44, vcc_lo, exec_lo
.LBB195_107:                            ;   in Loop: Header=BB195_108 Depth=2
	s_and_b32 s44, exec_lo, s44
	s_or_b32 s21, s44, s21
	s_andn2_b32 s23, s23, exec_lo
	s_and_b32 s26, s26, exec_lo
	s_or_b32 s23, s23, s26
	s_andn2_b32 exec_lo, exec_lo, s21
	s_cbranch_execz .LBB195_112
.LBB195_108:                            ;   Parent Loop BB195_12 Depth=1
                                        ; =>  This Inner Loop Header: Depth=2
	s_mov_b32 s26, exec_lo
	v_cmpx_gt_u64_e64 s[36:37], v[2:3]
	s_cbranch_execz .LBB195_105
; %bb.109:                              ;   in Loop: Header=BB195_108 Depth=2
	v_mul_lo_u32 v6, v3, s30
	v_mul_lo_u32 v7, v2, s31
	v_mad_u64_u32 v[4:5], null, v2, s30, 0
	v_add3_u32 v5, v5, v7, v6
	v_lshlrev_b64 v[4:5], 2, v[4:5]
	v_add_co_u32 v4, vcc_lo, s33, v4
	v_add_co_ci_u32_e64 v5, null, s35, v5, vcc_lo
	global_load_dword v17, v[4:5], off
	s_waitcnt vmcnt(0)
	v_cmp_lt_i32_e32 vcc_lo, -1, v17
	v_cndmask_b32_e64 v4, -1, 0x80000000, vcc_lo
	v_cmp_o_f32_e32 vcc_lo, v17, v17
	v_xor_b32_e32 v4, v4, v17
	v_cndmask_b32_e32 v4, -1, v4, vcc_lo
	v_and_b32_e32 v4, v4, v12
	v_cmp_eq_u32_e32 vcc_lo, v4, v9
	s_and_b32 exec_lo, exec_lo, vcc_lo
	s_cbranch_execz .LBB195_105
; %bb.110:                              ;   in Loop: Header=BB195_108 Depth=2
	ds_write_b64 v13, v[16:17] offset:3072
	s_branch .LBB195_105
.LBB195_111:                            ;   in Loop: Header=BB195_108 Depth=2
	s_mov_b32 s44, -1
	s_mov_b32 s26, -1
                                        ; implicit-def: $vgpr2_vgpr3
	s_branch .LBB195_107
.LBB195_112:                            ;   in Loop: Header=BB195_12 Depth=1
	s_or_b32 exec_lo, exec_lo, s21
	s_andn2_b32 s18, s22, exec_lo
	s_and_b32 s19, s23, exec_lo
	s_or_b32 s22, s18, s19
.LBB195_113:                            ;   in Loop: Header=BB195_12 Depth=1
	s_or_b32 exec_lo, exec_lo, s20
	s_mov_b32 s62, 0
	s_mov_b32 s63, -1
.LBB195_114:                            ;   in Loop: Header=BB195_12 Depth=1
	s_orn2_b32 s18, s22, exec_lo
.LBB195_115:                            ;   in Loop: Header=BB195_12 Depth=1
	s_or_b32 exec_lo, exec_lo, s64
	s_mov_b32 s64, 0
	s_mov_b32 s23, 0
	;; [unrolled: 1-line block ×3, first 2 shown]
                                        ; implicit-def: $vgpr2_vgpr3
                                        ; implicit-def: $vgpr8
	s_and_saveexec_b32 s65, s18
	s_cbranch_execz .LBB195_279
; %bb.116:                              ;   in Loop: Header=BB195_12 Depth=1
	v_mov_b32_e32 v2, 1
	v_mov_b32_e32 v3, 0
	;; [unrolled: 1-line block ×3, first 2 shown]
	s_xor_b32 s18, s6, -1
	s_mov_b32 s19, 0
	s_and_saveexec_b32 s6, s18
	s_cbranch_execz .LBB195_125
; %bb.117:                              ;   in Loop: Header=BB195_12 Depth=1
	s_mov_b32 s18, exec_lo
	v_cmpx_ge_u64_e64 s[10:11], v[19:20]
	s_xor_b32 s18, exec_lo, s18
	s_cbranch_execz .LBB195_122
; %bb.118:                              ;   in Loop: Header=BB195_12 Depth=1
	ds_read_b64 v[2:3], v13 offset:5120
	v_and_b32_e32 v9, s24, v9
	v_or_b32_e32 v12, s9, v12
	s_waitcnt lgkmcnt(0)
	v_cmp_ne_u64_e32 vcc_lo, 0, v[2:3]
	s_cbranch_vccnz .LBB195_122
; %bb.119:                              ;   in Loop: Header=BB195_12 Depth=1
	s_and_saveexec_b32 s19, s3
; %bb.120:                              ;   in Loop: Header=BB195_12 Depth=1
	v_mov_b32_e32 v2, s10
	v_mov_b32_e32 v3, s11
	ds_write_b64 v13, v[2:3] offset:5128
; %bb.121:                              ;   in Loop: Header=BB195_12 Depth=1
	s_or_b32 exec_lo, exec_lo, s19
	s_waitcnt lgkmcnt(0)
	s_barrier
	buffer_gl0_inv
.LBB195_122:                            ;   in Loop: Header=BB195_12 Depth=1
	s_or_saveexec_b32 s18, s18
	v_mov_b32_e32 v2, v19
	v_mov_b32_e32 v8, 8
	;; [unrolled: 1-line block ×3, first 2 shown]
	s_mov_b32 s19, 0
	s_xor_b32 exec_lo, exec_lo, s18
; %bb.123:                              ;   in Loop: Header=BB195_12 Depth=1
	v_sub_co_u32 v2, vcc_lo, v19, s10
	v_subrev_co_ci_u32_e64 v3, null, s11, v20, vcc_lo
	v_mov_b32_e32 v8, 0
	s_mov_b32 s19, exec_lo
; %bb.124:                              ;   in Loop: Header=BB195_12 Depth=1
	s_or_b32 exec_lo, exec_lo, s18
	s_and_b32 s19, s19, exec_lo
.LBB195_125:                            ;   in Loop: Header=BB195_12 Depth=1
	s_or_b32 exec_lo, exec_lo, s6
	s_mov_b32 s18, -1
                                        ; implicit-def: $sgpr66
                                        ; implicit-def: $sgpr67
	s_and_saveexec_b32 s6, s19
	s_xor_b32 s6, exec_lo, s6
	s_cbranch_execz .LBB195_276
; %bb.126:                              ;   in Loop: Header=BB195_12 Depth=1
	v_cmp_eq_u64_e32 vcc_lo, 1, v[2:3]
	s_cmp_eq_u64 s[12:13], 1
                                        ; implicit-def: $sgpr67
                                        ; implicit-def: $sgpr66
	s_cselect_b32 s18, -1, 0
	s_and_b32 s69, s18, vcc_lo
	s_mov_b32 s18, -1
	s_and_saveexec_b32 s68, s69
	s_cbranch_execz .LBB195_162
; %bb.127:                              ;   in Loop: Header=BB195_12 Depth=1
	ds_read_b64 v[4:5], v13 offset:5120
	s_waitcnt lgkmcnt(0)
	s_barrier
	buffer_gl0_inv
	v_readfirstlane_b32 s18, v4
	v_readfirstlane_b32 s19, v5
	s_and_saveexec_b32 s20, s8
; %bb.128:                              ;   in Loop: Header=BB195_12 Depth=1
	ds_write_b32 v26, v13
; %bb.129:                              ;   in Loop: Header=BB195_12 Depth=1
	s_or_b32 exec_lo, exec_lo, s20
	s_lshl_b32 s20, 1, s93
	v_or_b32_e32 v12, s9, v12
	v_and_or_b32 v9, v9, s24, s20
	s_mov_b32 s66, -1
	s_mov_b32 s67, 0
	s_cmp_eq_u64 s[18:19], 0
	s_mov_b32 s23, -1
	s_waitcnt lgkmcnt(0)
	s_barrier
	buffer_gl0_inv
                                        ; implicit-def: $vgpr5
	s_cbranch_scc1 .LBB195_146
; %bb.130:                              ;   in Loop: Header=BB195_12 Depth=1
	s_add_u32 s58, s18, s80
	s_addc_u32 s21, s19, s81
	s_mov_b32 s20, s27
	s_cmp_lg_u64 s[20:21], 0
	s_cbranch_scc0 .LBB195_189
; %bb.131:                              ;   in Loop: Header=BB195_12 Depth=1
	v_cvt_f32_u32_e32 v4, s49
	s_sub_u32 s23, 0, s49
	s_subb_u32 s26, 0, 0
	v_fmac_f32_e64 v4, 0x4f800000, 0
	v_rcp_f32_e32 v4, v4
	v_mul_f32_e32 v4, 0x5f7ffffc, v4
	v_mul_f32_e32 v5, 0x2f800000, v4
	v_trunc_f32_e32 v5, v5
	v_fmac_f32_e32 v4, 0xcf800000, v5
	v_cvt_u32_f32_e32 v5, v5
	v_cvt_u32_f32_e32 v4, v4
	v_readfirstlane_b32 s20, v5
	v_readfirstlane_b32 s22, v4
	s_mul_i32 s44, s23, s20
	s_mul_hi_u32 s46, s23, s22
	s_mul_i32 s45, s26, s22
	s_add_i32 s44, s46, s44
	s_mul_i32 s47, s23, s22
	s_add_i32 s44, s44, s45
	s_mul_hi_u32 s46, s22, s47
	s_mul_i32 s71, s22, s44
	s_mul_hi_u32 s70, s20, s47
	s_mul_i32 s45, s20, s47
	s_mul_hi_u32 s47, s22, s44
	s_add_u32 s46, s46, s71
	s_addc_u32 s47, 0, s47
	s_mul_hi_u32 s72, s20, s44
	s_add_u32 s45, s46, s45
	s_mul_i32 s44, s20, s44
	s_addc_u32 s45, s47, s70
	s_addc_u32 s46, s72, 0
	s_add_u32 s44, s45, s44
	s_addc_u32 s45, 0, s46
	s_add_u32 s22, s22, s44
	s_cselect_b32 s44, -1, 0
	s_mul_hi_u32 s46, s23, s22
	s_cmp_lg_u32 s44, 0
	s_mul_i32 s44, s23, s22
	s_addc_u32 s20, s20, s45
	s_mul_i32 s26, s26, s22
	s_mul_i32 s23, s23, s20
	s_mul_hi_u32 s45, s22, s44
	s_add_i32 s23, s46, s23
	s_mul_hi_u32 s46, s20, s44
	s_add_i32 s23, s23, s26
	s_mul_i32 s26, s20, s44
	s_mul_i32 s70, s22, s23
	s_mul_hi_u32 s47, s22, s23
	s_add_u32 s45, s45, s70
	s_addc_u32 s47, 0, s47
	s_mul_hi_u32 s44, s20, s23
	s_add_u32 s26, s45, s26
	s_mul_i32 s23, s20, s23
	s_addc_u32 s26, s47, s46
	s_addc_u32 s44, s44, 0
	s_add_u32 s23, s26, s23
	s_addc_u32 s26, 0, s44
	s_add_u32 s22, s22, s23
	s_cselect_b32 s23, -1, 0
	s_mul_hi_u32 s44, s58, s22
	s_cmp_lg_u32 s23, 0
	s_mul_hi_u32 s23, s21, s22
	s_addc_u32 s20, s20, s26
	s_mul_i32 s22, s21, s22
	s_mul_i32 s45, s58, s20
	s_mul_hi_u32 s26, s58, s20
	s_add_u32 s44, s44, s45
	s_addc_u32 s26, 0, s26
	s_mul_hi_u32 s46, s21, s20
	s_add_u32 s22, s44, s22
	s_mul_i32 s20, s21, s20
	s_addc_u32 s22, s26, s23
	s_addc_u32 s23, s46, 0
	s_add_u32 s20, s22, s20
	s_addc_u32 s22, 0, s23
	s_mul_hi_u32 s23, s49, s20
	s_mul_i32 s22, s49, s22
	s_mul_i32 s20, s49, s20
	s_add_i32 s23, s23, s22
	s_sub_u32 s20, s58, s20
	s_cselect_b32 s22, -1, 0
	s_cmp_lg_u32 s22, 0
	s_subb_u32 s22, s21, s23
	s_sub_u32 s23, s20, s49
	s_cselect_b32 s26, -1, 0
	s_cmp_lg_u32 s26, 0
	s_subb_u32 s26, s22, 0
	;; [unrolled: 4-line block ×3, first 2 shown]
	s_cmp_ge_u32 s23, s49
	s_cselect_b32 s46, -1, 0
	s_cmp_eq_u32 s26, 0
	s_cselect_b32 s46, s46, -1
	s_cmp_lg_u32 s46, 0
	s_cselect_b32 s26, s45, s26
	s_cselect_b32 s44, s44, s23
	s_cmp_ge_u32 s20, s49
	s_cselect_b32 s23, -1, 0
	s_cmp_eq_u32 s22, 0
	s_cselect_b32 s23, s23, -1
	s_cmp_lg_u32 s23, 0
	s_cselect_b32 s23, s26, s22
	s_cselect_b32 s22, s44, s20
	s_cbranch_execnz .LBB195_133
.LBB195_132:                            ;   in Loop: Header=BB195_12 Depth=1
	v_cvt_f32_u32_e32 v4, s49
	s_sub_i32 s22, 0, s49
	v_rcp_iflag_f32_e32 v4, v4
	v_mul_f32_e32 v4, 0x4f7ffffe, v4
	v_cvt_u32_f32_e32 v4, v4
	v_readfirstlane_b32 s20, v4
	s_mul_i32 s22, s22, s20
	s_mul_hi_u32 s22, s20, s22
	s_add_i32 s20, s20, s22
	s_mul_hi_u32 s20, s58, s20
	s_mul_i32 s20, s20, s49
	s_sub_i32 s20, s58, s20
	s_sub_i32 s22, s20, s49
	s_cmp_ge_u32 s20, s49
	s_cselect_b32 s20, s22, s20
	s_sub_i32 s22, s20, s49
	s_cmp_ge_u32 s20, s49
	s_cselect_b32 s26, s22, s20
	s_mov_b64 s[22:23], s[26:27]
.LBB195_133:                            ;   in Loop: Header=BB195_12 Depth=1
	s_sub_u32 s20, s58, s22
	s_subb_u32 s21, s21, s23
	s_mov_b32 s23, 0
	s_mov_b32 s22, 0
	s_mov_b32 s26, exec_lo
                                        ; implicit-def: $vgpr5
	v_cmpx_gt_u64_e64 s[20:21], v[0:1]
	s_cbranch_execz .LBB195_145
; %bb.134:                              ;   in Loop: Header=BB195_12 Depth=1
	v_mov_b32_e32 v7, v1
	v_mov_b32_e32 v21, v14
	;; [unrolled: 1-line block ×3, first 2 shown]
                                        ; implicit-def: $sgpr58
	s_inst_prefetch 0x1
	s_branch .LBB195_138
	.p2align	6
.LBB195_135:                            ;   in Loop: Header=BB195_138 Depth=2
	s_or_b32 exec_lo, exec_lo, s70
	s_waitcnt lgkmcnt(0)
	s_barrier
	buffer_gl0_inv
	ds_read_b64 v[4:5], v13 offset:3072
	s_waitcnt lgkmcnt(0)
	s_barrier
	buffer_gl0_inv
	v_cmp_neq_f32_e32 vcc_lo, 0, v4
	s_cbranch_vccnz .LBB195_141
; %bb.136:                              ;   in Loop: Header=BB195_138 Depth=2
	v_add_co_u32 v6, vcc_lo, v6, s49
	v_add_co_ci_u32_e64 v7, null, 0, v7, vcc_lo
	v_add_nc_u32_e32 v21, s86, v21
	s_mov_b32 s44, 0
	v_cmp_le_u64_e32 vcc_lo, s[20:21], v[6:7]
	s_orn2_b32 s45, vcc_lo, exec_lo
.LBB195_137:                            ;   in Loop: Header=BB195_138 Depth=2
	s_and_b32 s45, exec_lo, s45
	s_or_b32 s22, s45, s22
	s_andn2_b32 s45, s58, exec_lo
	s_and_b32 s44, s44, exec_lo
	s_or_b32 s58, s45, s44
	s_andn2_b32 exec_lo, exec_lo, s22
	s_cbranch_execz .LBB195_144
.LBB195_138:                            ;   Parent Loop BB195_12 Depth=1
                                        ; =>  This Inner Loop Header: Depth=2
	s_mov_b32 s70, exec_lo
	v_cmpx_gt_u64_e64 s[18:19], v[6:7]
	s_cbranch_execz .LBB195_135
; %bb.139:                              ;   in Loop: Header=BB195_138 Depth=2
	ds_read_b32 v17, v21
	s_waitcnt lgkmcnt(0)
	v_cmp_lt_i32_e32 vcc_lo, -1, v17
	v_cndmask_b32_e64 v4, -1, 0x80000000, vcc_lo
	v_cmp_o_f32_e32 vcc_lo, v17, v17
	v_xor_b32_e32 v4, v4, v17
	v_cndmask_b32_e32 v4, -1, v4, vcc_lo
	v_and_b32_e32 v4, v4, v12
	v_cmp_eq_u32_e32 vcc_lo, v4, v9
	s_and_b32 exec_lo, exec_lo, vcc_lo
	s_cbranch_execz .LBB195_135
; %bb.140:                              ;   in Loop: Header=BB195_138 Depth=2
	ds_write_b64 v13, v[16:17] offset:3072
	s_branch .LBB195_135
.LBB195_141:                            ;   in Loop: Header=BB195_138 Depth=2
	s_mov_b32 s45, -1
	s_mov_b32 s44, -1
                                        ; implicit-def: $vgpr6_vgpr7
                                        ; implicit-def: $vgpr21
	s_branch .LBB195_137
.LBB195_142:                            ;   in Loop: Header=BB195_12 Depth=1
                                        ; implicit-def: $sgpr22_sgpr23
	s_branch .LBB195_84
.LBB195_143:                            ;   in Loop: Header=BB195_12 Depth=1
                                        ; implicit-def: $sgpr18_sgpr19
	s_branch .LBB195_102
.LBB195_144:                            ;   in Loop: Header=BB195_12 Depth=1
	s_inst_prefetch 0x2
	s_or_b32 exec_lo, exec_lo, s22
	s_and_b32 s22, s58, exec_lo
.LBB195_145:                            ;   in Loop: Header=BB195_12 Depth=1
	s_or_b32 exec_lo, exec_lo, s26
.LBB195_146:                            ;   in Loop: Header=BB195_12 Depth=1
	s_and_b32 vcc_lo, exec_lo, s23
	s_cbranch_vccz .LBB195_161
; %bb.147:                              ;   in Loop: Header=BB195_12 Depth=1
	s_mov_b32 s58, s27
	s_cmp_lg_u64 s[58:59], 0
	s_cbranch_scc0 .LBB195_190
; %bb.148:                              ;   in Loop: Header=BB195_12 Depth=1
	v_cvt_f32_u32_e32 v4, s49
	s_sub_u32 s20, 0, s49
	s_subb_u32 s21, 0, 0
	v_fmac_f32_e64 v4, 0x4f800000, 0
	v_rcp_f32_e32 v4, v4
	v_mul_f32_e32 v4, 0x5f7ffffc, v4
	v_mul_f32_e32 v5, 0x2f800000, v4
	v_trunc_f32_e32 v5, v5
	v_fmac_f32_e32 v4, 0xcf800000, v5
	v_cvt_u32_f32_e32 v5, v5
	v_cvt_u32_f32_e32 v4, v4
	v_readfirstlane_b32 s18, v5
	v_readfirstlane_b32 s19, v4
	s_mul_i32 s23, s20, s18
	s_mul_hi_u32 s44, s20, s19
	s_mul_i32 s26, s21, s19
	s_add_i32 s23, s44, s23
	s_mul_i32 s45, s20, s19
	s_add_i32 s23, s23, s26
	s_mul_hi_u32 s44, s19, s45
	s_mul_i32 s47, s19, s23
	s_mul_hi_u32 s46, s18, s45
	s_mul_i32 s26, s18, s45
	s_mul_hi_u32 s45, s19, s23
	s_add_u32 s44, s44, s47
	s_addc_u32 s45, 0, s45
	s_mul_hi_u32 s58, s18, s23
	s_add_u32 s26, s44, s26
	s_mul_i32 s23, s18, s23
	s_addc_u32 s26, s45, s46
	s_addc_u32 s44, s58, 0
	s_add_u32 s23, s26, s23
	s_addc_u32 s26, 0, s44
	s_add_u32 s19, s19, s23
	s_cselect_b32 s23, -1, 0
	s_mul_hi_u32 s44, s20, s19
	s_cmp_lg_u32 s23, 0
	s_mul_i32 s23, s20, s19
	s_addc_u32 s18, s18, s26
	s_mul_i32 s21, s21, s19
	s_mul_i32 s20, s20, s18
	s_mul_hi_u32 s26, s19, s23
	s_add_i32 s20, s44, s20
	s_mul_hi_u32 s44, s18, s23
	s_add_i32 s20, s20, s21
	s_mul_i32 s21, s18, s23
	s_mul_i32 s46, s19, s20
	s_mul_hi_u32 s45, s19, s20
	s_add_u32 s26, s26, s46
	s_addc_u32 s45, 0, s45
	s_mul_hi_u32 s23, s18, s20
	s_add_u32 s21, s26, s21
	s_mul_i32 s20, s18, s20
	s_addc_u32 s21, s45, s44
	s_addc_u32 s23, s23, 0
	s_add_u32 s20, s21, s20
	s_addc_u32 s21, 0, s23
	s_add_u32 s19, s19, s20
	s_cselect_b32 s20, -1, 0
	s_mul_hi_u32 s23, s82, s19
	s_cmp_lg_u32 s20, 0
	s_mul_hi_u32 s20, s59, s19
	s_addc_u32 s18, s18, s21
	s_mul_i32 s19, s59, s19
	s_mul_i32 s26, s82, s18
	s_mul_hi_u32 s21, s82, s18
	s_add_u32 s23, s23, s26
	s_addc_u32 s21, 0, s21
	s_mul_hi_u32 s44, s59, s18
	s_add_u32 s19, s23, s19
	s_mul_i32 s18, s59, s18
	s_addc_u32 s19, s21, s20
	s_addc_u32 s20, s44, 0
	s_add_u32 s18, s19, s18
	s_addc_u32 s19, 0, s20
	s_mul_hi_u32 s20, s49, s18
	s_mul_i32 s19, s49, s19
	s_mul_i32 s18, s49, s18
	s_add_i32 s20, s20, s19
	s_sub_u32 s18, s82, s18
	s_cselect_b32 s19, -1, 0
	s_cmp_lg_u32 s19, 0
	s_subb_u32 s19, s59, s20
	s_sub_u32 s20, s18, s49
	s_cselect_b32 s21, -1, 0
	s_cmp_lg_u32 s21, 0
	s_subb_u32 s21, s19, 0
	;; [unrolled: 4-line block ×3, first 2 shown]
	s_cmp_ge_u32 s20, s49
	s_cselect_b32 s44, -1, 0
	s_cmp_eq_u32 s21, 0
	s_cselect_b32 s44, s44, -1
	s_cmp_lg_u32 s44, 0
	s_cselect_b32 s21, s26, s21
	s_cselect_b32 s20, s23, s20
	s_cmp_ge_u32 s18, s49
	s_cselect_b32 s23, -1, 0
	s_cmp_eq_u32 s19, 0
	s_cselect_b32 s23, s23, -1
	s_cmp_lg_u32 s23, 0
	s_cselect_b32 s19, s21, s19
	s_cselect_b32 s18, s20, s18
	s_cbranch_execnz .LBB195_150
.LBB195_149:                            ;   in Loop: Header=BB195_12 Depth=1
	v_cvt_f32_u32_e32 v4, s49
	s_sub_i32 s19, 0, s49
	v_rcp_iflag_f32_e32 v4, v4
	v_mul_f32_e32 v4, 0x4f7ffffe, v4
	v_cvt_u32_f32_e32 v4, v4
	v_readfirstlane_b32 s18, v4
	s_mul_i32 s19, s19, s18
	s_mul_hi_u32 s19, s18, s19
	s_add_i32 s18, s18, s19
	s_mul_hi_u32 s18, s82, s18
	s_mul_i32 s18, s18, s49
	s_sub_i32 s18, s82, s18
	s_sub_i32 s19, s18, s49
	s_cmp_ge_u32 s18, s49
	s_cselect_b32 s18, s19, s18
	s_sub_i32 s19, s18, s49
	s_cmp_ge_u32 s18, s49
	s_cselect_b32 s26, s19, s18
	s_mov_b64 s[18:19], s[26:27]
.LBB195_150:                            ;   in Loop: Header=BB195_12 Depth=1
	s_sub_u32 s18, s82, s18
	s_subb_u32 s19, s59, s19
	s_mov_b32 s20, exec_lo
                                        ; implicit-def: $vgpr5
	v_cmpx_gt_u64_e64 s[18:19], v[0:1]
	s_cbranch_execz .LBB195_160
; %bb.151:                              ;   in Loop: Header=BB195_12 Depth=1
	v_mov_b32_e32 v7, v1
	v_mov_b32_e32 v6, v0
	s_mov_b32 s21, 0
                                        ; implicit-def: $sgpr23
	s_branch .LBB195_155
.LBB195_152:                            ;   in Loop: Header=BB195_155 Depth=2
	s_or_b32 exec_lo, exec_lo, s26
	s_waitcnt lgkmcnt(0)
	s_barrier
	buffer_gl0_inv
	ds_read_b64 v[4:5], v13 offset:3072
	s_waitcnt lgkmcnt(0)
	s_barrier
	buffer_gl0_inv
	v_cmp_eq_f32_e32 vcc_lo, 0, v4
	s_cbranch_vccz .LBB195_158
; %bb.153:                              ;   in Loop: Header=BB195_155 Depth=2
	v_add_co_u32 v6, vcc_lo, v6, s49
	v_add_co_ci_u32_e64 v7, null, 0, v7, vcc_lo
	s_mov_b32 s26, 0
	v_cmp_le_u64_e32 vcc_lo, s[18:19], v[6:7]
	s_orn2_b32 s44, vcc_lo, exec_lo
.LBB195_154:                            ;   in Loop: Header=BB195_155 Depth=2
	s_and_b32 s44, exec_lo, s44
	s_or_b32 s21, s44, s21
	s_andn2_b32 s23, s23, exec_lo
	s_and_b32 s26, s26, exec_lo
	s_or_b32 s23, s23, s26
	s_andn2_b32 exec_lo, exec_lo, s21
	s_cbranch_execz .LBB195_159
.LBB195_155:                            ;   Parent Loop BB195_12 Depth=1
                                        ; =>  This Inner Loop Header: Depth=2
	s_mov_b32 s26, exec_lo
	v_cmpx_gt_u64_e64 s[36:37], v[6:7]
	s_cbranch_execz .LBB195_152
; %bb.156:                              ;   in Loop: Header=BB195_155 Depth=2
	v_mul_lo_u32 v17, v7, s30
	v_mul_lo_u32 v21, v6, s31
	v_mad_u64_u32 v[4:5], null, v6, s30, 0
	v_add3_u32 v5, v5, v21, v17
	v_lshlrev_b64 v[4:5], 2, v[4:5]
	v_add_co_u32 v4, vcc_lo, s33, v4
	v_add_co_ci_u32_e64 v5, null, s35, v5, vcc_lo
	global_load_dword v17, v[4:5], off
	s_waitcnt vmcnt(0)
	v_cmp_lt_i32_e32 vcc_lo, -1, v17
	v_cndmask_b32_e64 v4, -1, 0x80000000, vcc_lo
	v_cmp_o_f32_e32 vcc_lo, v17, v17
	v_xor_b32_e32 v4, v4, v17
	v_cndmask_b32_e32 v4, -1, v4, vcc_lo
	v_and_b32_e32 v4, v4, v12
	v_cmp_eq_u32_e32 vcc_lo, v4, v9
	s_and_b32 exec_lo, exec_lo, vcc_lo
	s_cbranch_execz .LBB195_152
; %bb.157:                              ;   in Loop: Header=BB195_155 Depth=2
	ds_write_b64 v13, v[16:17] offset:3072
	s_branch .LBB195_152
.LBB195_158:                            ;   in Loop: Header=BB195_155 Depth=2
	s_mov_b32 s44, -1
	s_mov_b32 s26, -1
                                        ; implicit-def: $vgpr6_vgpr7
	s_branch .LBB195_154
.LBB195_159:                            ;   in Loop: Header=BB195_12 Depth=1
	s_or_b32 exec_lo, exec_lo, s21
	s_andn2_b32 s18, s22, exec_lo
	s_and_b32 s19, s23, exec_lo
	s_or_b32 s22, s18, s19
.LBB195_160:                            ;   in Loop: Header=BB195_12 Depth=1
	s_or_b32 exec_lo, exec_lo, s20
	s_mov_b32 s66, 0
	s_mov_b32 s67, -1
.LBB195_161:                            ;   in Loop: Header=BB195_12 Depth=1
	s_orn2_b32 s18, s22, exec_lo
.LBB195_162:                            ;   in Loop: Header=BB195_12 Depth=1
	s_or_b32 exec_lo, exec_lo, s68
	s_mov_b32 s19, 0
	s_and_saveexec_b32 s68, s18
	s_cbranch_execz .LBB195_275
; %bb.163:                              ;   in Loop: Header=BB195_12 Depth=1
	v_mov_b32_e32 v6, 1
	v_mov_b32_e32 v7, 0
	;; [unrolled: 1-line block ×3, first 2 shown]
	s_xor_b32 s20, s69, -1
	s_and_saveexec_b32 s18, s20
	s_cbranch_execz .LBB195_172
; %bb.164:                              ;   in Loop: Header=BB195_12 Depth=1
	s_mov_b32 s19, exec_lo
	v_cmpx_ge_u64_e64 s[12:13], v[2:3]
	s_xor_b32 s19, exec_lo, s19
	s_cbranch_execz .LBB195_169
; %bb.165:                              ;   in Loop: Header=BB195_12 Depth=1
	ds_read_b64 v[6:7], v13 offset:5120
	s_lshl_b32 s20, 1, s93
	v_or_b32_e32 v12, s9, v12
	v_and_or_b32 v9, v9, s24, s20
	s_waitcnt lgkmcnt(0)
	v_cmp_ne_u64_e32 vcc_lo, 0, v[6:7]
	s_cbranch_vccnz .LBB195_169
; %bb.166:                              ;   in Loop: Header=BB195_12 Depth=1
	s_and_saveexec_b32 s20, s3
; %bb.167:                              ;   in Loop: Header=BB195_12 Depth=1
	v_mov_b32_e32 v6, s12
	v_mov_b32_e32 v7, s13
	ds_write_b64 v13, v[6:7] offset:5128
; %bb.168:                              ;   in Loop: Header=BB195_12 Depth=1
	s_or_b32 exec_lo, exec_lo, s20
	s_waitcnt lgkmcnt(0)
	s_barrier
	buffer_gl0_inv
.LBB195_169:                            ;   in Loop: Header=BB195_12 Depth=1
	s_or_saveexec_b32 s19, s19
	v_mov_b32_e32 v8, 8
	s_mov_b32 s20, 0
	s_xor_b32 exec_lo, exec_lo, s19
; %bb.170:                              ;   in Loop: Header=BB195_12 Depth=1
	v_sub_co_u32 v2, vcc_lo, v2, s12
	v_subrev_co_ci_u32_e64 v3, null, s13, v3, vcc_lo
	v_mov_b32_e32 v8, 0
	s_mov_b32 s20, exec_lo
; %bb.171:                              ;   in Loop: Header=BB195_12 Depth=1
	s_or_b32 exec_lo, exec_lo, s19
	v_mov_b32_e32 v7, v3
	v_mov_b32_e32 v6, v2
	s_and_b32 s19, s20, exec_lo
.LBB195_172:                            ;   in Loop: Header=BB195_12 Depth=1
	s_or_b32 exec_lo, exec_lo, s18
	s_mov_b32 s18, -1
                                        ; implicit-def: $sgpr70
                                        ; implicit-def: $sgpr71
	s_and_saveexec_b32 s69, s19
	s_cbranch_execz .LBB195_274
; %bb.173:                              ;   in Loop: Header=BB195_12 Depth=1
	v_cmp_eq_u64_e32 vcc_lo, 1, v[6:7]
	s_cmp_eq_u64 s[14:15], 1
                                        ; implicit-def: $sgpr71
                                        ; implicit-def: $sgpr70
	s_cselect_b32 s18, -1, 0
	s_and_b32 s73, s18, vcc_lo
	s_mov_b32 s18, -1
	s_and_saveexec_b32 s72, s73
	s_cbranch_execz .LBB195_209
; %bb.174:                              ;   in Loop: Header=BB195_12 Depth=1
	ds_read_b64 v[2:3], v13 offset:5120
	s_waitcnt lgkmcnt(0)
	s_barrier
	buffer_gl0_inv
	v_readfirstlane_b32 s18, v2
	v_readfirstlane_b32 s19, v3
	s_and_saveexec_b32 s20, s8
; %bb.175:                              ;   in Loop: Header=BB195_12 Depth=1
	ds_write_b32 v26, v13
; %bb.176:                              ;   in Loop: Header=BB195_12 Depth=1
	s_or_b32 exec_lo, exec_lo, s20
	s_lshl_b32 s20, 2, s93
	v_or_b32_e32 v12, s9, v12
	v_and_or_b32 v9, v9, s24, s20
	s_mov_b32 s70, -1
	s_mov_b32 s71, 0
	s_cmp_eq_u64 s[18:19], 0
	s_mov_b32 s22, 0
	s_mov_b32 s23, -1
	s_waitcnt lgkmcnt(0)
	s_barrier
	buffer_gl0_inv
                                        ; implicit-def: $vgpr5
	s_cbranch_scc1 .LBB195_193
; %bb.177:                              ;   in Loop: Header=BB195_12 Depth=1
	s_add_u32 s58, s18, s80
	s_addc_u32 s21, s19, s81
	s_mov_b32 s20, s27
	s_cmp_lg_u64 s[20:21], 0
	s_cbranch_scc0 .LBB195_226
; %bb.178:                              ;   in Loop: Header=BB195_12 Depth=1
	v_cvt_f32_u32_e32 v2, s49
	s_sub_u32 s23, 0, s49
	s_subb_u32 s26, 0, 0
	v_fmac_f32_e64 v2, 0x4f800000, 0
	v_rcp_f32_e32 v2, v2
	v_mul_f32_e32 v2, 0x5f7ffffc, v2
	v_mul_f32_e32 v3, 0x2f800000, v2
	v_trunc_f32_e32 v3, v3
	v_fmac_f32_e32 v2, 0xcf800000, v3
	v_cvt_u32_f32_e32 v3, v3
	v_cvt_u32_f32_e32 v2, v2
	v_readfirstlane_b32 s20, v3
	v_readfirstlane_b32 s22, v2
	s_mul_i32 s44, s23, s20
	s_mul_hi_u32 s46, s23, s22
	s_mul_i32 s45, s26, s22
	s_add_i32 s44, s46, s44
	s_mul_i32 s47, s23, s22
	s_add_i32 s44, s44, s45
	s_mul_hi_u32 s46, s22, s47
	s_mul_i32 s75, s22, s44
	s_mul_hi_u32 s74, s20, s47
	s_mul_i32 s45, s20, s47
	s_mul_hi_u32 s47, s22, s44
	s_add_u32 s46, s46, s75
	s_addc_u32 s47, 0, s47
	s_mul_hi_u32 s104, s20, s44
	s_add_u32 s45, s46, s45
	s_mul_i32 s44, s20, s44
	s_addc_u32 s45, s47, s74
	s_addc_u32 s46, s104, 0
	s_add_u32 s44, s45, s44
	s_addc_u32 s45, 0, s46
	s_add_u32 s22, s22, s44
	s_cselect_b32 s44, -1, 0
	s_mul_hi_u32 s46, s23, s22
	s_cmp_lg_u32 s44, 0
	s_mul_i32 s44, s23, s22
	s_addc_u32 s20, s20, s45
	s_mul_i32 s26, s26, s22
	s_mul_i32 s23, s23, s20
	s_mul_hi_u32 s45, s22, s44
	s_add_i32 s23, s46, s23
	s_mul_hi_u32 s46, s20, s44
	s_add_i32 s23, s23, s26
	s_mul_i32 s26, s20, s44
	s_mul_i32 s74, s22, s23
	s_mul_hi_u32 s47, s22, s23
	s_add_u32 s45, s45, s74
	s_addc_u32 s47, 0, s47
	s_mul_hi_u32 s44, s20, s23
	s_add_u32 s26, s45, s26
	s_mul_i32 s23, s20, s23
	s_addc_u32 s26, s47, s46
	s_addc_u32 s44, s44, 0
	s_add_u32 s23, s26, s23
	s_addc_u32 s26, 0, s44
	s_add_u32 s22, s22, s23
	s_cselect_b32 s23, -1, 0
	s_mul_hi_u32 s44, s58, s22
	s_cmp_lg_u32 s23, 0
	s_mul_hi_u32 s23, s21, s22
	s_addc_u32 s20, s20, s26
	s_mul_i32 s22, s21, s22
	s_mul_i32 s45, s58, s20
	s_mul_hi_u32 s26, s58, s20
	s_add_u32 s44, s44, s45
	s_addc_u32 s26, 0, s26
	s_mul_hi_u32 s46, s21, s20
	s_add_u32 s22, s44, s22
	s_mul_i32 s20, s21, s20
	s_addc_u32 s22, s26, s23
	s_addc_u32 s23, s46, 0
	s_add_u32 s20, s22, s20
	s_addc_u32 s22, 0, s23
	s_mul_hi_u32 s23, s49, s20
	s_mul_i32 s22, s49, s22
	s_mul_i32 s20, s49, s20
	s_add_i32 s23, s23, s22
	s_sub_u32 s20, s58, s20
	s_cselect_b32 s22, -1, 0
	s_cmp_lg_u32 s22, 0
	s_subb_u32 s22, s21, s23
	s_sub_u32 s23, s20, s49
	s_cselect_b32 s26, -1, 0
	s_cmp_lg_u32 s26, 0
	s_subb_u32 s26, s22, 0
	;; [unrolled: 4-line block ×3, first 2 shown]
	s_cmp_ge_u32 s23, s49
	s_cselect_b32 s46, -1, 0
	s_cmp_eq_u32 s26, 0
	s_cselect_b32 s46, s46, -1
	s_cmp_lg_u32 s46, 0
	s_cselect_b32 s26, s45, s26
	s_cselect_b32 s44, s44, s23
	s_cmp_ge_u32 s20, s49
	s_cselect_b32 s23, -1, 0
	s_cmp_eq_u32 s22, 0
	s_cselect_b32 s23, s23, -1
	s_cmp_lg_u32 s23, 0
	s_cselect_b32 s23, s26, s22
	s_cselect_b32 s22, s44, s20
	s_cbranch_execnz .LBB195_180
.LBB195_179:                            ;   in Loop: Header=BB195_12 Depth=1
	v_cvt_f32_u32_e32 v2, s49
	s_sub_i32 s22, 0, s49
	v_rcp_iflag_f32_e32 v2, v2
	v_mul_f32_e32 v2, 0x4f7ffffe, v2
	v_cvt_u32_f32_e32 v2, v2
	v_readfirstlane_b32 s20, v2
	s_mul_i32 s22, s22, s20
	s_mul_hi_u32 s22, s20, s22
	s_add_i32 s20, s20, s22
	s_mul_hi_u32 s20, s58, s20
	s_mul_i32 s20, s20, s49
	s_sub_i32 s20, s58, s20
	s_sub_i32 s22, s20, s49
	s_cmp_ge_u32 s20, s49
	s_cselect_b32 s20, s22, s20
	s_sub_i32 s22, s20, s49
	s_cmp_ge_u32 s20, s49
	s_cselect_b32 s26, s22, s20
	s_mov_b64 s[22:23], s[26:27]
.LBB195_180:                            ;   in Loop: Header=BB195_12 Depth=1
	s_sub_u32 s20, s58, s22
	s_subb_u32 s21, s21, s23
	s_mov_b32 s23, 0
	s_mov_b32 s22, 0
	s_mov_b32 s26, exec_lo
                                        ; implicit-def: $vgpr5
	v_cmpx_gt_u64_e64 s[20:21], v[0:1]
	s_cbranch_execz .LBB195_192
; %bb.181:                              ;   in Loop: Header=BB195_12 Depth=1
	v_mov_b32_e32 v3, v1
	v_mov_b32_e32 v21, v14
	;; [unrolled: 1-line block ×3, first 2 shown]
                                        ; implicit-def: $sgpr58
	s_inst_prefetch 0x1
	s_branch .LBB195_185
	.p2align	6
.LBB195_182:                            ;   in Loop: Header=BB195_185 Depth=2
	s_or_b32 exec_lo, exec_lo, s74
	s_waitcnt lgkmcnt(0)
	s_barrier
	buffer_gl0_inv
	ds_read_b64 v[4:5], v13 offset:3072
	s_waitcnt lgkmcnt(0)
	s_barrier
	buffer_gl0_inv
	v_cmp_neq_f32_e32 vcc_lo, 0, v4
	s_cbranch_vccnz .LBB195_188
; %bb.183:                              ;   in Loop: Header=BB195_185 Depth=2
	v_add_co_u32 v2, vcc_lo, v2, s49
	v_add_co_ci_u32_e64 v3, null, 0, v3, vcc_lo
	v_add_nc_u32_e32 v21, s86, v21
	s_mov_b32 s44, 0
	v_cmp_le_u64_e32 vcc_lo, s[20:21], v[2:3]
	s_orn2_b32 s45, vcc_lo, exec_lo
.LBB195_184:                            ;   in Loop: Header=BB195_185 Depth=2
	s_and_b32 s45, exec_lo, s45
	s_or_b32 s22, s45, s22
	s_andn2_b32 s45, s58, exec_lo
	s_and_b32 s44, s44, exec_lo
	s_or_b32 s58, s45, s44
	s_andn2_b32 exec_lo, exec_lo, s22
	s_cbranch_execz .LBB195_191
.LBB195_185:                            ;   Parent Loop BB195_12 Depth=1
                                        ; =>  This Inner Loop Header: Depth=2
	s_mov_b32 s74, exec_lo
	v_cmpx_gt_u64_e64 s[18:19], v[2:3]
	s_cbranch_execz .LBB195_182
; %bb.186:                              ;   in Loop: Header=BB195_185 Depth=2
	ds_read_b32 v17, v21
	s_waitcnt lgkmcnt(0)
	v_cmp_lt_i32_e32 vcc_lo, -1, v17
	v_cndmask_b32_e64 v4, -1, 0x80000000, vcc_lo
	v_cmp_o_f32_e32 vcc_lo, v17, v17
	v_xor_b32_e32 v4, v4, v17
	v_cndmask_b32_e32 v4, -1, v4, vcc_lo
	v_and_b32_e32 v4, v4, v12
	v_cmp_eq_u32_e32 vcc_lo, v4, v9
	s_and_b32 exec_lo, exec_lo, vcc_lo
	s_cbranch_execz .LBB195_182
; %bb.187:                              ;   in Loop: Header=BB195_185 Depth=2
	ds_write_b64 v13, v[16:17] offset:3072
	s_branch .LBB195_182
.LBB195_188:                            ;   in Loop: Header=BB195_185 Depth=2
	s_mov_b32 s45, -1
	s_mov_b32 s44, -1
                                        ; implicit-def: $vgpr2_vgpr3
                                        ; implicit-def: $vgpr21
	s_branch .LBB195_184
.LBB195_189:                            ;   in Loop: Header=BB195_12 Depth=1
                                        ; implicit-def: $sgpr22_sgpr23
	s_branch .LBB195_132
.LBB195_190:                            ;   in Loop: Header=BB195_12 Depth=1
                                        ; implicit-def: $sgpr18_sgpr19
	s_branch .LBB195_149
.LBB195_191:                            ;   in Loop: Header=BB195_12 Depth=1
	s_inst_prefetch 0x2
	s_or_b32 exec_lo, exec_lo, s22
	s_and_b32 s22, s58, exec_lo
.LBB195_192:                            ;   in Loop: Header=BB195_12 Depth=1
	s_or_b32 exec_lo, exec_lo, s26
.LBB195_193:                            ;   in Loop: Header=BB195_12 Depth=1
	s_and_b32 vcc_lo, exec_lo, s23
	s_cbranch_vccz .LBB195_208
; %bb.194:                              ;   in Loop: Header=BB195_12 Depth=1
	s_mov_b32 s58, s27
	s_cmp_lg_u64 s[58:59], 0
	s_cbranch_scc0 .LBB195_227
; %bb.195:                              ;   in Loop: Header=BB195_12 Depth=1
	v_cvt_f32_u32_e32 v2, s49
	s_sub_u32 s20, 0, s49
	s_subb_u32 s21, 0, 0
	v_fmac_f32_e64 v2, 0x4f800000, 0
	v_rcp_f32_e32 v2, v2
	v_mul_f32_e32 v2, 0x5f7ffffc, v2
	v_mul_f32_e32 v3, 0x2f800000, v2
	v_trunc_f32_e32 v3, v3
	v_fmac_f32_e32 v2, 0xcf800000, v3
	v_cvt_u32_f32_e32 v3, v3
	v_cvt_u32_f32_e32 v2, v2
	v_readfirstlane_b32 s18, v3
	v_readfirstlane_b32 s19, v2
	s_mul_i32 s23, s20, s18
	s_mul_hi_u32 s44, s20, s19
	s_mul_i32 s26, s21, s19
	s_add_i32 s23, s44, s23
	s_mul_i32 s45, s20, s19
	s_add_i32 s23, s23, s26
	s_mul_hi_u32 s44, s19, s45
	s_mul_i32 s47, s19, s23
	s_mul_hi_u32 s46, s18, s45
	s_mul_i32 s26, s18, s45
	s_mul_hi_u32 s45, s19, s23
	s_add_u32 s44, s44, s47
	s_addc_u32 s45, 0, s45
	s_mul_hi_u32 s58, s18, s23
	s_add_u32 s26, s44, s26
	s_mul_i32 s23, s18, s23
	s_addc_u32 s26, s45, s46
	s_addc_u32 s44, s58, 0
	s_add_u32 s23, s26, s23
	s_addc_u32 s26, 0, s44
	s_add_u32 s19, s19, s23
	s_cselect_b32 s23, -1, 0
	s_mul_hi_u32 s44, s20, s19
	s_cmp_lg_u32 s23, 0
	s_mul_i32 s23, s20, s19
	s_addc_u32 s18, s18, s26
	s_mul_i32 s21, s21, s19
	s_mul_i32 s20, s20, s18
	s_mul_hi_u32 s26, s19, s23
	s_add_i32 s20, s44, s20
	s_mul_hi_u32 s44, s18, s23
	s_add_i32 s20, s20, s21
	s_mul_i32 s21, s18, s23
	s_mul_i32 s46, s19, s20
	s_mul_hi_u32 s45, s19, s20
	s_add_u32 s26, s26, s46
	s_addc_u32 s45, 0, s45
	s_mul_hi_u32 s23, s18, s20
	s_add_u32 s21, s26, s21
	s_mul_i32 s20, s18, s20
	s_addc_u32 s21, s45, s44
	s_addc_u32 s23, s23, 0
	s_add_u32 s20, s21, s20
	s_addc_u32 s21, 0, s23
	s_add_u32 s19, s19, s20
	s_cselect_b32 s20, -1, 0
	s_mul_hi_u32 s23, s82, s19
	s_cmp_lg_u32 s20, 0
	s_mul_hi_u32 s20, s59, s19
	s_addc_u32 s18, s18, s21
	s_mul_i32 s19, s59, s19
	s_mul_i32 s26, s82, s18
	s_mul_hi_u32 s21, s82, s18
	s_add_u32 s23, s23, s26
	s_addc_u32 s21, 0, s21
	s_mul_hi_u32 s44, s59, s18
	s_add_u32 s19, s23, s19
	s_mul_i32 s18, s59, s18
	s_addc_u32 s19, s21, s20
	s_addc_u32 s20, s44, 0
	s_add_u32 s18, s19, s18
	s_addc_u32 s19, 0, s20
	s_mul_hi_u32 s20, s49, s18
	s_mul_i32 s19, s49, s19
	s_mul_i32 s18, s49, s18
	s_add_i32 s20, s20, s19
	s_sub_u32 s18, s82, s18
	s_cselect_b32 s19, -1, 0
	s_cmp_lg_u32 s19, 0
	s_subb_u32 s19, s59, s20
	s_sub_u32 s20, s18, s49
	s_cselect_b32 s21, -1, 0
	s_cmp_lg_u32 s21, 0
	s_subb_u32 s21, s19, 0
	;; [unrolled: 4-line block ×3, first 2 shown]
	s_cmp_ge_u32 s20, s49
	s_cselect_b32 s44, -1, 0
	s_cmp_eq_u32 s21, 0
	s_cselect_b32 s44, s44, -1
	s_cmp_lg_u32 s44, 0
	s_cselect_b32 s21, s26, s21
	s_cselect_b32 s20, s23, s20
	s_cmp_ge_u32 s18, s49
	s_cselect_b32 s23, -1, 0
	s_cmp_eq_u32 s19, 0
	s_cselect_b32 s23, s23, -1
	s_cmp_lg_u32 s23, 0
	s_cselect_b32 s19, s21, s19
	s_cselect_b32 s18, s20, s18
	s_cbranch_execnz .LBB195_197
.LBB195_196:                            ;   in Loop: Header=BB195_12 Depth=1
	v_cvt_f32_u32_e32 v2, s49
	s_sub_i32 s19, 0, s49
	v_rcp_iflag_f32_e32 v2, v2
	v_mul_f32_e32 v2, 0x4f7ffffe, v2
	v_cvt_u32_f32_e32 v2, v2
	v_readfirstlane_b32 s18, v2
	s_mul_i32 s19, s19, s18
	s_mul_hi_u32 s19, s18, s19
	s_add_i32 s18, s18, s19
	s_mul_hi_u32 s18, s82, s18
	s_mul_i32 s18, s18, s49
	s_sub_i32 s18, s82, s18
	s_sub_i32 s19, s18, s49
	s_cmp_ge_u32 s18, s49
	s_cselect_b32 s18, s19, s18
	s_sub_i32 s19, s18, s49
	s_cmp_ge_u32 s18, s49
	s_cselect_b32 s26, s19, s18
	s_mov_b64 s[18:19], s[26:27]
.LBB195_197:                            ;   in Loop: Header=BB195_12 Depth=1
	s_sub_u32 s18, s82, s18
	s_subb_u32 s19, s59, s19
	s_mov_b32 s20, exec_lo
                                        ; implicit-def: $vgpr5
	v_cmpx_gt_u64_e64 s[18:19], v[0:1]
	s_cbranch_execz .LBB195_207
; %bb.198:                              ;   in Loop: Header=BB195_12 Depth=1
	v_mov_b32_e32 v3, v1
	v_mov_b32_e32 v2, v0
	s_mov_b32 s21, 0
                                        ; implicit-def: $sgpr23
	s_branch .LBB195_202
.LBB195_199:                            ;   in Loop: Header=BB195_202 Depth=2
	s_or_b32 exec_lo, exec_lo, s26
	s_waitcnt lgkmcnt(0)
	s_barrier
	buffer_gl0_inv
	ds_read_b64 v[4:5], v13 offset:3072
	s_waitcnt lgkmcnt(0)
	s_barrier
	buffer_gl0_inv
	v_cmp_eq_f32_e32 vcc_lo, 0, v4
	s_cbranch_vccz .LBB195_205
; %bb.200:                              ;   in Loop: Header=BB195_202 Depth=2
	v_add_co_u32 v2, vcc_lo, v2, s49
	v_add_co_ci_u32_e64 v3, null, 0, v3, vcc_lo
	s_mov_b32 s26, 0
	v_cmp_le_u64_e32 vcc_lo, s[18:19], v[2:3]
	s_orn2_b32 s44, vcc_lo, exec_lo
.LBB195_201:                            ;   in Loop: Header=BB195_202 Depth=2
	s_and_b32 s44, exec_lo, s44
	s_or_b32 s21, s44, s21
	s_andn2_b32 s23, s23, exec_lo
	s_and_b32 s26, s26, exec_lo
	s_or_b32 s23, s23, s26
	s_andn2_b32 exec_lo, exec_lo, s21
	s_cbranch_execz .LBB195_206
.LBB195_202:                            ;   Parent Loop BB195_12 Depth=1
                                        ; =>  This Inner Loop Header: Depth=2
	s_mov_b32 s26, exec_lo
	v_cmpx_gt_u64_e64 s[36:37], v[2:3]
	s_cbranch_execz .LBB195_199
; %bb.203:                              ;   in Loop: Header=BB195_202 Depth=2
	v_mul_lo_u32 v17, v3, s30
	v_mul_lo_u32 v21, v2, s31
	v_mad_u64_u32 v[4:5], null, v2, s30, 0
	v_add3_u32 v5, v5, v21, v17
	v_lshlrev_b64 v[4:5], 2, v[4:5]
	v_add_co_u32 v4, vcc_lo, s33, v4
	v_add_co_ci_u32_e64 v5, null, s35, v5, vcc_lo
	global_load_dword v17, v[4:5], off
	s_waitcnt vmcnt(0)
	v_cmp_lt_i32_e32 vcc_lo, -1, v17
	v_cndmask_b32_e64 v4, -1, 0x80000000, vcc_lo
	v_cmp_o_f32_e32 vcc_lo, v17, v17
	v_xor_b32_e32 v4, v4, v17
	v_cndmask_b32_e32 v4, -1, v4, vcc_lo
	v_and_b32_e32 v4, v4, v12
	v_cmp_eq_u32_e32 vcc_lo, v4, v9
	s_and_b32 exec_lo, exec_lo, vcc_lo
	s_cbranch_execz .LBB195_199
; %bb.204:                              ;   in Loop: Header=BB195_202 Depth=2
	ds_write_b64 v13, v[16:17] offset:3072
	s_branch .LBB195_199
.LBB195_205:                            ;   in Loop: Header=BB195_202 Depth=2
	s_mov_b32 s44, -1
	s_mov_b32 s26, -1
                                        ; implicit-def: $vgpr2_vgpr3
	s_branch .LBB195_201
.LBB195_206:                            ;   in Loop: Header=BB195_12 Depth=1
	s_or_b32 exec_lo, exec_lo, s21
	s_andn2_b32 s18, s22, exec_lo
	s_and_b32 s19, s23, exec_lo
	s_or_b32 s22, s18, s19
.LBB195_207:                            ;   in Loop: Header=BB195_12 Depth=1
	s_or_b32 exec_lo, exec_lo, s20
	s_mov_b32 s70, 0
	s_mov_b32 s71, -1
.LBB195_208:                            ;   in Loop: Header=BB195_12 Depth=1
	s_orn2_b32 s18, s22, exec_lo
.LBB195_209:                            ;   in Loop: Header=BB195_12 Depth=1
	s_or_b32 exec_lo, exec_lo, s72
	s_mov_b32 s19, 0
	s_and_saveexec_b32 s72, s18
	s_cbranch_execz .LBB195_273
; %bb.210:                              ;   in Loop: Header=BB195_12 Depth=1
	v_mov_b32_e32 v2, 1
	v_mov_b32_e32 v3, 0
	;; [unrolled: 1-line block ×3, first 2 shown]
	s_xor_b32 s20, s73, -1
	s_and_saveexec_b32 s18, s20
	s_cbranch_execz .LBB195_219
; %bb.211:                              ;   in Loop: Header=BB195_12 Depth=1
	s_mov_b32 s19, exec_lo
	v_cmpx_ge_u64_e64 s[14:15], v[6:7]
	s_xor_b32 s19, exec_lo, s19
	s_cbranch_execz .LBB195_216
; %bb.212:                              ;   in Loop: Header=BB195_12 Depth=1
	ds_read_b64 v[2:3], v13 offset:5120
	s_lshl_b32 s20, 2, s93
	v_or_b32_e32 v12, s9, v12
	v_and_or_b32 v9, v9, s24, s20
	s_waitcnt lgkmcnt(0)
	v_cmp_ne_u64_e32 vcc_lo, 0, v[2:3]
	s_cbranch_vccnz .LBB195_216
; %bb.213:                              ;   in Loop: Header=BB195_12 Depth=1
	s_and_saveexec_b32 s20, s3
; %bb.214:                              ;   in Loop: Header=BB195_12 Depth=1
	v_mov_b32_e32 v2, s14
	v_mov_b32_e32 v3, s15
	ds_write_b64 v13, v[2:3] offset:5128
; %bb.215:                              ;   in Loop: Header=BB195_12 Depth=1
	s_or_b32 exec_lo, exec_lo, s20
	s_waitcnt lgkmcnt(0)
	s_barrier
	buffer_gl0_inv
.LBB195_216:                            ;   in Loop: Header=BB195_12 Depth=1
	s_or_saveexec_b32 s19, s19
	v_mov_b32_e32 v8, 8
	s_mov_b32 s20, 0
	s_xor_b32 exec_lo, exec_lo, s19
; %bb.217:                              ;   in Loop: Header=BB195_12 Depth=1
	v_sub_co_u32 v6, vcc_lo, v6, s14
	v_subrev_co_ci_u32_e64 v7, null, s15, v7, vcc_lo
	v_mov_b32_e32 v8, 0
	s_mov_b32 s20, exec_lo
; %bb.218:                              ;   in Loop: Header=BB195_12 Depth=1
	s_or_b32 exec_lo, exec_lo, s19
	v_mov_b32_e32 v2, v6
	v_mov_b32_e32 v3, v7
	s_and_b32 s19, s20, exec_lo
.LBB195_219:                            ;   in Loop: Header=BB195_12 Depth=1
	s_or_b32 exec_lo, exec_lo, s18
	s_mov_b32 s18, -1
                                        ; implicit-def: $sgpr104
                                        ; implicit-def: $sgpr58
	s_and_saveexec_b32 s73, s19
	s_cbranch_execz .LBB195_272
; %bb.220:                              ;   in Loop: Header=BB195_12 Depth=1
	v_cmp_eq_u64_e32 vcc_lo, 1, v[2:3]
	s_cmp_eq_u64 s[16:17], 1
	s_mov_b32 s19, -1
	s_cselect_b32 s18, -1, 0
                                        ; implicit-def: $sgpr104
                                        ; implicit-def: $sgpr58
	s_and_b32 s74, s18, vcc_lo
	s_and_saveexec_b32 s75, s74
	s_cbranch_execz .LBB195_260
; %bb.221:                              ;   in Loop: Header=BB195_12 Depth=1
	ds_read_b64 v[4:5], v13 offset:5120
	s_waitcnt lgkmcnt(0)
	s_barrier
	buffer_gl0_inv
	v_readfirstlane_b32 s18, v4
	v_readfirstlane_b32 s19, v5
	s_and_saveexec_b32 s20, s8
; %bb.222:                              ;   in Loop: Header=BB195_12 Depth=1
	ds_write_b32 v26, v13
; %bb.223:                              ;   in Loop: Header=BB195_12 Depth=1
	s_or_b32 exec_lo, exec_lo, s20
	v_or_b32_e32 v9, s9, v9
	v_or_b32_e32 v12, s9, v12
	s_mov_b32 s58, -1
	s_mov_b32 s104, 0
	s_cmp_eq_u64 s[18:19], 0
	s_mov_b32 s22, 0
	s_mov_b32 s23, -1
	s_waitcnt lgkmcnt(0)
	s_barrier
	buffer_gl0_inv
                                        ; implicit-def: $vgpr5
	s_cbranch_scc1 .LBB195_242
; %bb.224:                              ;   in Loop: Header=BB195_12 Depth=1
	s_add_u32 vcc_hi, s18, s80
	s_addc_u32 s21, s19, s81
	s_mov_b32 s20, s27
	s_cmp_lg_u64 s[20:21], 0
	s_cbranch_scc0 .LBB195_228
; %bb.225:                              ;   in Loop: Header=BB195_12 Depth=1
	v_cvt_f32_u32_e32 v4, s49
	s_sub_u32 s23, 0, s49
	s_subb_u32 s26, 0, 0
	v_fmac_f32_e64 v4, 0x4f800000, 0
	v_rcp_f32_e32 v4, v4
	v_mul_f32_e32 v4, 0x5f7ffffc, v4
	v_mul_f32_e32 v5, 0x2f800000, v4
	v_trunc_f32_e32 v5, v5
	v_fmac_f32_e32 v4, 0xcf800000, v5
	v_cvt_u32_f32_e32 v5, v5
	v_cvt_u32_f32_e32 v4, v4
	v_readfirstlane_b32 s20, v5
	v_readfirstlane_b32 s22, v4
	s_mul_i32 s44, s23, s20
	s_mul_hi_u32 s46, s23, s22
	s_mul_i32 s45, s26, s22
	s_add_i32 s44, s46, s44
	s_mul_i32 s47, s23, s22
	s_add_i32 s44, s44, s45
	s_mul_hi_u32 s46, s22, s47
	s_mul_i32 s54, s22, s44
	s_mul_hi_u32 vcc_lo, s20, s47
	s_mul_i32 s45, s20, s47
	s_mul_hi_u32 s47, s22, s44
	s_add_u32 s46, s46, s54
	s_addc_u32 s47, 0, s47
	s_mul_hi_u32 s55, s20, s44
	s_add_u32 s45, s46, s45
	s_mul_i32 s44, s20, s44
	s_addc_u32 s45, s47, vcc_lo
	s_addc_u32 s46, s55, 0
	s_add_u32 s44, s45, s44
	s_addc_u32 s45, 0, s46
	s_add_u32 s22, s22, s44
	s_cselect_b32 s44, -1, 0
	s_mul_hi_u32 s46, s23, s22
	s_cmp_lg_u32 s44, 0
	s_mul_i32 s44, s23, s22
	s_addc_u32 s20, s20, s45
	s_mul_i32 s26, s26, s22
	s_mul_i32 s23, s23, s20
	s_mul_hi_u32 s45, s22, s44
	s_add_i32 s23, s46, s23
	s_mul_hi_u32 s46, s20, s44
	s_add_i32 s23, s23, s26
	s_mul_i32 s26, s20, s44
	s_mul_i32 s54, s22, s23
	s_mul_hi_u32 s47, s22, s23
	s_add_u32 s45, s45, s54
	s_addc_u32 s47, 0, s47
	s_mul_hi_u32 s44, s20, s23
	s_add_u32 s26, s45, s26
	s_mul_i32 s23, s20, s23
	s_addc_u32 s26, s47, s46
	s_addc_u32 s44, s44, 0
	s_add_u32 s23, s26, s23
	s_addc_u32 s26, 0, s44
	s_add_u32 s22, s22, s23
	s_cselect_b32 s23, -1, 0
	s_mul_hi_u32 s44, vcc_hi, s22
	s_cmp_lg_u32 s23, 0
	s_mul_hi_u32 s23, s21, s22
	s_addc_u32 s20, s20, s26
	s_mul_i32 s22, s21, s22
	s_mul_i32 s45, vcc_hi, s20
	s_mul_hi_u32 s26, vcc_hi, s20
	s_add_u32 s44, s44, s45
	s_addc_u32 s26, 0, s26
	s_mul_hi_u32 s46, s21, s20
	s_add_u32 s22, s44, s22
	s_mul_i32 s20, s21, s20
	s_addc_u32 s22, s26, s23
	s_addc_u32 s23, s46, 0
	s_add_u32 s20, s22, s20
	s_addc_u32 s22, 0, s23
	s_mul_hi_u32 s23, s49, s20
	s_mul_i32 s22, s49, s22
	s_mul_i32 s20, s49, s20
	s_add_i32 s23, s23, s22
	s_sub_u32 s20, vcc_hi, s20
	s_cselect_b32 s22, -1, 0
	s_cmp_lg_u32 s22, 0
	s_subb_u32 s22, s21, s23
	s_sub_u32 s23, s20, s49
	s_cselect_b32 s26, -1, 0
	s_cmp_lg_u32 s26, 0
	s_subb_u32 s26, s22, 0
	s_sub_u32 s44, s23, s49
	s_cselect_b32 s45, -1, 0
	s_cmp_lg_u32 s45, 0
	s_subb_u32 s45, s26, 0
	s_cmp_ge_u32 s23, s49
	s_cselect_b32 s46, -1, 0
	s_cmp_eq_u32 s26, 0
	s_cselect_b32 s46, s46, -1
	s_cmp_lg_u32 s46, 0
	s_cselect_b32 s26, s45, s26
	s_cselect_b32 s44, s44, s23
	s_cmp_ge_u32 s20, s49
	s_cselect_b32 s23, -1, 0
	s_cmp_eq_u32 s22, 0
	s_cselect_b32 s23, s23, -1
	s_cmp_lg_u32 s23, 0
	s_cselect_b32 s23, s26, s22
	s_cselect_b32 s22, s44, s20
	s_mov_b32 s20, 0
	s_branch .LBB195_229
.LBB195_226:                            ;   in Loop: Header=BB195_12 Depth=1
                                        ; implicit-def: $sgpr22_sgpr23
	s_branch .LBB195_179
.LBB195_227:                            ;   in Loop: Header=BB195_12 Depth=1
                                        ; implicit-def: $sgpr18_sgpr19
	s_branch .LBB195_196
.LBB195_228:                            ;   in Loop: Header=BB195_12 Depth=1
	s_mov_b32 s20, -1
                                        ; implicit-def: $sgpr22_sgpr23
.LBB195_229:                            ;   in Loop: Header=BB195_12 Depth=1
	s_andn2_b32 vcc_lo, exec_lo, s20
	s_cbranch_vccnz .LBB195_231
; %bb.230:                              ;   in Loop: Header=BB195_12 Depth=1
	v_cvt_f32_u32_e32 v4, s49
	s_sub_i32 s22, 0, s49
	v_rcp_iflag_f32_e32 v4, v4
	v_mul_f32_e32 v4, 0x4f7ffffe, v4
	v_cvt_u32_f32_e32 v4, v4
	v_readfirstlane_b32 s20, v4
	s_mul_i32 s22, s22, s20
	s_mul_hi_u32 s22, s20, s22
	s_add_i32 s20, s20, s22
	s_mul_hi_u32 s20, vcc_hi, s20
	s_mul_i32 s20, s20, s49
	s_sub_i32 s20, vcc_hi, s20
	s_sub_i32 s22, s20, s49
	s_cmp_ge_u32 s20, s49
	s_cselect_b32 s20, s22, s20
	s_sub_i32 s22, s20, s49
	s_cmp_ge_u32 s20, s49
	s_cselect_b32 s26, s22, s20
	s_mov_b64 s[22:23], s[26:27]
.LBB195_231:                            ;   in Loop: Header=BB195_12 Depth=1
	s_sub_u32 s20, vcc_hi, s22
	s_subb_u32 s21, s21, s23
	s_mov_b32 s23, 0
	s_mov_b32 s22, 0
	s_mov_b32 s26, exec_lo
                                        ; implicit-def: $vgpr5
	v_cmpx_gt_u64_e64 s[20:21], v[0:1]
	s_cbranch_execz .LBB195_241
; %bb.232:                              ;   in Loop: Header=BB195_12 Depth=1
	v_mov_b32_e32 v7, v1
	v_mov_b32_e32 v21, v14
	;; [unrolled: 1-line block ×3, first 2 shown]
                                        ; implicit-def: $vcc_hi
	s_inst_prefetch 0x1
	s_branch .LBB195_236
	.p2align	6
.LBB195_233:                            ;   in Loop: Header=BB195_236 Depth=2
	s_or_b32 exec_lo, exec_lo, s44
	s_waitcnt lgkmcnt(0)
	s_barrier
	buffer_gl0_inv
	ds_read_b64 v[4:5], v13 offset:3072
	s_waitcnt lgkmcnt(0)
	s_barrier
	buffer_gl0_inv
	v_cmp_neq_f32_e32 vcc_lo, 0, v4
	s_cbranch_vccnz .LBB195_239
; %bb.234:                              ;   in Loop: Header=BB195_236 Depth=2
	v_add_co_u32 v6, vcc_lo, v6, s49
	v_add_co_ci_u32_e64 v7, null, 0, v7, vcc_lo
	v_add_nc_u32_e32 v21, s86, v21
	s_mov_b32 s44, 0
	v_cmp_le_u64_e32 vcc_lo, s[20:21], v[6:7]
	s_orn2_b32 s45, vcc_lo, exec_lo
.LBB195_235:                            ;   in Loop: Header=BB195_236 Depth=2
	s_and_b32 s45, exec_lo, s45
	s_or_b32 s22, s45, s22
	s_andn2_b32 s45, vcc_hi, exec_lo
	s_and_b32 s44, s44, exec_lo
	s_or_b32 vcc_hi, s45, s44
	s_andn2_b32 exec_lo, exec_lo, s22
	s_cbranch_execz .LBB195_240
.LBB195_236:                            ;   Parent Loop BB195_12 Depth=1
                                        ; =>  This Inner Loop Header: Depth=2
	s_mov_b32 s44, exec_lo
	v_cmpx_gt_u64_e64 s[18:19], v[6:7]
	s_cbranch_execz .LBB195_233
; %bb.237:                              ;   in Loop: Header=BB195_236 Depth=2
	ds_read_b32 v17, v21
	s_waitcnt lgkmcnt(0)
	v_cmp_lt_i32_e32 vcc_lo, -1, v17
	v_cndmask_b32_e64 v4, -1, 0x80000000, vcc_lo
	v_cmp_o_f32_e32 vcc_lo, v17, v17
	v_xor_b32_e32 v4, v4, v17
	v_cndmask_b32_e32 v4, -1, v4, vcc_lo
	v_and_b32_e32 v4, v4, v12
	v_cmp_eq_u32_e32 vcc_lo, v4, v9
	s_and_b32 exec_lo, exec_lo, vcc_lo
	s_cbranch_execz .LBB195_233
; %bb.238:                              ;   in Loop: Header=BB195_236 Depth=2
	ds_write_b64 v13, v[16:17] offset:3072
	s_branch .LBB195_233
.LBB195_239:                            ;   in Loop: Header=BB195_236 Depth=2
	s_mov_b32 s45, -1
	s_mov_b32 s44, -1
                                        ; implicit-def: $vgpr6_vgpr7
                                        ; implicit-def: $vgpr21
	s_branch .LBB195_235
.LBB195_240:                            ;   in Loop: Header=BB195_12 Depth=1
	s_inst_prefetch 0x2
	s_or_b32 exec_lo, exec_lo, s22
	s_and_b32 s22, vcc_hi, exec_lo
.LBB195_241:                            ;   in Loop: Header=BB195_12 Depth=1
	s_or_b32 exec_lo, exec_lo, s26
.LBB195_242:                            ;   in Loop: Header=BB195_12 Depth=1
	s_and_b32 vcc_lo, exec_lo, s23
	s_cbranch_vccz .LBB195_259
; %bb.243:                              ;   in Loop: Header=BB195_12 Depth=1
	s_mov_b32 s58, s27
	s_cmp_lg_u64 s[58:59], 0
	s_cbranch_scc0 .LBB195_245
; %bb.244:                              ;   in Loop: Header=BB195_12 Depth=1
	v_cvt_f32_u32_e32 v4, s49
	s_sub_u32 s20, 0, s49
	s_subb_u32 s21, 0, 0
	v_fmac_f32_e64 v4, 0x4f800000, 0
	v_rcp_f32_e32 v4, v4
	v_mul_f32_e32 v4, 0x5f7ffffc, v4
	v_mul_f32_e32 v5, 0x2f800000, v4
	v_trunc_f32_e32 v5, v5
	v_fmac_f32_e32 v4, 0xcf800000, v5
	v_cvt_u32_f32_e32 v5, v5
	v_cvt_u32_f32_e32 v4, v4
	v_readfirstlane_b32 s18, v5
	v_readfirstlane_b32 s19, v4
	s_mul_i32 s23, s20, s18
	s_mul_hi_u32 s44, s20, s19
	s_mul_i32 s26, s21, s19
	s_add_i32 s23, s44, s23
	s_mul_i32 s45, s20, s19
	s_add_i32 s23, s23, s26
	s_mul_hi_u32 s44, s19, s45
	s_mul_i32 s47, s19, s23
	s_mul_hi_u32 s46, s18, s45
	s_mul_i32 s26, s18, s45
	s_mul_hi_u32 s45, s19, s23
	s_add_u32 s44, s44, s47
	s_addc_u32 s45, 0, s45
	s_mul_hi_u32 s54, s18, s23
	s_add_u32 s26, s44, s26
	s_mul_i32 s23, s18, s23
	s_addc_u32 s26, s45, s46
	s_addc_u32 s44, s54, 0
	s_add_u32 s23, s26, s23
	s_addc_u32 s26, 0, s44
	s_add_u32 s19, s19, s23
	s_cselect_b32 s23, -1, 0
	s_mul_hi_u32 s44, s20, s19
	s_cmp_lg_u32 s23, 0
	s_mul_i32 s23, s20, s19
	s_addc_u32 s18, s18, s26
	s_mul_i32 s21, s21, s19
	s_mul_i32 s20, s20, s18
	s_mul_hi_u32 s26, s19, s23
	s_add_i32 s20, s44, s20
	s_mul_hi_u32 s44, s18, s23
	s_add_i32 s20, s20, s21
	s_mul_i32 s21, s18, s23
	s_mul_i32 s46, s19, s20
	s_mul_hi_u32 s45, s19, s20
	s_add_u32 s26, s26, s46
	s_addc_u32 s45, 0, s45
	s_mul_hi_u32 s23, s18, s20
	s_add_u32 s21, s26, s21
	s_mul_i32 s20, s18, s20
	s_addc_u32 s21, s45, s44
	s_addc_u32 s23, s23, 0
	s_add_u32 s20, s21, s20
	s_addc_u32 s21, 0, s23
	s_add_u32 s19, s19, s20
	s_cselect_b32 s20, -1, 0
	s_mul_hi_u32 s23, s82, s19
	s_cmp_lg_u32 s20, 0
	s_mul_hi_u32 s20, s59, s19
	s_addc_u32 s18, s18, s21
	s_mul_i32 s19, s59, s19
	s_mul_i32 s26, s82, s18
	s_mul_hi_u32 s21, s82, s18
	s_add_u32 s23, s23, s26
	s_addc_u32 s21, 0, s21
	s_mul_hi_u32 s44, s59, s18
	s_add_u32 s19, s23, s19
	s_mul_i32 s18, s59, s18
	s_addc_u32 s19, s21, s20
	s_addc_u32 s20, s44, 0
	s_add_u32 s18, s19, s18
	s_addc_u32 s19, 0, s20
	s_mul_hi_u32 s20, s49, s18
	s_mul_i32 s19, s49, s19
	s_mul_i32 s18, s49, s18
	s_add_i32 s20, s20, s19
	s_sub_u32 s18, s82, s18
	s_cselect_b32 s19, -1, 0
	s_cmp_lg_u32 s19, 0
	s_subb_u32 s19, s59, s20
	s_sub_u32 s20, s18, s49
	s_cselect_b32 s21, -1, 0
	s_cmp_lg_u32 s21, 0
	s_subb_u32 s21, s19, 0
	;; [unrolled: 4-line block ×3, first 2 shown]
	s_cmp_ge_u32 s20, s49
	s_cselect_b32 s44, -1, 0
	s_cmp_eq_u32 s21, 0
	s_cselect_b32 s44, s44, -1
	s_cmp_lg_u32 s44, 0
	s_cselect_b32 s21, s26, s21
	s_cselect_b32 s20, s23, s20
	s_cmp_ge_u32 s18, s49
	s_cselect_b32 s23, -1, 0
	s_cmp_eq_u32 s19, 0
	s_cselect_b32 s23, s23, -1
	s_cmp_lg_u32 s23, 0
	s_cselect_b32 s19, s21, s19
	s_cselect_b32 s18, s20, s18
	s_mov_b32 s20, 0
	s_branch .LBB195_246
.LBB195_245:                            ;   in Loop: Header=BB195_12 Depth=1
	s_mov_b32 s20, -1
                                        ; implicit-def: $sgpr18_sgpr19
.LBB195_246:                            ;   in Loop: Header=BB195_12 Depth=1
	s_andn2_b32 vcc_lo, exec_lo, s20
	s_cbranch_vccnz .LBB195_248
; %bb.247:                              ;   in Loop: Header=BB195_12 Depth=1
	v_cvt_f32_u32_e32 v4, s49
	s_sub_i32 s19, 0, s49
	v_rcp_iflag_f32_e32 v4, v4
	v_mul_f32_e32 v4, 0x4f7ffffe, v4
	v_cvt_u32_f32_e32 v4, v4
	v_readfirstlane_b32 s18, v4
	s_mul_i32 s19, s19, s18
	s_mul_hi_u32 s19, s18, s19
	s_add_i32 s18, s18, s19
	s_mul_hi_u32 s18, s82, s18
	s_mul_i32 s18, s18, s49
	s_sub_i32 s18, s82, s18
	s_sub_i32 s19, s18, s49
	s_cmp_ge_u32 s18, s49
	s_cselect_b32 s18, s19, s18
	s_sub_i32 s19, s18, s49
	s_cmp_ge_u32 s18, s49
	s_cselect_b32 s26, s19, s18
	s_mov_b64 s[18:19], s[26:27]
.LBB195_248:                            ;   in Loop: Header=BB195_12 Depth=1
	s_sub_u32 s18, s82, s18
	s_subb_u32 s19, s59, s19
	s_mov_b32 s20, exec_lo
                                        ; implicit-def: $vgpr5
	v_cmpx_gt_u64_e64 s[18:19], v[0:1]
	s_cbranch_execz .LBB195_258
; %bb.249:                              ;   in Loop: Header=BB195_12 Depth=1
	v_mov_b32_e32 v7, v1
	v_mov_b32_e32 v6, v0
	s_mov_b32 s21, 0
                                        ; implicit-def: $sgpr23
	s_branch .LBB195_253
.LBB195_250:                            ;   in Loop: Header=BB195_253 Depth=2
	s_or_b32 exec_lo, exec_lo, s26
	s_waitcnt lgkmcnt(0)
	s_barrier
	buffer_gl0_inv
	ds_read_b64 v[4:5], v13 offset:3072
	s_waitcnt lgkmcnt(0)
	s_barrier
	buffer_gl0_inv
	v_cmp_eq_f32_e32 vcc_lo, 0, v4
	s_cbranch_vccz .LBB195_256
; %bb.251:                              ;   in Loop: Header=BB195_253 Depth=2
	v_add_co_u32 v6, vcc_lo, v6, s49
	v_add_co_ci_u32_e64 v7, null, 0, v7, vcc_lo
	s_mov_b32 s26, 0
	v_cmp_le_u64_e32 vcc_lo, s[18:19], v[6:7]
	s_orn2_b32 s44, vcc_lo, exec_lo
.LBB195_252:                            ;   in Loop: Header=BB195_253 Depth=2
	s_and_b32 s44, exec_lo, s44
	s_or_b32 s21, s44, s21
	s_andn2_b32 s23, s23, exec_lo
	s_and_b32 s26, s26, exec_lo
	s_or_b32 s23, s23, s26
	s_andn2_b32 exec_lo, exec_lo, s21
	s_cbranch_execz .LBB195_257
.LBB195_253:                            ;   Parent Loop BB195_12 Depth=1
                                        ; =>  This Inner Loop Header: Depth=2
	s_mov_b32 s26, exec_lo
	v_cmpx_gt_u64_e64 s[36:37], v[6:7]
	s_cbranch_execz .LBB195_250
; %bb.254:                              ;   in Loop: Header=BB195_253 Depth=2
	v_mul_lo_u32 v17, v7, s30
	v_mul_lo_u32 v21, v6, s31
	v_mad_u64_u32 v[4:5], null, v6, s30, 0
	v_add3_u32 v5, v5, v21, v17
	v_lshlrev_b64 v[4:5], 2, v[4:5]
	v_add_co_u32 v4, vcc_lo, s33, v4
	v_add_co_ci_u32_e64 v5, null, s35, v5, vcc_lo
	global_load_dword v17, v[4:5], off
	s_waitcnt vmcnt(0)
	v_cmp_lt_i32_e32 vcc_lo, -1, v17
	v_cndmask_b32_e64 v4, -1, 0x80000000, vcc_lo
	v_cmp_o_f32_e32 vcc_lo, v17, v17
	v_xor_b32_e32 v4, v4, v17
	v_cndmask_b32_e32 v4, -1, v4, vcc_lo
	v_and_b32_e32 v4, v4, v12
	v_cmp_eq_u32_e32 vcc_lo, v4, v9
	s_and_b32 exec_lo, exec_lo, vcc_lo
	s_cbranch_execz .LBB195_250
; %bb.255:                              ;   in Loop: Header=BB195_253 Depth=2
	ds_write_b64 v13, v[16:17] offset:3072
	s_branch .LBB195_250
.LBB195_256:                            ;   in Loop: Header=BB195_253 Depth=2
	s_mov_b32 s44, -1
	s_mov_b32 s26, -1
                                        ; implicit-def: $vgpr6_vgpr7
	s_branch .LBB195_252
.LBB195_257:                            ;   in Loop: Header=BB195_12 Depth=1
	s_or_b32 exec_lo, exec_lo, s21
	s_andn2_b32 s18, s22, exec_lo
	s_and_b32 s19, s23, exec_lo
	s_or_b32 s22, s18, s19
.LBB195_258:                            ;   in Loop: Header=BB195_12 Depth=1
	s_or_b32 exec_lo, exec_lo, s20
	s_mov_b32 s58, 0
	s_mov_b32 s104, -1
.LBB195_259:                            ;   in Loop: Header=BB195_12 Depth=1
	s_orn2_b32 s19, s22, exec_lo
.LBB195_260:                            ;   in Loop: Header=BB195_12 Depth=1
	s_or_b32 exec_lo, exec_lo, s75
	s_mov_b32 s20, 0
	s_and_saveexec_b32 s18, s19
	s_cbranch_execz .LBB195_271
; %bb.261:                              ;   in Loop: Header=BB195_12 Depth=1
	v_mov_b32_e32 v6, 1
	v_mov_b32_e32 v7, 0
	;; [unrolled: 1-line block ×3, first 2 shown]
	s_xor_b32 s20, s74, -1
	s_and_saveexec_b32 s19, s20
	s_cbranch_execz .LBB195_270
; %bb.262:                              ;   in Loop: Header=BB195_12 Depth=1
	s_mov_b32 s20, exec_lo
	v_cmpx_ge_u64_e64 s[16:17], v[2:3]
	s_xor_b32 s20, exec_lo, s20
	s_cbranch_execz .LBB195_267
; %bb.263:                              ;   in Loop: Header=BB195_12 Depth=1
	ds_read_b64 v[6:7], v13 offset:5120
	v_or_b32_e32 v9, s9, v9
	v_or_b32_e32 v12, s9, v12
	s_waitcnt lgkmcnt(0)
	v_cmp_ne_u64_e32 vcc_lo, 0, v[6:7]
	s_cbranch_vccnz .LBB195_267
; %bb.264:                              ;   in Loop: Header=BB195_12 Depth=1
	s_and_saveexec_b32 s21, s3
; %bb.265:                              ;   in Loop: Header=BB195_12 Depth=1
	v_mov_b32_e32 v6, s16
	v_mov_b32_e32 v7, s17
	ds_write_b64 v13, v[6:7] offset:5128
; %bb.266:                              ;   in Loop: Header=BB195_12 Depth=1
	s_or_b32 exec_lo, exec_lo, s21
	s_waitcnt lgkmcnt(0)
	s_barrier
	buffer_gl0_inv
.LBB195_267:                            ;   in Loop: Header=BB195_12 Depth=1
	s_andn2_saveexec_b32 s20, s20
; %bb.268:                              ;   in Loop: Header=BB195_12 Depth=1
	v_sub_co_u32 v2, vcc_lo, v2, s16
	v_subrev_co_ci_u32_e64 v3, null, s17, v3, vcc_lo
; %bb.269:                              ;   in Loop: Header=BB195_12 Depth=1
	s_or_b32 exec_lo, exec_lo, s20
	v_mov_b32_e32 v7, v3
	v_mov_b32_e32 v8, 8
	;; [unrolled: 1-line block ×3, first 2 shown]
.LBB195_270:                            ;   in Loop: Header=BB195_12 Depth=1
	s_or_b32 exec_lo, exec_lo, s19
	v_mov_b32_e32 v2, v6
	v_mov_b32_e32 v3, v7
	s_mov_b32 s20, exec_lo
.LBB195_271:                            ;   in Loop: Header=BB195_12 Depth=1
	s_or_b32 exec_lo, exec_lo, s18
	s_orn2_b32 s18, s20, exec_lo
.LBB195_272:                            ;   in Loop: Header=BB195_12 Depth=1
	s_or_b32 exec_lo, exec_lo, s73
	v_mov_b32_e32 v7, v3
	v_mov_b32_e32 v6, v2
	s_andn2_b32 s19, s71, exec_lo
	s_and_b32 s20, s104, exec_lo
	s_andn2_b32 s21, s70, exec_lo
	s_and_b32 s22, s58, exec_lo
	s_or_b32 s71, s19, s20
	s_or_b32 s70, s21, s22
	s_and_b32 s19, s18, exec_lo
.LBB195_273:                            ;   in Loop: Header=BB195_12 Depth=1
	s_or_b32 exec_lo, exec_lo, s72
	s_orn2_b32 s18, s19, exec_lo
.LBB195_274:                            ;   in Loop: Header=BB195_12 Depth=1
	s_or_b32 exec_lo, exec_lo, s69
	v_mov_b32_e32 v2, v6
	v_mov_b32_e32 v3, v7
	s_andn2_b32 s19, s67, exec_lo
	s_and_b32 s20, s71, exec_lo
	s_andn2_b32 s21, s66, exec_lo
	s_and_b32 s22, s70, exec_lo
	s_or_b32 s67, s19, s20
	s_or_b32 s66, s21, s22
	s_and_b32 s19, s18, exec_lo
.LBB195_275:                            ;   in Loop: Header=BB195_12 Depth=1
	s_or_b32 exec_lo, exec_lo, s68
	s_orn2_b32 s18, s19, exec_lo
.LBB195_276:                            ;   in Loop: Header=BB195_12 Depth=1
	s_or_b32 exec_lo, exec_lo, s6
	s_mov_b32 s6, 0
	s_mov_b32 s19, 0
	s_and_saveexec_b32 s20, s18
	s_xor_b32 s18, exec_lo, s20
; %bb.277:                              ;   in Loop: Header=BB195_12 Depth=1
	v_cmp_ne_u32_e32 vcc_lo, 8, v8
	v_cmp_eq_u32_e64 s6, 8, v8
	s_and_b32 s19, vcc_lo, exec_lo
	s_and_b32 s6, s6, exec_lo
; %bb.278:                              ;   in Loop: Header=BB195_12 Depth=1
	s_or_b32 exec_lo, exec_lo, s18
	s_andn2_b32 s18, s63, exec_lo
	s_and_b32 s20, s67, exec_lo
	s_andn2_b32 s21, s62, exec_lo
	s_and_b32 s22, s66, exec_lo
	s_or_b32 s63, s18, s20
	s_or_b32 s62, s21, s22
	s_and_b32 s22, s19, exec_lo
	s_and_b32 s23, s6, exec_lo
.LBB195_279:                            ;   in Loop: Header=BB195_12 Depth=1
	s_or_b32 exec_lo, exec_lo, s65
.LBB195_280:                            ;   in Loop: Header=BB195_12 Depth=1
	s_and_b32 vcc_lo, exec_lo, s64
	s_cbranch_vccz .LBB195_297
; %bb.281:                              ;   in Loop: Header=BB195_12 Depth=1
	s_cmp_eq_u64 s[16:17], 1
                                        ; implicit-def: $sgpr64
                                        ; implicit-def: $sgpr25
	s_cselect_b32 s6, -1, 0
	s_and_b32 s62, s6, s7
	s_mov_b32 s6, -1
	s_and_saveexec_b32 s63, s62
	s_cbranch_execz .LBB195_316
; %bb.282:                              ;   in Loop: Header=BB195_12 Depth=1
	ds_read_b64 v[2:3], v13 offset:5120
	s_waitcnt lgkmcnt(0)
	s_barrier
	buffer_gl0_inv
	v_readfirstlane_b32 s6, v2
	v_readfirstlane_b32 s7, v3
	s_and_saveexec_b32 s18, s8
; %bb.283:                              ;   in Loop: Header=BB195_12 Depth=1
	ds_write_b32 v26, v13
; %bb.284:                              ;   in Loop: Header=BB195_12 Depth=1
	s_or_b32 exec_lo, exec_lo, s18
	v_or_b32_e32 v25, s9, v25
	v_or_b32_e32 v30, s9, v30
	s_mov_b32 s25, -1
	s_mov_b32 s64, 0
	s_cmp_eq_u64 s[6:7], 0
	s_mov_b32 s20, 0
	s_mov_b32 s21, -1
	s_waitcnt lgkmcnt(0)
	s_barrier
	buffer_gl0_inv
                                        ; implicit-def: $vgpr18
	s_cbranch_scc1 .LBB195_300
; %bb.285:                              ;   in Loop: Header=BB195_12 Depth=1
	s_add_u32 s58, s6, s80
	s_addc_u32 s19, s7, s81
	s_mov_b32 s18, s27
	s_cmp_lg_u64 s[18:19], 0
	s_cbranch_scc0 .LBB195_343
; %bb.286:                              ;   in Loop: Header=BB195_12 Depth=1
	v_cvt_f32_u32_e32 v2, s49
	s_sub_u32 s21, 0, s49
	s_subb_u32 s26, 0, 0
	v_fmac_f32_e64 v2, 0x4f800000, 0
	v_rcp_f32_e32 v2, v2
	v_mul_f32_e32 v2, 0x5f7ffffc, v2
	v_mul_f32_e32 v3, 0x2f800000, v2
	v_trunc_f32_e32 v3, v3
	v_fmac_f32_e32 v2, 0xcf800000, v3
	v_cvt_u32_f32_e32 v3, v3
	v_cvt_u32_f32_e32 v2, v2
	v_readfirstlane_b32 s18, v3
	v_readfirstlane_b32 s20, v2
	s_mul_i32 s44, s21, s18
	s_mul_hi_u32 s46, s21, s20
	s_mul_i32 s45, s26, s20
	s_add_i32 s44, s46, s44
	s_mul_i32 s47, s21, s20
	s_add_i32 s44, s44, s45
	s_mul_hi_u32 s46, s20, s47
	s_mul_i32 s66, s20, s44
	s_mul_hi_u32 s65, s18, s47
	s_mul_i32 s45, s18, s47
	s_mul_hi_u32 s47, s20, s44
	s_add_u32 s46, s46, s66
	s_addc_u32 s47, 0, s47
	s_mul_hi_u32 s67, s18, s44
	s_add_u32 s45, s46, s45
	s_mul_i32 s44, s18, s44
	s_addc_u32 s45, s47, s65
	s_addc_u32 s46, s67, 0
	s_add_u32 s44, s45, s44
	s_addc_u32 s45, 0, s46
	s_add_u32 s20, s20, s44
	s_cselect_b32 s44, -1, 0
	s_mul_hi_u32 s46, s21, s20
	s_cmp_lg_u32 s44, 0
	s_mul_i32 s44, s21, s20
	s_addc_u32 s18, s18, s45
	s_mul_i32 s26, s26, s20
	s_mul_i32 s21, s21, s18
	s_mul_hi_u32 s45, s20, s44
	s_add_i32 s21, s46, s21
	s_mul_hi_u32 s46, s18, s44
	s_add_i32 s21, s21, s26
	s_mul_i32 s26, s18, s44
	s_mul_i32 s65, s20, s21
	s_mul_hi_u32 s47, s20, s21
	s_add_u32 s45, s45, s65
	s_addc_u32 s47, 0, s47
	s_mul_hi_u32 s44, s18, s21
	s_add_u32 s26, s45, s26
	s_mul_i32 s21, s18, s21
	s_addc_u32 s26, s47, s46
	s_addc_u32 s44, s44, 0
	s_add_u32 s21, s26, s21
	s_addc_u32 s26, 0, s44
	s_add_u32 s20, s20, s21
	s_cselect_b32 s21, -1, 0
	s_mul_hi_u32 s44, s58, s20
	s_cmp_lg_u32 s21, 0
	s_mul_hi_u32 s21, s19, s20
	s_addc_u32 s18, s18, s26
	s_mul_i32 s20, s19, s20
	s_mul_i32 s45, s58, s18
	s_mul_hi_u32 s26, s58, s18
	s_add_u32 s44, s44, s45
	s_addc_u32 s26, 0, s26
	s_mul_hi_u32 s46, s19, s18
	s_add_u32 s20, s44, s20
	s_mul_i32 s18, s19, s18
	s_addc_u32 s20, s26, s21
	s_addc_u32 s21, s46, 0
	s_add_u32 s18, s20, s18
	s_addc_u32 s20, 0, s21
	s_mul_hi_u32 s21, s49, s18
	s_mul_i32 s20, s49, s20
	s_mul_i32 s18, s49, s18
	s_add_i32 s21, s21, s20
	s_sub_u32 s18, s58, s18
	s_cselect_b32 s20, -1, 0
	s_cmp_lg_u32 s20, 0
	s_subb_u32 s20, s19, s21
	s_sub_u32 s21, s18, s49
	s_cselect_b32 s26, -1, 0
	s_cmp_lg_u32 s26, 0
	s_subb_u32 s26, s20, 0
	;; [unrolled: 4-line block ×3, first 2 shown]
	s_cmp_ge_u32 s21, s49
	s_cselect_b32 s46, -1, 0
	s_cmp_eq_u32 s26, 0
	s_cselect_b32 s46, s46, -1
	s_cmp_lg_u32 s46, 0
	s_cselect_b32 s26, s45, s26
	s_cselect_b32 s44, s44, s21
	s_cmp_ge_u32 s18, s49
	s_cselect_b32 s21, -1, 0
	s_cmp_eq_u32 s20, 0
	s_cselect_b32 s21, s21, -1
	s_cmp_lg_u32 s21, 0
	s_cselect_b32 s21, s26, s20
	s_cselect_b32 s20, s44, s18
	s_cbranch_execnz .LBB195_288
.LBB195_287:                            ;   in Loop: Header=BB195_12 Depth=1
	v_cvt_f32_u32_e32 v2, s49
	s_sub_i32 s20, 0, s49
	v_rcp_iflag_f32_e32 v2, v2
	v_mul_f32_e32 v2, 0x4f7ffffe, v2
	v_cvt_u32_f32_e32 v2, v2
	v_readfirstlane_b32 s18, v2
	s_mul_i32 s20, s20, s18
	s_mul_hi_u32 s20, s18, s20
	s_add_i32 s18, s18, s20
	s_mul_hi_u32 s18, s58, s18
	s_mul_i32 s18, s18, s49
	s_sub_i32 s18, s58, s18
	s_sub_i32 s20, s18, s49
	s_cmp_ge_u32 s18, s49
	s_cselect_b32 s18, s20, s18
	s_sub_i32 s20, s18, s49
	s_cmp_ge_u32 s18, s49
	s_cselect_b32 s26, s20, s18
	s_mov_b64 s[20:21], s[26:27]
.LBB195_288:                            ;   in Loop: Header=BB195_12 Depth=1
	s_sub_u32 s18, s58, s20
	s_subb_u32 s19, s19, s21
	s_mov_b32 s21, 0
	s_mov_b32 s20, 0
	s_mov_b32 s26, exec_lo
                                        ; implicit-def: $vgpr18
	v_cmpx_gt_u64_e64 s[18:19], v[0:1]
	s_cbranch_execz .LBB195_299
; %bb.289:                              ;   in Loop: Header=BB195_12 Depth=1
	v_mov_b32_e32 v3, v1
	v_mov_b32_e32 v4, v14
	;; [unrolled: 1-line block ×3, first 2 shown]
                                        ; implicit-def: $sgpr58
	s_inst_prefetch 0x1
	s_branch .LBB195_293
	.p2align	6
.LBB195_290:                            ;   in Loop: Header=BB195_293 Depth=2
	s_or_b32 exec_lo, exec_lo, s65
	s_waitcnt lgkmcnt(0)
	s_barrier
	buffer_gl0_inv
	ds_read_b64 v[17:18], v13 offset:3072
	s_waitcnt lgkmcnt(0)
	s_barrier
	buffer_gl0_inv
	v_cmp_neq_f32_e32 vcc_lo, 0, v17
	s_cbranch_vccnz .LBB195_296
; %bb.291:                              ;   in Loop: Header=BB195_293 Depth=2
	v_add_co_u32 v2, vcc_lo, v2, s49
	v_add_co_ci_u32_e64 v3, null, 0, v3, vcc_lo
	v_add_nc_u32_e32 v4, s86, v4
	s_mov_b32 s44, 0
	v_cmp_le_u64_e32 vcc_lo, s[18:19], v[2:3]
	s_orn2_b32 s45, vcc_lo, exec_lo
.LBB195_292:                            ;   in Loop: Header=BB195_293 Depth=2
	s_and_b32 s45, exec_lo, s45
	s_or_b32 s20, s45, s20
	s_andn2_b32 s45, s58, exec_lo
	s_and_b32 s44, s44, exec_lo
	s_or_b32 s58, s45, s44
	s_andn2_b32 exec_lo, exec_lo, s20
	s_cbranch_execz .LBB195_298
.LBB195_293:                            ;   Parent Loop BB195_12 Depth=1
                                        ; =>  This Inner Loop Header: Depth=2
	s_mov_b32 s65, exec_lo
	v_cmpx_gt_u64_e64 s[6:7], v[2:3]
	s_cbranch_execz .LBB195_290
; %bb.294:                              ;   in Loop: Header=BB195_293 Depth=2
	ds_read_b32 v17, v4
	s_waitcnt lgkmcnt(0)
	v_cmp_lt_i32_e32 vcc_lo, -1, v17
	v_cndmask_b32_e64 v5, -1, 0x80000000, vcc_lo
	v_cmp_o_f32_e32 vcc_lo, v17, v17
	v_xor_b32_e32 v5, v5, v17
	v_cndmask_b32_e32 v5, -1, v5, vcc_lo
	v_and_b32_e32 v5, v5, v30
	v_cmp_eq_u32_e32 vcc_lo, v5, v25
	s_and_b32 exec_lo, exec_lo, vcc_lo
	s_cbranch_execz .LBB195_290
; %bb.295:                              ;   in Loop: Header=BB195_293 Depth=2
	ds_write_b64 v13, v[16:17] offset:3072
	s_branch .LBB195_290
.LBB195_296:                            ;   in Loop: Header=BB195_293 Depth=2
	s_mov_b32 s45, -1
	s_mov_b32 s44, -1
                                        ; implicit-def: $vgpr2_vgpr3
                                        ; implicit-def: $vgpr4
	s_branch .LBB195_292
.LBB195_297:                            ;   in Loop: Header=BB195_12 Depth=1
	v_mov_b32_e32 v25, v9
	v_mov_b32_e32 v30, v12
	;; [unrolled: 1-line block ×3, first 2 shown]
	s_mov_b32 s64, 0
	s_and_saveexec_b32 s6, s23
	s_cbranch_execnz .LBB195_481
	s_branch .LBB195_482
.LBB195_298:                            ;   in Loop: Header=BB195_12 Depth=1
	s_inst_prefetch 0x2
	s_or_b32 exec_lo, exec_lo, s20
	s_and_b32 s20, s58, exec_lo
.LBB195_299:                            ;   in Loop: Header=BB195_12 Depth=1
	s_or_b32 exec_lo, exec_lo, s26
.LBB195_300:                            ;   in Loop: Header=BB195_12 Depth=1
	s_and_b32 vcc_lo, exec_lo, s21
	s_cbranch_vccz .LBB195_315
; %bb.301:                              ;   in Loop: Header=BB195_12 Depth=1
	s_mov_b32 s58, s27
	s_cmp_lg_u64 s[58:59], 0
	s_cbranch_scc0 .LBB195_344
; %bb.302:                              ;   in Loop: Header=BB195_12 Depth=1
	v_cvt_f32_u32_e32 v2, s49
	s_sub_u32 s18, 0, s49
	s_subb_u32 s19, 0, 0
	v_fmac_f32_e64 v2, 0x4f800000, 0
	v_rcp_f32_e32 v2, v2
	v_mul_f32_e32 v2, 0x5f7ffffc, v2
	v_mul_f32_e32 v3, 0x2f800000, v2
	v_trunc_f32_e32 v3, v3
	v_fmac_f32_e32 v2, 0xcf800000, v3
	v_cvt_u32_f32_e32 v3, v3
	v_cvt_u32_f32_e32 v2, v2
	v_readfirstlane_b32 s6, v3
	v_readfirstlane_b32 s7, v2
	s_mul_i32 s21, s18, s6
	s_mul_hi_u32 s26, s18, s7
	s_mul_i32 s25, s19, s7
	s_add_i32 s21, s26, s21
	s_mul_i32 s44, s18, s7
	s_add_i32 s21, s21, s25
	s_mul_hi_u32 s26, s7, s44
	s_mul_i32 s46, s7, s21
	s_mul_hi_u32 s45, s6, s44
	s_mul_i32 s25, s6, s44
	s_mul_hi_u32 s44, s7, s21
	s_add_u32 s26, s26, s46
	s_addc_u32 s44, 0, s44
	s_mul_hi_u32 s47, s6, s21
	s_add_u32 s25, s26, s25
	s_mul_i32 s21, s6, s21
	s_addc_u32 s25, s44, s45
	s_addc_u32 s26, s47, 0
	s_add_u32 s21, s25, s21
	s_addc_u32 s25, 0, s26
	s_add_u32 s7, s7, s21
	s_cselect_b32 s21, -1, 0
	s_mul_hi_u32 s26, s18, s7
	s_cmp_lg_u32 s21, 0
	s_mul_i32 s21, s18, s7
	s_addc_u32 s6, s6, s25
	s_mul_i32 s19, s19, s7
	s_mul_i32 s18, s18, s6
	s_mul_hi_u32 s25, s7, s21
	s_add_i32 s18, s26, s18
	s_mul_hi_u32 s26, s6, s21
	s_add_i32 s18, s18, s19
	s_mul_i32 s19, s6, s21
	s_mul_i32 s45, s7, s18
	s_mul_hi_u32 s44, s7, s18
	s_add_u32 s25, s25, s45
	s_addc_u32 s44, 0, s44
	s_mul_hi_u32 s21, s6, s18
	s_add_u32 s19, s25, s19
	s_mul_i32 s18, s6, s18
	s_addc_u32 s19, s44, s26
	s_addc_u32 s21, s21, 0
	s_add_u32 s18, s19, s18
	s_addc_u32 s19, 0, s21
	s_add_u32 s7, s7, s18
	s_cselect_b32 s18, -1, 0
	s_mul_hi_u32 s21, s82, s7
	s_cmp_lg_u32 s18, 0
	s_mul_hi_u32 s18, s59, s7
	s_addc_u32 s6, s6, s19
	s_mul_i32 s7, s59, s7
	s_mul_i32 s25, s82, s6
	s_mul_hi_u32 s19, s82, s6
	s_add_u32 s21, s21, s25
	s_addc_u32 s19, 0, s19
	s_mul_hi_u32 s26, s59, s6
	s_add_u32 s7, s21, s7
	s_mul_i32 s6, s59, s6
	s_addc_u32 s7, s19, s18
	s_addc_u32 s18, s26, 0
	s_add_u32 s6, s7, s6
	s_addc_u32 s7, 0, s18
	s_mul_hi_u32 s18, s49, s6
	s_mul_i32 s7, s49, s7
	s_mul_i32 s6, s49, s6
	s_add_i32 s18, s18, s7
	s_sub_u32 s6, s82, s6
	s_cselect_b32 s7, -1, 0
	s_cmp_lg_u32 s7, 0
	s_subb_u32 s7, s59, s18
	s_sub_u32 s18, s6, s49
	s_cselect_b32 s19, -1, 0
	s_cmp_lg_u32 s19, 0
	s_subb_u32 s19, s7, 0
	;; [unrolled: 4-line block ×3, first 2 shown]
	s_cmp_ge_u32 s18, s49
	s_cselect_b32 s26, -1, 0
	s_cmp_eq_u32 s19, 0
	s_cselect_b32 s26, s26, -1
	s_cmp_lg_u32 s26, 0
	s_cselect_b32 s19, s25, s19
	s_cselect_b32 s18, s21, s18
	s_cmp_ge_u32 s6, s49
	s_cselect_b32 s21, -1, 0
	s_cmp_eq_u32 s7, 0
	s_cselect_b32 s21, s21, -1
	s_cmp_lg_u32 s21, 0
	s_cselect_b32 s7, s19, s7
	s_cselect_b32 s6, s18, s6
	s_cbranch_execnz .LBB195_304
.LBB195_303:                            ;   in Loop: Header=BB195_12 Depth=1
	v_cvt_f32_u32_e32 v2, s49
	s_sub_i32 s7, 0, s49
	v_rcp_iflag_f32_e32 v2, v2
	v_mul_f32_e32 v2, 0x4f7ffffe, v2
	v_cvt_u32_f32_e32 v2, v2
	v_readfirstlane_b32 s6, v2
	s_mul_i32 s7, s7, s6
	s_mul_hi_u32 s7, s6, s7
	s_add_i32 s6, s6, s7
	s_mul_hi_u32 s6, s82, s6
	s_mul_i32 s6, s6, s49
	s_sub_i32 s6, s82, s6
	s_sub_i32 s7, s6, s49
	s_cmp_ge_u32 s6, s49
	s_cselect_b32 s6, s7, s6
	s_sub_i32 s7, s6, s49
	s_cmp_ge_u32 s6, s49
	s_cselect_b32 s26, s7, s6
	s_mov_b64 s[6:7], s[26:27]
.LBB195_304:                            ;   in Loop: Header=BB195_12 Depth=1
	s_sub_u32 s6, s82, s6
	s_subb_u32 s7, s59, s7
	s_mov_b32 s18, exec_lo
                                        ; implicit-def: $vgpr18
	v_cmpx_gt_u64_e64 s[6:7], v[0:1]
	s_cbranch_execz .LBB195_314
; %bb.305:                              ;   in Loop: Header=BB195_12 Depth=1
	v_mov_b32_e32 v3, v1
	v_mov_b32_e32 v2, v0
	s_mov_b32 s19, 0
                                        ; implicit-def: $sgpr21
	s_branch .LBB195_309
.LBB195_306:                            ;   in Loop: Header=BB195_309 Depth=2
	s_or_b32 exec_lo, exec_lo, s25
	s_waitcnt lgkmcnt(0)
	s_barrier
	buffer_gl0_inv
	ds_read_b64 v[17:18], v13 offset:3072
	s_waitcnt lgkmcnt(0)
	s_barrier
	buffer_gl0_inv
	v_cmp_neq_f32_e32 vcc_lo, 0, v17
	s_cbranch_vccnz .LBB195_312
; %bb.307:                              ;   in Loop: Header=BB195_309 Depth=2
	v_add_co_u32 v2, vcc_lo, v2, s49
	v_add_co_ci_u32_e64 v3, null, 0, v3, vcc_lo
	s_mov_b32 s25, 0
	v_cmp_le_u64_e32 vcc_lo, s[6:7], v[2:3]
	s_orn2_b32 s26, vcc_lo, exec_lo
.LBB195_308:                            ;   in Loop: Header=BB195_309 Depth=2
	s_and_b32 s26, exec_lo, s26
	s_or_b32 s19, s26, s19
	s_andn2_b32 s21, s21, exec_lo
	s_and_b32 s25, s25, exec_lo
	s_or_b32 s21, s21, s25
	s_andn2_b32 exec_lo, exec_lo, s19
	s_cbranch_execz .LBB195_313
.LBB195_309:                            ;   Parent Loop BB195_12 Depth=1
                                        ; =>  This Inner Loop Header: Depth=2
	s_mov_b32 s25, exec_lo
	v_cmpx_gt_u64_e64 s[36:37], v[2:3]
	s_cbranch_execz .LBB195_306
; %bb.310:                              ;   in Loop: Header=BB195_309 Depth=2
	v_mul_lo_u32 v6, v3, s30
	v_mul_lo_u32 v7, v2, s31
	v_mad_u64_u32 v[4:5], null, v2, s30, 0
	v_add3_u32 v5, v5, v7, v6
	v_lshlrev_b64 v[4:5], 2, v[4:5]
	v_add_co_u32 v4, vcc_lo, s33, v4
	v_add_co_ci_u32_e64 v5, null, s35, v5, vcc_lo
	global_load_dword v17, v[4:5], off
	s_waitcnt vmcnt(0)
	v_cmp_lt_i32_e32 vcc_lo, -1, v17
	v_cndmask_b32_e64 v4, -1, 0x80000000, vcc_lo
	v_cmp_o_f32_e32 vcc_lo, v17, v17
	v_xor_b32_e32 v4, v4, v17
	v_cndmask_b32_e32 v4, -1, v4, vcc_lo
	v_and_b32_e32 v4, v4, v30
	v_cmp_eq_u32_e32 vcc_lo, v4, v25
	s_and_b32 exec_lo, exec_lo, vcc_lo
	s_cbranch_execz .LBB195_306
; %bb.311:                              ;   in Loop: Header=BB195_309 Depth=2
	ds_write_b64 v13, v[16:17] offset:3072
	s_branch .LBB195_306
.LBB195_312:                            ;   in Loop: Header=BB195_309 Depth=2
	s_mov_b32 s26, -1
	s_mov_b32 s25, -1
                                        ; implicit-def: $vgpr2_vgpr3
	s_branch .LBB195_308
.LBB195_313:                            ;   in Loop: Header=BB195_12 Depth=1
	s_or_b32 exec_lo, exec_lo, s19
	s_andn2_b32 s6, s20, exec_lo
	s_and_b32 s7, s21, exec_lo
	s_or_b32 s20, s6, s7
.LBB195_314:                            ;   in Loop: Header=BB195_12 Depth=1
	s_or_b32 exec_lo, exec_lo, s18
	s_mov_b32 s25, 0
	s_mov_b32 s64, -1
.LBB195_315:                            ;   in Loop: Header=BB195_12 Depth=1
	s_orn2_b32 s6, s20, exec_lo
.LBB195_316:                            ;   in Loop: Header=BB195_12 Depth=1
	s_or_b32 exec_lo, exec_lo, s63
                                        ; implicit-def: $vgpr2_vgpr3
                                        ; implicit-def: $vgpr8
	s_and_saveexec_b32 s20, s6
	s_cbranch_execz .LBB195_480
; %bb.317:                              ;   in Loop: Header=BB195_12 Depth=1
	v_mov_b32_e32 v2, 1
	v_mov_b32_e32 v3, 0
	;; [unrolled: 1-line block ×3, first 2 shown]
	s_xor_b32 s18, s62, -1
	s_mov_b32 s7, 0
	s_and_saveexec_b32 s6, s18
	s_cbranch_execz .LBB195_326
; %bb.318:                              ;   in Loop: Header=BB195_12 Depth=1
	s_mov_b32 s7, exec_lo
	v_cmpx_ge_u64_e64 s[16:17], v[19:20]
	s_xor_b32 s7, exec_lo, s7
	s_cbranch_execz .LBB195_323
; %bb.319:                              ;   in Loop: Header=BB195_12 Depth=1
	ds_read_b64 v[2:3], v13 offset:5120
	v_or_b32_e32 v25, s9, v25
	v_or_b32_e32 v30, s9, v30
	s_waitcnt lgkmcnt(0)
	v_cmp_ne_u64_e32 vcc_lo, 0, v[2:3]
	s_cbranch_vccnz .LBB195_323
; %bb.320:                              ;   in Loop: Header=BB195_12 Depth=1
	s_and_saveexec_b32 s18, s3
; %bb.321:                              ;   in Loop: Header=BB195_12 Depth=1
	v_mov_b32_e32 v2, s16
	v_mov_b32_e32 v3, s17
	ds_write_b64 v13, v[2:3] offset:5128
; %bb.322:                              ;   in Loop: Header=BB195_12 Depth=1
	s_or_b32 exec_lo, exec_lo, s18
	s_waitcnt lgkmcnt(0)
	s_barrier
	buffer_gl0_inv
.LBB195_323:                            ;   in Loop: Header=BB195_12 Depth=1
	s_or_saveexec_b32 s7, s7
	v_mov_b32_e32 v8, 5
	s_mov_b32 s18, 0
	s_xor_b32 exec_lo, exec_lo, s7
; %bb.324:                              ;   in Loop: Header=BB195_12 Depth=1
	v_sub_co_u32 v19, vcc_lo, v19, s16
	v_subrev_co_ci_u32_e64 v20, null, s17, v20, vcc_lo
	v_mov_b32_e32 v8, 0
	s_mov_b32 s18, exec_lo
; %bb.325:                              ;   in Loop: Header=BB195_12 Depth=1
	s_or_b32 exec_lo, exec_lo, s7
	v_mov_b32_e32 v2, v19
	v_mov_b32_e32 v3, v20
	s_and_b32 s7, s18, exec_lo
.LBB195_326:                            ;   in Loop: Header=BB195_12 Depth=1
	s_or_b32 exec_lo, exec_lo, s6
	s_mov_b32 s6, -1
                                        ; implicit-def: $sgpr62
                                        ; implicit-def: $sgpr63
	s_and_saveexec_b32 s16, s7
	s_xor_b32 s21, exec_lo, s16
	s_cbranch_execz .LBB195_477
; %bb.327:                              ;   in Loop: Header=BB195_12 Depth=1
	v_cmp_eq_u64_e32 vcc_lo, 1, v[2:3]
	s_cmp_eq_u64 s[14:15], 1
                                        ; implicit-def: $sgpr63
                                        ; implicit-def: $sgpr62
	s_cselect_b32 s6, -1, 0
	s_and_b32 s65, s6, vcc_lo
	s_mov_b32 s6, -1
	s_and_saveexec_b32 s66, s65
	s_cbranch_execz .LBB195_363
; %bb.328:                              ;   in Loop: Header=BB195_12 Depth=1
	ds_read_b64 v[4:5], v13 offset:5120
	s_waitcnt lgkmcnt(0)
	s_barrier
	buffer_gl0_inv
	v_readfirstlane_b32 s6, v4
	v_readfirstlane_b32 s7, v5
	s_and_saveexec_b32 s16, s8
; %bb.329:                              ;   in Loop: Header=BB195_12 Depth=1
	ds_write_b32 v26, v13
; %bb.330:                              ;   in Loop: Header=BB195_12 Depth=1
	s_or_b32 exec_lo, exec_lo, s16
	s_lshl_b32 s16, 2, s93
	v_or_b32_e32 v30, s9, v30
	v_and_or_b32 v25, v25, s24, s16
	s_mov_b32 s62, -1
	s_mov_b32 s63, 0
	s_cmp_eq_u64 s[6:7], 0
	s_mov_b32 s18, 0
	s_mov_b32 s19, -1
	s_waitcnt lgkmcnt(0)
	s_barrier
	buffer_gl0_inv
                                        ; implicit-def: $vgpr18
	s_cbranch_scc1 .LBB195_347
; %bb.331:                              ;   in Loop: Header=BB195_12 Depth=1
	s_add_u32 s58, s6, s80
	s_addc_u32 s17, s7, s81
	s_mov_b32 s16, s27
	s_cmp_lg_u64 s[16:17], 0
	s_cbranch_scc0 .LBB195_390
; %bb.332:                              ;   in Loop: Header=BB195_12 Depth=1
	v_cvt_f32_u32_e32 v4, s49
	s_sub_u32 s19, 0, s49
	s_subb_u32 s26, 0, 0
	v_fmac_f32_e64 v4, 0x4f800000, 0
	v_rcp_f32_e32 v4, v4
	v_mul_f32_e32 v4, 0x5f7ffffc, v4
	v_mul_f32_e32 v5, 0x2f800000, v4
	v_trunc_f32_e32 v5, v5
	v_fmac_f32_e32 v4, 0xcf800000, v5
	v_cvt_u32_f32_e32 v5, v5
	v_cvt_u32_f32_e32 v4, v4
	v_readfirstlane_b32 s16, v5
	v_readfirstlane_b32 s18, v4
	s_mul_i32 s44, s19, s16
	s_mul_hi_u32 s46, s19, s18
	s_mul_i32 s45, s26, s18
	s_add_i32 s44, s46, s44
	s_mul_i32 s47, s19, s18
	s_add_i32 s44, s44, s45
	s_mul_hi_u32 s46, s18, s47
	s_mul_i32 s68, s18, s44
	s_mul_hi_u32 s67, s16, s47
	s_mul_i32 s45, s16, s47
	s_mul_hi_u32 s47, s18, s44
	s_add_u32 s46, s46, s68
	s_addc_u32 s47, 0, s47
	s_mul_hi_u32 s69, s16, s44
	s_add_u32 s45, s46, s45
	s_mul_i32 s44, s16, s44
	s_addc_u32 s45, s47, s67
	s_addc_u32 s46, s69, 0
	s_add_u32 s44, s45, s44
	s_addc_u32 s45, 0, s46
	s_add_u32 s18, s18, s44
	s_cselect_b32 s44, -1, 0
	s_mul_hi_u32 s46, s19, s18
	s_cmp_lg_u32 s44, 0
	s_mul_i32 s44, s19, s18
	s_addc_u32 s16, s16, s45
	s_mul_i32 s26, s26, s18
	s_mul_i32 s19, s19, s16
	s_mul_hi_u32 s45, s18, s44
	s_add_i32 s19, s46, s19
	s_mul_hi_u32 s46, s16, s44
	s_add_i32 s19, s19, s26
	s_mul_i32 s26, s16, s44
	s_mul_i32 s67, s18, s19
	s_mul_hi_u32 s47, s18, s19
	s_add_u32 s45, s45, s67
	s_addc_u32 s47, 0, s47
	s_mul_hi_u32 s44, s16, s19
	s_add_u32 s26, s45, s26
	s_mul_i32 s19, s16, s19
	s_addc_u32 s26, s47, s46
	s_addc_u32 s44, s44, 0
	s_add_u32 s19, s26, s19
	s_addc_u32 s26, 0, s44
	s_add_u32 s18, s18, s19
	s_cselect_b32 s19, -1, 0
	s_mul_hi_u32 s44, s58, s18
	s_cmp_lg_u32 s19, 0
	s_mul_hi_u32 s19, s17, s18
	s_addc_u32 s16, s16, s26
	s_mul_i32 s18, s17, s18
	s_mul_i32 s45, s58, s16
	s_mul_hi_u32 s26, s58, s16
	s_add_u32 s44, s44, s45
	s_addc_u32 s26, 0, s26
	s_mul_hi_u32 s46, s17, s16
	s_add_u32 s18, s44, s18
	s_mul_i32 s16, s17, s16
	s_addc_u32 s18, s26, s19
	s_addc_u32 s19, s46, 0
	s_add_u32 s16, s18, s16
	s_addc_u32 s18, 0, s19
	s_mul_hi_u32 s19, s49, s16
	s_mul_i32 s18, s49, s18
	s_mul_i32 s16, s49, s16
	s_add_i32 s19, s19, s18
	s_sub_u32 s16, s58, s16
	s_cselect_b32 s18, -1, 0
	s_cmp_lg_u32 s18, 0
	s_subb_u32 s18, s17, s19
	s_sub_u32 s19, s16, s49
	s_cselect_b32 s26, -1, 0
	s_cmp_lg_u32 s26, 0
	s_subb_u32 s26, s18, 0
	;; [unrolled: 4-line block ×3, first 2 shown]
	s_cmp_ge_u32 s19, s49
	s_cselect_b32 s46, -1, 0
	s_cmp_eq_u32 s26, 0
	s_cselect_b32 s46, s46, -1
	s_cmp_lg_u32 s46, 0
	s_cselect_b32 s26, s45, s26
	s_cselect_b32 s44, s44, s19
	s_cmp_ge_u32 s16, s49
	s_cselect_b32 s19, -1, 0
	s_cmp_eq_u32 s18, 0
	s_cselect_b32 s19, s19, -1
	s_cmp_lg_u32 s19, 0
	s_cselect_b32 s19, s26, s18
	s_cselect_b32 s18, s44, s16
	s_cbranch_execnz .LBB195_334
.LBB195_333:                            ;   in Loop: Header=BB195_12 Depth=1
	v_cvt_f32_u32_e32 v4, s49
	s_sub_i32 s18, 0, s49
	v_rcp_iflag_f32_e32 v4, v4
	v_mul_f32_e32 v4, 0x4f7ffffe, v4
	v_cvt_u32_f32_e32 v4, v4
	v_readfirstlane_b32 s16, v4
	s_mul_i32 s18, s18, s16
	s_mul_hi_u32 s18, s16, s18
	s_add_i32 s16, s16, s18
	s_mul_hi_u32 s16, s58, s16
	s_mul_i32 s16, s16, s49
	s_sub_i32 s16, s58, s16
	s_sub_i32 s18, s16, s49
	s_cmp_ge_u32 s16, s49
	s_cselect_b32 s16, s18, s16
	s_sub_i32 s18, s16, s49
	s_cmp_ge_u32 s16, s49
	s_cselect_b32 s26, s18, s16
	s_mov_b64 s[18:19], s[26:27]
.LBB195_334:                            ;   in Loop: Header=BB195_12 Depth=1
	s_sub_u32 s16, s58, s18
	s_subb_u32 s17, s17, s19
	s_mov_b32 s19, 0
	s_mov_b32 s18, 0
	s_mov_b32 s26, exec_lo
                                        ; implicit-def: $vgpr18
	v_cmpx_gt_u64_e64 s[16:17], v[0:1]
	s_cbranch_execz .LBB195_346
; %bb.335:                              ;   in Loop: Header=BB195_12 Depth=1
	v_mov_b32_e32 v5, v1
	v_mov_b32_e32 v6, v14
	;; [unrolled: 1-line block ×3, first 2 shown]
                                        ; implicit-def: $sgpr58
	s_inst_prefetch 0x1
	s_branch .LBB195_339
	.p2align	6
.LBB195_336:                            ;   in Loop: Header=BB195_339 Depth=2
	s_or_b32 exec_lo, exec_lo, s67
	s_waitcnt lgkmcnt(0)
	s_barrier
	buffer_gl0_inv
	ds_read_b64 v[17:18], v13 offset:3072
	s_waitcnt lgkmcnt(0)
	s_barrier
	buffer_gl0_inv
	v_cmp_neq_f32_e32 vcc_lo, 0, v17
	s_cbranch_vccnz .LBB195_342
; %bb.337:                              ;   in Loop: Header=BB195_339 Depth=2
	v_add_co_u32 v4, vcc_lo, v4, s49
	v_add_co_ci_u32_e64 v5, null, 0, v5, vcc_lo
	v_add_nc_u32_e32 v6, s86, v6
	s_mov_b32 s44, 0
	v_cmp_le_u64_e32 vcc_lo, s[16:17], v[4:5]
	s_orn2_b32 s45, vcc_lo, exec_lo
.LBB195_338:                            ;   in Loop: Header=BB195_339 Depth=2
	s_and_b32 s45, exec_lo, s45
	s_or_b32 s18, s45, s18
	s_andn2_b32 s45, s58, exec_lo
	s_and_b32 s44, s44, exec_lo
	s_or_b32 s58, s45, s44
	s_andn2_b32 exec_lo, exec_lo, s18
	s_cbranch_execz .LBB195_345
.LBB195_339:                            ;   Parent Loop BB195_12 Depth=1
                                        ; =>  This Inner Loop Header: Depth=2
	s_mov_b32 s67, exec_lo
	v_cmpx_gt_u64_e64 s[6:7], v[4:5]
	s_cbranch_execz .LBB195_336
; %bb.340:                              ;   in Loop: Header=BB195_339 Depth=2
	ds_read_b32 v17, v6
	s_waitcnt lgkmcnt(0)
	v_cmp_lt_i32_e32 vcc_lo, -1, v17
	v_cndmask_b32_e64 v7, -1, 0x80000000, vcc_lo
	v_cmp_o_f32_e32 vcc_lo, v17, v17
	v_xor_b32_e32 v7, v7, v17
	v_cndmask_b32_e32 v7, -1, v7, vcc_lo
	v_and_b32_e32 v7, v7, v30
	v_cmp_eq_u32_e32 vcc_lo, v7, v25
	s_and_b32 exec_lo, exec_lo, vcc_lo
	s_cbranch_execz .LBB195_336
; %bb.341:                              ;   in Loop: Header=BB195_339 Depth=2
	ds_write_b64 v13, v[16:17] offset:3072
	s_branch .LBB195_336
.LBB195_342:                            ;   in Loop: Header=BB195_339 Depth=2
	s_mov_b32 s45, -1
	s_mov_b32 s44, -1
                                        ; implicit-def: $vgpr4_vgpr5
                                        ; implicit-def: $vgpr6
	s_branch .LBB195_338
.LBB195_343:                            ;   in Loop: Header=BB195_12 Depth=1
                                        ; implicit-def: $sgpr20_sgpr21
	s_branch .LBB195_287
.LBB195_344:                            ;   in Loop: Header=BB195_12 Depth=1
                                        ; implicit-def: $sgpr6_sgpr7
	s_branch .LBB195_303
.LBB195_345:                            ;   in Loop: Header=BB195_12 Depth=1
	s_inst_prefetch 0x2
	s_or_b32 exec_lo, exec_lo, s18
	s_and_b32 s18, s58, exec_lo
.LBB195_346:                            ;   in Loop: Header=BB195_12 Depth=1
	s_or_b32 exec_lo, exec_lo, s26
.LBB195_347:                            ;   in Loop: Header=BB195_12 Depth=1
	s_and_b32 vcc_lo, exec_lo, s19
	s_cbranch_vccz .LBB195_362
; %bb.348:                              ;   in Loop: Header=BB195_12 Depth=1
	s_mov_b32 s58, s27
	s_cmp_lg_u64 s[58:59], 0
	s_cbranch_scc0 .LBB195_391
; %bb.349:                              ;   in Loop: Header=BB195_12 Depth=1
	v_cvt_f32_u32_e32 v4, s49
	s_sub_u32 s16, 0, s49
	s_subb_u32 s17, 0, 0
	v_fmac_f32_e64 v4, 0x4f800000, 0
	v_rcp_f32_e32 v4, v4
	v_mul_f32_e32 v4, 0x5f7ffffc, v4
	v_mul_f32_e32 v5, 0x2f800000, v4
	v_trunc_f32_e32 v5, v5
	v_fmac_f32_e32 v4, 0xcf800000, v5
	v_cvt_u32_f32_e32 v5, v5
	v_cvt_u32_f32_e32 v4, v4
	v_readfirstlane_b32 s6, v5
	v_readfirstlane_b32 s7, v4
	s_mul_i32 s19, s16, s6
	s_mul_hi_u32 s44, s16, s7
	s_mul_i32 s26, s17, s7
	s_add_i32 s19, s44, s19
	s_mul_i32 s45, s16, s7
	s_add_i32 s19, s19, s26
	s_mul_hi_u32 s44, s7, s45
	s_mul_i32 s47, s7, s19
	s_mul_hi_u32 s46, s6, s45
	s_mul_i32 s26, s6, s45
	s_mul_hi_u32 s45, s7, s19
	s_add_u32 s44, s44, s47
	s_addc_u32 s45, 0, s45
	s_mul_hi_u32 s58, s6, s19
	s_add_u32 s26, s44, s26
	s_mul_i32 s19, s6, s19
	s_addc_u32 s26, s45, s46
	s_addc_u32 s44, s58, 0
	s_add_u32 s19, s26, s19
	s_addc_u32 s26, 0, s44
	s_add_u32 s7, s7, s19
	s_cselect_b32 s19, -1, 0
	s_mul_hi_u32 s44, s16, s7
	s_cmp_lg_u32 s19, 0
	s_mul_i32 s19, s16, s7
	s_addc_u32 s6, s6, s26
	s_mul_i32 s17, s17, s7
	s_mul_i32 s16, s16, s6
	s_mul_hi_u32 s26, s7, s19
	s_add_i32 s16, s44, s16
	s_mul_hi_u32 s44, s6, s19
	s_add_i32 s16, s16, s17
	s_mul_i32 s17, s6, s19
	s_mul_i32 s46, s7, s16
	s_mul_hi_u32 s45, s7, s16
	s_add_u32 s26, s26, s46
	s_addc_u32 s45, 0, s45
	s_mul_hi_u32 s19, s6, s16
	s_add_u32 s17, s26, s17
	s_mul_i32 s16, s6, s16
	s_addc_u32 s17, s45, s44
	s_addc_u32 s19, s19, 0
	s_add_u32 s16, s17, s16
	s_addc_u32 s17, 0, s19
	s_add_u32 s7, s7, s16
	s_cselect_b32 s16, -1, 0
	s_mul_hi_u32 s19, s82, s7
	s_cmp_lg_u32 s16, 0
	s_mul_hi_u32 s16, s59, s7
	s_addc_u32 s6, s6, s17
	s_mul_i32 s7, s59, s7
	s_mul_i32 s26, s82, s6
	s_mul_hi_u32 s17, s82, s6
	s_add_u32 s19, s19, s26
	s_addc_u32 s17, 0, s17
	s_mul_hi_u32 s44, s59, s6
	s_add_u32 s7, s19, s7
	s_mul_i32 s6, s59, s6
	s_addc_u32 s7, s17, s16
	s_addc_u32 s16, s44, 0
	s_add_u32 s6, s7, s6
	s_addc_u32 s7, 0, s16
	s_mul_hi_u32 s16, s49, s6
	s_mul_i32 s7, s49, s7
	s_mul_i32 s6, s49, s6
	s_add_i32 s16, s16, s7
	s_sub_u32 s6, s82, s6
	s_cselect_b32 s7, -1, 0
	s_cmp_lg_u32 s7, 0
	s_subb_u32 s7, s59, s16
	s_sub_u32 s16, s6, s49
	s_cselect_b32 s17, -1, 0
	s_cmp_lg_u32 s17, 0
	s_subb_u32 s17, s7, 0
	;; [unrolled: 4-line block ×3, first 2 shown]
	s_cmp_ge_u32 s16, s49
	s_cselect_b32 s44, -1, 0
	s_cmp_eq_u32 s17, 0
	s_cselect_b32 s44, s44, -1
	s_cmp_lg_u32 s44, 0
	s_cselect_b32 s17, s26, s17
	s_cselect_b32 s16, s19, s16
	s_cmp_ge_u32 s6, s49
	s_cselect_b32 s19, -1, 0
	s_cmp_eq_u32 s7, 0
	s_cselect_b32 s19, s19, -1
	s_cmp_lg_u32 s19, 0
	s_cselect_b32 s7, s17, s7
	s_cselect_b32 s6, s16, s6
	s_cbranch_execnz .LBB195_351
.LBB195_350:                            ;   in Loop: Header=BB195_12 Depth=1
	v_cvt_f32_u32_e32 v4, s49
	s_sub_i32 s7, 0, s49
	v_rcp_iflag_f32_e32 v4, v4
	v_mul_f32_e32 v4, 0x4f7ffffe, v4
	v_cvt_u32_f32_e32 v4, v4
	v_readfirstlane_b32 s6, v4
	s_mul_i32 s7, s7, s6
	s_mul_hi_u32 s7, s6, s7
	s_add_i32 s6, s6, s7
	s_mul_hi_u32 s6, s82, s6
	s_mul_i32 s6, s6, s49
	s_sub_i32 s6, s82, s6
	s_sub_i32 s7, s6, s49
	s_cmp_ge_u32 s6, s49
	s_cselect_b32 s6, s7, s6
	s_sub_i32 s7, s6, s49
	s_cmp_ge_u32 s6, s49
	s_cselect_b32 s26, s7, s6
	s_mov_b64 s[6:7], s[26:27]
.LBB195_351:                            ;   in Loop: Header=BB195_12 Depth=1
	s_sub_u32 s6, s82, s6
	s_subb_u32 s7, s59, s7
	s_mov_b32 s16, exec_lo
                                        ; implicit-def: $vgpr18
	v_cmpx_gt_u64_e64 s[6:7], v[0:1]
	s_cbranch_execz .LBB195_361
; %bb.352:                              ;   in Loop: Header=BB195_12 Depth=1
	v_mov_b32_e32 v5, v1
	v_mov_b32_e32 v4, v0
	s_mov_b32 s17, 0
                                        ; implicit-def: $sgpr19
	s_branch .LBB195_356
.LBB195_353:                            ;   in Loop: Header=BB195_356 Depth=2
	s_or_b32 exec_lo, exec_lo, s26
	s_waitcnt lgkmcnt(0)
	s_barrier
	buffer_gl0_inv
	ds_read_b64 v[17:18], v13 offset:3072
	s_waitcnt lgkmcnt(0)
	s_barrier
	buffer_gl0_inv
	v_cmp_eq_f32_e32 vcc_lo, 0, v17
	s_cbranch_vccz .LBB195_359
; %bb.354:                              ;   in Loop: Header=BB195_356 Depth=2
	v_add_co_u32 v4, vcc_lo, v4, s49
	v_add_co_ci_u32_e64 v5, null, 0, v5, vcc_lo
	s_mov_b32 s26, 0
	v_cmp_le_u64_e32 vcc_lo, s[6:7], v[4:5]
	s_orn2_b32 s44, vcc_lo, exec_lo
.LBB195_355:                            ;   in Loop: Header=BB195_356 Depth=2
	s_and_b32 s44, exec_lo, s44
	s_or_b32 s17, s44, s17
	s_andn2_b32 s19, s19, exec_lo
	s_and_b32 s26, s26, exec_lo
	s_or_b32 s19, s19, s26
	s_andn2_b32 exec_lo, exec_lo, s17
	s_cbranch_execz .LBB195_360
.LBB195_356:                            ;   Parent Loop BB195_12 Depth=1
                                        ; =>  This Inner Loop Header: Depth=2
	s_mov_b32 s26, exec_lo
	v_cmpx_gt_u64_e64 s[36:37], v[4:5]
	s_cbranch_execz .LBB195_353
; %bb.357:                              ;   in Loop: Header=BB195_356 Depth=2
	v_mul_lo_u32 v9, v5, s30
	v_mul_lo_u32 v12, v4, s31
	v_mad_u64_u32 v[6:7], null, v4, s30, 0
	v_add3_u32 v7, v7, v12, v9
	v_lshlrev_b64 v[6:7], 2, v[6:7]
	v_add_co_u32 v6, vcc_lo, s33, v6
	v_add_co_ci_u32_e64 v7, null, s35, v7, vcc_lo
	global_load_dword v17, v[6:7], off
	s_waitcnt vmcnt(0)
	v_cmp_lt_i32_e32 vcc_lo, -1, v17
	v_cndmask_b32_e64 v6, -1, 0x80000000, vcc_lo
	v_cmp_o_f32_e32 vcc_lo, v17, v17
	v_xor_b32_e32 v6, v6, v17
	v_cndmask_b32_e32 v6, -1, v6, vcc_lo
	v_and_b32_e32 v6, v6, v30
	v_cmp_eq_u32_e32 vcc_lo, v6, v25
	s_and_b32 exec_lo, exec_lo, vcc_lo
	s_cbranch_execz .LBB195_353
; %bb.358:                              ;   in Loop: Header=BB195_356 Depth=2
	ds_write_b64 v13, v[16:17] offset:3072
	s_branch .LBB195_353
.LBB195_359:                            ;   in Loop: Header=BB195_356 Depth=2
	s_mov_b32 s44, -1
	s_mov_b32 s26, -1
                                        ; implicit-def: $vgpr4_vgpr5
	s_branch .LBB195_355
.LBB195_360:                            ;   in Loop: Header=BB195_12 Depth=1
	s_or_b32 exec_lo, exec_lo, s17
	s_andn2_b32 s6, s18, exec_lo
	s_and_b32 s7, s19, exec_lo
	s_or_b32 s18, s6, s7
.LBB195_361:                            ;   in Loop: Header=BB195_12 Depth=1
	s_or_b32 exec_lo, exec_lo, s16
	s_mov_b32 s62, 0
	s_mov_b32 s63, -1
.LBB195_362:                            ;   in Loop: Header=BB195_12 Depth=1
	s_orn2_b32 s6, s18, exec_lo
.LBB195_363:                            ;   in Loop: Header=BB195_12 Depth=1
	s_or_b32 exec_lo, exec_lo, s66
	s_mov_b32 s7, 0
	s_and_saveexec_b32 s18, s6
	s_cbranch_execz .LBB195_476
; %bb.364:                              ;   in Loop: Header=BB195_12 Depth=1
	v_mov_b32_e32 v4, 1
	v_mov_b32_e32 v5, 0
	;; [unrolled: 1-line block ×3, first 2 shown]
	s_xor_b32 s16, s65, -1
	s_and_saveexec_b32 s6, s16
	s_cbranch_execz .LBB195_373
; %bb.365:                              ;   in Loop: Header=BB195_12 Depth=1
	s_mov_b32 s7, exec_lo
	v_cmpx_ge_u64_e64 s[14:15], v[2:3]
	s_xor_b32 s7, exec_lo, s7
	s_cbranch_execz .LBB195_370
; %bb.366:                              ;   in Loop: Header=BB195_12 Depth=1
	ds_read_b64 v[4:5], v13 offset:5120
	s_lshl_b32 s16, 2, s93
	v_or_b32_e32 v30, s9, v30
	v_and_or_b32 v25, v25, s24, s16
	s_waitcnt lgkmcnt(0)
	v_cmp_ne_u64_e32 vcc_lo, 0, v[4:5]
	s_cbranch_vccnz .LBB195_370
; %bb.367:                              ;   in Loop: Header=BB195_12 Depth=1
	s_and_saveexec_b32 s16, s3
; %bb.368:                              ;   in Loop: Header=BB195_12 Depth=1
	v_mov_b32_e32 v4, s14
	v_mov_b32_e32 v5, s15
	ds_write_b64 v13, v[4:5] offset:5128
; %bb.369:                              ;   in Loop: Header=BB195_12 Depth=1
	s_or_b32 exec_lo, exec_lo, s16
	s_waitcnt lgkmcnt(0)
	s_barrier
	buffer_gl0_inv
.LBB195_370:                            ;   in Loop: Header=BB195_12 Depth=1
	s_or_saveexec_b32 s7, s7
	v_mov_b32_e32 v8, 5
	s_mov_b32 s16, 0
	s_xor_b32 exec_lo, exec_lo, s7
; %bb.371:                              ;   in Loop: Header=BB195_12 Depth=1
	v_sub_co_u32 v2, vcc_lo, v2, s14
	v_subrev_co_ci_u32_e64 v3, null, s15, v3, vcc_lo
	v_mov_b32_e32 v8, 0
	s_mov_b32 s16, exec_lo
; %bb.372:                              ;   in Loop: Header=BB195_12 Depth=1
	s_or_b32 exec_lo, exec_lo, s7
	v_mov_b32_e32 v5, v3
	v_mov_b32_e32 v4, v2
	s_and_b32 s7, s16, exec_lo
.LBB195_373:                            ;   in Loop: Header=BB195_12 Depth=1
	s_or_b32 exec_lo, exec_lo, s6
	s_mov_b32 s6, -1
                                        ; implicit-def: $sgpr65
                                        ; implicit-def: $sgpr66
	s_and_saveexec_b32 s19, s7
	s_cbranch_execz .LBB195_475
; %bb.374:                              ;   in Loop: Header=BB195_12 Depth=1
	v_cmp_eq_u64_e32 vcc_lo, 1, v[4:5]
	s_cmp_eq_u64 s[12:13], 1
                                        ; implicit-def: $sgpr66
                                        ; implicit-def: $sgpr65
	s_cselect_b32 s6, -1, 0
	s_and_b32 s67, s6, vcc_lo
	s_mov_b32 s6, -1
	s_and_saveexec_b32 s68, s67
	s_cbranch_execz .LBB195_410
; %bb.375:                              ;   in Loop: Header=BB195_12 Depth=1
	ds_read_b64 v[2:3], v13 offset:5120
	s_waitcnt lgkmcnt(0)
	s_barrier
	buffer_gl0_inv
	v_readfirstlane_b32 s6, v2
	v_readfirstlane_b32 s7, v3
	s_and_saveexec_b32 s14, s8
; %bb.376:                              ;   in Loop: Header=BB195_12 Depth=1
	ds_write_b32 v26, v13
; %bb.377:                              ;   in Loop: Header=BB195_12 Depth=1
	s_or_b32 exec_lo, exec_lo, s14
	s_lshl_b32 s14, 1, s93
	v_or_b32_e32 v30, s9, v30
	v_and_or_b32 v25, v25, s24, s14
	s_mov_b32 s65, -1
	s_mov_b32 s66, 0
	s_cmp_eq_u64 s[6:7], 0
	s_mov_b32 s16, 0
	s_mov_b32 s17, -1
	s_waitcnt lgkmcnt(0)
	s_barrier
	buffer_gl0_inv
                                        ; implicit-def: $vgpr18
	s_cbranch_scc1 .LBB195_394
; %bb.378:                              ;   in Loop: Header=BB195_12 Depth=1
	s_add_u32 s58, s6, s80
	s_addc_u32 s15, s7, s81
	s_mov_b32 s14, s27
	s_cmp_lg_u64 s[14:15], 0
	s_cbranch_scc0 .LBB195_427
; %bb.379:                              ;   in Loop: Header=BB195_12 Depth=1
	v_cvt_f32_u32_e32 v2, s49
	s_sub_u32 s17, 0, s49
	s_subb_u32 s26, 0, 0
	v_fmac_f32_e64 v2, 0x4f800000, 0
	v_rcp_f32_e32 v2, v2
	v_mul_f32_e32 v2, 0x5f7ffffc, v2
	v_mul_f32_e32 v3, 0x2f800000, v2
	v_trunc_f32_e32 v3, v3
	v_fmac_f32_e32 v2, 0xcf800000, v3
	v_cvt_u32_f32_e32 v3, v3
	v_cvt_u32_f32_e32 v2, v2
	v_readfirstlane_b32 s14, v3
	v_readfirstlane_b32 s16, v2
	s_mul_i32 s44, s17, s14
	s_mul_hi_u32 s46, s17, s16
	s_mul_i32 s45, s26, s16
	s_add_i32 s44, s46, s44
	s_mul_i32 s47, s17, s16
	s_add_i32 s44, s44, s45
	s_mul_hi_u32 s46, s16, s47
	s_mul_i32 s70, s16, s44
	s_mul_hi_u32 s69, s14, s47
	s_mul_i32 s45, s14, s47
	s_mul_hi_u32 s47, s16, s44
	s_add_u32 s46, s46, s70
	s_addc_u32 s47, 0, s47
	s_mul_hi_u32 s71, s14, s44
	s_add_u32 s45, s46, s45
	s_mul_i32 s44, s14, s44
	s_addc_u32 s45, s47, s69
	s_addc_u32 s46, s71, 0
	s_add_u32 s44, s45, s44
	s_addc_u32 s45, 0, s46
	s_add_u32 s16, s16, s44
	s_cselect_b32 s44, -1, 0
	s_mul_hi_u32 s46, s17, s16
	s_cmp_lg_u32 s44, 0
	s_mul_i32 s44, s17, s16
	s_addc_u32 s14, s14, s45
	s_mul_i32 s26, s26, s16
	s_mul_i32 s17, s17, s14
	s_mul_hi_u32 s45, s16, s44
	s_add_i32 s17, s46, s17
	s_mul_hi_u32 s46, s14, s44
	s_add_i32 s17, s17, s26
	s_mul_i32 s26, s14, s44
	s_mul_i32 s69, s16, s17
	s_mul_hi_u32 s47, s16, s17
	s_add_u32 s45, s45, s69
	s_addc_u32 s47, 0, s47
	s_mul_hi_u32 s44, s14, s17
	s_add_u32 s26, s45, s26
	s_mul_i32 s17, s14, s17
	s_addc_u32 s26, s47, s46
	s_addc_u32 s44, s44, 0
	s_add_u32 s17, s26, s17
	s_addc_u32 s26, 0, s44
	s_add_u32 s16, s16, s17
	s_cselect_b32 s17, -1, 0
	s_mul_hi_u32 s44, s58, s16
	s_cmp_lg_u32 s17, 0
	s_mul_hi_u32 s17, s15, s16
	s_addc_u32 s14, s14, s26
	s_mul_i32 s16, s15, s16
	s_mul_i32 s45, s58, s14
	s_mul_hi_u32 s26, s58, s14
	s_add_u32 s44, s44, s45
	s_addc_u32 s26, 0, s26
	s_mul_hi_u32 s46, s15, s14
	s_add_u32 s16, s44, s16
	s_mul_i32 s14, s15, s14
	s_addc_u32 s16, s26, s17
	s_addc_u32 s17, s46, 0
	s_add_u32 s14, s16, s14
	s_addc_u32 s16, 0, s17
	s_mul_hi_u32 s17, s49, s14
	s_mul_i32 s16, s49, s16
	s_mul_i32 s14, s49, s14
	s_add_i32 s17, s17, s16
	s_sub_u32 s14, s58, s14
	s_cselect_b32 s16, -1, 0
	s_cmp_lg_u32 s16, 0
	s_subb_u32 s16, s15, s17
	s_sub_u32 s17, s14, s49
	s_cselect_b32 s26, -1, 0
	s_cmp_lg_u32 s26, 0
	s_subb_u32 s26, s16, 0
	;; [unrolled: 4-line block ×3, first 2 shown]
	s_cmp_ge_u32 s17, s49
	s_cselect_b32 s46, -1, 0
	s_cmp_eq_u32 s26, 0
	s_cselect_b32 s46, s46, -1
	s_cmp_lg_u32 s46, 0
	s_cselect_b32 s26, s45, s26
	s_cselect_b32 s44, s44, s17
	s_cmp_ge_u32 s14, s49
	s_cselect_b32 s17, -1, 0
	s_cmp_eq_u32 s16, 0
	s_cselect_b32 s17, s17, -1
	s_cmp_lg_u32 s17, 0
	s_cselect_b32 s17, s26, s16
	s_cselect_b32 s16, s44, s14
	s_cbranch_execnz .LBB195_381
.LBB195_380:                            ;   in Loop: Header=BB195_12 Depth=1
	v_cvt_f32_u32_e32 v2, s49
	s_sub_i32 s16, 0, s49
	v_rcp_iflag_f32_e32 v2, v2
	v_mul_f32_e32 v2, 0x4f7ffffe, v2
	v_cvt_u32_f32_e32 v2, v2
	v_readfirstlane_b32 s14, v2
	s_mul_i32 s16, s16, s14
	s_mul_hi_u32 s16, s14, s16
	s_add_i32 s14, s14, s16
	s_mul_hi_u32 s14, s58, s14
	s_mul_i32 s14, s14, s49
	s_sub_i32 s14, s58, s14
	s_sub_i32 s16, s14, s49
	s_cmp_ge_u32 s14, s49
	s_cselect_b32 s14, s16, s14
	s_sub_i32 s16, s14, s49
	s_cmp_ge_u32 s14, s49
	s_cselect_b32 s26, s16, s14
	s_mov_b64 s[16:17], s[26:27]
.LBB195_381:                            ;   in Loop: Header=BB195_12 Depth=1
	s_sub_u32 s14, s58, s16
	s_subb_u32 s15, s15, s17
	s_mov_b32 s17, 0
	s_mov_b32 s16, 0
	s_mov_b32 s26, exec_lo
                                        ; implicit-def: $vgpr18
	v_cmpx_gt_u64_e64 s[14:15], v[0:1]
	s_cbranch_execz .LBB195_393
; %bb.382:                              ;   in Loop: Header=BB195_12 Depth=1
	v_mov_b32_e32 v3, v1
	v_mov_b32_e32 v6, v14
	;; [unrolled: 1-line block ×3, first 2 shown]
                                        ; implicit-def: $sgpr58
	s_inst_prefetch 0x1
	s_branch .LBB195_386
	.p2align	6
.LBB195_383:                            ;   in Loop: Header=BB195_386 Depth=2
	s_or_b32 exec_lo, exec_lo, s69
	s_waitcnt lgkmcnt(0)
	s_barrier
	buffer_gl0_inv
	ds_read_b64 v[17:18], v13 offset:3072
	s_waitcnt lgkmcnt(0)
	s_barrier
	buffer_gl0_inv
	v_cmp_neq_f32_e32 vcc_lo, 0, v17
	s_cbranch_vccnz .LBB195_389
; %bb.384:                              ;   in Loop: Header=BB195_386 Depth=2
	v_add_co_u32 v2, vcc_lo, v2, s49
	v_add_co_ci_u32_e64 v3, null, 0, v3, vcc_lo
	v_add_nc_u32_e32 v6, s86, v6
	s_mov_b32 s44, 0
	v_cmp_le_u64_e32 vcc_lo, s[14:15], v[2:3]
	s_orn2_b32 s45, vcc_lo, exec_lo
.LBB195_385:                            ;   in Loop: Header=BB195_386 Depth=2
	s_and_b32 s45, exec_lo, s45
	s_or_b32 s16, s45, s16
	s_andn2_b32 s45, s58, exec_lo
	s_and_b32 s44, s44, exec_lo
	s_or_b32 s58, s45, s44
	s_andn2_b32 exec_lo, exec_lo, s16
	s_cbranch_execz .LBB195_392
.LBB195_386:                            ;   Parent Loop BB195_12 Depth=1
                                        ; =>  This Inner Loop Header: Depth=2
	s_mov_b32 s69, exec_lo
	v_cmpx_gt_u64_e64 s[6:7], v[2:3]
	s_cbranch_execz .LBB195_383
; %bb.387:                              ;   in Loop: Header=BB195_386 Depth=2
	ds_read_b32 v17, v6
	s_waitcnt lgkmcnt(0)
	v_cmp_lt_i32_e32 vcc_lo, -1, v17
	v_cndmask_b32_e64 v7, -1, 0x80000000, vcc_lo
	v_cmp_o_f32_e32 vcc_lo, v17, v17
	v_xor_b32_e32 v7, v7, v17
	v_cndmask_b32_e32 v7, -1, v7, vcc_lo
	v_and_b32_e32 v7, v7, v30
	v_cmp_eq_u32_e32 vcc_lo, v7, v25
	s_and_b32 exec_lo, exec_lo, vcc_lo
	s_cbranch_execz .LBB195_383
; %bb.388:                              ;   in Loop: Header=BB195_386 Depth=2
	ds_write_b64 v13, v[16:17] offset:3072
	s_branch .LBB195_383
.LBB195_389:                            ;   in Loop: Header=BB195_386 Depth=2
	s_mov_b32 s45, -1
	s_mov_b32 s44, -1
                                        ; implicit-def: $vgpr2_vgpr3
                                        ; implicit-def: $vgpr6
	s_branch .LBB195_385
.LBB195_390:                            ;   in Loop: Header=BB195_12 Depth=1
                                        ; implicit-def: $sgpr18_sgpr19
	s_branch .LBB195_333
.LBB195_391:                            ;   in Loop: Header=BB195_12 Depth=1
                                        ; implicit-def: $sgpr6_sgpr7
	s_branch .LBB195_350
.LBB195_392:                            ;   in Loop: Header=BB195_12 Depth=1
	s_inst_prefetch 0x2
	s_or_b32 exec_lo, exec_lo, s16
	s_and_b32 s16, s58, exec_lo
.LBB195_393:                            ;   in Loop: Header=BB195_12 Depth=1
	s_or_b32 exec_lo, exec_lo, s26
.LBB195_394:                            ;   in Loop: Header=BB195_12 Depth=1
	s_and_b32 vcc_lo, exec_lo, s17
	s_cbranch_vccz .LBB195_409
; %bb.395:                              ;   in Loop: Header=BB195_12 Depth=1
	s_mov_b32 s58, s27
	s_cmp_lg_u64 s[58:59], 0
	s_cbranch_scc0 .LBB195_428
; %bb.396:                              ;   in Loop: Header=BB195_12 Depth=1
	v_cvt_f32_u32_e32 v2, s49
	s_sub_u32 s14, 0, s49
	s_subb_u32 s15, 0, 0
	v_fmac_f32_e64 v2, 0x4f800000, 0
	v_rcp_f32_e32 v2, v2
	v_mul_f32_e32 v2, 0x5f7ffffc, v2
	v_mul_f32_e32 v3, 0x2f800000, v2
	v_trunc_f32_e32 v3, v3
	v_fmac_f32_e32 v2, 0xcf800000, v3
	v_cvt_u32_f32_e32 v3, v3
	v_cvt_u32_f32_e32 v2, v2
	v_readfirstlane_b32 s6, v3
	v_readfirstlane_b32 s7, v2
	s_mul_i32 s17, s14, s6
	s_mul_hi_u32 s44, s14, s7
	s_mul_i32 s26, s15, s7
	s_add_i32 s17, s44, s17
	s_mul_i32 s45, s14, s7
	s_add_i32 s17, s17, s26
	s_mul_hi_u32 s44, s7, s45
	s_mul_i32 s47, s7, s17
	s_mul_hi_u32 s46, s6, s45
	s_mul_i32 s26, s6, s45
	s_mul_hi_u32 s45, s7, s17
	s_add_u32 s44, s44, s47
	s_addc_u32 s45, 0, s45
	s_mul_hi_u32 s58, s6, s17
	s_add_u32 s26, s44, s26
	s_mul_i32 s17, s6, s17
	s_addc_u32 s26, s45, s46
	s_addc_u32 s44, s58, 0
	s_add_u32 s17, s26, s17
	s_addc_u32 s26, 0, s44
	s_add_u32 s7, s7, s17
	s_cselect_b32 s17, -1, 0
	s_mul_hi_u32 s44, s14, s7
	s_cmp_lg_u32 s17, 0
	s_mul_i32 s17, s14, s7
	s_addc_u32 s6, s6, s26
	s_mul_i32 s15, s15, s7
	s_mul_i32 s14, s14, s6
	s_mul_hi_u32 s26, s7, s17
	s_add_i32 s14, s44, s14
	s_mul_hi_u32 s44, s6, s17
	s_add_i32 s14, s14, s15
	s_mul_i32 s15, s6, s17
	s_mul_i32 s46, s7, s14
	s_mul_hi_u32 s45, s7, s14
	s_add_u32 s26, s26, s46
	s_addc_u32 s45, 0, s45
	s_mul_hi_u32 s17, s6, s14
	s_add_u32 s15, s26, s15
	s_mul_i32 s14, s6, s14
	s_addc_u32 s15, s45, s44
	s_addc_u32 s17, s17, 0
	s_add_u32 s14, s15, s14
	s_addc_u32 s15, 0, s17
	s_add_u32 s7, s7, s14
	s_cselect_b32 s14, -1, 0
	s_mul_hi_u32 s17, s82, s7
	s_cmp_lg_u32 s14, 0
	s_mul_hi_u32 s14, s59, s7
	s_addc_u32 s6, s6, s15
	s_mul_i32 s7, s59, s7
	s_mul_i32 s26, s82, s6
	s_mul_hi_u32 s15, s82, s6
	s_add_u32 s17, s17, s26
	s_addc_u32 s15, 0, s15
	s_mul_hi_u32 s44, s59, s6
	s_add_u32 s7, s17, s7
	s_mul_i32 s6, s59, s6
	s_addc_u32 s7, s15, s14
	s_addc_u32 s14, s44, 0
	s_add_u32 s6, s7, s6
	s_addc_u32 s7, 0, s14
	s_mul_hi_u32 s14, s49, s6
	s_mul_i32 s7, s49, s7
	s_mul_i32 s6, s49, s6
	s_add_i32 s14, s14, s7
	s_sub_u32 s6, s82, s6
	s_cselect_b32 s7, -1, 0
	s_cmp_lg_u32 s7, 0
	s_subb_u32 s7, s59, s14
	s_sub_u32 s14, s6, s49
	s_cselect_b32 s15, -1, 0
	s_cmp_lg_u32 s15, 0
	s_subb_u32 s15, s7, 0
	;; [unrolled: 4-line block ×3, first 2 shown]
	s_cmp_ge_u32 s14, s49
	s_cselect_b32 s44, -1, 0
	s_cmp_eq_u32 s15, 0
	s_cselect_b32 s44, s44, -1
	s_cmp_lg_u32 s44, 0
	s_cselect_b32 s15, s26, s15
	s_cselect_b32 s14, s17, s14
	s_cmp_ge_u32 s6, s49
	s_cselect_b32 s17, -1, 0
	s_cmp_eq_u32 s7, 0
	s_cselect_b32 s17, s17, -1
	s_cmp_lg_u32 s17, 0
	s_cselect_b32 s7, s15, s7
	s_cselect_b32 s6, s14, s6
	s_cbranch_execnz .LBB195_398
.LBB195_397:                            ;   in Loop: Header=BB195_12 Depth=1
	v_cvt_f32_u32_e32 v2, s49
	s_sub_i32 s7, 0, s49
	v_rcp_iflag_f32_e32 v2, v2
	v_mul_f32_e32 v2, 0x4f7ffffe, v2
	v_cvt_u32_f32_e32 v2, v2
	v_readfirstlane_b32 s6, v2
	s_mul_i32 s7, s7, s6
	s_mul_hi_u32 s7, s6, s7
	s_add_i32 s6, s6, s7
	s_mul_hi_u32 s6, s82, s6
	s_mul_i32 s6, s6, s49
	s_sub_i32 s6, s82, s6
	s_sub_i32 s7, s6, s49
	s_cmp_ge_u32 s6, s49
	s_cselect_b32 s6, s7, s6
	s_sub_i32 s7, s6, s49
	s_cmp_ge_u32 s6, s49
	s_cselect_b32 s26, s7, s6
	s_mov_b64 s[6:7], s[26:27]
.LBB195_398:                            ;   in Loop: Header=BB195_12 Depth=1
	s_sub_u32 s6, s82, s6
	s_subb_u32 s7, s59, s7
	s_mov_b32 s14, exec_lo
                                        ; implicit-def: $vgpr18
	v_cmpx_gt_u64_e64 s[6:7], v[0:1]
	s_cbranch_execz .LBB195_408
; %bb.399:                              ;   in Loop: Header=BB195_12 Depth=1
	v_mov_b32_e32 v3, v1
	v_mov_b32_e32 v2, v0
	s_mov_b32 s15, 0
                                        ; implicit-def: $sgpr17
	s_branch .LBB195_403
.LBB195_400:                            ;   in Loop: Header=BB195_403 Depth=2
	s_or_b32 exec_lo, exec_lo, s26
	s_waitcnt lgkmcnt(0)
	s_barrier
	buffer_gl0_inv
	ds_read_b64 v[17:18], v13 offset:3072
	s_waitcnt lgkmcnt(0)
	s_barrier
	buffer_gl0_inv
	v_cmp_eq_f32_e32 vcc_lo, 0, v17
	s_cbranch_vccz .LBB195_406
; %bb.401:                              ;   in Loop: Header=BB195_403 Depth=2
	v_add_co_u32 v2, vcc_lo, v2, s49
	v_add_co_ci_u32_e64 v3, null, 0, v3, vcc_lo
	s_mov_b32 s26, 0
	v_cmp_le_u64_e32 vcc_lo, s[6:7], v[2:3]
	s_orn2_b32 s44, vcc_lo, exec_lo
.LBB195_402:                            ;   in Loop: Header=BB195_403 Depth=2
	s_and_b32 s44, exec_lo, s44
	s_or_b32 s15, s44, s15
	s_andn2_b32 s17, s17, exec_lo
	s_and_b32 s26, s26, exec_lo
	s_or_b32 s17, s17, s26
	s_andn2_b32 exec_lo, exec_lo, s15
	s_cbranch_execz .LBB195_407
.LBB195_403:                            ;   Parent Loop BB195_12 Depth=1
                                        ; =>  This Inner Loop Header: Depth=2
	s_mov_b32 s26, exec_lo
	v_cmpx_gt_u64_e64 s[36:37], v[2:3]
	s_cbranch_execz .LBB195_400
; %bb.404:                              ;   in Loop: Header=BB195_403 Depth=2
	v_mul_lo_u32 v9, v3, s30
	v_mul_lo_u32 v12, v2, s31
	v_mad_u64_u32 v[6:7], null, v2, s30, 0
	v_add3_u32 v7, v7, v12, v9
	v_lshlrev_b64 v[6:7], 2, v[6:7]
	v_add_co_u32 v6, vcc_lo, s33, v6
	v_add_co_ci_u32_e64 v7, null, s35, v7, vcc_lo
	global_load_dword v17, v[6:7], off
	s_waitcnt vmcnt(0)
	v_cmp_lt_i32_e32 vcc_lo, -1, v17
	v_cndmask_b32_e64 v6, -1, 0x80000000, vcc_lo
	v_cmp_o_f32_e32 vcc_lo, v17, v17
	v_xor_b32_e32 v6, v6, v17
	v_cndmask_b32_e32 v6, -1, v6, vcc_lo
	v_and_b32_e32 v6, v6, v30
	v_cmp_eq_u32_e32 vcc_lo, v6, v25
	s_and_b32 exec_lo, exec_lo, vcc_lo
	s_cbranch_execz .LBB195_400
; %bb.405:                              ;   in Loop: Header=BB195_403 Depth=2
	ds_write_b64 v13, v[16:17] offset:3072
	s_branch .LBB195_400
.LBB195_406:                            ;   in Loop: Header=BB195_403 Depth=2
	s_mov_b32 s44, -1
	s_mov_b32 s26, -1
                                        ; implicit-def: $vgpr2_vgpr3
	s_branch .LBB195_402
.LBB195_407:                            ;   in Loop: Header=BB195_12 Depth=1
	s_or_b32 exec_lo, exec_lo, s15
	s_andn2_b32 s6, s16, exec_lo
	s_and_b32 s7, s17, exec_lo
	s_or_b32 s16, s6, s7
.LBB195_408:                            ;   in Loop: Header=BB195_12 Depth=1
	s_or_b32 exec_lo, exec_lo, s14
	s_mov_b32 s65, 0
	s_mov_b32 s66, -1
.LBB195_409:                            ;   in Loop: Header=BB195_12 Depth=1
	s_orn2_b32 s6, s16, exec_lo
.LBB195_410:                            ;   in Loop: Header=BB195_12 Depth=1
	s_or_b32 exec_lo, exec_lo, s68
	s_mov_b32 s7, 0
	s_and_saveexec_b32 s16, s6
	s_cbranch_execz .LBB195_474
; %bb.411:                              ;   in Loop: Header=BB195_12 Depth=1
	v_mov_b32_e32 v2, 1
	v_mov_b32_e32 v3, 0
	;; [unrolled: 1-line block ×3, first 2 shown]
	s_xor_b32 s14, s67, -1
	s_and_saveexec_b32 s6, s14
	s_cbranch_execz .LBB195_420
; %bb.412:                              ;   in Loop: Header=BB195_12 Depth=1
	s_mov_b32 s7, exec_lo
	v_cmpx_ge_u64_e64 s[12:13], v[4:5]
	s_xor_b32 s7, exec_lo, s7
	s_cbranch_execz .LBB195_417
; %bb.413:                              ;   in Loop: Header=BB195_12 Depth=1
	ds_read_b64 v[2:3], v13 offset:5120
	s_lshl_b32 s14, 1, s93
	v_or_b32_e32 v30, s9, v30
	v_and_or_b32 v25, v25, s24, s14
	s_waitcnt lgkmcnt(0)
	v_cmp_ne_u64_e32 vcc_lo, 0, v[2:3]
	s_cbranch_vccnz .LBB195_417
; %bb.414:                              ;   in Loop: Header=BB195_12 Depth=1
	s_and_saveexec_b32 s14, s3
; %bb.415:                              ;   in Loop: Header=BB195_12 Depth=1
	v_mov_b32_e32 v2, s12
	v_mov_b32_e32 v3, s13
	ds_write_b64 v13, v[2:3] offset:5128
; %bb.416:                              ;   in Loop: Header=BB195_12 Depth=1
	s_or_b32 exec_lo, exec_lo, s14
	s_waitcnt lgkmcnt(0)
	s_barrier
	buffer_gl0_inv
.LBB195_417:                            ;   in Loop: Header=BB195_12 Depth=1
	s_or_saveexec_b32 s7, s7
	v_mov_b32_e32 v8, 5
	s_mov_b32 s14, 0
	s_xor_b32 exec_lo, exec_lo, s7
; %bb.418:                              ;   in Loop: Header=BB195_12 Depth=1
	v_sub_co_u32 v4, vcc_lo, v4, s12
	v_subrev_co_ci_u32_e64 v5, null, s13, v5, vcc_lo
	v_mov_b32_e32 v8, 0
	s_mov_b32 s14, exec_lo
; %bb.419:                              ;   in Loop: Header=BB195_12 Depth=1
	s_or_b32 exec_lo, exec_lo, s7
	v_mov_b32_e32 v2, v4
	v_mov_b32_e32 v3, v5
	s_and_b32 s7, s14, exec_lo
.LBB195_420:                            ;   in Loop: Header=BB195_12 Depth=1
	s_or_b32 exec_lo, exec_lo, s6
	s_mov_b32 s6, -1
                                        ; implicit-def: $sgpr69
                                        ; implicit-def: $sgpr58
	s_and_saveexec_b32 s17, s7
	s_cbranch_execz .LBB195_473
; %bb.421:                              ;   in Loop: Header=BB195_12 Depth=1
	v_cmp_eq_u64_e32 vcc_lo, 1, v[2:3]
	s_cmp_eq_u64 s[10:11], 1
	s_mov_b32 s7, -1
	s_cselect_b32 s6, -1, 0
                                        ; implicit-def: $sgpr69
                                        ; implicit-def: $sgpr58
	s_and_b32 s67, s6, vcc_lo
	s_and_saveexec_b32 s68, s67
	s_cbranch_execz .LBB195_461
; %bb.422:                              ;   in Loop: Header=BB195_12 Depth=1
	ds_read_b64 v[4:5], v13 offset:5120
	s_waitcnt lgkmcnt(0)
	s_barrier
	buffer_gl0_inv
	v_readfirstlane_b32 s6, v4
	v_readfirstlane_b32 s7, v5
	s_and_saveexec_b32 s12, s8
; %bb.423:                              ;   in Loop: Header=BB195_12 Depth=1
	ds_write_b32 v26, v13
; %bb.424:                              ;   in Loop: Header=BB195_12 Depth=1
	s_or_b32 exec_lo, exec_lo, s12
	v_and_b32_e32 v25, s24, v25
	v_or_b32_e32 v30, s9, v30
	s_mov_b32 s58, -1
	s_mov_b32 s69, 0
	s_cmp_eq_u64 s[6:7], 0
	s_mov_b32 s14, 0
	s_mov_b32 s15, -1
	s_waitcnt lgkmcnt(0)
	s_barrier
	buffer_gl0_inv
                                        ; implicit-def: $vgpr18
	s_cbranch_scc1 .LBB195_443
; %bb.425:                              ;   in Loop: Header=BB195_12 Depth=1
	s_add_u32 s70, s6, s80
	s_addc_u32 s13, s7, s81
	s_mov_b32 s12, s27
	s_cmp_lg_u64 s[12:13], 0
	s_cbranch_scc0 .LBB195_429
; %bb.426:                              ;   in Loop: Header=BB195_12 Depth=1
	v_cvt_f32_u32_e32 v4, s49
	s_sub_u32 s15, 0, s49
	s_subb_u32 s26, 0, 0
	v_fmac_f32_e64 v4, 0x4f800000, 0
	v_rcp_f32_e32 v4, v4
	v_mul_f32_e32 v4, 0x5f7ffffc, v4
	v_mul_f32_e32 v5, 0x2f800000, v4
	v_trunc_f32_e32 v5, v5
	v_fmac_f32_e32 v4, 0xcf800000, v5
	v_cvt_u32_f32_e32 v5, v5
	v_cvt_u32_f32_e32 v4, v4
	v_readfirstlane_b32 s12, v5
	v_readfirstlane_b32 s14, v4
	s_mul_i32 s44, s15, s12
	s_mul_hi_u32 s46, s15, s14
	s_mul_i32 s45, s26, s14
	s_add_i32 s44, s46, s44
	s_mul_i32 s47, s15, s14
	s_add_i32 s44, s44, s45
	s_mul_hi_u32 s46, s14, s47
	s_mul_i32 s72, s14, s44
	s_mul_hi_u32 s71, s12, s47
	s_mul_i32 s45, s12, s47
	s_mul_hi_u32 s47, s14, s44
	s_add_u32 s46, s46, s72
	s_addc_u32 s47, 0, s47
	s_mul_hi_u32 s73, s12, s44
	s_add_u32 s45, s46, s45
	s_mul_i32 s44, s12, s44
	s_addc_u32 s45, s47, s71
	s_addc_u32 s46, s73, 0
	s_add_u32 s44, s45, s44
	s_addc_u32 s45, 0, s46
	s_add_u32 s14, s14, s44
	s_cselect_b32 s44, -1, 0
	s_mul_hi_u32 s46, s15, s14
	s_cmp_lg_u32 s44, 0
	s_mul_i32 s44, s15, s14
	s_addc_u32 s12, s12, s45
	s_mul_i32 s26, s26, s14
	s_mul_i32 s15, s15, s12
	s_mul_hi_u32 s45, s14, s44
	s_add_i32 s15, s46, s15
	s_mul_hi_u32 s46, s12, s44
	s_add_i32 s15, s15, s26
	s_mul_i32 s26, s12, s44
	s_mul_i32 s71, s14, s15
	s_mul_hi_u32 s47, s14, s15
	s_add_u32 s45, s45, s71
	s_addc_u32 s47, 0, s47
	s_mul_hi_u32 s44, s12, s15
	s_add_u32 s26, s45, s26
	s_mul_i32 s15, s12, s15
	s_addc_u32 s26, s47, s46
	s_addc_u32 s44, s44, 0
	s_add_u32 s15, s26, s15
	s_addc_u32 s26, 0, s44
	s_add_u32 s14, s14, s15
	s_cselect_b32 s15, -1, 0
	s_mul_hi_u32 s44, s70, s14
	s_cmp_lg_u32 s15, 0
	s_mul_hi_u32 s15, s13, s14
	s_addc_u32 s12, s12, s26
	s_mul_i32 s14, s13, s14
	s_mul_i32 s45, s70, s12
	s_mul_hi_u32 s26, s70, s12
	s_add_u32 s44, s44, s45
	s_addc_u32 s26, 0, s26
	s_mul_hi_u32 s46, s13, s12
	s_add_u32 s14, s44, s14
	s_mul_i32 s12, s13, s12
	s_addc_u32 s14, s26, s15
	s_addc_u32 s15, s46, 0
	s_add_u32 s12, s14, s12
	s_addc_u32 s14, 0, s15
	s_mul_hi_u32 s15, s49, s12
	s_mul_i32 s14, s49, s14
	s_mul_i32 s12, s49, s12
	s_add_i32 s15, s15, s14
	s_sub_u32 s12, s70, s12
	s_cselect_b32 s14, -1, 0
	s_cmp_lg_u32 s14, 0
	s_subb_u32 s14, s13, s15
	s_sub_u32 s15, s12, s49
	s_cselect_b32 s26, -1, 0
	s_cmp_lg_u32 s26, 0
	s_subb_u32 s26, s14, 0
	s_sub_u32 s44, s15, s49
	s_cselect_b32 s45, -1, 0
	s_cmp_lg_u32 s45, 0
	s_subb_u32 s45, s26, 0
	s_cmp_ge_u32 s15, s49
	s_cselect_b32 s46, -1, 0
	s_cmp_eq_u32 s26, 0
	s_cselect_b32 s46, s46, -1
	s_cmp_lg_u32 s46, 0
	s_cselect_b32 s26, s45, s26
	s_cselect_b32 s44, s44, s15
	s_cmp_ge_u32 s12, s49
	s_cselect_b32 s15, -1, 0
	s_cmp_eq_u32 s14, 0
	s_cselect_b32 s15, s15, -1
	s_cmp_lg_u32 s15, 0
	s_cselect_b32 s15, s26, s14
	s_cselect_b32 s14, s44, s12
	s_mov_b32 s12, 0
	s_branch .LBB195_430
.LBB195_427:                            ;   in Loop: Header=BB195_12 Depth=1
                                        ; implicit-def: $sgpr16_sgpr17
	s_branch .LBB195_380
.LBB195_428:                            ;   in Loop: Header=BB195_12 Depth=1
                                        ; implicit-def: $sgpr6_sgpr7
	s_branch .LBB195_397
.LBB195_429:                            ;   in Loop: Header=BB195_12 Depth=1
	s_mov_b32 s12, -1
                                        ; implicit-def: $sgpr14_sgpr15
.LBB195_430:                            ;   in Loop: Header=BB195_12 Depth=1
	s_andn2_b32 vcc_lo, exec_lo, s12
	s_cbranch_vccnz .LBB195_432
; %bb.431:                              ;   in Loop: Header=BB195_12 Depth=1
	v_cvt_f32_u32_e32 v4, s49
	s_sub_i32 s14, 0, s49
	v_rcp_iflag_f32_e32 v4, v4
	v_mul_f32_e32 v4, 0x4f7ffffe, v4
	v_cvt_u32_f32_e32 v4, v4
	v_readfirstlane_b32 s12, v4
	s_mul_i32 s14, s14, s12
	s_mul_hi_u32 s14, s12, s14
	s_add_i32 s12, s12, s14
	s_mul_hi_u32 s12, s70, s12
	s_mul_i32 s12, s12, s49
	s_sub_i32 s12, s70, s12
	s_sub_i32 s14, s12, s49
	s_cmp_ge_u32 s12, s49
	s_cselect_b32 s12, s14, s12
	s_sub_i32 s14, s12, s49
	s_cmp_ge_u32 s12, s49
	s_cselect_b32 s26, s14, s12
	s_mov_b64 s[14:15], s[26:27]
.LBB195_432:                            ;   in Loop: Header=BB195_12 Depth=1
	s_sub_u32 s12, s70, s14
	s_subb_u32 s13, s13, s15
	s_mov_b32 s15, 0
	s_mov_b32 s14, 0
	s_mov_b32 s26, exec_lo
                                        ; implicit-def: $vgpr18
	v_cmpx_gt_u64_e64 s[12:13], v[0:1]
	s_cbranch_execz .LBB195_442
; %bb.433:                              ;   in Loop: Header=BB195_12 Depth=1
	v_mov_b32_e32 v5, v1
	v_mov_b32_e32 v6, v14
	;; [unrolled: 1-line block ×3, first 2 shown]
                                        ; implicit-def: $sgpr70
	s_inst_prefetch 0x1
	s_branch .LBB195_437
	.p2align	6
.LBB195_434:                            ;   in Loop: Header=BB195_437 Depth=2
	s_or_b32 exec_lo, exec_lo, s71
	s_waitcnt lgkmcnt(0)
	s_barrier
	buffer_gl0_inv
	ds_read_b64 v[17:18], v13 offset:3072
	s_waitcnt lgkmcnt(0)
	s_barrier
	buffer_gl0_inv
	v_cmp_neq_f32_e32 vcc_lo, 0, v17
	s_cbranch_vccnz .LBB195_440
; %bb.435:                              ;   in Loop: Header=BB195_437 Depth=2
	v_add_co_u32 v4, vcc_lo, v4, s49
	v_add_co_ci_u32_e64 v5, null, 0, v5, vcc_lo
	v_add_nc_u32_e32 v6, s86, v6
	s_mov_b32 s44, 0
	v_cmp_le_u64_e32 vcc_lo, s[12:13], v[4:5]
	s_orn2_b32 s45, vcc_lo, exec_lo
.LBB195_436:                            ;   in Loop: Header=BB195_437 Depth=2
	s_and_b32 s45, exec_lo, s45
	s_or_b32 s14, s45, s14
	s_andn2_b32 s45, s70, exec_lo
	s_and_b32 s44, s44, exec_lo
	s_or_b32 s70, s45, s44
	s_andn2_b32 exec_lo, exec_lo, s14
	s_cbranch_execz .LBB195_441
.LBB195_437:                            ;   Parent Loop BB195_12 Depth=1
                                        ; =>  This Inner Loop Header: Depth=2
	s_mov_b32 s71, exec_lo
	v_cmpx_gt_u64_e64 s[6:7], v[4:5]
	s_cbranch_execz .LBB195_434
; %bb.438:                              ;   in Loop: Header=BB195_437 Depth=2
	ds_read_b32 v17, v6
	s_waitcnt lgkmcnt(0)
	v_cmp_lt_i32_e32 vcc_lo, -1, v17
	v_cndmask_b32_e64 v7, -1, 0x80000000, vcc_lo
	v_cmp_o_f32_e32 vcc_lo, v17, v17
	v_xor_b32_e32 v7, v7, v17
	v_cndmask_b32_e32 v7, -1, v7, vcc_lo
	v_and_b32_e32 v7, v7, v30
	v_cmp_eq_u32_e32 vcc_lo, v7, v25
	s_and_b32 exec_lo, exec_lo, vcc_lo
	s_cbranch_execz .LBB195_434
; %bb.439:                              ;   in Loop: Header=BB195_437 Depth=2
	ds_write_b64 v13, v[16:17] offset:3072
	s_branch .LBB195_434
.LBB195_440:                            ;   in Loop: Header=BB195_437 Depth=2
	s_mov_b32 s45, -1
	s_mov_b32 s44, -1
                                        ; implicit-def: $vgpr4_vgpr5
                                        ; implicit-def: $vgpr6
	s_branch .LBB195_436
.LBB195_441:                            ;   in Loop: Header=BB195_12 Depth=1
	s_inst_prefetch 0x2
	s_or_b32 exec_lo, exec_lo, s14
	s_and_b32 s14, s70, exec_lo
.LBB195_442:                            ;   in Loop: Header=BB195_12 Depth=1
	s_or_b32 exec_lo, exec_lo, s26
.LBB195_443:                            ;   in Loop: Header=BB195_12 Depth=1
	s_and_b32 vcc_lo, exec_lo, s15
	s_cbranch_vccz .LBB195_460
; %bb.444:                              ;   in Loop: Header=BB195_12 Depth=1
	s_mov_b32 s58, s27
	s_cmp_lg_u64 s[58:59], 0
	s_cbranch_scc0 .LBB195_446
; %bb.445:                              ;   in Loop: Header=BB195_12 Depth=1
	v_cvt_f32_u32_e32 v4, s49
	s_sub_u32 s12, 0, s49
	s_subb_u32 s13, 0, 0
	v_fmac_f32_e64 v4, 0x4f800000, 0
	v_rcp_f32_e32 v4, v4
	v_mul_f32_e32 v4, 0x5f7ffffc, v4
	v_mul_f32_e32 v5, 0x2f800000, v4
	v_trunc_f32_e32 v5, v5
	v_fmac_f32_e32 v4, 0xcf800000, v5
	v_cvt_u32_f32_e32 v5, v5
	v_cvt_u32_f32_e32 v4, v4
	v_readfirstlane_b32 s6, v5
	v_readfirstlane_b32 s7, v4
	s_mul_i32 s15, s12, s6
	s_mul_hi_u32 s44, s12, s7
	s_mul_i32 s26, s13, s7
	s_add_i32 s15, s44, s15
	s_mul_i32 s45, s12, s7
	s_add_i32 s15, s15, s26
	s_mul_hi_u32 s44, s7, s45
	s_mul_i32 s47, s7, s15
	s_mul_hi_u32 s46, s6, s45
	s_mul_i32 s26, s6, s45
	s_mul_hi_u32 s45, s7, s15
	s_add_u32 s44, s44, s47
	s_addc_u32 s45, 0, s45
	s_mul_hi_u32 s58, s6, s15
	s_add_u32 s26, s44, s26
	s_mul_i32 s15, s6, s15
	s_addc_u32 s26, s45, s46
	s_addc_u32 s44, s58, 0
	s_add_u32 s15, s26, s15
	s_addc_u32 s26, 0, s44
	s_add_u32 s7, s7, s15
	s_cselect_b32 s15, -1, 0
	s_mul_hi_u32 s44, s12, s7
	s_cmp_lg_u32 s15, 0
	s_mul_i32 s15, s12, s7
	s_addc_u32 s6, s6, s26
	s_mul_i32 s13, s13, s7
	s_mul_i32 s12, s12, s6
	s_mul_hi_u32 s26, s7, s15
	s_add_i32 s12, s44, s12
	s_mul_hi_u32 s44, s6, s15
	s_add_i32 s12, s12, s13
	s_mul_i32 s13, s6, s15
	s_mul_i32 s46, s7, s12
	s_mul_hi_u32 s45, s7, s12
	s_add_u32 s26, s26, s46
	s_addc_u32 s45, 0, s45
	s_mul_hi_u32 s15, s6, s12
	s_add_u32 s13, s26, s13
	s_mul_i32 s12, s6, s12
	s_addc_u32 s13, s45, s44
	s_addc_u32 s15, s15, 0
	s_add_u32 s12, s13, s12
	s_addc_u32 s13, 0, s15
	s_add_u32 s7, s7, s12
	s_cselect_b32 s12, -1, 0
	s_mul_hi_u32 s15, s82, s7
	s_cmp_lg_u32 s12, 0
	s_mul_hi_u32 s12, s59, s7
	s_addc_u32 s6, s6, s13
	s_mul_i32 s7, s59, s7
	s_mul_i32 s26, s82, s6
	s_mul_hi_u32 s13, s82, s6
	s_add_u32 s15, s15, s26
	s_addc_u32 s13, 0, s13
	s_mul_hi_u32 s44, s59, s6
	s_add_u32 s7, s15, s7
	s_mul_i32 s6, s59, s6
	s_addc_u32 s7, s13, s12
	s_addc_u32 s12, s44, 0
	s_add_u32 s6, s7, s6
	s_addc_u32 s7, 0, s12
	s_mul_hi_u32 s12, s49, s6
	s_mul_i32 s7, s49, s7
	s_mul_i32 s6, s49, s6
	s_add_i32 s12, s12, s7
	s_sub_u32 s6, s82, s6
	s_cselect_b32 s7, -1, 0
	s_cmp_lg_u32 s7, 0
	s_subb_u32 s7, s59, s12
	s_sub_u32 s12, s6, s49
	s_cselect_b32 s13, -1, 0
	s_cmp_lg_u32 s13, 0
	s_subb_u32 s13, s7, 0
	;; [unrolled: 4-line block ×3, first 2 shown]
	s_cmp_ge_u32 s12, s49
	s_cselect_b32 s44, -1, 0
	s_cmp_eq_u32 s13, 0
	s_cselect_b32 s44, s44, -1
	s_cmp_lg_u32 s44, 0
	s_cselect_b32 s13, s26, s13
	s_cselect_b32 s12, s15, s12
	s_cmp_ge_u32 s6, s49
	s_cselect_b32 s15, -1, 0
	s_cmp_eq_u32 s7, 0
	s_cselect_b32 s15, s15, -1
	s_cmp_lg_u32 s15, 0
	s_cselect_b32 s7, s13, s7
	s_cselect_b32 s6, s12, s6
	s_mov_b32 s12, 0
	s_branch .LBB195_447
.LBB195_446:                            ;   in Loop: Header=BB195_12 Depth=1
	s_mov_b32 s12, -1
                                        ; implicit-def: $sgpr6_sgpr7
.LBB195_447:                            ;   in Loop: Header=BB195_12 Depth=1
	s_andn2_b32 vcc_lo, exec_lo, s12
	s_cbranch_vccnz .LBB195_449
; %bb.448:                              ;   in Loop: Header=BB195_12 Depth=1
	v_cvt_f32_u32_e32 v4, s49
	s_sub_i32 s7, 0, s49
	v_rcp_iflag_f32_e32 v4, v4
	v_mul_f32_e32 v4, 0x4f7ffffe, v4
	v_cvt_u32_f32_e32 v4, v4
	v_readfirstlane_b32 s6, v4
	s_mul_i32 s7, s7, s6
	s_mul_hi_u32 s7, s6, s7
	s_add_i32 s6, s6, s7
	s_mul_hi_u32 s6, s82, s6
	s_mul_i32 s6, s6, s49
	s_sub_i32 s6, s82, s6
	s_sub_i32 s7, s6, s49
	s_cmp_ge_u32 s6, s49
	s_cselect_b32 s6, s7, s6
	s_sub_i32 s7, s6, s49
	s_cmp_ge_u32 s6, s49
	s_cselect_b32 s26, s7, s6
	s_mov_b64 s[6:7], s[26:27]
.LBB195_449:                            ;   in Loop: Header=BB195_12 Depth=1
	s_sub_u32 s6, s82, s6
	s_subb_u32 s7, s59, s7
	s_mov_b32 s12, exec_lo
                                        ; implicit-def: $vgpr18
	v_cmpx_gt_u64_e64 s[6:7], v[0:1]
	s_cbranch_execz .LBB195_459
; %bb.450:                              ;   in Loop: Header=BB195_12 Depth=1
	v_mov_b32_e32 v5, v1
	v_mov_b32_e32 v4, v0
	s_mov_b32 s13, 0
                                        ; implicit-def: $sgpr15
	s_branch .LBB195_454
.LBB195_451:                            ;   in Loop: Header=BB195_454 Depth=2
	s_or_b32 exec_lo, exec_lo, s26
	s_waitcnt lgkmcnt(0)
	s_barrier
	buffer_gl0_inv
	ds_read_b64 v[17:18], v13 offset:3072
	s_waitcnt lgkmcnt(0)
	s_barrier
	buffer_gl0_inv
	v_cmp_eq_f32_e32 vcc_lo, 0, v17
	s_cbranch_vccz .LBB195_457
; %bb.452:                              ;   in Loop: Header=BB195_454 Depth=2
	v_add_co_u32 v4, vcc_lo, v4, s49
	v_add_co_ci_u32_e64 v5, null, 0, v5, vcc_lo
	s_mov_b32 s26, 0
	v_cmp_le_u64_e32 vcc_lo, s[6:7], v[4:5]
	s_orn2_b32 s44, vcc_lo, exec_lo
.LBB195_453:                            ;   in Loop: Header=BB195_454 Depth=2
	s_and_b32 s44, exec_lo, s44
	s_or_b32 s13, s44, s13
	s_andn2_b32 s15, s15, exec_lo
	s_and_b32 s26, s26, exec_lo
	s_or_b32 s15, s15, s26
	s_andn2_b32 exec_lo, exec_lo, s13
	s_cbranch_execz .LBB195_458
.LBB195_454:                            ;   Parent Loop BB195_12 Depth=1
                                        ; =>  This Inner Loop Header: Depth=2
	s_mov_b32 s26, exec_lo
	v_cmpx_gt_u64_e64 s[36:37], v[4:5]
	s_cbranch_execz .LBB195_451
; %bb.455:                              ;   in Loop: Header=BB195_454 Depth=2
	v_mul_lo_u32 v9, v5, s30
	v_mul_lo_u32 v12, v4, s31
	v_mad_u64_u32 v[6:7], null, v4, s30, 0
	v_add3_u32 v7, v7, v12, v9
	v_lshlrev_b64 v[6:7], 2, v[6:7]
	v_add_co_u32 v6, vcc_lo, s33, v6
	v_add_co_ci_u32_e64 v7, null, s35, v7, vcc_lo
	global_load_dword v17, v[6:7], off
	s_waitcnt vmcnt(0)
	v_cmp_lt_i32_e32 vcc_lo, -1, v17
	v_cndmask_b32_e64 v6, -1, 0x80000000, vcc_lo
	v_cmp_o_f32_e32 vcc_lo, v17, v17
	v_xor_b32_e32 v6, v6, v17
	v_cndmask_b32_e32 v6, -1, v6, vcc_lo
	v_and_b32_e32 v6, v6, v30
	v_cmp_eq_u32_e32 vcc_lo, v6, v25
	s_and_b32 exec_lo, exec_lo, vcc_lo
	s_cbranch_execz .LBB195_451
; %bb.456:                              ;   in Loop: Header=BB195_454 Depth=2
	ds_write_b64 v13, v[16:17] offset:3072
	s_branch .LBB195_451
.LBB195_457:                            ;   in Loop: Header=BB195_454 Depth=2
	s_mov_b32 s44, -1
	s_mov_b32 s26, -1
                                        ; implicit-def: $vgpr4_vgpr5
	s_branch .LBB195_453
.LBB195_458:                            ;   in Loop: Header=BB195_12 Depth=1
	s_or_b32 exec_lo, exec_lo, s13
	s_andn2_b32 s6, s14, exec_lo
	s_and_b32 s7, s15, exec_lo
	s_or_b32 s14, s6, s7
.LBB195_459:                            ;   in Loop: Header=BB195_12 Depth=1
	s_or_b32 exec_lo, exec_lo, s12
	s_mov_b32 s58, 0
	s_mov_b32 s69, -1
.LBB195_460:                            ;   in Loop: Header=BB195_12 Depth=1
	s_orn2_b32 s7, s14, exec_lo
.LBB195_461:                            ;   in Loop: Header=BB195_12 Depth=1
	s_or_b32 exec_lo, exec_lo, s68
	s_mov_b32 s12, 0
	s_and_saveexec_b32 s6, s7
	s_cbranch_execz .LBB195_472
; %bb.462:                              ;   in Loop: Header=BB195_12 Depth=1
	v_mov_b32_e32 v4, 1
	v_mov_b32_e32 v5, 0
	;; [unrolled: 1-line block ×3, first 2 shown]
	s_xor_b32 s12, s67, -1
	s_and_saveexec_b32 s7, s12
	s_cbranch_execz .LBB195_471
; %bb.463:                              ;   in Loop: Header=BB195_12 Depth=1
	s_mov_b32 s12, exec_lo
	v_cmpx_ge_u64_e64 s[10:11], v[2:3]
	s_xor_b32 s12, exec_lo, s12
	s_cbranch_execz .LBB195_468
; %bb.464:                              ;   in Loop: Header=BB195_12 Depth=1
	ds_read_b64 v[4:5], v13 offset:5120
	v_and_b32_e32 v25, s24, v25
	v_or_b32_e32 v30, s9, v30
	s_waitcnt lgkmcnt(0)
	v_cmp_ne_u64_e32 vcc_lo, 0, v[4:5]
	s_cbranch_vccnz .LBB195_468
; %bb.465:                              ;   in Loop: Header=BB195_12 Depth=1
	s_and_saveexec_b32 s9, s3
; %bb.466:                              ;   in Loop: Header=BB195_12 Depth=1
	v_mov_b32_e32 v4, s10
	v_mov_b32_e32 v5, s11
	ds_write_b64 v13, v[4:5] offset:5128
; %bb.467:                              ;   in Loop: Header=BB195_12 Depth=1
	s_or_b32 exec_lo, exec_lo, s9
	s_waitcnt lgkmcnt(0)
	s_barrier
	buffer_gl0_inv
.LBB195_468:                            ;   in Loop: Header=BB195_12 Depth=1
	s_andn2_saveexec_b32 s9, s12
; %bb.469:                              ;   in Loop: Header=BB195_12 Depth=1
	v_sub_co_u32 v2, vcc_lo, v2, s10
	v_subrev_co_ci_u32_e64 v3, null, s11, v3, vcc_lo
; %bb.470:                              ;   in Loop: Header=BB195_12 Depth=1
	s_or_b32 exec_lo, exec_lo, s9
	v_mov_b32_e32 v5, v3
	v_mov_b32_e32 v8, 5
	;; [unrolled: 1-line block ×3, first 2 shown]
.LBB195_471:                            ;   in Loop: Header=BB195_12 Depth=1
	s_or_b32 exec_lo, exec_lo, s7
	v_mov_b32_e32 v2, v4
	v_mov_b32_e32 v3, v5
	s_mov_b32 s12, exec_lo
.LBB195_472:                            ;   in Loop: Header=BB195_12 Depth=1
	s_or_b32 exec_lo, exec_lo, s6
	s_orn2_b32 s6, s12, exec_lo
.LBB195_473:                            ;   in Loop: Header=BB195_12 Depth=1
	s_or_b32 exec_lo, exec_lo, s17
	s_andn2_b32 s7, s66, exec_lo
	s_and_b32 s9, s69, exec_lo
	s_andn2_b32 s10, s65, exec_lo
	s_and_b32 s11, s58, exec_lo
	v_mov_b32_e32 v5, v3
	v_mov_b32_e32 v4, v2
	s_or_b32 s66, s7, s9
	s_or_b32 s65, s10, s11
	s_and_b32 s7, s6, exec_lo
.LBB195_474:                            ;   in Loop: Header=BB195_12 Depth=1
	s_or_b32 exec_lo, exec_lo, s16
	s_orn2_b32 s6, s7, exec_lo
.LBB195_475:                            ;   in Loop: Header=BB195_12 Depth=1
	s_or_b32 exec_lo, exec_lo, s19
	s_andn2_b32 s7, s63, exec_lo
	s_and_b32 s9, s66, exec_lo
	s_andn2_b32 s10, s62, exec_lo
	s_and_b32 s11, s65, exec_lo
	v_mov_b32_e32 v2, v4
	v_mov_b32_e32 v3, v5
	s_or_b32 s63, s7, s9
	s_or_b32 s62, s10, s11
	s_and_b32 s7, s6, exec_lo
.LBB195_476:                            ;   in Loop: Header=BB195_12 Depth=1
	s_or_b32 exec_lo, exec_lo, s18
	s_orn2_b32 s6, s7, exec_lo
.LBB195_477:                            ;   in Loop: Header=BB195_12 Depth=1
	s_or_b32 exec_lo, exec_lo, s21
	s_mov_b32 s7, s23
	s_mov_b32 s9, s22
	s_and_saveexec_b32 s10, s6
; %bb.478:                              ;   in Loop: Header=BB195_12 Depth=1
	v_cmp_ne_u32_e32 vcc_lo, 5, v8
	v_cmp_eq_u32_e64 s6, 5, v8
	s_andn2_b32 s7, s22, exec_lo
	s_andn2_b32 s11, s23, exec_lo
	s_and_b32 s9, vcc_lo, exec_lo
	s_and_b32 s6, s6, exec_lo
	s_or_b32 s9, s7, s9
	s_or_b32 s7, s11, s6
; %bb.479:                              ;   in Loop: Header=BB195_12 Depth=1
	s_or_b32 exec_lo, exec_lo, s10
	s_andn2_b32 s6, s64, exec_lo
	s_and_b32 s10, s63, exec_lo
	s_andn2_b32 s11, s25, exec_lo
	s_and_b32 s12, s62, exec_lo
	s_or_b32 s64, s6, s10
	s_andn2_b32 s6, s22, exec_lo
	s_and_b32 s9, s9, exec_lo
	s_andn2_b32 s10, s23, exec_lo
	s_and_b32 s7, s7, exec_lo
	s_or_b32 s25, s11, s12
	s_or_b32 s22, s6, s9
	;; [unrolled: 1-line block ×3, first 2 shown]
.LBB195_480:                            ;   in Loop: Header=BB195_12 Depth=1
	s_or_b32 exec_lo, exec_lo, s20
	s_mov_b32 s62, 0
	s_mov_b32 s63, 0
	s_and_saveexec_b32 s6, s23
.LBB195_481:                            ;   in Loop: Header=BB195_12 Depth=1
	v_mov_b32_e32 v8, 0
	s_or_b32 s22, s22, exec_lo
.LBB195_482:                            ;   in Loop: Header=BB195_12 Depth=1
	s_or_b32 exec_lo, exec_lo, s6
	s_andn2_b32 s6, s97, exec_lo
	s_and_b32 s9, s64, exec_lo
	s_andn2_b32 s10, s95, exec_lo
	s_and_b32 s11, s25, exec_lo
	v_mov_b32_e32 v20, v3
	v_mov_b32_e32 v19, v2
	s_or_b32 s97, s6, s9
	s_or_b32 s95, s10, s11
	s_andn2_b32 s6, s99, exec_lo
	s_and_b32 s9, s63, exec_lo
	s_andn2_b32 s10, s98, exec_lo
	s_and_b32 s11, s62, exec_lo
	s_mov_b32 s7, -1
	s_andn2_b32 s96, s96, exec_lo
	s_or_b32 s99, s6, s9
	s_or_b32 s98, s10, s11
	s_and_saveexec_b32 s6, s22
	s_xor_b32 s6, exec_lo, s6
	s_cbranch_execz .LBB195_11
; %bb.483:                              ;   in Loop: Header=BB195_12 Depth=1
	s_mov_b32 s9, -1
	s_mov_b32 s10, exec_lo
	v_cmpx_eq_u32_e32 0, v8
	s_cbranch_execz .LBB195_10
; %bb.484:                              ;   in Loop: Header=BB195_12 Depth=1
	s_xor_b32 s89, s89, 1
	s_add_i32 s11, s93, -2
	s_cmp_eq_u32 s93, 0
	s_mov_b32 s93, s11
	s_cselect_b32 s7, -1, 0
	s_xor_b32 s9, exec_lo, -1
	s_orn2_b32 s7, s7, exec_lo
	s_branch .LBB195_10
.LBB195_485:
	s_or_b32 exec_lo, exec_lo, s87
	s_xor_b32 s7, s94, -1
	s_xor_b32 s9, s91, -1
	;; [unrolled: 1-line block ×5, first 2 shown]
	s_mov_b32 s8, 0
	s_and_saveexec_b32 s12, s11
	s_xor_b32 s12, exec_lo, s12
	s_cbranch_execnz .LBB195_490
; %bb.486:
	s_andn2_saveexec_b32 s0, s12
	s_cbranch_execnz .LBB195_509
.LBB195_487:
	s_or_b32 exec_lo, exec_lo, s0
	s_and_saveexec_b32 s0, s8
.LBB195_488:
	; divergent unreachable
.LBB195_489:
	s_endpgm
.LBB195_490:
	s_and_saveexec_b32 s11, s10
	s_xor_b32 s13, exec_lo, s11
	s_cbranch_execz .LBB195_507
; %bb.491:
	s_and_saveexec_b32 s10, s9
	s_xor_b32 s14, exec_lo, s10
	s_cbranch_execz .LBB195_505
; %bb.492:
	;; [unrolled: 4-line block ×3, first 2 shown]
	s_and_saveexec_b32 s7, s6
	s_xor_b32 s6, exec_lo, s7
; %bb.494:
	v_cmp_lt_i32_e32 vcc_lo, -1, v25
	v_cndmask_b32_e64 v2, 0x80000000, -1, vcc_lo
	v_xor_b32_e32 v18, v2, v25
; %bb.495:
	s_or_b32 exec_lo, exec_lo, s6
	s_and_saveexec_b32 s6, s3
; %bb.496:
	v_mov_b32_e32 v2, 0
	v_mov_b32_e32 v3, v2
	ds_write_b64 v2, v[2:3] offset:5136
; %bb.497:
	s_or_b32 exec_lo, exec_lo, s6
	v_mov_b32_e32 v15, 0
	s_waitcnt lgkmcnt(0)
	s_barrier
	buffer_gl0_inv
	s_and_saveexec_b32 s3, s1
	s_cbranch_execz .LBB195_499
; %bb.498:
	global_load_dword v15, v[10:11], off
.LBB195_499:
	s_or_b32 exec_lo, exec_lo, s3
	s_load_dwordx4 s[24:27], s[4:5], 0x298
	s_add_u32 s3, s36, 31
	s_addc_u32 s7, s37, 0
	s_and_b32 s6, s3, 0xffffffe0
	s_mul_i32 s3, s48, s51
	s_mul_hi_u32 s8, s48, s50
	s_mul_i32 s9, s48, s50
	s_add_i32 s8, s8, s3
	s_sub_u32 s3, s34, s9
	s_subb_u32 s8, 0, s8
	v_cmp_lt_i32_e32 vcc_lo, -1, v18
	s_mul_hi_u32 s22, s52, s40
	s_mov_b32 s21, -1
	v_cndmask_b32_e64 v2, -1, 0x80000000, vcc_lo
	v_cmp_o_f32_e32 vcc_lo, v18, v18
	v_xor_b32_e32 v2, v2, v18
	s_waitcnt lgkmcnt(0)
	s_mul_i32 s9, s3, s27
	s_mul_hi_u32 s10, s3, s26
	s_mul_i32 s8, s8, s26
	s_add_i32 s9, s10, s9
	s_mul_i32 s10, s48, s25
	s_mul_hi_u32 s11, s48, s24
	s_add_i32 s17, s9, s8
	s_mul_i32 s8, s52, s29
	s_mul_hi_u32 s9, s52, s28
	s_add_i32 s19, s11, s10
	s_mul_i32 s10, s52, s28
	s_add_i32 s9, s9, s8
	s_sub_u32 s20, s34, s10
	s_mul_i32 s16, s3, s26
	s_mul_i32 s3, s20, s43
	s_mul_hi_u32 s8, s20, s42
	s_subb_u32 s9, 0, s9
	s_add_i32 s3, s8, s3
	s_mul_i32 s9, s9, s42
	s_mul_i32 s18, s48, s24
	s_add_i32 s23, s3, s9
	s_clause 0x1
	s_load_dwordx2 s[8:9], s[4:5], 0x368
	s_load_dwordx2 s[10:11], s[4:5], 0x510
	s_mul_i32 s3, s52, s41
	s_lshl_b64 s[4:5], s[18:19], 2
	s_add_i32 s19, s22, s3
	s_add_u32 s3, s56, s4
	s_addc_u32 s4, s57, s5
	s_lshl_b64 s[16:17], s[16:17], 2
	v_readlane_b32 s24, v39, 0
	s_mul_i32 s18, s52, s40
	v_readlane_b32 s25, v39, 1
	s_add_u32 s5, s3, s16
	s_addc_u32 s16, s4, s17
	s_lshl_b64 s[18:19], s[18:19], 3
	s_mul_i32 s22, s20, s42
	v_cndmask_b32_e32 v14, -1, v2, vcc_lo
	s_add_u32 s3, s24, s18
	v_cmp_gt_u64_e32 vcc_lo, s[6:7], v[0:1]
	s_addc_u32 s4, s25, s19
	s_lshl_b64 s[18:19], s[22:23], 3
	s_add_u32 s17, s3, s18
	s_addc_u32 s18, s4, s19
	s_mov_b32 s19, 0
	s_mov_b32 s3, 0
	s_and_saveexec_b32 s20, vcc_lo
	s_cbranch_execnz .LBB195_510
; %bb.500:
	s_or_b32 exec_lo, exec_lo, s20
	s_and_saveexec_b32 s2, s21
	s_cbranch_execnz .LBB195_527
.LBB195_501:
	s_or_b32 exec_lo, exec_lo, s2
	s_and_saveexec_b32 s0, s3
	s_xor_b32 s0, exec_lo, s0
	s_cbranch_execnz .LBB195_550
.LBB195_502:
	s_or_b32 exec_lo, exec_lo, s0
	s_waitcnt lgkmcnt(0)
	s_and_b32 s8, s19, exec_lo
.LBB195_503:
	s_andn2_saveexec_b32 s0, s15
	s_cbranch_execnz .LBB195_552
.LBB195_504:
	s_or_b32 exec_lo, exec_lo, s0
	s_and_b32 s8, s8, exec_lo
.LBB195_505:
	s_andn2_saveexec_b32 s0, s14
	s_cbranch_execnz .LBB195_551
.LBB195_506:
	s_or_b32 exec_lo, exec_lo, s0
	s_and_b32 s8, s8, exec_lo
.LBB195_507:
	s_andn2_saveexec_b32 s0, s13
	s_cbranch_execnz .LBB195_546
.LBB195_508:
	s_or_b32 exec_lo, exec_lo, s0
	s_and_b32 s8, s8, exec_lo
	s_andn2_saveexec_b32 s0, s12
	s_cbranch_execz .LBB195_487
.LBB195_509:
	s_or_b32 s8, s8, exec_lo
	s_trap 2
	s_or_b32 exec_lo, exec_lo, s0
	s_and_saveexec_b32 s0, s8
	s_cbranch_execnz .LBB195_488
	s_branch .LBB195_489
.LBB195_510:
	v_mov_b32_e32 v9, v1
	v_mov_b32_e32 v3, 0
	;; [unrolled: 1-line block ×3, first 2 shown]
	s_mov_b32 s21, 0
                                        ; implicit-def: $sgpr22
                                        ; implicit-def: $vgpr6_vgpr7
	s_branch .LBB195_512
.LBB195_511:                            ;   in Loop: Header=BB195_512 Depth=1
	s_or_b32 exec_lo, exec_lo, s24
	s_xor_b32 s3, s23, -1
	s_and_b32 s4, exec_lo, s4
	v_mov_b32_e32 v9, v5
	s_waitcnt vmcnt(0)
	v_mov_b32_e32 v15, v16
	s_or_b32 s21, s4, s21
	v_mov_b32_e32 v8, v4
	s_andn2_b32 s4, s22, exec_lo
	s_and_b32 s3, s3, exec_lo
	s_or_b32 s22, s4, s3
	s_andn2_b32 exec_lo, exec_lo, s21
	s_cbranch_execz .LBB195_526
.LBB195_512:                            ; =>This Inner Loop Header: Depth=1
	v_add_co_u32 v4, s3, v8, s49
	v_add_co_ci_u32_e64 v5, null, 0, v9, s3
	v_mov_b32_e32 v16, 0
	s_mov_b32 s4, exec_lo
	v_cmpx_gt_u64_e64 s[36:37], v[4:5]
	s_cbranch_execz .LBB195_514
; %bb.513:                              ;   in Loop: Header=BB195_512 Depth=1
	v_mul_lo_u32 v2, v5, s30
	v_mul_lo_u32 v16, v4, s31
	v_mad_u64_u32 v[12:13], null, v4, s30, 0
	v_add3_u32 v13, v13, v16, v2
	v_lshlrev_b64 v[12:13], 2, v[12:13]
	v_add_co_u32 v12, s3, s33, v12
	v_add_co_ci_u32_e64 v13, null, s35, v13, s3
	global_load_dword v16, v[12:13], off
.LBB195_514:                            ;   in Loop: Header=BB195_512 Depth=1
	s_or_b32 exec_lo, exec_lo, s4
	s_mov_b32 s23, 0
	s_mov_b32 s4, exec_lo
	v_cmpx_gt_u64_e64 s[36:37], v[8:9]
	s_cbranch_execz .LBB195_516
; %bb.515:                              ;   in Loop: Header=BB195_512 Depth=1
	s_waitcnt vmcnt(0)
	v_cmp_lt_i32_e64 s3, -1, v15
	v_cndmask_b32_e64 v2, -1, 0x80000000, s3
	v_cmp_o_f32_e64 s3, v15, v15
	v_xor_b32_e32 v2, v2, v15
	v_cndmask_b32_e64 v2, -1, v2, s3
	v_cmp_gt_u32_e64 s3, v2, v14
	v_cndmask_b32_e64 v12, 0, 1, s3
	v_cmp_lt_u32_e64 s3, v2, v14
	v_cndmask_b32_e64 v2, 0, 1, s3
	v_cndmask_b32_e64 v2, v2, v12, s2
	v_and_b32_e32 v2, 1, v2
	v_cmp_eq_u32_e64 s3, 1, v2
	s_and_b32 s23, s3, exec_lo
.LBB195_516:                            ;   in Loop: Header=BB195_512 Depth=1
	s_or_b32 exec_lo, exec_lo, s4
	v_cndmask_b32_e64 v2, 0, 1, s23
	v_cmp_ne_u32_e64 s3, 0, v2
	s_cmp_lg_u32 s3, 0
	s_cselect_b32 s4, -1, 0
	s_and_b32 s4, s0, s4
	s_and_saveexec_b32 s24, s4
	s_cbranch_execz .LBB195_520
; %bb.517:                              ;   in Loop: Header=BB195_512 Depth=1
	s_mov_b32 s27, exec_lo
	s_bcnt1_i32_b32 s25, s3
	v_mbcnt_lo_u32_b32 v12, s27, 0
	s_mov_b32 s26, exec_lo
                                        ; implicit-def: $vgpr6_vgpr7
	v_cmpx_eq_u32_e32 0, v12
	s_cbranch_execz .LBB195_519
; %bb.518:                              ;   in Loop: Header=BB195_512 Depth=1
	s_bcnt1_i32_b32 s4, s27
	s_mul_i32 s4, s25, s4
	v_mov_b32_e32 v2, s4
	s_waitcnt lgkmcnt(0)
	ds_add_rtn_u64 v[6:7], v3, v[2:3] offset:5136
.LBB195_519:                            ;   in Loop: Header=BB195_512 Depth=1
	s_or_b32 exec_lo, exec_lo, s26
	s_waitcnt lgkmcnt(0)
	v_readfirstlane_b32 s27, v7
	v_readfirstlane_b32 s26, v6
	v_mad_u64_u32 v[6:7], null, s25, v12, s[26:27]
.LBB195_520:                            ;   in Loop: Header=BB195_512 Depth=1
	s_or_b32 exec_lo, exec_lo, s24
	s_waitcnt lgkmcnt(0)
	ds_bpermute_b32 v6, v3, v6
	ds_bpermute_b32 v7, v3, v7
	s_mov_b32 s4, -1
	s_mov_b32 s25, -1
	s_and_saveexec_b32 s24, s23
	s_cbranch_execz .LBB195_524
; %bb.521:                              ;   in Loop: Header=BB195_512 Depth=1
	v_and_b32_e32 v2, s3, v23
	s_mov_b32 s23, 0
	s_mov_b32 s25, exec_lo
	v_bcnt_u32_b32 v2, v2, 0
	s_waitcnt lgkmcnt(0)
	v_add_co_u32 v12, s3, v6, v2
	v_add_co_ci_u32_e64 v13, null, 0, v7, s3
	v_cmpx_gt_u64_e64 s[38:39], v[12:13]
	s_cbranch_execz .LBB195_523
; %bb.522:                              ;   in Loop: Header=BB195_512 Depth=1
	v_mul_lo_u32 v2, v13, s8
	v_mul_lo_u32 v19, v12, s9
	v_mad_u64_u32 v[17:18], null, v12, s8, 0
	v_mul_lo_u32 v20, v13, s10
	v_mul_lo_u32 v21, v12, s11
	v_mad_u64_u32 v[12:13], null, v12, s10, 0
	s_mov_b32 s23, exec_lo
	v_add3_u32 v18, v18, v19, v2
	v_add3_u32 v13, v13, v21, v20
	v_lshlrev_b64 v[17:18], 2, v[17:18]
	v_lshlrev_b64 v[12:13], 3, v[12:13]
	v_add_co_u32 v17, s3, s5, v17
	v_add_co_ci_u32_e64 v18, null, s16, v18, s3
	v_add_co_u32 v12, s3, s17, v12
	v_add_co_ci_u32_e64 v13, null, s18, v13, s3
	s_waitcnt vmcnt(0)
	global_store_dword v[17:18], v15, off
	global_store_dwordx2 v[12:13], v[8:9], off
.LBB195_523:                            ;   in Loop: Header=BB195_512 Depth=1
	s_or_b32 exec_lo, exec_lo, s25
	s_orn2_b32 s25, s23, exec_lo
.LBB195_524:                            ;   in Loop: Header=BB195_512 Depth=1
	s_or_b32 exec_lo, exec_lo, s24
	s_mov_b32 s23, -1
	s_and_saveexec_b32 s24, s25
	s_cbranch_execz .LBB195_511
; %bb.525:                              ;   in Loop: Header=BB195_512 Depth=1
	v_cmp_le_u64_e64 s3, s[6:7], v[4:5]
	s_xor_b32 s23, exec_lo, -1
	s_orn2_b32 s4, s3, exec_lo
	s_branch .LBB195_511
.LBB195_526:
	s_or_b32 exec_lo, exec_lo, s21
	s_mov_b32 s3, exec_lo
	s_orn2_b32 s21, s22, exec_lo
	s_or_b32 exec_lo, exec_lo, s20
	s_and_saveexec_b32 s2, s21
	s_cbranch_execz .LBB195_501
.LBB195_527:
	v_mov_b32_e32 v12, 0
	s_waitcnt vmcnt(0) lgkmcnt(0)
	s_waitcnt_vscnt null, 0x0
	s_barrier
	buffer_gl0_inv
	s_and_saveexec_b32 s4, s1
	s_cbranch_execz .LBB195_529
; %bb.528:
	global_load_dword v12, v[10:11], off
.LBB195_529:
	s_or_b32 exec_lo, exec_lo, s4
	s_mov_b32 s1, 0
	s_and_saveexec_b32 s4, vcc_lo
	s_cbranch_execz .LBB195_549
; %bb.530:
	v_mov_b32_e32 v3, 0
	s_mov_b32 s19, 0
                                        ; implicit-def: $sgpr20
                                        ; implicit-def: $vgpr6_vgpr7
	s_branch .LBB195_533
.LBB195_531:                            ;   in Loop: Header=BB195_533 Depth=1
	s_or_b32 exec_lo, exec_lo, s21
	s_orn2_b32 s23, s24, exec_lo
	s_orn2_b32 s22, s22, exec_lo
.LBB195_532:                            ;   in Loop: Header=BB195_533 Depth=1
	s_or_b32 exec_lo, exec_lo, s1
	s_xor_b32 s1, s23, -1
	s_and_b32 s21, exec_lo, s22
	v_mov_b32_e32 v0, v4
	v_mov_b32_e32 v1, v5
	s_or_b32 s19, s21, s19
	v_mov_b32_e32 v12, v10
	s_andn2_b32 s20, s20, exec_lo
	s_and_b32 s1, s1, exec_lo
	s_or_b32 s20, s20, s1
	s_andn2_b32 exec_lo, exec_lo, s19
	s_cbranch_execz .LBB195_547
.LBB195_533:                            ; =>This Inner Loop Header: Depth=1
	v_add_co_u32 v4, vcc_lo, v0, s49
	v_add_co_ci_u32_e64 v5, null, 0, v1, vcc_lo
	v_mov_b32_e32 v10, 0
	s_mov_b32 s1, exec_lo
	v_cmpx_gt_u64_e64 s[36:37], v[4:5]
	s_cbranch_execz .LBB195_535
; %bb.534:                              ;   in Loop: Header=BB195_533 Depth=1
	v_mul_lo_u32 v2, v5, s30
	v_mul_lo_u32 v10, v4, s31
	v_mad_u64_u32 v[8:9], null, v4, s30, 0
	v_add3_u32 v9, v9, v10, v2
	v_lshlrev_b64 v[8:9], 2, v[8:9]
	v_add_co_u32 v8, vcc_lo, s33, v8
	v_add_co_ci_u32_e64 v9, null, s35, v9, vcc_lo
	global_load_dword v10, v[8:9], off
.LBB195_535:                            ;   in Loop: Header=BB195_533 Depth=1
	s_or_b32 exec_lo, exec_lo, s1
	s_waitcnt vmcnt(0)
	v_cmp_lt_i32_e32 vcc_lo, -1, v12
	v_cndmask_b32_e64 v2, -1, 0x80000000, vcc_lo
	v_cmp_o_f32_e32 vcc_lo, v12, v12
	v_xor_b32_e32 v2, v2, v12
	v_cndmask_b32_e32 v2, -1, v2, vcc_lo
	v_cmp_gt_u64_e32 vcc_lo, s[36:37], v[0:1]
	v_cmp_eq_u32_e64 s1, v2, v14
	s_and_b32 s21, vcc_lo, s1
	v_cndmask_b32_e64 v2, 0, 1, s21
	v_cmp_ne_u32_e32 vcc_lo, 0, v2
	s_cmp_lg_u32 vcc_lo, 0
	s_cselect_b32 s1, -1, 0
	s_and_b32 s1, s0, s1
	s_and_saveexec_b32 s22, s1
	s_cbranch_execz .LBB195_539
; %bb.536:                              ;   in Loop: Header=BB195_533 Depth=1
	s_mov_b32 s25, exec_lo
	s_bcnt1_i32_b32 s23, vcc_lo
	v_mbcnt_lo_u32_b32 v8, s25, 0
	s_mov_b32 s24, exec_lo
                                        ; implicit-def: $vgpr6_vgpr7
	v_cmpx_eq_u32_e32 0, v8
; %bb.537:                              ;   in Loop: Header=BB195_533 Depth=1
	s_bcnt1_i32_b32 s1, s25
	s_mul_i32 s1, s23, s1
	v_mov_b32_e32 v2, s1
	ds_add_rtn_u64 v[6:7], v3, v[2:3] offset:5136
; %bb.538:                              ;   in Loop: Header=BB195_533 Depth=1
	s_or_b32 exec_lo, exec_lo, s24
	s_waitcnt lgkmcnt(0)
	v_readfirstlane_b32 s25, v7
	v_readfirstlane_b32 s24, v6
	v_mad_u64_u32 v[6:7], null, s23, v8, s[24:25]
.LBB195_539:                            ;   in Loop: Header=BB195_533 Depth=1
	s_or_b32 exec_lo, exec_lo, s22
	ds_bpermute_b32 v6, v3, v6
	ds_bpermute_b32 v7, v3, v7
	s_cmp_eq_u32 vcc_lo, 0
	s_mov_b32 s22, -1
	s_cselect_b32 s23, -1, 0
	s_waitcnt lgkmcnt(0)
	v_cmp_gt_u64_e64 s1, s[38:39], v[6:7]
	s_or_b32 s24, s23, s1
	s_mov_b32 s23, -1
	s_and_saveexec_b32 s1, s24
	s_cbranch_execz .LBB195_532
; %bb.540:                              ;   in Loop: Header=BB195_533 Depth=1
	v_and_b32_e32 v2, vcc_lo, v23
	v_sub_co_u32 v8, vcc_lo, s38, v6
	v_sub_co_ci_u32_e64 v9, null, s39, v7, vcc_lo
	v_bcnt_u32_b32 v2, v2, 0
	s_mov_b32 s24, -1
	v_bcnt_u32_b32 v2, 0, v2
	v_cmp_gt_u64_e32 vcc_lo, v[8:9], v[2:3]
	s_and_b32 s25, s21, vcc_lo
	s_and_saveexec_b32 s21, s25
	s_cbranch_execz .LBB195_544
; %bb.541:                              ;   in Loop: Header=BB195_533 Depth=1
	v_add_co_u32 v8, vcc_lo, v6, v2
	v_add_co_ci_u32_e64 v9, null, 0, v7, vcc_lo
	s_mov_b32 s23, 0
	s_mov_b32 s24, exec_lo
	v_cmpx_gt_u64_e64 s[38:39], v[8:9]
; %bb.542:                              ;   in Loop: Header=BB195_533 Depth=1
	v_mul_lo_u32 v2, v9, s8
	v_mul_lo_u32 v11, v8, s9
	v_mad_u64_u32 v[15:16], null, v8, s8, 0
	v_mul_lo_u32 v13, v9, s10
	v_mul_lo_u32 v17, v8, s11
	v_mad_u64_u32 v[8:9], null, v8, s10, 0
	s_mov_b32 s23, exec_lo
	v_add3_u32 v16, v16, v11, v2
	v_add3_u32 v9, v9, v17, v13
	v_lshlrev_b64 v[15:16], 2, v[15:16]
	v_lshlrev_b64 v[8:9], 3, v[8:9]
	v_add_co_u32 v15, vcc_lo, s5, v15
	v_add_co_ci_u32_e64 v16, null, s16, v16, vcc_lo
	v_add_co_u32 v8, vcc_lo, s17, v8
	v_add_co_ci_u32_e64 v9, null, s18, v9, vcc_lo
	global_store_dword v[15:16], v12, off
	global_store_dwordx2 v[8:9], v[0:1], off
; %bb.543:                              ;   in Loop: Header=BB195_533 Depth=1
	s_or_b32 exec_lo, exec_lo, s24
	s_xor_b32 s24, exec_lo, -1
	s_orn2_b32 s23, s23, exec_lo
.LBB195_544:                            ;   in Loop: Header=BB195_533 Depth=1
	s_or_b32 exec_lo, exec_lo, s21
	s_and_saveexec_b32 s21, s23
	s_cbranch_execz .LBB195_531
; %bb.545:                              ;   in Loop: Header=BB195_533 Depth=1
	v_cmp_le_u64_e32 vcc_lo, s[6:7], v[4:5]
	s_or_b32 s24, s24, exec_lo
	s_orn2_b32 s22, vcc_lo, exec_lo
	s_branch .LBB195_531
.LBB195_546:
	s_or_b32 s8, s8, exec_lo
	s_trap 2
	s_branch .LBB195_508
.LBB195_547:
	s_or_b32 exec_lo, exec_lo, s19
	s_mov_b32 s0, 0
	s_and_saveexec_b32 s1, s20
	s_xor_b32 s1, exec_lo, s1
	s_cbranch_execnz .LBB195_553
.LBB195_548:
	s_or_b32 exec_lo, exec_lo, s1
	s_and_b32 s1, s0, exec_lo
.LBB195_549:
	s_or_b32 exec_lo, exec_lo, s4
	s_and_b32 s19, s1, exec_lo
	s_andn2_b32 s3, s3, exec_lo
	s_or_b32 exec_lo, exec_lo, s2
	s_and_saveexec_b32 s0, s3
	s_xor_b32 s0, exec_lo, s0
	s_cbranch_execz .LBB195_502
.LBB195_550:
	s_or_b32 s19, s19, exec_lo
	s_trap 2
	s_branch .LBB195_502
.LBB195_551:
	s_or_b32 s8, s8, exec_lo
	s_trap 2
	s_branch .LBB195_506
.LBB195_552:
	s_or_b32 s8, s8, exec_lo
	s_trap 2
	s_branch .LBB195_504
.LBB195_553:
	s_mov_b32 s0, exec_lo
	s_trap 2
	s_branch .LBB195_548
	.section	.rodata,"a",@progbits
	.p2align	6, 0x0
	.amdhsa_kernel _ZN2at6native6sbtopk10gatherTopKIfmLi2ELb0EEEvNS_4cuda6detail10TensorInfoIKT_T0_EES8_S8_bS8_S8_NS5_IS6_S8_EES8_NS5_IlS8_EES8_PS6_
		.amdhsa_group_segment_fixed_size 5152
		.amdhsa_private_segment_fixed_size 0
		.amdhsa_kernarg_size 1568
		.amdhsa_user_sgpr_count 6
		.amdhsa_user_sgpr_private_segment_buffer 1
		.amdhsa_user_sgpr_dispatch_ptr 0
		.amdhsa_user_sgpr_queue_ptr 0
		.amdhsa_user_sgpr_kernarg_segment_ptr 1
		.amdhsa_user_sgpr_dispatch_id 0
		.amdhsa_user_sgpr_flat_scratch_init 0
		.amdhsa_user_sgpr_private_segment_size 0
		.amdhsa_wavefront_size32 1
		.amdhsa_uses_dynamic_stack 0
		.amdhsa_system_sgpr_private_segment_wavefront_offset 0
		.amdhsa_system_sgpr_workgroup_id_x 1
		.amdhsa_system_sgpr_workgroup_id_y 1
		.amdhsa_system_sgpr_workgroup_id_z 1
		.amdhsa_system_sgpr_workgroup_info 0
		.amdhsa_system_vgpr_workitem_id 0
		.amdhsa_next_free_vgpr 40
		.amdhsa_next_free_sgpr 105
		.amdhsa_reserve_vcc 1
		.amdhsa_reserve_flat_scratch 0
		.amdhsa_float_round_mode_32 0
		.amdhsa_float_round_mode_16_64 0
		.amdhsa_float_denorm_mode_32 3
		.amdhsa_float_denorm_mode_16_64 3
		.amdhsa_dx10_clamp 1
		.amdhsa_ieee_mode 1
		.amdhsa_fp16_overflow 0
		.amdhsa_workgroup_processor_mode 1
		.amdhsa_memory_ordered 1
		.amdhsa_forward_progress 1
		.amdhsa_shared_vgpr_count 0
		.amdhsa_exception_fp_ieee_invalid_op 0
		.amdhsa_exception_fp_denorm_src 0
		.amdhsa_exception_fp_ieee_div_zero 0
		.amdhsa_exception_fp_ieee_overflow 0
		.amdhsa_exception_fp_ieee_underflow 0
		.amdhsa_exception_fp_ieee_inexact 0
		.amdhsa_exception_int_div_zero 0
	.end_amdhsa_kernel
	.section	.text._ZN2at6native6sbtopk10gatherTopKIfmLi2ELb0EEEvNS_4cuda6detail10TensorInfoIKT_T0_EES8_S8_bS8_S8_NS5_IS6_S8_EES8_NS5_IlS8_EES8_PS6_,"axG",@progbits,_ZN2at6native6sbtopk10gatherTopKIfmLi2ELb0EEEvNS_4cuda6detail10TensorInfoIKT_T0_EES8_S8_bS8_S8_NS5_IS6_S8_EES8_NS5_IlS8_EES8_PS6_,comdat
.Lfunc_end195:
	.size	_ZN2at6native6sbtopk10gatherTopKIfmLi2ELb0EEEvNS_4cuda6detail10TensorInfoIKT_T0_EES8_S8_bS8_S8_NS5_IS6_S8_EES8_NS5_IlS8_EES8_PS6_, .Lfunc_end195-_ZN2at6native6sbtopk10gatherTopKIfmLi2ELb0EEEvNS_4cuda6detail10TensorInfoIKT_T0_EES8_S8_bS8_S8_NS5_IS6_S8_EES8_NS5_IlS8_EES8_PS6_
                                        ; -- End function
	.set _ZN2at6native6sbtopk10gatherTopKIfmLi2ELb0EEEvNS_4cuda6detail10TensorInfoIKT_T0_EES8_S8_bS8_S8_NS5_IS6_S8_EES8_NS5_IlS8_EES8_PS6_.num_vgpr, 40
	.set _ZN2at6native6sbtopk10gatherTopKIfmLi2ELb0EEEvNS_4cuda6detail10TensorInfoIKT_T0_EES8_S8_bS8_S8_NS5_IS6_S8_EES8_NS5_IlS8_EES8_PS6_.num_agpr, 0
	.set _ZN2at6native6sbtopk10gatherTopKIfmLi2ELb0EEEvNS_4cuda6detail10TensorInfoIKT_T0_EES8_S8_bS8_S8_NS5_IS6_S8_EES8_NS5_IlS8_EES8_PS6_.numbered_sgpr, 105
	.set _ZN2at6native6sbtopk10gatherTopKIfmLi2ELb0EEEvNS_4cuda6detail10TensorInfoIKT_T0_EES8_S8_bS8_S8_NS5_IS6_S8_EES8_NS5_IlS8_EES8_PS6_.num_named_barrier, 0
	.set _ZN2at6native6sbtopk10gatherTopKIfmLi2ELb0EEEvNS_4cuda6detail10TensorInfoIKT_T0_EES8_S8_bS8_S8_NS5_IS6_S8_EES8_NS5_IlS8_EES8_PS6_.private_seg_size, 0
	.set _ZN2at6native6sbtopk10gatherTopKIfmLi2ELb0EEEvNS_4cuda6detail10TensorInfoIKT_T0_EES8_S8_bS8_S8_NS5_IS6_S8_EES8_NS5_IlS8_EES8_PS6_.uses_vcc, 1
	.set _ZN2at6native6sbtopk10gatherTopKIfmLi2ELb0EEEvNS_4cuda6detail10TensorInfoIKT_T0_EES8_S8_bS8_S8_NS5_IS6_S8_EES8_NS5_IlS8_EES8_PS6_.uses_flat_scratch, 0
	.set _ZN2at6native6sbtopk10gatherTopKIfmLi2ELb0EEEvNS_4cuda6detail10TensorInfoIKT_T0_EES8_S8_bS8_S8_NS5_IS6_S8_EES8_NS5_IlS8_EES8_PS6_.has_dyn_sized_stack, 0
	.set _ZN2at6native6sbtopk10gatherTopKIfmLi2ELb0EEEvNS_4cuda6detail10TensorInfoIKT_T0_EES8_S8_bS8_S8_NS5_IS6_S8_EES8_NS5_IlS8_EES8_PS6_.has_recursion, 0
	.set _ZN2at6native6sbtopk10gatherTopKIfmLi2ELb0EEEvNS_4cuda6detail10TensorInfoIKT_T0_EES8_S8_bS8_S8_NS5_IS6_S8_EES8_NS5_IlS8_EES8_PS6_.has_indirect_call, 0
	.section	.AMDGPU.csdata,"",@progbits
; Kernel info:
; codeLenInByte = 25736
; TotalNumSgprs: 107
; NumVgprs: 40
; ScratchSize: 0
; MemoryBound: 0
; FloatMode: 240
; IeeeMode: 1
; LDSByteSize: 5152 bytes/workgroup (compile time only)
; SGPRBlocks: 0
; VGPRBlocks: 4
; NumSGPRsForWavesPerEU: 107
; NumVGPRsForWavesPerEU: 40
; Occupancy: 16
; WaveLimiterHint : 1
; COMPUTE_PGM_RSRC2:SCRATCH_EN: 0
; COMPUTE_PGM_RSRC2:USER_SGPR: 6
; COMPUTE_PGM_RSRC2:TRAP_HANDLER: 0
; COMPUTE_PGM_RSRC2:TGID_X_EN: 1
; COMPUTE_PGM_RSRC2:TGID_Y_EN: 1
; COMPUTE_PGM_RSRC2:TGID_Z_EN: 1
; COMPUTE_PGM_RSRC2:TIDIG_COMP_CNT: 0
	.section	.text._ZN2at6native6mbtopk23computeBlockDigitCountsIfmjLi3EEEvNS_4cuda6detail10TensorInfoIKT_T0_EEjPjjS8_iijT1_PSB_Ps,"axG",@progbits,_ZN2at6native6mbtopk23computeBlockDigitCountsIfmjLi3EEEvNS_4cuda6detail10TensorInfoIKT_T0_EEjPjjS8_iijT1_PSB_Ps,comdat
	.protected	_ZN2at6native6mbtopk23computeBlockDigitCountsIfmjLi3EEEvNS_4cuda6detail10TensorInfoIKT_T0_EEjPjjS8_iijT1_PSB_Ps ; -- Begin function _ZN2at6native6mbtopk23computeBlockDigitCountsIfmjLi3EEEvNS_4cuda6detail10TensorInfoIKT_T0_EEjPjjS8_iijT1_PSB_Ps
	.globl	_ZN2at6native6mbtopk23computeBlockDigitCountsIfmjLi3EEEvNS_4cuda6detail10TensorInfoIKT_T0_EEjPjjS8_iijT1_PSB_Ps
	.p2align	8
	.type	_ZN2at6native6mbtopk23computeBlockDigitCountsIfmjLi3EEEvNS_4cuda6detail10TensorInfoIKT_T0_EEjPjjS8_iijT1_PSB_Ps,@function
_ZN2at6native6mbtopk23computeBlockDigitCountsIfmjLi3EEEvNS_4cuda6detail10TensorInfoIKT_T0_EEjPjjS8_iijT1_PSB_Ps: ; @_ZN2at6native6mbtopk23computeBlockDigitCountsIfmjLi3EEEvNS_4cuda6detail10TensorInfoIKT_T0_EEjPjjS8_iijT1_PSB_Ps
; %bb.0:
	s_clause 0x2
	s_load_dwordx4 s[0:3], s[4:5], 0x1c0
	s_load_dword s12, s[4:5], 0x1b0
	s_load_dwordx2 s[10:11], s[4:5], 0x1e0
	s_waitcnt lgkmcnt(0)
	v_cvt_f32_u32_e32 v1, s2
	s_mul_i32 s8, s11, s8
	s_sub_i32 s11, 0, s2
	s_add_i32 s7, s8, s7
	v_rcp_iflag_f32_e32 v1, v1
	s_mul_i32 s24, s7, s10
	s_add_i32 s24, s24, s6
	v_mul_f32_e32 v1, 0x4f7ffffe, v1
	v_cvt_u32_f32_e32 v1, v1
	v_readfirstlane_b32 s9, v1
	s_mul_i32 s11, s11, s9
	s_mul_hi_u32 s7, s9, s11
	s_add_i32 s9, s9, s7
	s_mul_hi_u32 s6, s24, s9
	s_mul_i32 s7, s6, s2
	s_add_i32 s8, s6, 1
	s_sub_i32 s7, s24, s7
	s_sub_i32 s9, s7, s2
	s_cmp_ge_u32 s7, s2
	s_cselect_b32 s6, s8, s6
	s_cselect_b32 s7, s9, s7
	s_add_i32 s8, s6, 1
	s_cmp_ge_u32 s7, s2
	s_mov_b32 s7, 0
	s_cselect_b32 s6, s8, s6
	s_cmp_ge_u32 s6, s12
	s_cbranch_scc1 .LBB196_25
; %bb.1:
	s_clause 0x1
	s_load_dwordx4 s[12:15], s[4:5], 0x10
	s_load_dwordx4 s[8:11], s[4:5], 0x1d0
	s_lshl_b64 s[16:17], s[6:7], 2
	s_mov_b64 s[20:21], 0
	s_waitcnt lgkmcnt(0)
	v_cmp_lt_u64_e64 s18, s[6:7], s[14:15]
	s_add_u32 s22, s8, s16
	s_addc_u32 s23, s9, s17
	s_mov_b64 s[8:9], 0
	s_and_b32 vcc_lo, exec_lo, s18
	s_cbranch_vccz .LBB196_15
; %bb.2:
	v_cmp_lt_u64_e64 s7, s[20:21], s[12:13]
	s_and_b32 vcc_lo, exec_lo, s7
	s_cbranch_vccz .LBB196_16
.LBB196_3:
	v_cmp_gt_u32_e32 vcc_lo, 0x100, v0
	v_lshlrev_b32_e32 v1, 2, v0
	s_and_saveexec_b32 s7, vcc_lo
.LBB196_4:
	v_mov_b32_e32 v2, 0
	ds_write_b32 v1, v2
.LBB196_5:
	s_or_b32 exec_lo, exec_lo, s7
	s_load_dword s7, s[4:5], 0x1a0
	s_mul_i32 s9, s6, s2
	s_mov_b32 s25, 0
	s_sub_i32 s9, s24, s9
	s_waitcnt lgkmcnt(0)
	s_mul_i32 s16, s1, s9
	s_add_i32 s9, s9, 1
	s_lshl_b32 s26, s16, 8
	s_barrier
	buffer_gl0_inv
	s_sub_i32 s16, s7, s26
	s_add_u32 s16, s16, 0xff
	s_addc_u32 s17, 0, 0
	s_lshr_b64 s[16:17], s[16:17], 8
	s_cmp_lt_u32 s9, s2
	s_cselect_b32 s2, s1, s16
	s_cmp_lt_i32 s2, 1
	s_cbranch_scc1 .LBB196_23
; %bb.6:
	s_clause 0x2
	s_load_dwordx2 s[28:29], s[4:5], 0xe0
	s_load_dwordx4 s[16:19], s[4:5], 0xd0
	s_load_dwordx2 s[30:31], s[4:5], 0x0
	s_load_dword s1, s[22:23], 0x0
	s_mul_i32 s9, s20, s15
	s_mul_hi_u32 s15, s20, s14
	s_mul_i32 s14, s20, s14
	s_add_i32 s15, s15, s9
	s_mul_i32 s13, s8, s13
	s_mul_hi_u32 s22, s8, s12
	s_sub_u32 s6, s6, s14
	s_subb_u32 s9, 0, s15
	s_add_i32 s22, s22, s13
	s_load_dwordx2 s[4:5], s[4:5], 0x1b8
	s_mul_i32 s12, s8, s12
	v_add_nc_u32_e32 v2, s26, v0
	s_waitcnt lgkmcnt(0)
	s_mul_i32 s13, s6, s29
	s_mul_hi_u32 s14, s6, s28
	s_mul_i32 s9, s9, s28
	s_add_i32 s13, s14, s13
	s_mul_i32 s15, s8, s17
	s_add_i32 s13, s13, s9
	s_mul_hi_u32 s17, s8, s16
	s_sub_u32 s12, s20, s12
	s_mul_i32 s8, s8, s16
	s_subb_u32 s14, s21, s22
	s_add_i32 s9, s17, s15
	s_mul_i32 s15, s12, s19
	s_mul_hi_u32 s16, s12, s18
	s_mul_i32 s14, s14, s18
	s_add_i32 s15, s16, s15
	s_lshl_b64 s[8:9], s[8:9], 2
	s_add_i32 s15, s15, s14
	s_mul_i32 s14, s12, s18
	s_add_u32 s16, s30, s8
	s_addc_u32 s17, s31, s9
	s_lshl_b64 s[8:9], s[14:15], 2
	s_mul_i32 s12, s6, s28
	s_add_u32 s6, s16, s8
	s_addc_u32 s14, s17, s9
	s_lshl_b64 s[8:9], s[12:13], 2
	s_add_u32 s8, s6, s8
	s_addc_u32 s9, s14, s9
	s_and_b32 s6, s0, 0xff
	s_cmp_eq_u32 s2, 1
	s_cbranch_scc1 .LBB196_18
; %bb.7:
	v_mov_b32_e32 v3, 1
	v_mov_b32_e32 v4, v2
	s_and_b32 s12, s2, 0x7ffffffe
	s_mov_b32 s13, 0
	s_branch .LBB196_9
.LBB196_8:                              ;   in Loop: Header=BB196_9 Depth=1
	s_or_b32 exec_lo, exec_lo, s14
	v_add_nc_u32_e32 v4, 0x200, v4
	s_add_i32 s13, s13, 2
	s_cmp_eq_u32 s12, s13
	s_cbranch_scc1 .LBB196_17
.LBB196_9:                              ; =>This Inner Loop Header: Depth=1
	s_mov_b32 s14, exec_lo
	v_cmpx_gt_u32_e64 s7, v4
	s_cbranch_execz .LBB196_12
; %bb.10:                               ;   in Loop: Header=BB196_9 Depth=1
	v_mad_u64_u32 v[5:6], null, s4, v4, 0
	v_mad_u64_u32 v[6:7], null, s5, v4, v[6:7]
	v_lshlrev_b64 v[5:6], 2, v[5:6]
	v_add_co_u32 v5, s0, s8, v5
	v_add_co_ci_u32_e64 v6, null, s9, v6, s0
	global_load_dword v5, v[5:6], off
	s_waitcnt vmcnt(0)
	v_cmp_lt_i32_e64 s0, -1, v5
	v_cndmask_b32_e64 v6, -1, 0x80000000, s0
	v_cmp_o_f32_e64 s0, v5, v5
	v_xor_b32_e32 v6, v6, v5
	v_cndmask_b32_e64 v5, -1, v6, s0
	v_xor_b32_e32 v6, s1, v5
	v_and_b32_e32 v6, s3, v6
	v_cmp_eq_u32_e64 s0, 0, v6
	s_and_b32 exec_lo, exec_lo, s0
; %bb.11:                               ;   in Loop: Header=BB196_9 Depth=1
	v_bfe_u32 v5, v5, s6, 8
	v_lshlrev_b32_e32 v5, 2, v5
	ds_add_u32 v5, v3
.LBB196_12:                             ;   in Loop: Header=BB196_9 Depth=1
	s_or_b32 exec_lo, exec_lo, s14
	v_add_nc_u32_e32 v5, 0x100, v4
	s_mov_b32 s14, exec_lo
	v_cmpx_gt_u32_e64 s7, v5
	s_cbranch_execz .LBB196_8
; %bb.13:                               ;   in Loop: Header=BB196_9 Depth=1
	v_mad_u64_u32 v[6:7], null, s4, v5, 0
	v_mad_u64_u32 v[7:8], null, s5, v5, v[7:8]
	v_lshlrev_b64 v[5:6], 2, v[6:7]
	v_add_co_u32 v5, s0, s8, v5
	v_add_co_ci_u32_e64 v6, null, s9, v6, s0
	global_load_dword v5, v[5:6], off
	s_waitcnt vmcnt(0)
	v_cmp_lt_i32_e64 s0, -1, v5
	v_cndmask_b32_e64 v6, -1, 0x80000000, s0
	v_cmp_o_f32_e64 s0, v5, v5
	v_xor_b32_e32 v6, v6, v5
	v_cndmask_b32_e64 v5, -1, v6, s0
	v_xor_b32_e32 v6, s1, v5
	v_and_b32_e32 v6, s3, v6
	v_cmp_eq_u32_e64 s0, 0, v6
	s_and_b32 exec_lo, exec_lo, s0
	s_cbranch_execz .LBB196_8
; %bb.14:                               ;   in Loop: Header=BB196_9 Depth=1
	v_bfe_u32 v5, v5, s6, 8
	v_lshlrev_b32_e32 v5, 2, v5
	ds_add_u32 v5, v3
	s_branch .LBB196_8
.LBB196_15:
	v_cvt_f32_u32_e32 v1, s14
	s_sub_i32 s9, 0, s14
	s_mov_b32 s21, 0
	v_rcp_iflag_f32_e32 v1, v1
	v_mul_f32_e32 v1, 0x4f7ffffe, v1
	v_cvt_u32_f32_e32 v1, v1
	v_readfirstlane_b32 s7, v1
	s_mul_i32 s9, s9, s7
	s_mul_hi_u32 s9, s7, s9
	s_add_i32 s7, s7, s9
	s_mul_hi_u32 s7, s6, s7
	s_mul_i32 s9, s7, s14
	s_add_i32 s16, s7, 1
	s_sub_i32 s9, s6, s9
	s_sub_i32 s17, s9, s14
	s_cmp_ge_u32 s9, s14
	s_cselect_b32 s7, s16, s7
	s_cselect_b32 s9, s17, s9
	s_add_i32 s16, s7, 1
	s_cmp_ge_u32 s9, s14
	s_cselect_b32 s20, s16, s7
	v_cmp_lt_u64_e64 s7, s[20:21], s[12:13]
	s_and_b32 vcc_lo, exec_lo, s7
	s_cbranch_vccnz .LBB196_3
.LBB196_16:
	v_cvt_f32_u32_e32 v1, s12
	s_sub_i32 s8, 0, s12
	v_rcp_iflag_f32_e32 v1, v1
	v_mul_f32_e32 v1, 0x4f7ffffe, v1
	v_cvt_u32_f32_e32 v1, v1
	v_readfirstlane_b32 s7, v1
	s_mul_i32 s8, s8, s7
	s_mul_hi_u32 s8, s7, s8
	s_add_i32 s7, s7, s8
	s_mul_hi_u32 s7, s20, s7
	s_mul_i32 s8, s7, s12
	s_add_i32 s9, s7, 1
	s_sub_i32 s8, s20, s8
	s_sub_i32 s16, s8, s12
	s_cmp_ge_u32 s8, s12
	s_cselect_b32 s7, s9, s7
	s_cselect_b32 s8, s16, s8
	s_add_i32 s9, s7, 1
	s_cmp_ge_u32 s8, s12
	s_cselect_b32 s8, s9, s7
	v_cmp_gt_u32_e32 vcc_lo, 0x100, v0
	v_lshlrev_b32_e32 v1, 2, v0
	s_and_saveexec_b32 s7, vcc_lo
	s_cbranch_execnz .LBB196_4
	s_branch .LBB196_5
.LBB196_17:
	s_lshl_b32 s25, s12, 8
.LBB196_18:
	s_bitcmp0_b32 s2, 0
	s_cbranch_scc1 .LBB196_23
; %bb.19:
	v_add_nc_u32_e32 v2, s25, v2
	s_mov_b32 s2, exec_lo
	v_cmpx_gt_u32_e64 s7, v2
	s_cbranch_execz .LBB196_22
; %bb.20:
	v_mad_u64_u32 v[3:4], null, s4, v2, 0
	v_mad_u64_u32 v[4:5], null, s5, v2, v[4:5]
	v_lshlrev_b64 v[2:3], 2, v[3:4]
	v_add_co_u32 v2, s0, s8, v2
	v_add_co_ci_u32_e64 v3, null, s9, v3, s0
	global_load_dword v2, v[2:3], off
	s_waitcnt vmcnt(0)
	v_cmp_lt_i32_e64 s0, -1, v2
	v_cndmask_b32_e64 v3, -1, 0x80000000, s0
	v_cmp_o_f32_e64 s0, v2, v2
	v_xor_b32_e32 v3, v3, v2
	v_cndmask_b32_e64 v2, -1, v3, s0
	v_xor_b32_e32 v3, s1, v2
	v_and_b32_e32 v3, s3, v3
	v_cmp_eq_u32_e64 s0, 0, v3
	s_and_b32 exec_lo, exec_lo, s0
	s_cbranch_execz .LBB196_22
; %bb.21:
	v_bfe_u32 v2, v2, s6, 8
	v_mov_b32_e32 v3, 1
	v_lshlrev_b32_e32 v2, 2, v2
	ds_add_u32 v2, v3
.LBB196_22:
	s_or_b32 exec_lo, exec_lo, s2
.LBB196_23:
	s_waitcnt lgkmcnt(0)
	s_barrier
	buffer_gl0_inv
	s_and_saveexec_b32 s0, vcc_lo
	s_cbranch_execz .LBB196_25
; %bb.24:
	ds_read_b32 v2, v1
	v_lshl_or_b32 v0, s24, 8, v0
	v_mov_b32_e32 v1, 0
	v_lshlrev_b64 v[0:1], 1, v[0:1]
	v_add_co_u32 v0, vcc_lo, s10, v0
	v_add_co_ci_u32_e64 v1, null, s11, v1, vcc_lo
	s_waitcnt lgkmcnt(0)
	global_store_short v[0:1], v2, off
.LBB196_25:
	s_endpgm
	.section	.rodata,"a",@progbits
	.p2align	6, 0x0
	.amdhsa_kernel _ZN2at6native6mbtopk23computeBlockDigitCountsIfmjLi3EEEvNS_4cuda6detail10TensorInfoIKT_T0_EEjPjjS8_iijT1_PSB_Ps
		.amdhsa_group_segment_fixed_size 1024
		.amdhsa_private_segment_fixed_size 0
		.amdhsa_kernarg_size 736
		.amdhsa_user_sgpr_count 6
		.amdhsa_user_sgpr_private_segment_buffer 1
		.amdhsa_user_sgpr_dispatch_ptr 0
		.amdhsa_user_sgpr_queue_ptr 0
		.amdhsa_user_sgpr_kernarg_segment_ptr 1
		.amdhsa_user_sgpr_dispatch_id 0
		.amdhsa_user_sgpr_flat_scratch_init 0
		.amdhsa_user_sgpr_private_segment_size 0
		.amdhsa_wavefront_size32 1
		.amdhsa_uses_dynamic_stack 0
		.amdhsa_system_sgpr_private_segment_wavefront_offset 0
		.amdhsa_system_sgpr_workgroup_id_x 1
		.amdhsa_system_sgpr_workgroup_id_y 1
		.amdhsa_system_sgpr_workgroup_id_z 1
		.amdhsa_system_sgpr_workgroup_info 0
		.amdhsa_system_vgpr_workitem_id 0
		.amdhsa_next_free_vgpr 9
		.amdhsa_next_free_sgpr 32
		.amdhsa_reserve_vcc 1
		.amdhsa_reserve_flat_scratch 0
		.amdhsa_float_round_mode_32 0
		.amdhsa_float_round_mode_16_64 0
		.amdhsa_float_denorm_mode_32 3
		.amdhsa_float_denorm_mode_16_64 3
		.amdhsa_dx10_clamp 1
		.amdhsa_ieee_mode 1
		.amdhsa_fp16_overflow 0
		.amdhsa_workgroup_processor_mode 1
		.amdhsa_memory_ordered 1
		.amdhsa_forward_progress 1
		.amdhsa_shared_vgpr_count 0
		.amdhsa_exception_fp_ieee_invalid_op 0
		.amdhsa_exception_fp_denorm_src 0
		.amdhsa_exception_fp_ieee_div_zero 0
		.amdhsa_exception_fp_ieee_overflow 0
		.amdhsa_exception_fp_ieee_underflow 0
		.amdhsa_exception_fp_ieee_inexact 0
		.amdhsa_exception_int_div_zero 0
	.end_amdhsa_kernel
	.section	.text._ZN2at6native6mbtopk23computeBlockDigitCountsIfmjLi3EEEvNS_4cuda6detail10TensorInfoIKT_T0_EEjPjjS8_iijT1_PSB_Ps,"axG",@progbits,_ZN2at6native6mbtopk23computeBlockDigitCountsIfmjLi3EEEvNS_4cuda6detail10TensorInfoIKT_T0_EEjPjjS8_iijT1_PSB_Ps,comdat
.Lfunc_end196:
	.size	_ZN2at6native6mbtopk23computeBlockDigitCountsIfmjLi3EEEvNS_4cuda6detail10TensorInfoIKT_T0_EEjPjjS8_iijT1_PSB_Ps, .Lfunc_end196-_ZN2at6native6mbtopk23computeBlockDigitCountsIfmjLi3EEEvNS_4cuda6detail10TensorInfoIKT_T0_EEjPjjS8_iijT1_PSB_Ps
                                        ; -- End function
	.set _ZN2at6native6mbtopk23computeBlockDigitCountsIfmjLi3EEEvNS_4cuda6detail10TensorInfoIKT_T0_EEjPjjS8_iijT1_PSB_Ps.num_vgpr, 9
	.set _ZN2at6native6mbtopk23computeBlockDigitCountsIfmjLi3EEEvNS_4cuda6detail10TensorInfoIKT_T0_EEjPjjS8_iijT1_PSB_Ps.num_agpr, 0
	.set _ZN2at6native6mbtopk23computeBlockDigitCountsIfmjLi3EEEvNS_4cuda6detail10TensorInfoIKT_T0_EEjPjjS8_iijT1_PSB_Ps.numbered_sgpr, 32
	.set _ZN2at6native6mbtopk23computeBlockDigitCountsIfmjLi3EEEvNS_4cuda6detail10TensorInfoIKT_T0_EEjPjjS8_iijT1_PSB_Ps.num_named_barrier, 0
	.set _ZN2at6native6mbtopk23computeBlockDigitCountsIfmjLi3EEEvNS_4cuda6detail10TensorInfoIKT_T0_EEjPjjS8_iijT1_PSB_Ps.private_seg_size, 0
	.set _ZN2at6native6mbtopk23computeBlockDigitCountsIfmjLi3EEEvNS_4cuda6detail10TensorInfoIKT_T0_EEjPjjS8_iijT1_PSB_Ps.uses_vcc, 1
	.set _ZN2at6native6mbtopk23computeBlockDigitCountsIfmjLi3EEEvNS_4cuda6detail10TensorInfoIKT_T0_EEjPjjS8_iijT1_PSB_Ps.uses_flat_scratch, 0
	.set _ZN2at6native6mbtopk23computeBlockDigitCountsIfmjLi3EEEvNS_4cuda6detail10TensorInfoIKT_T0_EEjPjjS8_iijT1_PSB_Ps.has_dyn_sized_stack, 0
	.set _ZN2at6native6mbtopk23computeBlockDigitCountsIfmjLi3EEEvNS_4cuda6detail10TensorInfoIKT_T0_EEjPjjS8_iijT1_PSB_Ps.has_recursion, 0
	.set _ZN2at6native6mbtopk23computeBlockDigitCountsIfmjLi3EEEvNS_4cuda6detail10TensorInfoIKT_T0_EEjPjjS8_iijT1_PSB_Ps.has_indirect_call, 0
	.section	.AMDGPU.csdata,"",@progbits
; Kernel info:
; codeLenInByte = 1388
; TotalNumSgprs: 34
; NumVgprs: 9
; ScratchSize: 0
; MemoryBound: 0
; FloatMode: 240
; IeeeMode: 1
; LDSByteSize: 1024 bytes/workgroup (compile time only)
; SGPRBlocks: 0
; VGPRBlocks: 1
; NumSGPRsForWavesPerEU: 34
; NumVGPRsForWavesPerEU: 9
; Occupancy: 16
; WaveLimiterHint : 1
; COMPUTE_PGM_RSRC2:SCRATCH_EN: 0
; COMPUTE_PGM_RSRC2:USER_SGPR: 6
; COMPUTE_PGM_RSRC2:TRAP_HANDLER: 0
; COMPUTE_PGM_RSRC2:TGID_X_EN: 1
; COMPUTE_PGM_RSRC2:TGID_Y_EN: 1
; COMPUTE_PGM_RSRC2:TGID_Z_EN: 1
; COMPUTE_PGM_RSRC2:TIDIG_COMP_CNT: 0
	.section	.text._ZN2at6native6mbtopk10gatherTopKIfmLi3EEEvNS_4cuda6detail10TensorInfoIKT_T0_EES8_S8_bjS8_NS5_IS6_S8_EES8_NS5_IlS8_EES8_jjPS6_PjSD_j,"axG",@progbits,_ZN2at6native6mbtopk10gatherTopKIfmLi3EEEvNS_4cuda6detail10TensorInfoIKT_T0_EES8_S8_bjS8_NS5_IS6_S8_EES8_NS5_IlS8_EES8_jjPS6_PjSD_j,comdat
	.protected	_ZN2at6native6mbtopk10gatherTopKIfmLi3EEEvNS_4cuda6detail10TensorInfoIKT_T0_EES8_S8_bjS8_NS5_IS6_S8_EES8_NS5_IlS8_EES8_jjPS6_PjSD_j ; -- Begin function _ZN2at6native6mbtopk10gatherTopKIfmLi3EEEvNS_4cuda6detail10TensorInfoIKT_T0_EES8_S8_bjS8_NS5_IS6_S8_EES8_NS5_IlS8_EES8_jjPS6_PjSD_j
	.globl	_ZN2at6native6mbtopk10gatherTopKIfmLi3EEEvNS_4cuda6detail10TensorInfoIKT_T0_EES8_S8_bjS8_NS5_IS6_S8_EES8_NS5_IlS8_EES8_jjPS6_PjSD_j
	.p2align	8
	.type	_ZN2at6native6mbtopk10gatherTopKIfmLi3EEEvNS_4cuda6detail10TensorInfoIKT_T0_EES8_S8_bjS8_NS5_IS6_S8_EES8_NS5_IlS8_EES8_jjPS6_PjSD_j,@function
_ZN2at6native6mbtopk10gatherTopKIfmLi3EEEvNS_4cuda6detail10TensorInfoIKT_T0_EES8_S8_bjS8_NS5_IS6_S8_EES8_NS5_IlS8_EES8_jjPS6_PjSD_j: ; @_ZN2at6native6mbtopk10gatherTopKIfmLi3EEEvNS_4cuda6detail10TensorInfoIKT_T0_EES8_S8_bjS8_NS5_IS6_S8_EES8_NS5_IlS8_EES8_jjPS6_PjSD_j
; %bb.0:
	s_clause 0x1
	s_load_dwordx2 s[0:1], s[4:5], 0x538
	s_load_dword s2, s[4:5], 0x530
	s_waitcnt lgkmcnt(0)
	s_mul_i32 s1, s1, s8
	s_add_i32 s1, s1, s7
	s_mul_i32 s0, s1, s0
	s_add_i32 s0, s0, s6
	s_cmp_ge_u32 s0, s2
	s_cbranch_scc1 .LBB197_54
; %bb.1:
	s_clause 0x2
	s_load_dwordx2 s[6:7], s[4:5], 0x510
	s_load_dwordx4 s[8:11], s[4:5], 0x1a0
	s_load_dwordx4 s[12:15], s[4:5], 0x10
	s_mov_b32 s35, 0
	s_waitcnt lgkmcnt(0)
	v_cvt_f32_u32_e32 v1, s7
	s_sub_i32 s2, 0, s7
	s_lshl_b32 s33, s6, 8
	v_rcp_iflag_f32_e32 v1, v1
	v_mul_f32_e32 v1, 0x4f7ffffe, v1
	v_cvt_u32_f32_e32 v1, v1
	v_readfirstlane_b32 s1, v1
	s_mul_i32 s2, s2, s1
	s_mul_hi_u32 s2, s1, s2
	s_add_i32 s1, s1, s2
	s_mul_hi_u32 s1, s0, s1
	s_mul_i32 s2, s1, s7
	s_add_i32 s3, s1, 1
	s_sub_i32 s2, s0, s2
	s_sub_i32 s16, s2, s7
	s_cmp_ge_u32 s2, s7
	s_cselect_b32 s1, s3, s1
	s_cselect_b32 s2, s16, s2
	s_add_i32 s3, s1, 1
	s_cmp_ge_u32 s2, s7
	s_cselect_b32 s34, s3, s1
	s_mul_i32 s20, s34, s7
	s_sub_i32 s72, s0, s20
	s_add_i32 s0, s72, 1
	s_cmp_lt_u32 s0, s7
	s_cbranch_scc1 .LBB197_3
; %bb.2:
	s_mul_i32 s0, s72, s33
	s_sub_u32 s0, s8, s0
	s_subb_u32 s1, s9, 0
	s_add_u32 s0, s0, 0xff
	s_addc_u32 s1, s1, 0
	s_ashr_i32 s2, s1, 31
	s_lshr_b32 s2, s2, 24
	s_add_u32 s0, s0, s2
	s_addc_u32 s1, s1, 0
	s_lshr_b64 s[0:1], s[0:1], 8
	s_mov_b32 s6, s0
.LBB197_3:
	v_cmp_lt_u64_e64 s0, s[34:35], s[14:15]
	s_mov_b64 s[48:49], 0
	s_mov_b64 s[50:51], 0
	s_and_b32 vcc_lo, exec_lo, s0
	s_cbranch_vccnz .LBB197_5
; %bb.4:
	v_cvt_f32_u32_e32 v1, s14
	s_sub_i32 s1, 0, s14
	s_mov_b32 s51, 0
	v_rcp_iflag_f32_e32 v1, v1
	v_mul_f32_e32 v1, 0x4f7ffffe, v1
	v_cvt_u32_f32_e32 v1, v1
	v_readfirstlane_b32 s0, v1
	s_mul_i32 s1, s1, s0
	s_mul_hi_u32 s1, s0, s1
	s_add_i32 s0, s0, s1
	s_mul_hi_u32 s0, s34, s0
	s_mul_i32 s1, s0, s14
	s_add_i32 s2, s0, 1
	s_sub_i32 s1, s34, s1
	s_sub_i32 s3, s1, s14
	s_cmp_ge_u32 s1, s14
	s_cselect_b32 s0, s2, s0
	s_cselect_b32 s1, s3, s1
	s_add_i32 s2, s0, 1
	s_cmp_ge_u32 s1, s14
	s_cselect_b32 s50, s2, s0
.LBB197_5:
	s_load_dwordx4 s[24:27], s[4:5], 0x1d0
	v_cmp_lt_u64_e64 s0, s[50:51], s[12:13]
	s_and_b32 vcc_lo, exec_lo, s0
	s_cbranch_vccnz .LBB197_7
; %bb.6:
	v_cvt_f32_u32_e32 v1, s12
	s_sub_i32 s1, 0, s12
	v_rcp_iflag_f32_e32 v1, v1
	v_mul_f32_e32 v1, 0x4f7ffffe, v1
	v_cvt_u32_f32_e32 v1, v1
	v_readfirstlane_b32 s0, v1
	s_mul_i32 s1, s1, s0
	s_mul_hi_u32 s1, s0, s1
	s_add_i32 s0, s0, s1
	s_mul_hi_u32 s0, s50, s0
	s_mul_i32 s1, s0, s12
	s_add_i32 s2, s0, 1
	s_sub_i32 s1, s50, s1
	s_sub_i32 s3, s1, s12
	s_cmp_ge_u32 s1, s12
	s_cselect_b32 s0, s2, s0
	s_cselect_b32 s1, s3, s1
	s_add_i32 s2, s0, 1
	s_cmp_ge_u32 s1, s12
	s_cselect_b32 s48, s2, s0
.LBB197_7:
	s_waitcnt lgkmcnt(0)
	v_cmp_lt_u64_e64 s0, s[34:35], s[26:27]
	s_mov_b64 s[52:53], 0
	s_mov_b64 s[58:59], 0
	s_and_b32 vcc_lo, exec_lo, s0
	s_cbranch_vccnz .LBB197_9
; %bb.8:
	v_cvt_f32_u32_e32 v1, s26
	s_sub_i32 s1, 0, s26
	s_mov_b32 s59, 0
	v_rcp_iflag_f32_e32 v1, v1
	v_mul_f32_e32 v1, 0x4f7ffffe, v1
	v_cvt_u32_f32_e32 v1, v1
	v_readfirstlane_b32 s0, v1
	s_mul_i32 s1, s1, s0
	s_mul_hi_u32 s1, s0, s1
	s_add_i32 s0, s0, s1
	s_mul_hi_u32 s0, s34, s0
	s_mul_i32 s1, s0, s26
	s_add_i32 s2, s0, 1
	s_sub_i32 s1, s34, s1
	s_sub_i32 s3, s1, s26
	s_cmp_ge_u32 s1, s26
	s_cselect_b32 s0, s2, s0
	s_cselect_b32 s1, s3, s1
	s_add_i32 s2, s0, 1
	s_cmp_ge_u32 s1, s26
	s_cselect_b32 s58, s2, s0
.LBB197_9:
	s_load_dwordx4 s[28:31], s[4:5], 0x378
	v_cmp_lt_u64_e64 s0, s[58:59], s[24:25]
	s_and_b32 vcc_lo, exec_lo, s0
	s_cbranch_vccnz .LBB197_11
; %bb.10:
	v_cvt_f32_u32_e32 v1, s24
	s_sub_i32 s1, 0, s24
	v_rcp_iflag_f32_e32 v1, v1
	v_mul_f32_e32 v1, 0x4f7ffffe, v1
	v_cvt_u32_f32_e32 v1, v1
	v_readfirstlane_b32 s0, v1
	s_mul_i32 s1, s1, s0
	s_mul_hi_u32 s1, s0, s1
	s_add_i32 s0, s0, s1
	s_mul_hi_u32 s0, s58, s0
	s_mul_i32 s1, s0, s24
	s_add_i32 s2, s0, 1
	s_sub_i32 s1, s58, s1
	s_sub_i32 s3, s1, s24
	s_cmp_ge_u32 s1, s24
	s_cselect_b32 s0, s2, s0
	s_cselect_b32 s1, s3, s1
	s_add_i32 s2, s0, 1
	s_cmp_ge_u32 s1, s24
	s_cselect_b32 s52, s2, s0
.LBB197_11:
	s_waitcnt lgkmcnt(0)
	v_cmp_lt_u64_e64 s0, s[34:35], s[30:31]
	s_mov_b64 s[54:55], 0
	s_mov_b64 s[62:63], 0
	s_and_b32 vcc_lo, exec_lo, s0
	s_cbranch_vccnz .LBB197_13
; %bb.12:
	v_cvt_f32_u32_e32 v1, s30
	s_sub_i32 s1, 0, s30
	s_mov_b32 s63, 0
	v_rcp_iflag_f32_e32 v1, v1
	v_mul_f32_e32 v1, 0x4f7ffffe, v1
	v_cvt_u32_f32_e32 v1, v1
	v_readfirstlane_b32 s0, v1
	s_mul_i32 s1, s1, s0
	s_mul_hi_u32 s1, s0, s1
	s_add_i32 s0, s0, s1
	s_mul_hi_u32 s0, s34, s0
	s_mul_i32 s1, s0, s30
	s_add_i32 s2, s0, 1
	s_sub_i32 s1, s34, s1
	s_sub_i32 s3, s1, s30
	s_cmp_ge_u32 s1, s30
	s_cselect_b32 s0, s2, s0
	s_cselect_b32 s1, s3, s1
	s_add_i32 s2, s0, 1
	s_cmp_ge_u32 s1, s30
	s_cselect_b32 s62, s2, s0
.LBB197_13:
	s_clause 0x5
	s_load_dwordx2 s[60:61], s[4:5], 0xe0
	s_load_dwordx4 s[44:47], s[4:5], 0xd0
	s_load_dwordx2 s[56:57], s[4:5], 0x2a0
	s_load_dwordx4 s[40:43], s[4:5], 0x290
	;; [unrolled: 2-line block ×3, first 2 shown]
	v_cmp_lt_u64_e64 s0, s[62:63], s[28:29]
	s_and_b32 vcc_lo, exec_lo, s0
	s_cbranch_vccnz .LBB197_15
; %bb.14:
	v_cvt_f32_u32_e32 v1, s28
	s_sub_i32 s1, 0, s28
	v_rcp_iflag_f32_e32 v1, v1
	v_mul_f32_e32 v1, 0x4f7ffffe, v1
	v_cvt_u32_f32_e32 v1, v1
	v_readfirstlane_b32 s0, v1
	s_mul_i32 s1, s1, s0
	s_mul_hi_u32 s1, s0, s1
	s_add_i32 s0, s0, s1
	s_mul_hi_u32 s0, s62, s0
	s_mul_i32 s1, s0, s28
	s_add_i32 s2, s0, 1
	s_sub_i32 s1, s62, s1
	s_sub_i32 s3, s1, s28
	s_cmp_ge_u32 s1, s28
	s_cselect_b32 s0, s2, s0
	s_cselect_b32 s1, s3, s1
	s_add_i32 s2, s0, 1
	s_cmp_ge_u32 s1, s28
	s_cselect_b32 s54, s2, s0
.LBB197_15:
	s_load_dwordx4 s[0:3], s[4:5], 0x518
	s_lshl_b64 s[16:17], s[34:35], 2
	s_mov_b32 s21, 0
	s_waitcnt lgkmcnt(0)
	s_add_u32 s0, s0, s16
	s_addc_u32 s1, s1, s17
	s_load_dwordx2 s[66:67], s[4:5], 0x0
	s_load_dword s35, s[0:1], 0x0
	v_cmp_ne_u32_e64 s0, 0, v0
	v_cmp_eq_u32_e64 s1, 0, v0
	s_and_saveexec_b32 s49, s1
	s_cbranch_execz .LBB197_31
; %bb.16:
	s_load_dwordx2 s[22:23], s[4:5], 0x528
	s_lshl_b64 s[68:69], s[20:21], 2
	s_mov_b32 s20, 0
	s_add_u32 s16, s2, s68
	s_addc_u32 s17, s3, s69
	s_mov_b32 s53, 0
	s_waitcnt lgkmcnt(0)
	s_add_u32 s18, s22, s68
	s_addc_u32 s19, s23, s69
	s_cmp_lt_u32 s7, 4
	s_cbranch_scc1 .LBB197_28
; %bb.17:
	s_mov_b32 s55, 0
.LBB197_18:                             ; =>This Inner Loop Header: Depth=1
	s_add_u32 s16, s2, s68
	s_addc_u32 s17, s3, s69
	s_add_u32 s70, s22, s68
	s_load_dwordx4 s[16:19], s[16:17], 0x0
	s_addc_u32 s71, s23, s69
	s_cmp_ge_u32 s55, s72
	s_cbranch_scc0 .LBB197_25
; %bb.19:                               ;   in Loop: Header=BB197_18 Depth=1
	s_add_i32 s73, s55, 1
	s_cmp_ge_u32 s73, s72
	s_cbranch_scc0 .LBB197_26
.LBB197_20:                             ;   in Loop: Header=BB197_18 Depth=1
	s_add_i32 s73, s73, 1
	s_cmp_ge_u32 s73, s72
	s_cbranch_scc0 .LBB197_27
.LBB197_21:                             ;   in Loop: Header=BB197_18 Depth=1
	s_add_i32 s73, s73, 1
	s_cmp_ge_u32 s73, s72
	s_cbranch_scc1 .LBB197_23
.LBB197_22:                             ;   in Loop: Header=BB197_18 Depth=1
	s_load_dword s70, s[70:71], 0xc
	s_waitcnt lgkmcnt(0)
	s_add_i32 s21, s21, s19
	s_add_i32 s20, s70, s20
.LBB197_23:                             ;   in Loop: Header=BB197_18 Depth=1
	s_waitcnt lgkmcnt(0)
	s_add_i32 s16, s16, s53
	s_add_i32 s16, s16, s17
	;; [unrolled: 1-line block ×4, first 2 shown]
	s_add_u32 s2, s2, 16
	s_addc_u32 s3, s3, 0
	s_add_u32 s22, s22, 16
	s_addc_u32 s23, s23, 0
	s_add_i32 s71, s73, 4
	s_add_u32 s18, s22, s68
	s_addc_u32 s19, s23, s69
	s_add_u32 s16, s2, s68
	s_addc_u32 s17, s3, s69
	s_add_i32 s70, s73, 1
	s_cmp_ge_u32 s71, s7
	s_cbranch_scc1 .LBB197_29
; %bb.24:                               ;   in Loop: Header=BB197_18 Depth=1
	s_mov_b32 s55, s70
	s_branch .LBB197_18
.LBB197_25:                             ;   in Loop: Header=BB197_18 Depth=1
	s_load_dword s73, s[70:71], 0x0
	s_waitcnt lgkmcnt(0)
	s_add_i32 s21, s16, s21
	s_add_i32 s20, s73, s20
	;; [unrolled: 1-line block ×3, first 2 shown]
	s_cmp_ge_u32 s73, s72
	s_cbranch_scc1 .LBB197_20
.LBB197_26:                             ;   in Loop: Header=BB197_18 Depth=1
	s_load_dword s74, s[70:71], 0x4
	s_waitcnt lgkmcnt(0)
	s_add_i32 s21, s21, s17
	s_add_i32 s20, s74, s20
	;; [unrolled: 1-line block ×3, first 2 shown]
	s_cmp_ge_u32 s73, s72
	s_cbranch_scc1 .LBB197_21
.LBB197_27:                             ;   in Loop: Header=BB197_18 Depth=1
	s_load_dword s74, s[70:71], 0x8
	s_waitcnt lgkmcnt(0)
	s_add_i32 s21, s21, s18
	s_add_i32 s20, s74, s20
	;; [unrolled: 1-line block ×3, first 2 shown]
	s_cmp_ge_u32 s73, s72
	s_cbranch_scc0 .LBB197_22
	s_branch .LBB197_23
.LBB197_28:
	s_mov_b32 s2, 0
	s_cmp_ge_u32 s2, s7
	s_cbranch_scc0 .LBB197_52
	s_branch .LBB197_30
.LBB197_29:
	s_add_i32 s2, s55, 4
	s_cmp_ge_u32 s2, s7
	s_cbranch_scc0 .LBB197_52
.LBB197_30:
	v_mov_b32_e32 v1, s20
	v_mov_b32_e32 v2, s53
	;; [unrolled: 1-line block ×4, first 2 shown]
	ds_write_b96 v4, v[1:3] offset:1056
.LBB197_31:
	s_or_b32 exec_lo, exec_lo, s49
	s_clause 0x1
	s_load_dwordx4 s[16:19], s[4:5], 0x1b8
	s_load_dwordx4 s[20:23], s[4:5], 0x360
	s_cmp_eq_u32 s6, 0
	s_waitcnt lgkmcnt(0)
	s_barrier
	buffer_gl0_inv
	s_cbranch_scc1 .LBB197_54
; %bb.32:
	s_mul_i32 s2, s62, s31
	s_mul_hi_u32 s3, s62, s30
	s_mul_i32 s7, s62, s30
	s_add_i32 s3, s3, s2
	s_sub_u32 s2, s34, s7
	s_subb_u32 s3, 0, s3
	s_mul_i32 s7, s2, s65
	s_mul_hi_u32 s30, s2, s64
	s_mul_i32 s3, s3, s64
	s_add_i32 s7, s30, s7
	s_mul_hi_u32 s31, s52, s40
	s_add_i32 s3, s7, s3
	s_mul_i32 s7, s52, s25
	s_mul_hi_u32 s25, s52, s24
	s_mul_i32 s24, s52, s24
	s_add_i32 s25, s25, s7
	s_sub_u32 s24, s58, s24
	s_subb_u32 s25, s59, s25
	s_mul_i32 s7, s24, s43
	s_mul_hi_u32 s30, s24, s42
	s_mul_i32 s25, s25, s42
	s_add_i32 s7, s30, s7
	s_mul_i32 s30, s52, s41
	s_add_i32 s25, s7, s25
	s_mul_i32 s7, s58, s27
	s_mul_hi_u32 s27, s58, s26
	s_mul_i32 s26, s58, s26
	s_add_i32 s31, s31, s30
	s_add_i32 s27, s27, s7
	s_sub_u32 s26, s34, s26
	s_subb_u32 s27, 0, s27
	s_mul_i32 s7, s26, s57
	s_mul_hi_u32 s30, s26, s56
	s_mul_i32 s27, s27, s56
	s_add_i32 s7, s30, s7
	s_mul_hi_u32 s41, s48, s44
	s_add_i32 s27, s7, s27
	s_mul_i32 s7, s48, s13
	s_mul_hi_u32 s13, s48, s12
	s_mul_i32 s12, s48, s12
	s_add_i32 s13, s13, s7
	s_sub_u32 s7, s50, s12
	s_subb_u32 s13, s51, s13
	s_mul_i32 s12, s7, s47
	s_mul_hi_u32 s30, s7, s46
	s_mul_i32 s13, s13, s46
	s_add_i32 s12, s30, s12
	s_mul_i32 s30, s48, s45
	s_add_i32 s13, s12, s13
	s_mul_i32 s12, s50, s15
	s_mul_hi_u32 s15, s50, s14
	s_mul_i32 s14, s50, s14
	s_add_i32 s45, s41, s30
	s_add_i32 s15, s15, s12
	s_sub_u32 s14, s34, s14
	s_subb_u32 s15, 0, s15
	s_mul_i32 s12, s14, s61
	s_mul_hi_u32 s30, s14, s60
	s_mul_i32 s15, s15, s60
	s_add_i32 s12, s30, s12
	s_mul_i32 s44, s48, s44
	s_add_i32 s15, s12, s15
	s_mul_i32 s12, s54, s29
	s_mul_hi_u32 s29, s54, s28
	s_mul_i32 s28, s54, s28
	s_add_i32 s29, s29, s12
	s_sub_u32 s28, s62, s28
	s_mul_i32 s12, s7, s46
	s_mul_i32 s7, s28, s39
	s_mul_hi_u32 s30, s28, s38
	s_subb_u32 s29, s63, s29
	s_add_i32 s7, s30, s7
	s_mul_i32 s29, s29, s38
	s_mul_hi_u32 s30, s54, s36
	s_add_i32 s29, s7, s29
	s_mul_i32 s7, s54, s37
	s_lshl_b64 s[44:45], s[44:45], 2
	s_add_i32 s37, s30, s7
	s_add_u32 s7, s66, s44
	s_addc_u32 s30, s67, s45
	s_lshl_b64 s[12:13], s[12:13], 2
	s_mul_i32 s14, s14, s60
	s_add_u32 s7, s7, s12
	v_mov_b32_e32 v5, 0
	s_addc_u32 s34, s30, s13
	s_lshl_b64 s[12:13], s[14:15], 2
	s_mul_i32 s30, s52, s40
	s_add_u32 s7, s7, s12
	s_addc_u32 s12, s34, s13
	s_lshl_b64 s[14:15], s[30:31], 2
	s_mul_i32 s24, s24, s42
	ds_read_b96 v[1:3], v5 offset:1056
	s_add_u32 s13, s18, s14
	s_addc_u32 s18, s19, s15
	s_lshl_b64 s[14:15], s[24:25], 2
	s_mul_i32 s26, s26, s56
	s_add_u32 s13, s13, s14
	s_addc_u32 s18, s18, s15
	s_lshl_b64 s[14:15], s[26:27], 2
	s_mul_i32 s36, s54, s36
	;; [unrolled: 4-line block ×3, first 2 shown]
	s_add_u32 s15, s22, s18
	s_addc_u32 s22, s23, s19
	s_lshl_b64 s[18:19], s[28:29], 3
	v_add_nc_u32_e32 v4, -1, v0
	s_add_u32 s15, s15, s18
	s_addc_u32 s18, s22, s19
	s_clause 0x1
	s_load_dword s22, s[4:5], 0x1b0
	s_load_dwordx2 s[4:5], s[4:5], 0x508
	v_lshrrev_b32_e32 v6, 3, v0
	v_lshrrev_b32_e32 v7, 3, v4
	s_waitcnt lgkmcnt(0)
	v_add_nc_u32_e32 v1, v1, v2
	s_mul_i32 s2, s2, s64
	v_and_b32_e32 v10, 0xfc, v0
	s_lshl_b64 s[2:3], s[2:3], 3
	v_and_b32_e32 v2, 28, v6
	s_add_u32 s15, s15, s2
	v_and_b32_e32 v12, 0x1ffffffc, v7
	v_mad_u64_u32 v[6:7], null, s72, s33, v[0:1]
	s_addc_u32 s18, s18, s3
	s_cmp_gt_i32 s35, -1
	v_cmp_o_f32_e64 s2, s35, s35
	v_lshlrev_b32_e32 v11, 5, v0
	v_mbcnt_lo_u32_b32 v8, -1, 0
	s_cselect_b32 s3, 0x80000000, -1
	v_lshl_add_u32 v9, v0, 2, v2
	s_xor_b32 s3, s3, s35
	s_and_b32 s2, s2, exec_lo
	v_cmp_gt_u32_e64 s2, 32, v0
	v_lshl_add_u32 v0, v4, 2, v12
	v_add_nc_u32_e32 v10, v10, v11
	v_and_b32_e32 v11, 15, v8
	v_bfe_i32 v12, v8, 4, 1
	v_add_nc_u32_e32 v13, -1, v8
	v_mov_b32_e32 v4, v6
	s_cselect_b32 s19, s3, -1
	s_bitcmp1_b32 s22, 0
                                        ; implicit-def: $vgpr14
	s_cselect_b32 s3, -1, 0
	s_branch .LBB197_35
.LBB197_33:                             ;   in Loop: Header=BB197_35 Depth=1
	s_or_b32 exec_lo, exec_lo, s22
	v_add_nc_u32_e32 v1, v2, v1
.LBB197_34:                             ;   in Loop: Header=BB197_35 Depth=1
	v_add_nc_u32_e32 v3, v15, v3
	v_add_nc_u32_e32 v4, 0x100, v4
	s_add_i32 s6, s6, -1
	s_cmp_lg_u32 s6, 0
	s_cbranch_scc0 .LBB197_54
.LBB197_35:                             ; =>This Inner Loop Header: Depth=1
	v_mov_b32_e32 v2, v5
	v_mov_b32_e32 v6, v5
	s_mov_b32 s22, exec_lo
	v_cmpx_gt_u64_e64 s[8:9], v[4:5]
	s_cbranch_execz .LBB197_37
; %bb.36:                               ;   in Loop: Header=BB197_35 Depth=1
	v_mad_u64_u32 v[6:7], null, s16, v4, 0
	v_mov_b32_e32 v2, v7
	v_mad_u64_u32 v[14:15], null, s17, v4, v[2:3]
	v_mov_b32_e32 v7, v14
	v_lshlrev_b64 v[6:7], 2, v[6:7]
	v_add_co_u32 v6, vcc_lo, s7, v6
	v_add_co_ci_u32_e64 v7, null, s12, v7, vcc_lo
	global_load_dword v14, v[6:7], off
	s_waitcnt vmcnt(0)
	v_cmp_lt_i32_e32 vcc_lo, -1, v14
	v_cndmask_b32_e64 v2, -1, 0x80000000, vcc_lo
	v_cmp_o_f32_e32 vcc_lo, v14, v14
	v_xor_b32_e32 v2, v2, v14
	v_cndmask_b32_e32 v6, -1, v2, vcc_lo
	v_cmp_lt_u32_e32 vcc_lo, s19, v6
	v_cndmask_b32_e64 v2, 0, 1, vcc_lo
	v_cmp_gt_u32_e32 vcc_lo, s19, v6
	v_cndmask_b32_e64 v7, 0, 1, vcc_lo
	v_cmp_eq_u32_e32 vcc_lo, s19, v6
	v_cndmask_b32_e64 v2, v7, v2, s3
	v_cndmask_b32_e64 v6, 0, 1, vcc_lo
	v_and_b32_e32 v2, 1, v2
.LBB197_37:                             ;   in Loop: Header=BB197_35 Depth=1
	s_or_b32 exec_lo, exec_lo, s22
	ds_write_b32 v9, v2
	s_waitcnt lgkmcnt(0)
	s_barrier
	buffer_gl0_inv
	s_and_saveexec_b32 s22, s2
	s_cbranch_execz .LBB197_39
; %bb.38:                               ;   in Loop: Header=BB197_35 Depth=1
	ds_read2_b32 v[15:16], v10 offset1:1
	ds_read2_b32 v[17:18], v10 offset0:2 offset1:3
	ds_read2_b32 v[19:20], v10 offset0:4 offset1:5
	;; [unrolled: 1-line block ×3, first 2 shown]
	v_cmp_ne_u32_e32 vcc_lo, 0, v11
	; wave barrier
	s_waitcnt lgkmcnt(3)
	v_add_nc_u32_e32 v7, v16, v15
	s_waitcnt lgkmcnt(2)
	v_add3_u32 v7, v7, v17, v18
	s_waitcnt lgkmcnt(1)
	v_add3_u32 v7, v7, v19, v20
	;; [unrolled: 2-line block ×3, first 2 shown]
	v_mov_b32_dpp v16, v7 row_shr:1 row_mask:0xf bank_mask:0xf
	v_cndmask_b32_e32 v16, 0, v16, vcc_lo
	v_cmp_lt_u32_e32 vcc_lo, 1, v11
	v_add_nc_u32_e32 v7, v16, v7
	v_mov_b32_dpp v16, v7 row_shr:2 row_mask:0xf bank_mask:0xf
	v_cndmask_b32_e32 v16, 0, v16, vcc_lo
	v_cmp_lt_u32_e32 vcc_lo, 3, v11
	v_add_nc_u32_e32 v7, v7, v16
	;; [unrolled: 4-line block ×3, first 2 shown]
	v_mov_b32_dpp v16, v7 row_shr:8 row_mask:0xf bank_mask:0xf
	v_cndmask_b32_e32 v16, 0, v16, vcc_lo
	v_cmp_gt_i32_e32 vcc_lo, 0, v13
	v_add_nc_u32_e32 v7, v7, v16
	v_cndmask_b32_e32 v17, v13, v8, vcc_lo
	ds_swizzle_b32 v16, v7 offset:swizzle(BROADCAST,32,15)
	v_lshlrev_b32_e32 v17, 2, v17
	s_waitcnt lgkmcnt(0)
	v_and_b32_e32 v16, v12, v16
	v_add_nc_u32_e32 v7, v7, v16
	ds_bpermute_b32 v7, v17, v7
	s_waitcnt lgkmcnt(0)
	v_add_nc_u32_e32 v7, v7, v15
	v_cndmask_b32_e64 v7, v7, v2, s1
	ds_write_b32 v10, v7
	; wave barrier
	ds_read2_b32 v[15:16], v10 offset0:1 offset1:2
	ds_read2_b32 v[17:18], v10 offset0:3 offset1:4
	ds_read2_b32 v[19:20], v10 offset0:5 offset1:6
	ds_read_b32 v21, v10 offset:28
	s_waitcnt lgkmcnt(3)
	v_add_nc_u32_e32 v7, v15, v7
	v_add_nc_u32_e32 v15, v16, v7
	s_waitcnt lgkmcnt(2)
	v_add_nc_u32_e32 v16, v17, v15
	v_add_nc_u32_e32 v17, v18, v16
	s_waitcnt lgkmcnt(1)
	v_add_nc_u32_e32 v18, v19, v17
	v_add_nc_u32_e32 v19, v20, v18
	s_waitcnt lgkmcnt(0)
	v_add_nc_u32_e32 v20, v21, v19
	ds_write2_b32 v10, v7, v15 offset0:1 offset1:2
	ds_write2_b32 v10, v16, v17 offset0:3 offset1:4
	;; [unrolled: 1-line block ×3, first 2 shown]
	ds_write_b32 v10, v20 offset:28
.LBB197_39:                             ;   in Loop: Header=BB197_35 Depth=1
	s_or_b32 exec_lo, exec_lo, s22
	v_mov_b32_e32 v7, 0
	s_waitcnt lgkmcnt(0)
	s_barrier
	buffer_gl0_inv
	s_and_saveexec_b32 s22, s0
; %bb.40:                               ;   in Loop: Header=BB197_35 Depth=1
	ds_read_b32 v7, v0
; %bb.41:                               ;   in Loop: Header=BB197_35 Depth=1
	s_or_b32 exec_lo, exec_lo, s22
	ds_read_b32 v15, v5 offset:1048
	s_mov_b32 s22, exec_lo
	s_waitcnt lgkmcnt(0)
	s_barrier
	buffer_gl0_inv
	v_cmpx_ne_u32_e32 0, v2
	s_cbranch_execz .LBB197_43
; %bb.42:                               ;   in Loop: Header=BB197_35 Depth=1
	v_add_nc_u32_e32 v21, v7, v3
	v_mad_u64_u32 v[16:17], null, s20, v21, 0
	v_mad_u64_u32 v[18:19], null, s4, v21, 0
	v_mov_b32_e32 v2, v17
	v_mov_b32_e32 v7, v19
	v_mad_u64_u32 v[19:20], null, s21, v21, v[2:3]
	v_mad_u64_u32 v[20:21], null, s5, v21, v[7:8]
	v_mov_b32_e32 v17, v19
	v_mov_b32_e32 v19, v20
	v_lshlrev_b64 v[16:17], 2, v[16:17]
	v_lshlrev_b64 v[18:19], 3, v[18:19]
	v_add_co_u32 v16, vcc_lo, s13, v16
	v_add_co_ci_u32_e64 v17, null, s14, v17, vcc_lo
	v_add_co_u32 v18, vcc_lo, s15, v18
	v_add_co_ci_u32_e64 v19, null, s18, v19, vcc_lo
	global_store_dword v[16:17], v14, off
	global_store_dwordx2 v[18:19], v[4:5], off
.LBB197_43:                             ;   in Loop: Header=BB197_35 Depth=1
	s_or_b32 exec_lo, exec_lo, s22
	v_mov_b32_e32 v2, v5
	v_cmp_le_u64_e32 vcc_lo, s[10:11], v[1:2]
	s_cbranch_vccnz .LBB197_34
; %bb.44:                               ;   in Loop: Header=BB197_35 Depth=1
	ds_write_b32 v9, v6
	s_waitcnt lgkmcnt(0)
	s_waitcnt_vscnt null, 0x0
	s_barrier
	buffer_gl0_inv
	s_and_saveexec_b32 s22, s2
	s_cbranch_execz .LBB197_46
; %bb.45:                               ;   in Loop: Header=BB197_35 Depth=1
	ds_read2_b32 v[16:17], v10 offset1:1
	ds_read2_b32 v[18:19], v10 offset0:2 offset1:3
	ds_read2_b32 v[20:21], v10 offset0:4 offset1:5
	;; [unrolled: 1-line block ×3, first 2 shown]
	v_cmp_ne_u32_e32 vcc_lo, 0, v11
	; wave barrier
	s_waitcnt lgkmcnt(3)
	v_add_nc_u32_e32 v2, v17, v16
	s_waitcnt lgkmcnt(2)
	v_add3_u32 v2, v2, v18, v19
	s_waitcnt lgkmcnt(1)
	v_add3_u32 v2, v2, v20, v21
	;; [unrolled: 2-line block ×3, first 2 shown]
	v_mov_b32_dpp v7, v2 row_shr:1 row_mask:0xf bank_mask:0xf
	v_cndmask_b32_e32 v7, 0, v7, vcc_lo
	v_cmp_lt_u32_e32 vcc_lo, 1, v11
	v_add_nc_u32_e32 v2, v7, v2
	v_mov_b32_dpp v7, v2 row_shr:2 row_mask:0xf bank_mask:0xf
	v_cndmask_b32_e32 v7, 0, v7, vcc_lo
	v_cmp_lt_u32_e32 vcc_lo, 3, v11
	v_add_nc_u32_e32 v2, v2, v7
	;; [unrolled: 4-line block ×3, first 2 shown]
	v_mov_b32_dpp v7, v2 row_shr:8 row_mask:0xf bank_mask:0xf
	v_cndmask_b32_e32 v7, 0, v7, vcc_lo
	v_cmp_gt_i32_e32 vcc_lo, 0, v13
	v_add_nc_u32_e32 v2, v2, v7
	v_cndmask_b32_e32 v17, v13, v8, vcc_lo
	ds_swizzle_b32 v7, v2 offset:swizzle(BROADCAST,32,15)
	v_lshlrev_b32_e32 v17, 2, v17
	s_waitcnt lgkmcnt(0)
	v_and_b32_e32 v7, v12, v7
	v_add_nc_u32_e32 v2, v2, v7
	ds_bpermute_b32 v2, v17, v2
	s_waitcnt lgkmcnt(0)
	v_add_nc_u32_e32 v2, v2, v16
	v_cndmask_b32_e64 v2, v2, v6, s1
	ds_write_b32 v10, v2
	; wave barrier
	ds_read2_b32 v[16:17], v10 offset0:1 offset1:2
	ds_read2_b32 v[18:19], v10 offset0:3 offset1:4
	;; [unrolled: 1-line block ×3, first 2 shown]
	ds_read_b32 v7, v10 offset:28
	s_waitcnt lgkmcnt(3)
	v_add_nc_u32_e32 v2, v16, v2
	v_add_nc_u32_e32 v16, v17, v2
	s_waitcnt lgkmcnt(2)
	v_add_nc_u32_e32 v17, v18, v16
	v_add_nc_u32_e32 v18, v19, v17
	;; [unrolled: 3-line block ×3, first 2 shown]
	s_waitcnt lgkmcnt(0)
	v_add_nc_u32_e32 v7, v7, v20
	ds_write2_b32 v10, v2, v16 offset0:1 offset1:2
	ds_write2_b32 v10, v17, v18 offset0:3 offset1:4
	;; [unrolled: 1-line block ×3, first 2 shown]
	ds_write_b32 v10, v7 offset:28
.LBB197_46:                             ;   in Loop: Header=BB197_35 Depth=1
	s_or_b32 exec_lo, exec_lo, s22
	v_mov_b32_e32 v7, 0
	s_waitcnt lgkmcnt(0)
	s_barrier
	buffer_gl0_inv
	s_and_saveexec_b32 s22, s0
; %bb.47:                               ;   in Loop: Header=BB197_35 Depth=1
	ds_read_b32 v7, v0
; %bb.48:                               ;   in Loop: Header=BB197_35 Depth=1
	s_or_b32 exec_lo, exec_lo, s22
	ds_read_b32 v2, v5 offset:1048
	s_mov_b32 s22, exec_lo
	s_waitcnt lgkmcnt(0)
	s_barrier
	buffer_gl0_inv
	v_cmpx_ne_u32_e32 0, v6
	s_cbranch_execz .LBB197_33
; %bb.49:                               ;   in Loop: Header=BB197_35 Depth=1
	v_add_nc_u32_e32 v6, v7, v1
	v_mov_b32_e32 v7, v5
	v_cmp_gt_u64_e32 vcc_lo, s[10:11], v[6:7]
	s_and_b32 exec_lo, exec_lo, vcc_lo
	s_cbranch_execz .LBB197_33
; %bb.50:                               ;   in Loop: Header=BB197_35 Depth=1
	v_mad_u64_u32 v[16:17], null, s20, v6, 0
	v_mad_u64_u32 v[18:19], null, s4, v6, 0
	v_mov_b32_e32 v7, v17
	v_mov_b32_e32 v17, v19
	v_mad_u64_u32 v[19:20], null, s21, v6, v[7:8]
	v_mad_u64_u32 v[6:7], null, s5, v6, v[17:18]
	v_mov_b32_e32 v17, v19
	v_mov_b32_e32 v19, v6
	v_lshlrev_b64 v[6:7], 2, v[16:17]
	v_lshlrev_b64 v[16:17], 3, v[18:19]
	v_add_co_u32 v6, vcc_lo, s13, v6
	v_add_co_ci_u32_e64 v7, null, s14, v7, vcc_lo
	v_add_co_u32 v16, vcc_lo, s15, v16
	v_add_co_ci_u32_e64 v17, null, s18, v17, vcc_lo
	global_store_dword v[6:7], v14, off
	global_store_dwordx2 v[16:17], v[4:5], off
	s_branch .LBB197_33
	.p2align	6
.LBB197_51:                             ;   in Loop: Header=BB197_52 Depth=1
	s_add_u32 s16, s16, 4
	s_addc_u32 s17, s17, 0
	s_waitcnt lgkmcnt(0)
	s_add_i32 s53, s3, s53
	s_add_u32 s18, s18, 4
	s_addc_u32 s19, s19, 0
	s_add_i32 s2, s2, 1
	s_cmp_lt_u32 s2, s7
	s_cbranch_scc0 .LBB197_30
.LBB197_52:                             ; =>This Inner Loop Header: Depth=1
	s_load_dword s3, s[16:17], 0x0
	s_cmp_ge_u32 s2, s72
	s_cbranch_scc1 .LBB197_51
; %bb.53:                               ;   in Loop: Header=BB197_52 Depth=1
	s_load_dword s22, s[18:19], 0x0
	s_waitcnt lgkmcnt(0)
	s_add_i32 s21, s3, s21
	s_add_i32 s20, s22, s20
	s_branch .LBB197_51
.LBB197_54:
	s_endpgm
	.section	.rodata,"a",@progbits
	.p2align	6, 0x0
	.amdhsa_kernel _ZN2at6native6mbtopk10gatherTopKIfmLi3EEEvNS_4cuda6detail10TensorInfoIKT_T0_EES8_S8_bjS8_NS5_IS6_S8_EES8_NS5_IlS8_EES8_jjPS6_PjSD_j
		.amdhsa_group_segment_fixed_size 1068
		.amdhsa_private_segment_fixed_size 0
		.amdhsa_kernarg_size 1592
		.amdhsa_user_sgpr_count 6
		.amdhsa_user_sgpr_private_segment_buffer 1
		.amdhsa_user_sgpr_dispatch_ptr 0
		.amdhsa_user_sgpr_queue_ptr 0
		.amdhsa_user_sgpr_kernarg_segment_ptr 1
		.amdhsa_user_sgpr_dispatch_id 0
		.amdhsa_user_sgpr_flat_scratch_init 0
		.amdhsa_user_sgpr_private_segment_size 0
		.amdhsa_wavefront_size32 1
		.amdhsa_uses_dynamic_stack 0
		.amdhsa_system_sgpr_private_segment_wavefront_offset 0
		.amdhsa_system_sgpr_workgroup_id_x 1
		.amdhsa_system_sgpr_workgroup_id_y 1
		.amdhsa_system_sgpr_workgroup_id_z 1
		.amdhsa_system_sgpr_workgroup_info 0
		.amdhsa_system_vgpr_workitem_id 0
		.amdhsa_next_free_vgpr 24
		.amdhsa_next_free_sgpr 75
		.amdhsa_reserve_vcc 1
		.amdhsa_reserve_flat_scratch 0
		.amdhsa_float_round_mode_32 0
		.amdhsa_float_round_mode_16_64 0
		.amdhsa_float_denorm_mode_32 3
		.amdhsa_float_denorm_mode_16_64 3
		.amdhsa_dx10_clamp 1
		.amdhsa_ieee_mode 1
		.amdhsa_fp16_overflow 0
		.amdhsa_workgroup_processor_mode 1
		.amdhsa_memory_ordered 1
		.amdhsa_forward_progress 1
		.amdhsa_shared_vgpr_count 0
		.amdhsa_exception_fp_ieee_invalid_op 0
		.amdhsa_exception_fp_denorm_src 0
		.amdhsa_exception_fp_ieee_div_zero 0
		.amdhsa_exception_fp_ieee_overflow 0
		.amdhsa_exception_fp_ieee_underflow 0
		.amdhsa_exception_fp_ieee_inexact 0
		.amdhsa_exception_int_div_zero 0
	.end_amdhsa_kernel
	.section	.text._ZN2at6native6mbtopk10gatherTopKIfmLi3EEEvNS_4cuda6detail10TensorInfoIKT_T0_EES8_S8_bjS8_NS5_IS6_S8_EES8_NS5_IlS8_EES8_jjPS6_PjSD_j,"axG",@progbits,_ZN2at6native6mbtopk10gatherTopKIfmLi3EEEvNS_4cuda6detail10TensorInfoIKT_T0_EES8_S8_bjS8_NS5_IS6_S8_EES8_NS5_IlS8_EES8_jjPS6_PjSD_j,comdat
.Lfunc_end197:
	.size	_ZN2at6native6mbtopk10gatherTopKIfmLi3EEEvNS_4cuda6detail10TensorInfoIKT_T0_EES8_S8_bjS8_NS5_IS6_S8_EES8_NS5_IlS8_EES8_jjPS6_PjSD_j, .Lfunc_end197-_ZN2at6native6mbtopk10gatherTopKIfmLi3EEEvNS_4cuda6detail10TensorInfoIKT_T0_EES8_S8_bjS8_NS5_IS6_S8_EES8_NS5_IlS8_EES8_jjPS6_PjSD_j
                                        ; -- End function
	.set _ZN2at6native6mbtopk10gatherTopKIfmLi3EEEvNS_4cuda6detail10TensorInfoIKT_T0_EES8_S8_bjS8_NS5_IS6_S8_EES8_NS5_IlS8_EES8_jjPS6_PjSD_j.num_vgpr, 24
	.set _ZN2at6native6mbtopk10gatherTopKIfmLi3EEEvNS_4cuda6detail10TensorInfoIKT_T0_EES8_S8_bjS8_NS5_IS6_S8_EES8_NS5_IlS8_EES8_jjPS6_PjSD_j.num_agpr, 0
	.set _ZN2at6native6mbtopk10gatherTopKIfmLi3EEEvNS_4cuda6detail10TensorInfoIKT_T0_EES8_S8_bjS8_NS5_IS6_S8_EES8_NS5_IlS8_EES8_jjPS6_PjSD_j.numbered_sgpr, 75
	.set _ZN2at6native6mbtopk10gatherTopKIfmLi3EEEvNS_4cuda6detail10TensorInfoIKT_T0_EES8_S8_bjS8_NS5_IS6_S8_EES8_NS5_IlS8_EES8_jjPS6_PjSD_j.num_named_barrier, 0
	.set _ZN2at6native6mbtopk10gatherTopKIfmLi3EEEvNS_4cuda6detail10TensorInfoIKT_T0_EES8_S8_bjS8_NS5_IS6_S8_EES8_NS5_IlS8_EES8_jjPS6_PjSD_j.private_seg_size, 0
	.set _ZN2at6native6mbtopk10gatherTopKIfmLi3EEEvNS_4cuda6detail10TensorInfoIKT_T0_EES8_S8_bjS8_NS5_IS6_S8_EES8_NS5_IlS8_EES8_jjPS6_PjSD_j.uses_vcc, 1
	.set _ZN2at6native6mbtopk10gatherTopKIfmLi3EEEvNS_4cuda6detail10TensorInfoIKT_T0_EES8_S8_bjS8_NS5_IS6_S8_EES8_NS5_IlS8_EES8_jjPS6_PjSD_j.uses_flat_scratch, 0
	.set _ZN2at6native6mbtopk10gatherTopKIfmLi3EEEvNS_4cuda6detail10TensorInfoIKT_T0_EES8_S8_bjS8_NS5_IS6_S8_EES8_NS5_IlS8_EES8_jjPS6_PjSD_j.has_dyn_sized_stack, 0
	.set _ZN2at6native6mbtopk10gatherTopKIfmLi3EEEvNS_4cuda6detail10TensorInfoIKT_T0_EES8_S8_bjS8_NS5_IS6_S8_EES8_NS5_IlS8_EES8_jjPS6_PjSD_j.has_recursion, 0
	.set _ZN2at6native6mbtopk10gatherTopKIfmLi3EEEvNS_4cuda6detail10TensorInfoIKT_T0_EES8_S8_bjS8_NS5_IS6_S8_EES8_NS5_IlS8_EES8_jjPS6_PjSD_j.has_indirect_call, 0
	.section	.AMDGPU.csdata,"",@progbits
; Kernel info:
; codeLenInByte = 3536
; TotalNumSgprs: 77
; NumVgprs: 24
; ScratchSize: 0
; MemoryBound: 0
; FloatMode: 240
; IeeeMode: 1
; LDSByteSize: 1068 bytes/workgroup (compile time only)
; SGPRBlocks: 0
; VGPRBlocks: 2
; NumSGPRsForWavesPerEU: 77
; NumVGPRsForWavesPerEU: 24
; Occupancy: 16
; WaveLimiterHint : 1
; COMPUTE_PGM_RSRC2:SCRATCH_EN: 0
; COMPUTE_PGM_RSRC2:USER_SGPR: 6
; COMPUTE_PGM_RSRC2:TRAP_HANDLER: 0
; COMPUTE_PGM_RSRC2:TGID_X_EN: 1
; COMPUTE_PGM_RSRC2:TGID_Y_EN: 1
; COMPUTE_PGM_RSRC2:TGID_Z_EN: 1
; COMPUTE_PGM_RSRC2:TIDIG_COMP_CNT: 0
	.section	.text._ZN2at6native6sbtopk10gatherTopKIfmLi3ELb0EEEvNS_4cuda6detail10TensorInfoIKT_T0_EES8_S8_bS8_S8_NS5_IS6_S8_EES8_NS5_IlS8_EES8_PS6_,"axG",@progbits,_ZN2at6native6sbtopk10gatherTopKIfmLi3ELb0EEEvNS_4cuda6detail10TensorInfoIKT_T0_EES8_S8_bS8_S8_NS5_IS6_S8_EES8_NS5_IlS8_EES8_PS6_,comdat
	.protected	_ZN2at6native6sbtopk10gatherTopKIfmLi3ELb0EEEvNS_4cuda6detail10TensorInfoIKT_T0_EES8_S8_bS8_S8_NS5_IS6_S8_EES8_NS5_IlS8_EES8_PS6_ ; -- Begin function _ZN2at6native6sbtopk10gatherTopKIfmLi3ELb0EEEvNS_4cuda6detail10TensorInfoIKT_T0_EES8_S8_bS8_S8_NS5_IS6_S8_EES8_NS5_IlS8_EES8_PS6_
	.globl	_ZN2at6native6sbtopk10gatherTopKIfmLi3ELb0EEEvNS_4cuda6detail10TensorInfoIKT_T0_EES8_S8_bS8_S8_NS5_IS6_S8_EES8_NS5_IlS8_EES8_PS6_
	.p2align	8
	.type	_ZN2at6native6sbtopk10gatherTopKIfmLi3ELb0EEEvNS_4cuda6detail10TensorInfoIKT_T0_EES8_S8_bS8_S8_NS5_IS6_S8_EES8_NS5_IlS8_EES8_PS6_,@function
_ZN2at6native6sbtopk10gatherTopKIfmLi3ELb0EEEvNS_4cuda6detail10TensorInfoIKT_T0_EES8_S8_bS8_S8_NS5_IS6_S8_EES8_NS5_IlS8_EES8_PS6_: ; @_ZN2at6native6sbtopk10gatherTopKIfmLi3ELb0EEEvNS_4cuda6detail10TensorInfoIKT_T0_EES8_S8_bS8_S8_NS5_IS6_S8_EES8_NS5_IlS8_EES8_PS6_
; %bb.0:
	s_clause 0x1
	s_load_dwordx2 s[18:19], s[4:5], 0x520
	s_load_dwordx4 s[24:27], s[4:5], 0x1b8
	s_add_u32 s16, s4, 0x520
	s_addc_u32 s17, s5, 0
	s_mov_b32 s35, 0
	s_waitcnt lgkmcnt(0)
	s_mul_i32 s0, s19, s8
	s_add_i32 s0, s0, s7
	s_mul_i32 s0, s0, s18
	s_add_i32 s34, s0, s6
	v_cmp_le_u64_e64 s0, s[24:25], s[34:35]
	s_and_b32 vcc_lo, exec_lo, s0
	s_cbranch_vccnz .LBB198_495
; %bb.1:
	s_load_dwordx4 s[8:11], s[4:5], 0x10
	s_mov_b64 s[0:1], 0
	s_mov_b64 s[20:21], 0
	s_waitcnt lgkmcnt(0)
	v_cmp_lt_u64_e64 s2, s[34:35], s[10:11]
	s_and_b32 vcc_lo, exec_lo, s2
	s_cbranch_vccnz .LBB198_3
; %bb.2:
	v_cvt_f32_u32_e32 v1, s10
	s_sub_i32 s2, 0, s10
	s_mov_b32 s21, 0
	v_rcp_iflag_f32_e32 v1, v1
	v_mul_f32_e32 v1, 0x4f7ffffe, v1
	v_cvt_u32_f32_e32 v1, v1
	v_readfirstlane_b32 s1, v1
	s_mul_i32 s2, s2, s1
	s_mul_hi_u32 s2, s1, s2
	s_add_i32 s1, s1, s2
	s_mul_hi_u32 s1, s34, s1
	s_mul_i32 s2, s1, s10
	s_add_i32 s3, s1, 1
	s_sub_i32 s2, s34, s2
	s_sub_i32 s7, s2, s10
	s_cmp_ge_u32 s2, s10
	s_cselect_b32 s1, s3, s1
	s_cselect_b32 s2, s7, s2
	s_add_i32 s3, s1, 1
	s_cmp_ge_u32 s2, s10
	s_cselect_b32 s20, s3, s1
.LBB198_3:
	s_load_dwordx4 s[36:39], s[4:5], 0x1d8
	v_cmp_lt_u64_e64 s1, s[20:21], s[8:9]
	s_and_b32 vcc_lo, exec_lo, s1
	s_cbranch_vccnz .LBB198_5
; %bb.4:
	v_cvt_f32_u32_e32 v1, s8
	s_sub_i32 s1, 0, s8
	v_rcp_iflag_f32_e32 v1, v1
	v_mul_f32_e32 v1, 0x4f7ffffe, v1
	v_cvt_u32_f32_e32 v1, v1
	v_readfirstlane_b32 s0, v1
	s_mul_i32 s1, s1, s0
	s_mul_hi_u32 s1, s0, s1
	s_add_i32 s0, s0, s1
	s_mul_hi_u32 s0, s20, s0
	s_mul_i32 s1, s0, s8
	s_add_i32 s2, s0, 1
	s_sub_i32 s1, s20, s1
	s_sub_i32 s3, s1, s8
	s_cmp_ge_u32 s1, s8
	s_cselect_b32 s0, s2, s0
	s_cselect_b32 s1, s3, s1
	s_add_i32 s2, s0, 1
	s_cmp_ge_u32 s1, s8
	s_cselect_b32 s0, s2, s0
.LBB198_5:
	s_waitcnt lgkmcnt(0)
	v_cmp_lt_u64_e64 s1, s[34:35], s[38:39]
	s_mov_b64 s[12:13], 0
	s_mov_b64 s[54:55], 0
	s_and_b32 vcc_lo, exec_lo, s1
	s_cbranch_vccnz .LBB198_7
; %bb.6:
	v_cvt_f32_u32_e32 v1, s38
	s_sub_i32 s2, 0, s38
	s_mov_b32 s55, 0
	v_rcp_iflag_f32_e32 v1, v1
	v_mul_f32_e32 v1, 0x4f7ffffe, v1
	v_cvt_u32_f32_e32 v1, v1
	v_readfirstlane_b32 s1, v1
	s_mul_i32 s2, s2, s1
	s_mul_hi_u32 s2, s1, s2
	s_add_i32 s1, s1, s2
	s_mul_hi_u32 s1, s34, s1
	s_mul_i32 s2, s1, s38
	s_add_i32 s3, s1, 1
	s_sub_i32 s2, s34, s2
	s_sub_i32 s7, s2, s38
	s_cmp_ge_u32 s2, s38
	s_cselect_b32 s1, s3, s1
	s_cselect_b32 s2, s7, s2
	s_add_i32 s3, s1, 1
	s_cmp_ge_u32 s2, s38
	s_cselect_b32 s54, s3, s1
.LBB198_7:
	s_load_dwordx4 s[40:43], s[4:5], 0x380
	v_cmp_lt_u64_e64 s1, s[54:55], s[36:37]
	s_and_b32 vcc_lo, exec_lo, s1
	s_cbranch_vccnz .LBB198_9
; %bb.8:
	v_cvt_f32_u32_e32 v1, s36
	s_sub_i32 s2, 0, s36
	v_rcp_iflag_f32_e32 v1, v1
	v_mul_f32_e32 v1, 0x4f7ffffe, v1
	v_cvt_u32_f32_e32 v1, v1
	v_readfirstlane_b32 s1, v1
	s_mul_i32 s2, s2, s1
	s_mul_hi_u32 s2, s1, s2
	s_add_i32 s1, s1, s2
	s_mul_hi_u32 s1, s54, s1
	s_mul_i32 s2, s1, s36
	s_add_i32 s3, s1, 1
	s_sub_i32 s2, s54, s2
	s_sub_i32 s7, s2, s36
	s_cmp_ge_u32 s2, s36
	s_cselect_b32 s1, s3, s1
	s_cselect_b32 s2, s7, s2
	s_add_i32 s3, s1, 1
	s_cmp_ge_u32 s2, s36
	s_cselect_b32 s12, s3, s1
.LBB198_9:
                                        ; implicit-def: $vgpr39 : SGPR spill to VGPR lane
	s_waitcnt lgkmcnt(0)
	v_cmp_lt_u64_e64 s1, s[34:35], s[42:43]
	v_writelane_b32 v39, s12, 0
	s_mov_b64 s[28:29], 0
	s_mov_b64 s[62:63], 0
	v_writelane_b32 v39, s13, 1
	s_clause 0x1
	s_load_dwordx2 s[22:23], s[4:5], 0xe0
	s_load_dwordx4 s[12:15], s[4:5], 0xd0
	s_and_b32 vcc_lo, exec_lo, s1
	s_cbranch_vccnz .LBB198_11
; %bb.10:
	v_cvt_f32_u32_e32 v1, s42
	s_sub_i32 s2, 0, s42
	s_mov_b32 s63, 0
	v_rcp_iflag_f32_e32 v1, v1
	v_mul_f32_e32 v1, 0x4f7ffffe, v1
	v_cvt_u32_f32_e32 v1, v1
	v_readfirstlane_b32 s1, v1
	s_mul_i32 s2, s2, s1
	s_mul_hi_u32 s2, s1, s2
	s_add_i32 s1, s1, s2
	s_mul_hi_u32 s1, s34, s1
	s_mul_i32 s2, s1, s42
	s_add_i32 s3, s1, 1
	s_sub_i32 s2, s34, s2
	s_sub_i32 s7, s2, s42
	s_cmp_ge_u32 s2, s42
	s_cselect_b32 s1, s3, s1
	s_cselect_b32 s2, s7, s2
	s_add_i32 s3, s1, 1
	s_cmp_ge_u32 s2, s42
	s_cselect_b32 s62, s3, s1
.LBB198_11:
	s_load_dwordx2 s[24:25], s[4:5], 0x0
	v_cmp_lt_u64_e64 s1, s[62:63], s[40:41]
	s_and_b32 vcc_lo, exec_lo, s1
	s_cbranch_vccnz .LBB198_13
; %bb.12:
	v_cvt_f32_u32_e32 v1, s40
	s_sub_i32 s2, 0, s40
	v_rcp_iflag_f32_e32 v1, v1
	v_mul_f32_e32 v1, 0x4f7ffffe, v1
	v_cvt_u32_f32_e32 v1, v1
	v_readfirstlane_b32 s1, v1
	s_mul_i32 s2, s2, s1
	s_mul_hi_u32 s2, s1, s2
	s_add_i32 s1, s1, s2
	s_mul_hi_u32 s1, s62, s1
	s_mul_i32 s2, s1, s40
	s_add_i32 s3, s1, 1
	s_sub_i32 s2, s62, s2
	s_sub_i32 s7, s2, s40
	s_cmp_ge_u32 s2, s40
	s_cselect_b32 s1, s3, s1
	s_cselect_b32 s2, s7, s2
	s_add_i32 s3, s1, 1
	s_cmp_ge_u32 s2, s40
	s_cselect_b32 s28, s3, s1
.LBB198_13:
	s_load_dwordx2 s[2:3], s[4:5], 0x370
	v_writelane_b32 v39, s28, 2
	s_mov_b32 s69, 0
	v_writelane_b32 v39, s29, 3
	s_load_dwordx4 s[28:31], s[4:5], 0x1a0
	s_waitcnt lgkmcnt(0)
	v_writelane_b32 v39, s2, 4
	v_writelane_b32 v39, s3, 5
	v_cmp_eq_u32_e64 s3, 0, v0
	s_and_saveexec_b32 s1, s3
	s_cbranch_execz .LBB198_15
; %bb.14:
	v_mov_b32_e32 v1, 0
	v_mov_b32_e32 v3, s28
	v_mov_b32_e32 v4, s29
	v_mov_b32_e32 v2, v1
	ds_write_b32 v1, v1 offset:5144
	ds_write_b128 v1, v[1:4] offset:5120
.LBB198_15:
	s_or_b32 exec_lo, exec_lo, s1
	s_mul_i32 s1, s0, s9
	s_mul_hi_u32 s2, s0, s8
	s_mul_i32 s7, s0, s8
	s_add_i32 s2, s2, s1
	s_sub_u32 s7, s20, s7
	s_subb_u32 s2, s21, s2
	s_mul_i32 s1, s7, s15
	s_mul_hi_u32 s8, s7, s14
	s_mul_i32 s2, s2, s14
	s_add_i32 s1, s8, s1
	s_mul_i32 s8, s0, s13
	s_mul_hi_u32 s13, s0, s12
	s_add_i32 s9, s1, s2
	s_add_i32 s1, s13, s8
	s_mul_i32 s2, s20, s11
	s_mul_hi_u32 s8, s20, s10
	s_mul_i32 s10, s20, s10
	s_add_i32 s2, s8, s2
	s_sub_u32 s10, s34, s10
	s_mul_i32 s8, s7, s14
	s_mul_i32 s7, s10, s23
	s_mul_hi_u32 s11, s10, s22
	s_subb_u32 s2, 0, s2
	s_mul_i32 s0, s0, s12
	s_add_i32 s7, s11, s7
	s_mul_i32 s2, s2, s22
	s_lshl_b64 s[0:1], s[0:1], 2
	s_add_i32 s11, s7, s2
	s_add_u32 s7, s24, s0
	s_addc_u32 s12, s25, s1
	s_lshl_b64 s[0:1], s[8:9], 2
	s_mul_i32 s10, s10, s22
	s_add_u32 s7, s7, s0
	s_load_dword s2, s[4:5], 0x1b0
	s_addc_u32 s8, s12, s1
	s_lshl_b64 s[0:1], s[10:11], 2
	s_waitcnt lgkmcnt(0)
	s_add_u32 s33, s7, s0
	s_barrier
	buffer_gl0_inv
	s_load_dword s7, s[16:17], 0xc
	v_mad_u64_u32 v[2:3], null, s26, v0, 0
	v_mbcnt_lo_u32_b32 v24, -1, 0
	s_addc_u32 s35, s8, s1
	v_cmp_gt_u32_e32 vcc_lo, 32, v0
	v_mov_b32_e32 v13, 0
	v_lshlrev_b32_e32 v14, 2, v0
	v_cmp_gt_i32_e64 s1, 4, v24
	v_mov_b32_e32 v1, v3
	v_cmp_lt_u64_e64 s89, 0x300, s[28:29]
	v_mov_b32_e32 v19, s30
	v_cmp_eq_u32_e64 s0, 0, v24
	s_bitcmp1_b32 s2, 0
	v_mad_u64_u32 v[3:4], null, s27, v0, v[1:2]
	s_cselect_b32 s2, -1, 0
	s_and_b32 s88, vcc_lo, s1
	s_xor_b32 s57, s2, -1
	v_mov_b32_e32 v1, v13
	s_waitcnt lgkmcnt(0)
	s_and_b32 s53, s7, 0xffff
	s_bfe_u32 s7, s7, 0xb0005
	s_bfe_u32 s8, s53, 0x80008
	v_lshlrev_b64 v[2:3], 2, v[2:3]
	s_lshl_b32 s90, s8, 3
	s_cmp_gt_u32 s53, 31
	v_cmp_gt_u64_e64 s1, s[28:29], v[0:1]
	s_cselect_b32 s91, -1, 0
	s_add_u32 s92, s53, -1
	s_addc_u32 s93, 0, -1
	s_add_u32 s94, s92, s28
	s_addc_u32 s71, s93, s29
	s_cmp_lt_u32 s6, s18
	v_add_co_u32 v10, vcc_lo, s33, v2
	s_cselect_b32 s6, 12, 18
	v_add_co_ci_u32_e64 v11, null, s35, v3, vcc_lo
	s_add_u32 s72, s16, s6
	v_lshlrev_b64 v[2:3], v24, -1
	s_addc_u32 s73, s17, 0
	s_add_i32 s7, s7, -1
	s_bfe_u32 s95, s53, 0x30005
	s_and_b32 s6, s7, 0xffff
	v_mov_b32_e32 v15, v13
	s_cmp_gt_u32 s6, 6
	s_movk_i32 s6, 0x3e0
	v_cmp_gt_u32_e64 s8, 2, v0
	v_add_nc_u32_e32 v26, 0xc00, v14
	v_not_b32_e32 v23, v2
	v_and_or_b32 v27, v0, s6, 0xc00
	v_lshlrev_b32_e32 v28, 4, v0
	v_lshl_or_b32 v29, v24, 3, 0xc00
	v_mov_b32_e32 v20, s31
	v_mov_b32_e32 v16, 1.0
	v_mov_b32_e32 v18, 0
	v_mov_b32_e32 v25, 0
	;; [unrolled: 1-line block ×3, first 2 shown]
	s_cselect_b32 s96, -1, 0
	s_cmp_lg_u32 s95, 0
	s_mov_b32 s61, 30
	s_cselect_b32 s97, -1, 0
	s_lshl_b32 s98, s53, 2
	s_mov_b32 s99, 0
	s_mov_b32 vcc_hi, 0
                                        ; implicit-def: $sgpr104
                                        ; implicit-def: $sgpr60
                                        ; implicit-def: $sgpr67
                                        ; implicit-def: $sgpr48
                                        ; implicit-def: $sgpr66
                                        ; implicit-def: $sgpr64
                                        ; implicit-def: $sgpr65
                                        ; implicit-def: $sgpr49
                                        ; implicit-def: $sgpr51
                                        ; implicit-def: $sgpr50
	s_branch .LBB198_18
.LBB198_16:                             ;   in Loop: Header=BB198_18 Depth=1
	s_or_b32 exec_lo, exec_lo, s10
	v_mov_b32_e32 v20, v3
	v_mov_b32_e32 v19, v2
	s_andn2_b32 s10, s50, exec_lo
	s_and_b32 s9, s9, exec_lo
	s_andn2_b32 s51, s51, exec_lo
	s_or_b32 s50, s10, s9
	s_andn2_b32 s49, s49, exec_lo
	s_andn2_b32 s65, s65, exec_lo
	;; [unrolled: 1-line block ×3, first 2 shown]
	s_orn2_b32 s7, s7, exec_lo
.LBB198_17:                             ;   in Loop: Header=BB198_18 Depth=1
	s_or_b32 exec_lo, exec_lo, s6
	s_and_b32 s6, exec_lo, s7
	s_or_b32 s99, s6, s99
	s_andn2_b32 s6, s66, exec_lo
	s_and_b32 s7, s50, exec_lo
	s_andn2_b32 s9, s48, exec_lo
	s_or_b32 s66, s6, s7
	s_and_b32 s6, s51, exec_lo
	s_andn2_b32 s7, s67, exec_lo
	s_and_b32 s10, s49, exec_lo
	s_or_b32 s48, s9, s6
	s_or_b32 s67, s7, s10
	s_andn2_b32 s6, s60, exec_lo
	s_and_b32 s7, s65, exec_lo
	s_andn2_b32 s9, s104, exec_lo
	s_and_b32 s10, s64, exec_lo
	s_or_b32 s60, s6, s7
	s_or_b32 s104, s9, s10
	s_andn2_b32 exec_lo, exec_lo, s99
	s_cbranch_execz .LBB198_491
.LBB198_18:                             ; =>This Loop Header: Depth=1
                                        ;     Child Loop BB198_24 Depth 2
                                        ;     Child Loop BB198_37 Depth 2
	;; [unrolled: 1-line block ×24, first 2 shown]
	ds_read_b128 v[2:5], v13 offset:5120
	s_waitcnt lgkmcnt(0)
	v_readfirstlane_b32 s75, v3
	v_readfirstlane_b32 s74, v2
	s_cmp_lg_u64 s[74:75], 0
	s_cbranch_scc1 .LBB198_45
; %bb.19:                               ;   in Loop: Header=BB198_18 Depth=1
	s_and_b32 vcc_lo, exec_lo, s89
	s_cbranch_vccz .LBB198_32
; %bb.20:                               ;   in Loop: Header=BB198_18 Depth=1
	v_cmp_gt_u64_e32 vcc_lo, 0x301, v[4:5]
	s_mov_b32 s9, 0
	s_mov_b32 s6, 0
	s_cbranch_vccz .LBB198_33
; %bb.21:                               ;   in Loop: Header=BB198_18 Depth=1
	s_and_saveexec_b32 s10, s1
	s_cbranch_execz .LBB198_100
; %bb.22:                               ;   in Loop: Header=BB198_18 Depth=1
	global_load_ushort v2, v13, s[72:73]
	global_load_dword v5, v[10:11], off
	s_mov_b32 s11, 0
	s_waitcnt vmcnt(1)
	v_and_b32_e32 v4, 0xffff, v2
	v_mov_b32_e32 v3, v1
	v_mov_b32_e32 v2, v0
	s_branch .LBB198_24
.LBB198_23:                             ;   in Loop: Header=BB198_24 Depth=2
	s_or_b32 exec_lo, exec_lo, s7
	v_mov_b32_e32 v5, v6
	s_andn2_b32 exec_lo, exec_lo, s11
	s_cbranch_execz .LBB198_100
.LBB198_24:                             ;   Parent Loop BB198_18 Depth=1
                                        ; =>  This Inner Loop Header: Depth=2
	v_add_co_u32 v2, vcc_lo, v2, v4
	v_add_co_ci_u32_e64 v3, null, 0, v3, vcc_lo
	s_waitcnt lgkmcnt(0)
	v_mov_b32_e32 v7, 0
	v_mov_b32_e32 v6, 0
	s_mov_b32 s7, exec_lo
	v_cmp_le_u64_e32 vcc_lo, s[28:29], v[2:3]
	v_cmpx_gt_u64_e64 s[28:29], v[2:3]
	s_cbranch_execz .LBB198_26
; %bb.25:                               ;   in Loop: Header=BB198_24 Depth=2
	v_mul_lo_u32 v6, v3, s26
	v_mul_lo_u32 v12, v2, s27
	v_mad_u64_u32 v[8:9], null, v2, s26, 0
	v_add3_u32 v9, v9, v12, v6
	v_lshlrev_b64 v[8:9], 2, v[8:9]
	v_add_co_u32 v8, s6, s33, v8
	v_add_co_ci_u32_e64 v9, null, s35, v9, s6
	global_load_dword v6, v[8:9], off
.LBB198_26:                             ;   in Loop: Header=BB198_24 Depth=2
	s_or_b32 exec_lo, exec_lo, s7
	s_waitcnt vmcnt(0)
	v_cmp_lt_i32_e64 s6, -1, v5
	v_cndmask_b32_e64 v8, -1, 0x80000000, s6
	v_cmp_o_f32_e64 s6, v5, v5
	v_xor_b32_e32 v8, v8, v5
	v_cndmask_b32_e64 v8, -1, v8, s6
	v_and_b32_e32 v8, v8, v30
	v_cmp_eq_u32_e64 s6, v8, v25
	s_cmp_lg_u32 s6, 0
	s_cselect_b32 s7, -1, 0
	s_and_b32 s7, s0, s7
	s_and_saveexec_b32 s12, s7
	s_cbranch_execz .LBB198_30
; %bb.27:                               ;   in Loop: Header=BB198_24 Depth=2
	s_mov_b32 s15, exec_lo
	s_bcnt1_i32_b32 s13, s6
	v_mbcnt_lo_u32_b32 v7, s15, 0
	s_mov_b32 s14, exec_lo
                                        ; implicit-def: $vgpr8
	v_cmpx_eq_u32_e32 0, v7
; %bb.28:                               ;   in Loop: Header=BB198_24 Depth=2
	s_bcnt1_i32_b32 s7, s15
	s_mul_i32 s7, s13, s7
	v_mov_b32_e32 v8, s7
	ds_add_rtn_u32 v8, v13, v8 offset:5144
; %bb.29:                               ;   in Loop: Header=BB198_24 Depth=2
	s_or_b32 exec_lo, exec_lo, s14
	s_waitcnt lgkmcnt(0)
	v_readfirstlane_b32 s7, v8
	v_mad_u32_u24 v7, s13, v7, s7
.LBB198_30:                             ;   in Loop: Header=BB198_24 Depth=2
	s_or_b32 exec_lo, exec_lo, s12
	ds_bpermute_b32 v7, v13, v7
	s_and_b32 s7, exec_lo, vcc_lo
	s_or_b32 s11, s7, s11
	s_and_saveexec_b32 s7, s6
	s_cbranch_execz .LBB198_23
; %bb.31:                               ;   in Loop: Header=BB198_24 Depth=2
	v_and_b32_e32 v8, s6, v23
	v_bcnt_u32_b32 v8, v8, 0
	v_lshlrev_b32_e32 v8, 2, v8
	s_waitcnt lgkmcnt(0)
	v_lshl_add_u32 v7, v7, 2, v8
	ds_write_b32 v7, v5
	s_branch .LBB198_23
.LBB198_32:                             ;   in Loop: Header=BB198_18 Depth=1
	s_mov_b32 s9, -1
	s_mov_b32 s6, 0
.LBB198_33:                             ;   in Loop: Header=BB198_18 Depth=1
	s_and_b32 vcc_lo, exec_lo, s9
	s_cbranch_vccz .LBB198_43
.LBB198_34:                             ;   in Loop: Header=BB198_18 Depth=1
	s_and_saveexec_b32 s6, s1
	s_cbranch_execz .LBB198_40
; %bb.35:                               ;   in Loop: Header=BB198_18 Depth=1
	global_load_ushort v2, v13, s[72:73]
	global_load_dword v6, v[10:11], off
	s_mov_b32 s7, exec_lo
	s_waitcnt vmcnt(1)
	v_and_b32_e32 v7, 0xffff, v2
	v_mov_b32_e32 v2, v0
	v_add_nc_u32_e32 v12, v7, v0
	v_cmpx_gt_u64_e64 s[28:29], v[12:13]
	s_cbranch_execz .LBB198_39
; %bb.36:                               ;   in Loop: Header=BB198_18 Depth=1
	v_mov_b32_e32 v4, v12
	v_mov_b32_e32 v3, v1
	;; [unrolled: 1-line block ×4, first 2 shown]
	s_mov_b32 s9, 0
	.p2align	6
.LBB198_37:                             ;   Parent Loop BB198_18 Depth=1
                                        ; =>  This Inner Loop Header: Depth=2
	v_mov_b32_e32 v22, v5
	v_mov_b32_e32 v21, v4
	v_lshlrev_b32_e32 v2, 2, v2
	v_mul_lo_u32 v5, v22, s26
	v_mul_lo_u32 v8, v21, s27
	v_mad_u64_u32 v[3:4], null, v21, s26, 0
	s_waitcnt vmcnt(0)
	ds_write_b32 v2, v6
	v_add3_u32 v4, v4, v8, v5
	v_lshlrev_b64 v[3:4], 2, v[3:4]
	v_add_co_u32 v3, vcc_lo, s33, v3
	v_add_co_ci_u32_e64 v4, null, s35, v4, vcc_lo
	global_load_dword v8, v[3:4], off
	v_add_co_u32 v4, vcc_lo, v21, v7
	v_add_co_ci_u32_e64 v5, null, 0, v22, vcc_lo
	v_mov_b32_e32 v2, v21
	v_mov_b32_e32 v3, v22
	v_cmp_le_u64_e32 vcc_lo, s[28:29], v[4:5]
	s_or_b32 s9, vcc_lo, s9
	s_waitcnt vmcnt(0)
	v_mov_b32_e32 v6, v8
	s_andn2_b32 exec_lo, exec_lo, s9
	s_cbranch_execnz .LBB198_37
; %bb.38:                               ;   in Loop: Header=BB198_18 Depth=1
	s_or_b32 exec_lo, exec_lo, s9
	v_sub_nc_u32_e32 v2, v4, v7
	v_mov_b32_e32 v6, v8
.LBB198_39:                             ;   in Loop: Header=BB198_18 Depth=1
	s_or_b32 exec_lo, exec_lo, s7
	v_lshlrev_b32_e32 v2, 2, v2
	s_waitcnt vmcnt(0)
	ds_write_b32 v2, v6
.LBB198_40:                             ;   in Loop: Header=BB198_18 Depth=1
	s_or_b32 exec_lo, exec_lo, s6
	s_waitcnt lgkmcnt(0)
	s_barrier
	buffer_gl0_inv
	s_and_saveexec_b32 s6, s3
; %bb.41:                               ;   in Loop: Header=BB198_18 Depth=1
	v_mov_b32_e32 v2, s28
	v_mov_b32_e32 v3, s29
	ds_write_b64 v13, v[2:3] offset:5120
; %bb.42:                               ;   in Loop: Header=BB198_18 Depth=1
	s_or_b32 exec_lo, exec_lo, s6
	s_mov_b32 s6, -1
	s_waitcnt lgkmcnt(0)
	s_barrier
.LBB198_43:                             ;   in Loop: Header=BB198_18 Depth=1
	s_and_b32 vcc_lo, exec_lo, s6
	s_mov_b64 s[74:75], 0
	s_cbranch_vccz .LBB198_45
; %bb.44:                               ;   in Loop: Header=BB198_18 Depth=1
	buffer_gl0_inv
	ds_read_b64 v[2:3], v13 offset:5120
	s_waitcnt lgkmcnt(0)
	v_readfirstlane_b32 s74, v2
.LBB198_45:                             ;   in Loop: Header=BB198_18 Depth=1
	s_cmp_lt_i32 s74, 1
	s_mov_b32 s6, -1
                                        ; implicit-def: $vgpr2_vgpr3
                                        ; implicit-def: $vgpr6_vgpr7
	s_cbranch_scc1 .LBB198_55
; %bb.46:                               ;   in Loop: Header=BB198_18 Depth=1
	s_and_b32 vcc_lo, exec_lo, s6
	s_cbranch_vccnz .LBB198_69
.LBB198_47:                             ;   in Loop: Header=BB198_18 Depth=1
	s_lshl_b32 s6, vcc_hi, 7
	s_and_saveexec_b32 s7, s0
	s_cbranch_execz .LBB198_49
.LBB198_48:                             ;   in Loop: Header=BB198_18 Depth=1
	v_lshl_add_u32 v12, s6, 3, v27
	ds_write_b128 v12, v[2:5]
	ds_write_b128 v12, v[6:9] offset:16
.LBB198_49:                             ;   in Loop: Header=BB198_18 Depth=1
	s_or_b32 exec_lo, exec_lo, s7
	s_waitcnt lgkmcnt(0)
	s_barrier
	buffer_gl0_inv
	s_and_saveexec_b32 s7, s88
	s_cbranch_execz .LBB198_83
; %bb.50:                               ;   in Loop: Header=BB198_18 Depth=1
	v_mov_b32_e32 v2, 0
	v_mov_b32_e32 v3, 0
	s_andn2_b32 vcc_lo, exec_lo, s91
	s_cbranch_vccnz .LBB198_82
; %bb.51:                               ;   in Loop: Header=BB198_18 Depth=1
	v_mov_b32_e32 v2, 0
	v_mov_b32_e32 v3, 0
	s_andn2_b32 vcc_lo, exec_lo, s96
	s_cbranch_vccnz .LBB198_79
; %bb.52:                               ;   in Loop: Header=BB198_18 Depth=1
	v_lshl_add_u32 v4, vcc_hi, 10, v29
	s_mov_b32 s9, 0
	s_inst_prefetch 0x1
	.p2align	6
.LBB198_53:                             ;   Parent Loop BB198_18 Depth=1
                                        ; =>  This Inner Loop Header: Depth=2
	ds_read2_b64 v[5:8], v4 offset1:4
	ds_read2_b64 v[31:34], v4 offset0:8 offset1:12
	ds_read2_b64 v[35:38], v4 offset0:16 offset1:20
	s_add_i32 s9, s9, 8
	s_cmp_eq_u32 s90, s9
	s_waitcnt lgkmcnt(2)
	v_add_co_u32 v2, vcc_lo, v5, v2
	v_add_co_ci_u32_e64 v3, null, v6, v3, vcc_lo
	v_add_co_u32 v2, vcc_lo, v7, v2
	v_add_co_ci_u32_e64 v3, null, v8, v3, vcc_lo
	ds_read2_b64 v[5:8], v4 offset0:24 offset1:28
	s_waitcnt lgkmcnt(2)
	v_add_co_u32 v2, vcc_lo, v31, v2
	v_add_co_ci_u32_e64 v3, null, v32, v3, vcc_lo
	v_add_nc_u32_e32 v4, 0x100, v4
	v_add_co_u32 v2, vcc_lo, v33, v2
	v_add_co_ci_u32_e64 v3, null, v34, v3, vcc_lo
	s_waitcnt lgkmcnt(1)
	v_add_co_u32 v2, vcc_lo, v35, v2
	v_add_co_ci_u32_e64 v3, null, v36, v3, vcc_lo
	v_add_co_u32 v2, vcc_lo, v37, v2
	v_add_co_ci_u32_e64 v3, null, v38, v3, vcc_lo
	s_waitcnt lgkmcnt(0)
	v_add_co_u32 v2, vcc_lo, v5, v2
	v_add_co_ci_u32_e64 v3, null, v6, v3, vcc_lo
	v_add_co_u32 v2, vcc_lo, v7, v2
	v_add_co_ci_u32_e64 v3, null, v8, v3, vcc_lo
	s_cbranch_scc0 .LBB198_53
; %bb.54:                               ;   in Loop: Header=BB198_18 Depth=1
	s_inst_prefetch 0x2
	s_mov_b32 s9, s90
	s_andn2_b32 vcc_lo, exec_lo, s97
	s_cbranch_vccz .LBB198_80
	s_branch .LBB198_82
.LBB198_55:                             ;   in Loop: Header=BB198_18 Depth=1
	global_load_ushort v12, v13, s[72:73]
	s_mov_b32 s7, s29
	s_waitcnt vmcnt(0)
	v_readfirstlane_b32 s6, v12
	s_and_b32 s9, 0xffff, s6
	s_mov_b32 s6, s69
	s_lshl_b32 s70, s9, 2
	s_cmp_lg_u64 s[6:7], 0
	s_cbranch_scc0 .LBB198_78
; %bb.56:                               ;   in Loop: Header=BB198_18 Depth=1
	v_cvt_f32_u32_e32 v2, s70
	s_sub_u32 s9, 0, s70
	s_subb_u32 s10, 0, 0
	v_fmac_f32_e64 v2, 0x4f800000, 0
	v_rcp_f32_e32 v2, v2
	v_mul_f32_e32 v2, 0x5f7ffffc, v2
	v_mul_f32_e32 v3, 0x2f800000, v2
	v_trunc_f32_e32 v3, v3
	v_fmac_f32_e32 v2, 0xcf800000, v3
	v_cvt_u32_f32_e32 v3, v3
	v_cvt_u32_f32_e32 v2, v2
	v_readfirstlane_b32 s6, v3
	v_readfirstlane_b32 s7, v2
	s_mul_i32 s11, s9, s6
	s_mul_hi_u32 s13, s9, s7
	s_mul_i32 s12, s10, s7
	s_add_i32 s11, s13, s11
	s_mul_i32 s14, s9, s7
	s_add_i32 s11, s11, s12
	s_mul_hi_u32 s13, s7, s14
	s_mul_i32 s16, s7, s11
	s_mul_hi_u32 s15, s6, s14
	s_mul_i32 s12, s6, s14
	s_mul_hi_u32 s14, s7, s11
	s_add_u32 s13, s13, s16
	s_addc_u32 s14, 0, s14
	s_mul_hi_u32 s17, s6, s11
	s_add_u32 s12, s13, s12
	s_mul_i32 s11, s6, s11
	s_addc_u32 s12, s14, s15
	s_addc_u32 s13, s17, 0
	s_add_u32 s11, s12, s11
	s_addc_u32 s12, 0, s13
	s_add_u32 s7, s7, s11
	s_cselect_b32 s11, -1, 0
	s_mul_hi_u32 s13, s9, s7
	s_cmp_lg_u32 s11, 0
	s_mul_i32 s11, s9, s7
	s_addc_u32 s6, s6, s12
	s_mul_i32 s10, s10, s7
	s_mul_i32 s9, s9, s6
	s_mul_hi_u32 s12, s7, s11
	s_add_i32 s9, s13, s9
	s_mul_hi_u32 s13, s6, s11
	s_add_i32 s9, s9, s10
	s_mul_i32 s10, s6, s11
	s_mul_i32 s15, s7, s9
	s_mul_hi_u32 s14, s7, s9
	s_add_u32 s12, s12, s15
	s_addc_u32 s14, 0, s14
	s_mul_hi_u32 s11, s6, s9
	s_add_u32 s10, s12, s10
	s_mul_i32 s9, s6, s9
	s_addc_u32 s10, s14, s13
	s_addc_u32 s11, s11, 0
	s_add_u32 s9, s10, s9
	s_addc_u32 s10, 0, s11
	s_add_u32 s7, s7, s9
	s_cselect_b32 s9, -1, 0
	s_mul_hi_u32 s11, s28, s7
	s_cmp_lg_u32 s9, 0
	s_mul_hi_u32 s9, s29, s7
	s_addc_u32 s6, s6, s10
	s_mul_i32 s7, s29, s7
	s_mul_i32 s12, s28, s6
	s_mul_hi_u32 s10, s28, s6
	s_add_u32 s11, s11, s12
	s_addc_u32 s10, 0, s10
	s_mul_hi_u32 s13, s29, s6
	s_add_u32 s7, s11, s7
	s_mul_i32 s6, s29, s6
	s_addc_u32 s7, s10, s9
	s_addc_u32 s9, s13, 0
	s_add_u32 s6, s7, s6
	s_addc_u32 s7, 0, s9
	s_mul_hi_u32 s9, s70, s6
	s_mul_i32 s7, s70, s7
	s_mul_i32 s6, s70, s6
	s_add_i32 s9, s9, s7
	s_sub_u32 s6, s28, s6
	s_cselect_b32 s7, -1, 0
	s_cmp_lg_u32 s7, 0
	s_subb_u32 s7, s29, s9
	s_sub_u32 s9, s6, s70
	s_cselect_b32 s10, -1, 0
	s_cmp_lg_u32 s10, 0
	s_subb_u32 s10, s7, 0
	;; [unrolled: 4-line block ×3, first 2 shown]
	s_cmp_ge_u32 s9, s70
	s_cselect_b32 s13, -1, 0
	s_cmp_eq_u32 s10, 0
	s_cselect_b32 s13, s13, -1
	s_cmp_lg_u32 s13, 0
	s_cselect_b32 s10, s12, s10
	s_cselect_b32 s9, s11, s9
	s_cmp_ge_u32 s6, s70
	s_cselect_b32 s11, -1, 0
	s_cmp_eq_u32 s7, 0
	s_cselect_b32 s11, s11, -1
	s_cmp_lg_u32 s11, 0
	s_cselect_b32 s7, s10, s7
	s_cselect_b32 s6, s9, s6
	s_cbranch_execnz .LBB198_58
.LBB198_57:                             ;   in Loop: Header=BB198_18 Depth=1
	v_cvt_f32_u32_e32 v2, s70
	s_sub_i32 s7, 0, s70
	v_rcp_iflag_f32_e32 v2, v2
	v_mul_f32_e32 v2, 0x4f7ffffe, v2
	v_cvt_u32_f32_e32 v2, v2
	v_readfirstlane_b32 s6, v2
	s_mul_i32 s7, s7, s6
	s_mul_hi_u32 s7, s6, s7
	s_add_i32 s6, s6, s7
	s_mul_hi_u32 s6, s28, s6
	s_mul_i32 s6, s6, s70
	s_sub_i32 s6, s28, s6
	s_sub_i32 s7, s6, s70
	s_cmp_ge_u32 s6, s70
	s_cselect_b32 s6, s7, s6
	s_sub_i32 s7, s6, s70
	s_cmp_ge_u32 s6, s70
	s_cselect_b32 s68, s7, s6
	s_mov_b64 s[6:7], s[68:69]
.LBB198_58:                             ;   in Loop: Header=BB198_18 Depth=1
	v_mov_b32_e32 v2, 0
	v_mov_b32_e32 v4, 0
	;; [unrolled: 1-line block ×8, first 2 shown]
	s_sub_u32 s76, s28, s6
	s_subb_u32 s77, s29, s7
	s_mov_b32 s58, exec_lo
	v_cmpx_gt_u64_e64 s[76:77], v[14:15]
	s_cbranch_execz .LBB198_62
; %bb.59:                               ;   in Loop: Header=BB198_18 Depth=1
	v_mov_b32_e32 v22, v15
	v_mov_b32_e32 v21, v14
	s_mov_b64 s[78:79], 0
	s_mov_b32 s59, 0
	s_mov_b64 s[80:81], 0
	s_mov_b64 s[82:83], 0
	;; [unrolled: 1-line block ×3, first 2 shown]
.LBB198_60:                             ;   Parent Loop BB198_18 Depth=1
                                        ; =>  This Inner Loop Header: Depth=2
	v_mul_lo_u32 v4, v22, s26
	v_mul_lo_u32 v5, v21, s27
	v_mad_u64_u32 v[2:3], null, v21, s26, 0
	s_lshl_b64 s[6:7], s[26:27], 2
	v_add_co_u32 v21, s22, v21, s70
	v_add_co_ci_u32_e64 v22, null, 0, v22, s22
	v_add3_u32 v3, v3, v5, v4
	v_cmp_le_u64_e64 s22, s[76:77], v[21:22]
	v_lshlrev_b64 v[2:3], 2, v[2:3]
	v_add_co_u32 v2, vcc_lo, s33, v2
	v_add_co_ci_u32_e64 v3, null, s35, v3, vcc_lo
	v_add_co_u32 v4, vcc_lo, v2, s6
	v_add_co_ci_u32_e64 v5, null, s7, v3, vcc_lo
	s_clause 0x1
	global_load_dword v6, v[2:3], off
	global_load_dword v7, v[4:5], off
	v_add_co_u32 v2, vcc_lo, v4, s6
	v_add_co_ci_u32_e64 v3, null, s7, v5, vcc_lo
	v_add_co_u32 v4, vcc_lo, v2, s6
	v_add_co_ci_u32_e64 v5, null, s7, v3, vcc_lo
	s_clause 0x1
	global_load_dword v2, v[2:3], off
	global_load_dword v3, v[4:5], off
	s_waitcnt vmcnt(3)
	v_cmp_lt_i32_e32 vcc_lo, -1, v6
	v_cmp_o_f32_e64 s6, v6, v6
	s_waitcnt vmcnt(2)
	v_cmp_o_f32_e64 s7, v7, v7
	v_cndmask_b32_e64 v4, -1, 0x80000000, vcc_lo
	v_cmp_lt_i32_e32 vcc_lo, -1, v7
	v_xor_b32_e32 v4, v4, v6
	v_cndmask_b32_e64 v5, -1, 0x80000000, vcc_lo
	s_waitcnt vmcnt(1)
	v_cmp_lt_i32_e32 vcc_lo, -1, v2
	v_cmp_o_f32_e64 s9, v2, v2
	v_cndmask_b32_e64 v4, -1, v4, s6
	v_xor_b32_e32 v5, v5, v7
	s_waitcnt vmcnt(0)
	v_cmp_o_f32_e64 s10, v3, v3
	v_cndmask_b32_e64 v6, -1, 0x80000000, vcc_lo
	v_cmp_lt_i32_e32 vcc_lo, -1, v3
	v_xor_b32_e32 v2, v6, v2
	v_cndmask_b32_e64 v6, -1, 0x80000000, vcc_lo
	v_cndmask_b32_e64 v2, -1, v2, s9
	v_xor_b32_e32 v3, v6, v3
	v_and_b32_e32 v6, v4, v30
	v_bfe_u32 v4, v4, s61, 2
	v_cmp_eq_u32_e32 vcc_lo, v6, v25
	v_cmp_eq_u32_e64 s6, 0, v4
	v_cmp_eq_u32_e64 s11, 1, v4
	;; [unrolled: 1-line block ×4, first 2 shown]
	v_cndmask_b32_e64 v4, -1, v5, s7
	s_and_b32 s6, vcc_lo, s6
	v_and_b32_e32 v5, v4, v30
	v_bfe_u32 v4, v4, s61, 2
	v_cmp_eq_u32_e64 s7, v5, v25
	v_cmp_eq_u32_e64 s14, 0, v4
	;; [unrolled: 1-line block ×5, first 2 shown]
	v_and_b32_e32 v4, v2, v30
	v_bfe_u32 v2, v2, s61, 2
	s_and_b32 s44, s7, s14
	v_cmp_eq_u32_e64 s9, v4, v25
	v_cmp_eq_u32_e64 s18, 0, v2
	v_cmp_eq_u32_e64 s19, 1, v2
	v_cmp_eq_u32_e64 s20, 2, v2
	v_cmp_eq_u32_e64 s21, 3, v2
	v_cndmask_b32_e64 v2, 0, 1, s6
	v_cmp_ne_u32_e64 s6, 0, v2
	v_cndmask_b32_e64 v2, -1, v3, s10
	v_and_b32_e32 v3, v2, v30
	v_bfe_u32 v2, v2, s61, 2
	v_cmp_eq_u32_e64 s10, v3, v25
	v_cmp_eq_u32_e64 s14, 0, v2
	;; [unrolled: 1-line block ×5, first 2 shown]
	v_cndmask_b32_e64 v2, 0, 1, s44
	s_and_b32 s44, s9, s18
	s_and_b32 s14, s10, s14
	v_cmp_ne_u32_e64 s18, 0, v2
	v_cndmask_b32_e64 v2, 0, 1, s44
	s_bcnt1_i32_b32 s44, s6
	v_cmp_ne_u32_e64 s6, 0, v2
	v_cndmask_b32_e64 v2, 0, 1, s14
	s_bcnt1_i32_b32 s14, s18
	s_add_i32 s18, s14, s44
	s_bcnt1_i32_b32 s6, s6
	v_cmp_ne_u32_e64 s14, 0, v2
	s_add_i32 s6, s18, s6
	s_bcnt1_i32_b32 s14, s14
	s_add_i32 s6, s6, s14
	s_add_u32 s84, s84, s6
	s_addc_u32 s85, s85, 0
	s_and_b32 s6, vcc_lo, s11
	s_and_b32 s11, s7, s15
	v_cndmask_b32_e64 v2, 0, 1, s6
	s_and_b32 s14, s9, s19
	s_and_b32 s15, s10, s23
	v_cmp_ne_u32_e64 s6, 0, v2
	v_cndmask_b32_e64 v2, 0, 1, s11
	s_bcnt1_i32_b32 s6, s6
	v_cmp_ne_u32_e64 s11, 0, v2
	v_cndmask_b32_e64 v2, 0, 1, s14
	s_bcnt1_i32_b32 s11, s11
	v_cmp_ne_u32_e64 s14, 0, v2
	v_cndmask_b32_e64 v2, 0, 1, s15
	s_add_i32 s6, s11, s6
	s_bcnt1_i32_b32 s14, s14
	v_cmp_ne_u32_e64 s15, 0, v2
	s_add_i32 s6, s6, s14
	s_bcnt1_i32_b32 s15, s15
	s_add_i32 s6, s6, s15
	s_add_u32 s82, s82, s6
	s_addc_u32 s83, s83, 0
	s_and_b32 s6, vcc_lo, s12
	s_and_b32 s11, s7, s16
	v_cndmask_b32_e64 v2, 0, 1, s6
	s_and_b32 s12, s9, s20
	s_and_b32 s14, s10, s24
	v_mov_b32_e32 v4, s82
	v_mov_b32_e32 v5, s83
	v_cmp_ne_u32_e64 s6, 0, v2
	v_cndmask_b32_e64 v2, 0, 1, s11
	s_bcnt1_i32_b32 s6, s6
	v_cmp_ne_u32_e64 s11, 0, v2
	v_cndmask_b32_e64 v2, 0, 1, s12
	s_bcnt1_i32_b32 s11, s11
	v_cmp_ne_u32_e64 s12, 0, v2
	v_cndmask_b32_e64 v2, 0, 1, s14
	s_add_i32 s6, s11, s6
	s_bcnt1_i32_b32 s12, s12
	v_cmp_ne_u32_e64 s14, 0, v2
	s_add_i32 s6, s6, s12
	s_bcnt1_i32_b32 s14, s14
	s_add_i32 s6, s6, s14
	s_add_u32 s80, s80, s6
	s_addc_u32 s81, s81, 0
	s_and_b32 s6, vcc_lo, s13
	s_and_b32 s7, s7, s17
	v_cndmask_b32_e64 v2, 0, 1, s6
	s_and_b32 s9, s9, s21
	s_and_b32 s10, s10, s25
	v_mov_b32_e32 v6, s80
	v_mov_b32_e32 v7, s81
	v_cmp_ne_u32_e32 vcc_lo, 0, v2
	v_cndmask_b32_e64 v2, 0, 1, s7
	v_cmp_ne_u32_e64 s6, 0, v2
	v_cndmask_b32_e64 v2, 0, 1, s9
	s_bcnt1_i32_b32 s6, s6
	v_cmp_ne_u32_e64 s7, 0, v2
	v_cndmask_b32_e64 v2, 0, 1, s10
	s_bcnt1_i32_b32 s10, vcc_lo
	s_add_i32 s6, s6, s10
	s_bcnt1_i32_b32 s7, s7
	v_cmp_ne_u32_e64 s9, 0, v2
	s_add_i32 s6, s6, s7
	v_mov_b32_e32 v2, s84
	v_mov_b32_e32 v3, s85
	s_bcnt1_i32_b32 s9, s9
	s_add_i32 s6, s6, s9
	s_add_u32 s78, s78, s6
	s_addc_u32 s79, s79, 0
	v_mov_b32_e32 v8, s78
	v_mov_b32_e32 v9, s79
	s_or_b32 s59, s22, s59
	s_andn2_b32 exec_lo, exec_lo, s59
	s_cbranch_execnz .LBB198_60
; %bb.61:                               ;   in Loop: Header=BB198_18 Depth=1
	s_or_b32 exec_lo, exec_lo, s59
.LBB198_62:                             ;   in Loop: Header=BB198_18 Depth=1
	s_or_b32 exec_lo, exec_lo, s58
	v_add_co_u32 v21, s6, s76, v0
	v_and_b32_e32 v12, 0xffff, v12
	v_add_co_ci_u32_e64 v22, null, s77, 0, s6
	s_mov_b32 s11, exec_lo
	v_cmpx_gt_u64_e64 s[28:29], v[21:22]
	s_cbranch_execz .LBB198_68
; %bb.63:                               ;   in Loop: Header=BB198_18 Depth=1
	v_mul_lo_u32 v17, v22, s26
	v_mul_lo_u32 v33, v21, s27
	v_mad_u64_u32 v[31:32], null, v21, s26, 0
	s_mov_b32 s12, 0
	v_add3_u32 v32, v32, v33, v17
	v_lshlrev_b64 v[31:32], 2, v[31:32]
	v_add_co_u32 v31, vcc_lo, s33, v31
	v_add_co_ci_u32_e64 v32, null, s35, v32, vcc_lo
	global_load_dword v31, v[31:32], off
	s_branch .LBB198_65
.LBB198_64:                             ;   in Loop: Header=BB198_65 Depth=2
	s_or_b32 exec_lo, exec_lo, s7
	s_waitcnt vmcnt(0)
	v_cmp_lt_i32_e64 s6, -1, v31
	s_and_b32 s7, exec_lo, vcc_lo
	s_or_b32 s12, s7, s12
	v_cndmask_b32_e64 v32, -1, 0x80000000, s6
	v_cmp_o_f32_e64 s6, v31, v31
	v_xor_b32_e32 v32, v32, v31
	v_cndmask_b32_e64 v31, -1, v32, s6
	v_and_b32_e32 v32, v31, v30
	v_bfe_u32 v31, v31, s61, 2
	v_cmp_eq_u32_e32 vcc_lo, v32, v25
	v_cmp_eq_u32_e64 s6, 0, v31
	v_cmp_eq_u32_e64 s7, 1, v31
	;; [unrolled: 1-line block ×4, first 2 shown]
	s_and_b32 s6, vcc_lo, s6
	v_cndmask_b32_e64 v31, 0, 1, s6
	s_and_b32 s6, vcc_lo, s7
	v_cndmask_b32_e64 v32, 0, 1, s6
	s_and_b32 s6, vcc_lo, s9
	v_cndmask_b32_e64 v33, 0, 1, s6
	s_and_b32 s6, vcc_lo, s10
	v_cmp_ne_u32_e32 vcc_lo, 0, v31
	v_cndmask_b32_e64 v34, 0, 1, s6
	v_cmp_ne_u32_e64 s6, 0, v32
	v_cmp_ne_u32_e64 s7, 0, v33
	v_mov_b32_e32 v31, v17
	s_bcnt1_i32_b32 s10, vcc_lo
	v_cmp_ne_u32_e64 s9, 0, v34
	s_bcnt1_i32_b32 s6, s6
	v_add_co_u32 v2, vcc_lo, v2, s10
	s_bcnt1_i32_b32 s7, s7
	v_add_co_ci_u32_e64 v3, null, 0, v3, vcc_lo
	v_add_co_u32 v4, vcc_lo, v4, s6
	v_add_co_ci_u32_e64 v5, null, 0, v5, vcc_lo
	v_add_co_u32 v6, vcc_lo, v6, s7
	s_bcnt1_i32_b32 s6, s9
	v_add_co_ci_u32_e64 v7, null, 0, v7, vcc_lo
	v_add_co_u32 v8, vcc_lo, v8, s6
	v_add_co_ci_u32_e64 v9, null, 0, v9, vcc_lo
	s_andn2_b32 exec_lo, exec_lo, s12
	s_cbranch_execz .LBB198_67
.LBB198_65:                             ;   Parent Loop BB198_18 Depth=1
                                        ; =>  This Inner Loop Header: Depth=2
	v_add_co_u32 v21, vcc_lo, v21, v12
	v_add_co_ci_u32_e64 v22, null, 0, v22, vcc_lo
	v_mov_b32_e32 v17, 0
	s_mov_b32 s7, exec_lo
	v_cmp_le_u64_e32 vcc_lo, s[28:29], v[21:22]
	v_cmpx_gt_u64_e64 s[28:29], v[21:22]
	s_cbranch_execz .LBB198_64
; %bb.66:                               ;   in Loop: Header=BB198_65 Depth=2
	v_mul_lo_u32 v17, v22, s26
	v_mul_lo_u32 v34, v21, s27
	v_mad_u64_u32 v[32:33], null, v21, s26, 0
	v_add3_u32 v33, v33, v34, v17
	v_lshlrev_b64 v[32:33], 2, v[32:33]
	v_add_co_u32 v32, s6, s33, v32
	v_add_co_ci_u32_e64 v33, null, s35, v33, s6
	global_load_dword v17, v[32:33], off
	s_branch .LBB198_64
.LBB198_67:                             ;   in Loop: Header=BB198_18 Depth=1
	s_or_b32 exec_lo, exec_lo, s12
.LBB198_68:                             ;   in Loop: Header=BB198_18 Depth=1
	s_or_b32 exec_lo, exec_lo, s11
	s_branch .LBB198_47
.LBB198_69:                             ;   in Loop: Header=BB198_18 Depth=1
	global_load_ushort v12, v13, s[72:73]
	v_mov_b32_e32 v4, 0
	v_mov_b32_e32 v6, 0
	;; [unrolled: 1-line block ×6, first 2 shown]
	s_mov_b32 s58, exec_lo
	s_waitcnt vmcnt(0)
	v_readfirstlane_b32 s6, v12
	s_and_b32 s6, 0xffff, s6
	s_lshl_b32 s70, s6, 2
	v_cvt_f32_u32_e32 v2, s70
	s_sub_i32 s9, 0, s70
	v_rcp_iflag_f32_e32 v2, v2
	v_mul_f32_e32 v2, 0x4f7ffffe, v2
	v_cvt_u32_f32_e32 v2, v2
	v_readfirstlane_b32 s7, v2
	v_mov_b32_e32 v2, 0
	v_mov_b32_e32 v3, 0
	s_mul_i32 s9, s9, s7
	s_mul_hi_u32 s9, s7, s9
	s_add_i32 s7, s7, s9
	s_mul_hi_u32 s7, s74, s7
	s_mul_i32 s9, s7, s70
	s_add_i32 s10, s7, 1
	s_sub_i32 s9, s74, s9
	s_sub_i32 s11, s9, s70
	s_cmp_ge_u32 s9, s70
	s_cselect_b32 s7, s10, s7
	s_cselect_b32 s9, s11, s9
	s_add_i32 s10, s7, 1
	s_cmp_ge_u32 s9, s70
	s_cselect_b32 s7, s10, s7
	s_mul_hi_u32 s77, s6, s7
	s_mul_i32 s76, s6, s7
	s_lshl_b64 s[78:79], s[76:77], 2
	v_cmpx_gt_u64_e64 s[78:79], v[14:15]
	s_cbranch_execz .LBB198_73
; %bb.70:                               ;   in Loop: Header=BB198_18 Depth=1
	v_mov_b32_e32 v22, v15
	v_mov_b32_e32 v17, v28
	;; [unrolled: 1-line block ×3, first 2 shown]
	s_lshl_b32 s59, s6, 4
	s_mov_b64 s[80:81], 0
	s_mov_b32 s68, 0
	s_mov_b64 s[82:83], 0
	s_mov_b64 s[84:85], 0
	;; [unrolled: 1-line block ×3, first 2 shown]
.LBB198_71:                             ;   Parent Loop BB198_18 Depth=1
                                        ; =>  This Inner Loop Header: Depth=2
	ds_read_b128 v[2:5], v17
	v_add_nc_u32_e32 v17, s59, v17
	s_waitcnt lgkmcnt(0)
	v_cmp_lt_i32_e32 vcc_lo, -1, v2
	v_cmp_lt_i32_e64 s6, -1, v3
	v_cmp_lt_i32_e64 s7, -1, v4
	v_cmp_o_f32_e64 s13, v2, v2
	v_cmp_lt_i32_e64 s9, -1, v5
	v_cndmask_b32_e64 v6, -1, 0x80000000, vcc_lo
	v_cmp_o_f32_e64 s10, v3, v3
	v_cmp_o_f32_e64 s11, v4, v4
	;; [unrolled: 1-line block ×3, first 2 shown]
	v_xor_b32_e32 v2, v6, v2
	v_cndmask_b32_e64 v6, -1, 0x80000000, s6
	v_cndmask_b32_e64 v2, -1, v2, s13
	v_xor_b32_e32 v3, v6, v3
	v_cndmask_b32_e64 v6, -1, 0x80000000, s7
	v_cndmask_b32_e64 v3, -1, v3, s10
	v_xor_b32_e32 v4, v6, v4
	v_cndmask_b32_e64 v6, -1, 0x80000000, s9
	v_cndmask_b32_e64 v4, -1, v4, s11
	v_xor_b32_e32 v5, v6, v5
	v_and_b32_e32 v6, v2, v30
	v_bfe_u32 v2, v2, s61, 2
	v_cndmask_b32_e64 v5, -1, v5, s12
	v_cmp_eq_u32_e32 vcc_lo, v6, v25
	v_cmp_eq_u32_e64 s10, 0, v2
	v_cmp_eq_u32_e64 s11, 1, v2
	;; [unrolled: 1-line block ×4, first 2 shown]
	v_bfe_u32 v2, v3, s61, 2
	v_and_b32_e32 v6, v3, v30
	s_and_b32 s10, vcc_lo, s10
	v_cmp_eq_u32_e64 s14, 0, v2
	v_cmp_eq_u32_e64 s15, 1, v2
	;; [unrolled: 1-line block ×4, first 2 shown]
	v_bfe_u32 v2, v4, s61, 2
	v_cmp_eq_u32_e64 s6, v6, v25
	v_and_b32_e32 v6, v4, v30
	v_cmp_eq_u32_e64 s18, 0, v2
	v_cmp_eq_u32_e64 s19, 1, v2
	;; [unrolled: 1-line block ×4, first 2 shown]
	v_bfe_u32 v2, v5, s61, 2
	v_cmp_eq_u32_e64 s7, v6, v25
	v_and_b32_e32 v6, v5, v30
	s_and_b32 s14, s6, s14
	v_cmp_eq_u32_e64 s22, 0, v2
	v_cmp_eq_u32_e64 s23, 1, v2
	;; [unrolled: 1-line block ×4, first 2 shown]
	v_cndmask_b32_e64 v2, 0, 1, s10
	v_cmp_eq_u32_e64 s9, v6, v25
	s_and_b32 s18, s7, s18
	v_cmp_ne_u32_e64 s10, 0, v2
	v_cndmask_b32_e64 v2, 0, 1, s14
	s_and_b32 s22, s9, s22
	s_bcnt1_i32_b32 s10, s10
	v_cmp_ne_u32_e64 s14, 0, v2
	v_cndmask_b32_e64 v2, 0, 1, s18
	s_bcnt1_i32_b32 s14, s14
	v_cmp_ne_u32_e64 s18, 0, v2
	v_cndmask_b32_e64 v2, 0, 1, s22
	s_add_i32 s10, s14, s10
	s_bcnt1_i32_b32 s18, s18
	v_cmp_ne_u32_e64 s22, 0, v2
	s_add_i32 s10, s10, s18
	s_bcnt1_i32_b32 s22, s22
	s_add_i32 s10, s10, s22
	s_add_u32 s86, s86, s10
	s_addc_u32 s87, s87, 0
	s_and_b32 s10, vcc_lo, s11
	s_and_b32 s11, s6, s15
	v_cndmask_b32_e64 v2, 0, 1, s10
	s_and_b32 s14, s7, s19
	s_and_b32 s15, s9, s23
	v_cmp_ne_u32_e64 s10, 0, v2
	v_cndmask_b32_e64 v2, 0, 1, s11
	s_bcnt1_i32_b32 s10, s10
	v_cmp_ne_u32_e64 s11, 0, v2
	v_cndmask_b32_e64 v2, 0, 1, s14
	s_bcnt1_i32_b32 s11, s11
	v_cmp_ne_u32_e64 s14, 0, v2
	v_cndmask_b32_e64 v2, 0, 1, s15
	s_add_i32 s10, s11, s10
	s_bcnt1_i32_b32 s14, s14
	v_cmp_ne_u32_e64 s15, 0, v2
	s_add_i32 s10, s10, s14
	s_bcnt1_i32_b32 s15, s15
	s_add_i32 s10, s10, s15
	s_add_u32 s84, s84, s10
	s_addc_u32 s85, s85, 0
	s_and_b32 s10, vcc_lo, s12
	s_and_b32 s11, s6, s16
	v_cndmask_b32_e64 v2, 0, 1, s10
	s_and_b32 s12, s7, s20
	s_and_b32 s14, s9, s24
	v_mov_b32_e32 v4, s84
	v_mov_b32_e32 v5, s85
	v_cmp_ne_u32_e64 s10, 0, v2
	v_cndmask_b32_e64 v2, 0, 1, s11
	s_bcnt1_i32_b32 s10, s10
	v_cmp_ne_u32_e64 s11, 0, v2
	v_cndmask_b32_e64 v2, 0, 1, s12
	s_bcnt1_i32_b32 s11, s11
	v_cmp_ne_u32_e64 s12, 0, v2
	v_cndmask_b32_e64 v2, 0, 1, s14
	s_add_i32 s10, s11, s10
	s_bcnt1_i32_b32 s12, s12
	v_cmp_ne_u32_e64 s14, 0, v2
	s_add_i32 s10, s10, s12
	s_bcnt1_i32_b32 s14, s14
	s_add_i32 s10, s10, s14
	s_add_u32 s82, s82, s10
	s_addc_u32 s83, s83, 0
	s_and_b32 s10, vcc_lo, s13
	s_and_b32 s6, s6, s17
	v_cndmask_b32_e64 v2, 0, 1, s10
	s_and_b32 s7, s7, s21
	s_and_b32 s9, s9, s25
	v_add_co_u32 v21, s10, v21, s70
	v_cmp_ne_u32_e32 vcc_lo, 0, v2
	v_cndmask_b32_e64 v2, 0, 1, s6
	v_add_co_ci_u32_e64 v22, null, 0, v22, s10
	v_mov_b32_e32 v6, s82
	s_bcnt1_i32_b32 s11, vcc_lo
	v_cmp_ne_u32_e64 s6, 0, v2
	v_cndmask_b32_e64 v2, 0, 1, s7
	v_cmp_le_u64_e64 s10, s[78:79], v[21:22]
	v_mov_b32_e32 v7, s83
	s_bcnt1_i32_b32 s6, s6
	v_cmp_ne_u32_e64 s7, 0, v2
	v_cndmask_b32_e64 v2, 0, 1, s9
	s_add_i32 s6, s6, s11
	s_bcnt1_i32_b32 s7, s7
	v_cmp_ne_u32_e64 s9, 0, v2
	s_add_i32 s6, s6, s7
	v_mov_b32_e32 v2, s86
	v_mov_b32_e32 v3, s87
	s_bcnt1_i32_b32 s9, s9
	s_add_i32 s6, s6, s9
	s_add_u32 s80, s80, s6
	s_addc_u32 s81, s81, 0
	v_mov_b32_e32 v8, s80
	v_mov_b32_e32 v9, s81
	s_or_b32 s68, s10, s68
	s_andn2_b32 exec_lo, exec_lo, s68
	s_cbranch_execnz .LBB198_71
; %bb.72:                               ;   in Loop: Header=BB198_18 Depth=1
	s_or_b32 exec_lo, exec_lo, s68
.LBB198_73:                             ;   in Loop: Header=BB198_18 Depth=1
	s_or_b32 exec_lo, exec_lo, s58
	v_add_co_u32 v21, s6, s78, v0
	v_and_b32_e32 v12, 0xffff, v12
	v_add_co_ci_u32_e64 v22, null, s79, 0, s6
	s_and_b32 s68, s74, 0x7fffffff
	s_mov_b32 s12, exec_lo
	v_cmpx_gt_u64_e64 s[68:69], v[21:22]
	s_cbranch_execz .LBB198_77
; %bb.74:                               ;   in Loop: Header=BB198_18 Depth=1
	v_lshl_add_u32 v17, s76, 4, v14
	s_mov_b32 s13, 0
.LBB198_75:                             ;   Parent Loop BB198_18 Depth=1
                                        ; =>  This Inner Loop Header: Depth=2
	ds_read_b32 v31, v17
	v_add_co_u32 v21, vcc_lo, v21, v12
	v_add_co_ci_u32_e64 v22, null, 0, v22, vcc_lo
	v_add_nc_u32_e32 v17, s70, v17
	v_cmp_le_u64_e32 vcc_lo, s[68:69], v[21:22]
	s_waitcnt lgkmcnt(0)
	v_cmp_lt_i32_e64 s6, -1, v31
	v_cndmask_b32_e64 v32, -1, 0x80000000, s6
	v_cmp_o_f32_e64 s6, v31, v31
	v_xor_b32_e32 v32, v32, v31
	v_cndmask_b32_e64 v31, -1, v32, s6
	v_and_b32_e32 v32, v31, v30
	v_bfe_u32 v31, v31, s61, 2
	v_cmp_eq_u32_e64 s6, v32, v25
	v_cmp_eq_u32_e64 s7, 0, v31
	;; [unrolled: 1-line block ×5, first 2 shown]
	s_and_b32 s7, s6, s7
	v_cndmask_b32_e64 v31, 0, 1, s7
	s_and_b32 s7, s6, s9
	v_cndmask_b32_e64 v32, 0, 1, s7
	s_and_b32 s7, s6, s10
	s_and_b32 s6, s6, s11
	v_cndmask_b32_e64 v33, 0, 1, s7
	v_cndmask_b32_e64 v34, 0, 1, s6
	v_cmp_ne_u32_e64 s6, 0, v31
	v_cmp_ne_u32_e64 s7, 0, v32
	;; [unrolled: 1-line block ×4, first 2 shown]
	s_bcnt1_i32_b32 s6, s6
	s_bcnt1_i32_b32 s7, s7
	v_add_co_u32 v2, s6, v2, s6
	s_bcnt1_i32_b32 s9, s9
	v_add_co_ci_u32_e64 v3, null, 0, v3, s6
	v_add_co_u32 v4, s6, v4, s7
	s_bcnt1_i32_b32 s10, s10
	v_add_co_ci_u32_e64 v5, null, 0, v5, s6
	v_add_co_u32 v6, s6, v6, s9
	v_add_co_ci_u32_e64 v7, null, 0, v7, s6
	v_add_co_u32 v8, s6, v8, s10
	v_add_co_ci_u32_e64 v9, null, 0, v9, s6
	s_or_b32 s13, vcc_lo, s13
	s_andn2_b32 exec_lo, exec_lo, s13
	s_cbranch_execnz .LBB198_75
; %bb.76:                               ;   in Loop: Header=BB198_18 Depth=1
	s_or_b32 exec_lo, exec_lo, s13
.LBB198_77:                             ;   in Loop: Header=BB198_18 Depth=1
	s_or_b32 exec_lo, exec_lo, s12
	s_lshl_b32 s6, vcc_hi, 7
	s_and_saveexec_b32 s7, s0
	s_cbranch_execnz .LBB198_48
	s_branch .LBB198_49
.LBB198_78:                             ;   in Loop: Header=BB198_18 Depth=1
                                        ; implicit-def: $sgpr6_sgpr7
	s_branch .LBB198_57
.LBB198_79:                             ;   in Loop: Header=BB198_18 Depth=1
	s_mov_b32 s9, 0
	s_andn2_b32 vcc_lo, exec_lo, s97
	s_cbranch_vccnz .LBB198_82
.LBB198_80:                             ;   in Loop: Header=BB198_18 Depth=1
	s_lshl_b32 s10, vcc_hi, 10
	s_lshl_b32 s9, s9, 5
	v_add3_u32 v4, s10, s9, v29
	s_mov_b32 s9, s95
.LBB198_81:                             ;   Parent Loop BB198_18 Depth=1
                                        ; =>  This Inner Loop Header: Depth=2
	ds_read_b64 v[5:6], v4
	v_add_nc_u32_e32 v4, 32, v4
	s_add_i32 s9, s9, -1
	s_cmp_lg_u32 s9, 0
	s_waitcnt lgkmcnt(0)
	v_add_co_u32 v2, vcc_lo, v5, v2
	v_add_co_ci_u32_e64 v3, null, v6, v3, vcc_lo
	s_cbranch_scc1 .LBB198_81
.LBB198_82:                             ;   in Loop: Header=BB198_18 Depth=1
	v_add_lshl_u32 v4, s6, v24, 3
	ds_write_b64 v4, v[2:3] offset:3072
.LBB198_83:                             ;   in Loop: Header=BB198_18 Depth=1
	s_or_b32 exec_lo, exec_lo, s7
	s_lshl_b32 s6, s6, 3
	s_waitcnt lgkmcnt(0)
	v_mov_b32_e32 v6, s6
	s_barrier
	buffer_gl0_inv
	v_cmp_eq_u64_e64 s7, 1, v[19:20]
	s_lshl_b32 s9, 3, s61
	ds_read_b128 v[2:5], v6 offset:3072
	ds_read_b128 v[6:9], v6 offset:3088
	s_mov_b32 s76, -1
	s_not_b32 s24, s9
	s_mov_b32 s25, 0
	s_andn2_b32 vcc_lo, exec_lo, s57
	s_mov_b32 s23, 0
	s_mov_b32 s22, 0
                                        ; implicit-def: $sgpr74
                                        ; implicit-def: $sgpr75
                                        ; implicit-def: $vgpr12
	s_waitcnt lgkmcnt(1)
	v_readfirstlane_b32 s11, v3
	v_readfirstlane_b32 s10, v2
	;; [unrolled: 1-line block ×4, first 2 shown]
	s_waitcnt lgkmcnt(0)
	v_readfirstlane_b32 s15, v7
	v_readfirstlane_b32 s14, v6
	;; [unrolled: 1-line block ×4, first 2 shown]
                                        ; implicit-def: $vgpr2_vgpr3
                                        ; implicit-def: $vgpr8
                                        ; implicit-def: $vgpr9
                                        ; implicit-def: $vgpr5
	s_cbranch_vccnz .LBB198_286
; %bb.84:                               ;   in Loop: Header=BB198_18 Depth=1
	s_cmp_eq_u64 s[10:11], 1
	v_mov_b32_e32 v9, v25
	v_mov_b32_e32 v12, v30
	;; [unrolled: 1-line block ×3, first 2 shown]
	s_cselect_b32 s6, -1, 0
	s_mov_b32 s18, -1
	s_and_b32 s6, s6, s7
                                        ; implicit-def: $sgpr75
                                        ; implicit-def: $sgpr74
	s_and_saveexec_b32 s76, s6
	s_cbranch_execz .LBB198_121
; %bb.85:                               ;   in Loop: Header=BB198_18 Depth=1
	ds_read_b64 v[2:3], v13 offset:5120
	s_waitcnt lgkmcnt(0)
	s_barrier
	buffer_gl0_inv
	v_readfirstlane_b32 s18, v2
	v_readfirstlane_b32 s19, v3
	s_and_saveexec_b32 s20, s8
; %bb.86:                               ;   in Loop: Header=BB198_18 Depth=1
	ds_write_b32 v26, v13
; %bb.87:                               ;   in Loop: Header=BB198_18 Depth=1
	s_or_b32 exec_lo, exec_lo, s20
	v_and_b32_e32 v9, s24, v25
	v_or_b32_e32 v12, s9, v30
	s_mov_b32 s74, -1
	s_mov_b32 s75, 0
	s_cmp_eq_u64 s[18:19], 0
	s_mov_b32 s23, -1
	s_waitcnt lgkmcnt(0)
	s_barrier
	buffer_gl0_inv
                                        ; implicit-def: $vgpr5
	s_cbranch_scc1 .LBB198_105
; %bb.88:                               ;   in Loop: Header=BB198_18 Depth=1
	s_add_u32 s58, s18, s92
	s_addc_u32 s21, s19, s93
	s_mov_b32 s20, s69
	s_cmp_lg_u64 s[20:21], 0
	s_cbranch_scc0 .LBB198_148
; %bb.89:                               ;   in Loop: Header=BB198_18 Depth=1
	v_cvt_f32_u32_e32 v2, s53
	s_sub_u32 s23, 0, s53
	s_subb_u32 s44, 0, 0
	v_fmac_f32_e64 v2, 0x4f800000, 0
	v_rcp_f32_e32 v2, v2
	v_mul_f32_e32 v2, 0x5f7ffffc, v2
	v_mul_f32_e32 v3, 0x2f800000, v2
	v_trunc_f32_e32 v3, v3
	v_fmac_f32_e32 v2, 0xcf800000, v3
	v_cvt_u32_f32_e32 v3, v3
	v_cvt_u32_f32_e32 v2, v2
	v_readfirstlane_b32 s20, v3
	v_readfirstlane_b32 s22, v2
	s_mul_i32 s45, s23, s20
	s_mul_hi_u32 s47, s23, s22
	s_mul_i32 s46, s44, s22
	s_add_i32 s45, s47, s45
	s_mul_i32 s52, s23, s22
	s_add_i32 s45, s45, s46
	s_mul_hi_u32 s47, s22, s52
	s_mul_i32 s59, s22, s45
	s_mul_hi_u32 s56, s20, s52
	s_mul_i32 s46, s20, s52
	s_mul_hi_u32 s52, s22, s45
	s_add_u32 s47, s47, s59
	s_addc_u32 s52, 0, s52
	s_mul_hi_u32 s68, s20, s45
	s_add_u32 s46, s47, s46
	s_mul_i32 s45, s20, s45
	s_addc_u32 s46, s52, s56
	s_addc_u32 s47, s68, 0
	s_add_u32 s45, s46, s45
	s_addc_u32 s46, 0, s47
	s_add_u32 s22, s22, s45
	s_cselect_b32 s45, -1, 0
	s_mul_hi_u32 s47, s23, s22
	s_cmp_lg_u32 s45, 0
	s_mul_i32 s45, s23, s22
	s_addc_u32 s20, s20, s46
	s_mul_i32 s44, s44, s22
	s_mul_i32 s23, s23, s20
	s_mul_hi_u32 s46, s22, s45
	s_add_i32 s23, s47, s23
	s_mul_hi_u32 s47, s20, s45
	s_add_i32 s23, s23, s44
	s_mul_i32 s44, s20, s45
	s_mul_i32 s56, s22, s23
	s_mul_hi_u32 s52, s22, s23
	s_add_u32 s46, s46, s56
	s_addc_u32 s52, 0, s52
	s_mul_hi_u32 s45, s20, s23
	s_add_u32 s44, s46, s44
	s_mul_i32 s23, s20, s23
	s_addc_u32 s44, s52, s47
	s_addc_u32 s45, s45, 0
	s_add_u32 s23, s44, s23
	s_addc_u32 s44, 0, s45
	s_add_u32 s22, s22, s23
	s_cselect_b32 s23, -1, 0
	s_mul_hi_u32 s45, s58, s22
	s_cmp_lg_u32 s23, 0
	s_mul_hi_u32 s23, s21, s22
	s_addc_u32 s20, s20, s44
	s_mul_i32 s22, s21, s22
	s_mul_i32 s46, s58, s20
	s_mul_hi_u32 s44, s58, s20
	s_add_u32 s45, s45, s46
	s_addc_u32 s44, 0, s44
	s_mul_hi_u32 s47, s21, s20
	s_add_u32 s22, s45, s22
	s_mul_i32 s20, s21, s20
	s_addc_u32 s22, s44, s23
	s_addc_u32 s23, s47, 0
	s_add_u32 s20, s22, s20
	s_addc_u32 s22, 0, s23
	s_mul_hi_u32 s23, s53, s20
	s_mul_i32 s22, s53, s22
	s_mul_i32 s20, s53, s20
	s_add_i32 s23, s23, s22
	s_sub_u32 s20, s58, s20
	s_cselect_b32 s22, -1, 0
	s_cmp_lg_u32 s22, 0
	s_subb_u32 s22, s21, s23
	s_sub_u32 s23, s20, s53
	s_cselect_b32 s44, -1, 0
	s_cmp_lg_u32 s44, 0
	s_subb_u32 s44, s22, 0
	;; [unrolled: 4-line block ×3, first 2 shown]
	s_cmp_ge_u32 s23, s53
	s_cselect_b32 s47, -1, 0
	s_cmp_eq_u32 s44, 0
	s_cselect_b32 s47, s47, -1
	s_cmp_lg_u32 s47, 0
	s_cselect_b32 s44, s46, s44
	s_cselect_b32 s45, s45, s23
	s_cmp_ge_u32 s20, s53
	s_cselect_b32 s23, -1, 0
	s_cmp_eq_u32 s22, 0
	s_cselect_b32 s23, s23, -1
	s_cmp_lg_u32 s23, 0
	s_cselect_b32 s23, s44, s22
	s_cselect_b32 s22, s45, s20
	s_cbranch_execnz .LBB198_91
.LBB198_90:                             ;   in Loop: Header=BB198_18 Depth=1
	v_cvt_f32_u32_e32 v2, s53
	s_sub_i32 s22, 0, s53
	v_rcp_iflag_f32_e32 v2, v2
	v_mul_f32_e32 v2, 0x4f7ffffe, v2
	v_cvt_u32_f32_e32 v2, v2
	v_readfirstlane_b32 s20, v2
	s_mul_i32 s22, s22, s20
	s_mul_hi_u32 s22, s20, s22
	s_add_i32 s20, s20, s22
	s_mul_hi_u32 s20, s58, s20
	s_mul_i32 s20, s20, s53
	s_sub_i32 s20, s58, s20
	s_sub_i32 s22, s20, s53
	s_cmp_ge_u32 s20, s53
	s_cselect_b32 s20, s22, s20
	s_sub_i32 s22, s20, s53
	s_cmp_ge_u32 s20, s53
	s_cselect_b32 s68, s22, s20
	s_mov_b64 s[22:23], s[68:69]
.LBB198_91:                             ;   in Loop: Header=BB198_18 Depth=1
	s_sub_u32 s20, s58, s22
	s_subb_u32 s21, s21, s23
	s_mov_b32 s23, 0
	s_mov_b32 s22, 0
	s_mov_b32 s58, exec_lo
                                        ; implicit-def: $vgpr5
	v_cmpx_gt_u64_e64 s[20:21], v[0:1]
	s_cbranch_execz .LBB198_104
; %bb.92:                               ;   in Loop: Header=BB198_18 Depth=1
	v_mov_b32_e32 v3, v1
	v_mov_b32_e32 v6, v14
	;; [unrolled: 1-line block ×3, first 2 shown]
                                        ; implicit-def: $sgpr59
	s_inst_prefetch 0x1
	s_branch .LBB198_96
	.p2align	6
.LBB198_93:                             ;   in Loop: Header=BB198_96 Depth=2
	s_or_b32 exec_lo, exec_lo, s44
	s_waitcnt lgkmcnt(0)
	s_barrier
	buffer_gl0_inv
	ds_read_b64 v[4:5], v13 offset:3072
	s_waitcnt lgkmcnt(0)
	s_barrier
	buffer_gl0_inv
	v_cmp_neq_f32_e32 vcc_lo, 0, v4
	s_cbranch_vccnz .LBB198_99
; %bb.94:                               ;   in Loop: Header=BB198_96 Depth=2
	v_add_co_u32 v2, vcc_lo, v2, s53
	v_add_co_ci_u32_e64 v3, null, 0, v3, vcc_lo
	v_add_nc_u32_e32 v6, s98, v6
	s_mov_b32 s44, 0
	v_cmp_le_u64_e32 vcc_lo, s[20:21], v[2:3]
	s_orn2_b32 s45, vcc_lo, exec_lo
.LBB198_95:                             ;   in Loop: Header=BB198_96 Depth=2
	s_and_b32 s45, exec_lo, s45
	s_or_b32 s22, s45, s22
	s_andn2_b32 s45, s59, exec_lo
	s_and_b32 s44, s44, exec_lo
	s_or_b32 s59, s45, s44
	s_andn2_b32 exec_lo, exec_lo, s22
	s_cbranch_execz .LBB198_103
.LBB198_96:                             ;   Parent Loop BB198_18 Depth=1
                                        ; =>  This Inner Loop Header: Depth=2
	s_mov_b32 s44, exec_lo
	v_cmpx_gt_u64_e64 s[18:19], v[2:3]
	s_cbranch_execz .LBB198_93
; %bb.97:                               ;   in Loop: Header=BB198_96 Depth=2
	ds_read_b32 v17, v6
	s_waitcnt lgkmcnt(0)
	v_cmp_lt_i32_e32 vcc_lo, -1, v17
	v_cndmask_b32_e64 v4, -1, 0x80000000, vcc_lo
	v_cmp_o_f32_e32 vcc_lo, v17, v17
	v_xor_b32_e32 v4, v4, v17
	v_cndmask_b32_e32 v4, -1, v4, vcc_lo
	v_and_b32_e32 v4, v4, v12
	v_cmp_eq_u32_e32 vcc_lo, v4, v9
	s_and_b32 exec_lo, exec_lo, vcc_lo
	s_cbranch_execz .LBB198_93
; %bb.98:                               ;   in Loop: Header=BB198_96 Depth=2
	ds_write_b64 v13, v[16:17] offset:3072
	s_branch .LBB198_93
.LBB198_99:                             ;   in Loop: Header=BB198_96 Depth=2
	s_mov_b32 s45, -1
	s_mov_b32 s44, -1
                                        ; implicit-def: $vgpr2_vgpr3
                                        ; implicit-def: $vgpr6
	s_branch .LBB198_95
.LBB198_100:                            ;   in Loop: Header=BB198_18 Depth=1
	s_or_b32 exec_lo, exec_lo, s10
	s_waitcnt lgkmcnt(0)
	s_barrier
	buffer_gl0_inv
	s_and_saveexec_b32 s6, s3
	s_cbranch_execz .LBB198_102
; %bb.101:                              ;   in Loop: Header=BB198_18 Depth=1
	ds_read_b32 v2, v13 offset:5144
	s_waitcnt lgkmcnt(0)
	v_ashrrev_i32_e32 v3, 31, v2
	ds_write_b64 v13, v[2:3] offset:5120
.LBB198_102:                            ;   in Loop: Header=BB198_18 Depth=1
	s_or_b32 exec_lo, exec_lo, s6
	s_waitcnt lgkmcnt(0)
	s_mov_b32 s6, -1
	s_barrier
	s_and_b32 vcc_lo, exec_lo, s9
	s_cbranch_vccnz .LBB198_34
	s_branch .LBB198_43
.LBB198_103:                            ;   in Loop: Header=BB198_18 Depth=1
	s_inst_prefetch 0x2
	s_or_b32 exec_lo, exec_lo, s22
	s_and_b32 s22, s59, exec_lo
.LBB198_104:                            ;   in Loop: Header=BB198_18 Depth=1
	s_or_b32 exec_lo, exec_lo, s58
.LBB198_105:                            ;   in Loop: Header=BB198_18 Depth=1
	s_and_b32 vcc_lo, exec_lo, s23
	s_cbranch_vccz .LBB198_120
; %bb.106:                              ;   in Loop: Header=BB198_18 Depth=1
	s_mov_b32 s70, s69
	s_cmp_lg_u64 s[70:71], 0
	s_cbranch_scc0 .LBB198_149
; %bb.107:                              ;   in Loop: Header=BB198_18 Depth=1
	v_cvt_f32_u32_e32 v2, s53
	s_sub_u32 s20, 0, s53
	s_subb_u32 s21, 0, 0
	v_fmac_f32_e64 v2, 0x4f800000, 0
	v_rcp_f32_e32 v2, v2
	v_mul_f32_e32 v2, 0x5f7ffffc, v2
	v_mul_f32_e32 v3, 0x2f800000, v2
	v_trunc_f32_e32 v3, v3
	v_fmac_f32_e32 v2, 0xcf800000, v3
	v_cvt_u32_f32_e32 v3, v3
	v_cvt_u32_f32_e32 v2, v2
	v_readfirstlane_b32 s18, v3
	v_readfirstlane_b32 s19, v2
	s_mul_i32 s23, s20, s18
	s_mul_hi_u32 s45, s20, s19
	s_mul_i32 s44, s21, s19
	s_add_i32 s23, s45, s23
	s_mul_i32 s46, s20, s19
	s_add_i32 s23, s23, s44
	s_mul_hi_u32 s45, s19, s46
	s_mul_i32 s52, s19, s23
	s_mul_hi_u32 s47, s18, s46
	s_mul_i32 s44, s18, s46
	s_mul_hi_u32 s46, s19, s23
	s_add_u32 s45, s45, s52
	s_addc_u32 s46, 0, s46
	s_mul_hi_u32 s56, s18, s23
	s_add_u32 s44, s45, s44
	s_mul_i32 s23, s18, s23
	s_addc_u32 s44, s46, s47
	s_addc_u32 s45, s56, 0
	s_add_u32 s23, s44, s23
	s_addc_u32 s44, 0, s45
	s_add_u32 s19, s19, s23
	s_cselect_b32 s23, -1, 0
	s_mul_hi_u32 s45, s20, s19
	s_cmp_lg_u32 s23, 0
	s_mul_i32 s23, s20, s19
	s_addc_u32 s18, s18, s44
	s_mul_i32 s21, s21, s19
	s_mul_i32 s20, s20, s18
	s_mul_hi_u32 s44, s19, s23
	s_add_i32 s20, s45, s20
	s_mul_hi_u32 s45, s18, s23
	s_add_i32 s20, s20, s21
	s_mul_i32 s21, s18, s23
	s_mul_i32 s47, s19, s20
	s_mul_hi_u32 s46, s19, s20
	s_add_u32 s44, s44, s47
	s_addc_u32 s46, 0, s46
	s_mul_hi_u32 s23, s18, s20
	s_add_u32 s21, s44, s21
	s_mul_i32 s20, s18, s20
	s_addc_u32 s21, s46, s45
	s_addc_u32 s23, s23, 0
	s_add_u32 s20, s21, s20
	s_addc_u32 s21, 0, s23
	s_add_u32 s19, s19, s20
	s_cselect_b32 s20, -1, 0
	s_mul_hi_u32 s23, s94, s19
	s_cmp_lg_u32 s20, 0
	s_mul_hi_u32 s20, s71, s19
	s_addc_u32 s18, s18, s21
	s_mul_i32 s19, s71, s19
	s_mul_i32 s44, s94, s18
	s_mul_hi_u32 s21, s94, s18
	s_add_u32 s23, s23, s44
	s_addc_u32 s21, 0, s21
	s_mul_hi_u32 s45, s71, s18
	s_add_u32 s19, s23, s19
	s_mul_i32 s18, s71, s18
	s_addc_u32 s19, s21, s20
	s_addc_u32 s20, s45, 0
	s_add_u32 s18, s19, s18
	s_addc_u32 s19, 0, s20
	s_mul_hi_u32 s20, s53, s18
	s_mul_i32 s19, s53, s19
	s_mul_i32 s18, s53, s18
	s_add_i32 s20, s20, s19
	s_sub_u32 s18, s94, s18
	s_cselect_b32 s19, -1, 0
	s_cmp_lg_u32 s19, 0
	s_subb_u32 s19, s71, s20
	s_sub_u32 s20, s18, s53
	s_cselect_b32 s21, -1, 0
	s_cmp_lg_u32 s21, 0
	s_subb_u32 s21, s19, 0
	;; [unrolled: 4-line block ×3, first 2 shown]
	s_cmp_ge_u32 s20, s53
	s_cselect_b32 s45, -1, 0
	s_cmp_eq_u32 s21, 0
	s_cselect_b32 s45, s45, -1
	s_cmp_lg_u32 s45, 0
	s_cselect_b32 s21, s44, s21
	s_cselect_b32 s20, s23, s20
	s_cmp_ge_u32 s18, s53
	s_cselect_b32 s23, -1, 0
	s_cmp_eq_u32 s19, 0
	s_cselect_b32 s23, s23, -1
	s_cmp_lg_u32 s23, 0
	s_cselect_b32 s19, s21, s19
	s_cselect_b32 s18, s20, s18
	s_cbranch_execnz .LBB198_109
.LBB198_108:                            ;   in Loop: Header=BB198_18 Depth=1
	v_cvt_f32_u32_e32 v2, s53
	s_sub_i32 s19, 0, s53
	v_rcp_iflag_f32_e32 v2, v2
	v_mul_f32_e32 v2, 0x4f7ffffe, v2
	v_cvt_u32_f32_e32 v2, v2
	v_readfirstlane_b32 s18, v2
	s_mul_i32 s19, s19, s18
	s_mul_hi_u32 s19, s18, s19
	s_add_i32 s18, s18, s19
	s_mul_hi_u32 s18, s94, s18
	s_mul_i32 s18, s18, s53
	s_sub_i32 s18, s94, s18
	s_sub_i32 s19, s18, s53
	s_cmp_ge_u32 s18, s53
	s_cselect_b32 s18, s19, s18
	s_sub_i32 s19, s18, s53
	s_cmp_ge_u32 s18, s53
	s_cselect_b32 s68, s19, s18
	s_mov_b64 s[18:19], s[68:69]
.LBB198_109:                            ;   in Loop: Header=BB198_18 Depth=1
	s_sub_u32 s18, s94, s18
	s_subb_u32 s19, s71, s19
	s_mov_b32 s20, exec_lo
                                        ; implicit-def: $vgpr5
	v_cmpx_gt_u64_e64 s[18:19], v[0:1]
	s_cbranch_execz .LBB198_119
; %bb.110:                              ;   in Loop: Header=BB198_18 Depth=1
	v_mov_b32_e32 v3, v1
	v_mov_b32_e32 v2, v0
	s_mov_b32 s21, 0
                                        ; implicit-def: $sgpr23
	s_branch .LBB198_114
.LBB198_111:                            ;   in Loop: Header=BB198_114 Depth=2
	s_or_b32 exec_lo, exec_lo, s58
	s_waitcnt lgkmcnt(0)
	s_barrier
	buffer_gl0_inv
	ds_read_b64 v[4:5], v13 offset:3072
	s_waitcnt lgkmcnt(0)
	s_barrier
	buffer_gl0_inv
	v_cmp_neq_f32_e32 vcc_lo, 0, v4
	s_cbranch_vccnz .LBB198_117
; %bb.112:                              ;   in Loop: Header=BB198_114 Depth=2
	v_add_co_u32 v2, vcc_lo, v2, s53
	v_add_co_ci_u32_e64 v3, null, 0, v3, vcc_lo
	s_mov_b32 s44, 0
	v_cmp_le_u64_e32 vcc_lo, s[18:19], v[2:3]
	s_orn2_b32 s45, vcc_lo, exec_lo
.LBB198_113:                            ;   in Loop: Header=BB198_114 Depth=2
	s_and_b32 s45, exec_lo, s45
	s_or_b32 s21, s45, s21
	s_andn2_b32 s23, s23, exec_lo
	s_and_b32 s44, s44, exec_lo
	s_or_b32 s23, s23, s44
	s_andn2_b32 exec_lo, exec_lo, s21
	s_cbranch_execz .LBB198_118
.LBB198_114:                            ;   Parent Loop BB198_18 Depth=1
                                        ; =>  This Inner Loop Header: Depth=2
	s_mov_b32 s58, exec_lo
	v_cmpx_gt_u64_e64 s[28:29], v[2:3]
	s_cbranch_execz .LBB198_111
; %bb.115:                              ;   in Loop: Header=BB198_114 Depth=2
	v_mul_lo_u32 v6, v3, s26
	v_mul_lo_u32 v7, v2, s27
	v_mad_u64_u32 v[4:5], null, v2, s26, 0
	v_add3_u32 v5, v5, v7, v6
	v_lshlrev_b64 v[4:5], 2, v[4:5]
	v_add_co_u32 v4, vcc_lo, s33, v4
	v_add_co_ci_u32_e64 v5, null, s35, v5, vcc_lo
	global_load_dword v17, v[4:5], off
	s_waitcnt vmcnt(0)
	v_cmp_lt_i32_e32 vcc_lo, -1, v17
	v_cndmask_b32_e64 v4, -1, 0x80000000, vcc_lo
	v_cmp_o_f32_e32 vcc_lo, v17, v17
	v_xor_b32_e32 v4, v4, v17
	v_cndmask_b32_e32 v4, -1, v4, vcc_lo
	v_and_b32_e32 v4, v4, v12
	v_cmp_eq_u32_e32 vcc_lo, v4, v9
	s_and_b32 exec_lo, exec_lo, vcc_lo
	s_cbranch_execz .LBB198_111
; %bb.116:                              ;   in Loop: Header=BB198_114 Depth=2
	ds_write_b64 v13, v[16:17] offset:3072
	s_branch .LBB198_111
.LBB198_117:                            ;   in Loop: Header=BB198_114 Depth=2
	s_mov_b32 s45, -1
	s_mov_b32 s44, -1
                                        ; implicit-def: $vgpr2_vgpr3
	s_branch .LBB198_113
.LBB198_118:                            ;   in Loop: Header=BB198_18 Depth=1
	s_or_b32 exec_lo, exec_lo, s21
	s_andn2_b32 s18, s22, exec_lo
	s_and_b32 s19, s23, exec_lo
	s_or_b32 s22, s18, s19
.LBB198_119:                            ;   in Loop: Header=BB198_18 Depth=1
	s_or_b32 exec_lo, exec_lo, s20
	s_mov_b32 s74, 0
	s_mov_b32 s75, -1
.LBB198_120:                            ;   in Loop: Header=BB198_18 Depth=1
	s_orn2_b32 s18, s22, exec_lo
.LBB198_121:                            ;   in Loop: Header=BB198_18 Depth=1
	s_or_b32 exec_lo, exec_lo, s76
	s_mov_b32 s76, 0
	s_mov_b32 s23, 0
	;; [unrolled: 1-line block ×3, first 2 shown]
                                        ; implicit-def: $vgpr2_vgpr3
                                        ; implicit-def: $vgpr8
	s_and_saveexec_b32 s77, s18
	s_cbranch_execz .LBB198_285
; %bb.122:                              ;   in Loop: Header=BB198_18 Depth=1
	v_mov_b32_e32 v2, 1
	v_mov_b32_e32 v3, 0
	;; [unrolled: 1-line block ×3, first 2 shown]
	s_xor_b32 s18, s6, -1
	s_mov_b32 s19, 0
	s_and_saveexec_b32 s6, s18
	s_cbranch_execz .LBB198_131
; %bb.123:                              ;   in Loop: Header=BB198_18 Depth=1
	s_mov_b32 s18, exec_lo
	v_cmpx_ge_u64_e64 s[10:11], v[19:20]
	s_xor_b32 s18, exec_lo, s18
	s_cbranch_execz .LBB198_128
; %bb.124:                              ;   in Loop: Header=BB198_18 Depth=1
	ds_read_b64 v[2:3], v13 offset:5120
	v_and_b32_e32 v9, s24, v9
	v_or_b32_e32 v12, s9, v12
	s_waitcnt lgkmcnt(0)
	v_cmp_ne_u64_e32 vcc_lo, 0, v[2:3]
	s_cbranch_vccnz .LBB198_128
; %bb.125:                              ;   in Loop: Header=BB198_18 Depth=1
	s_and_saveexec_b32 s19, s3
; %bb.126:                              ;   in Loop: Header=BB198_18 Depth=1
	v_mov_b32_e32 v2, s10
	v_mov_b32_e32 v3, s11
	ds_write_b64 v13, v[2:3] offset:5128
; %bb.127:                              ;   in Loop: Header=BB198_18 Depth=1
	s_or_b32 exec_lo, exec_lo, s19
	s_waitcnt lgkmcnt(0)
	s_barrier
	buffer_gl0_inv
.LBB198_128:                            ;   in Loop: Header=BB198_18 Depth=1
	s_or_saveexec_b32 s18, s18
	v_mov_b32_e32 v2, v19
	v_mov_b32_e32 v8, 8
	;; [unrolled: 1-line block ×3, first 2 shown]
	s_mov_b32 s19, 0
	s_xor_b32 exec_lo, exec_lo, s18
; %bb.129:                              ;   in Loop: Header=BB198_18 Depth=1
	v_sub_co_u32 v2, vcc_lo, v19, s10
	v_subrev_co_ci_u32_e64 v3, null, s11, v20, vcc_lo
	v_mov_b32_e32 v8, 0
	s_mov_b32 s19, exec_lo
; %bb.130:                              ;   in Loop: Header=BB198_18 Depth=1
	s_or_b32 exec_lo, exec_lo, s18
	s_and_b32 s19, s19, exec_lo
.LBB198_131:                            ;   in Loop: Header=BB198_18 Depth=1
	s_or_b32 exec_lo, exec_lo, s6
	s_mov_b32 s18, -1
                                        ; implicit-def: $sgpr78
                                        ; implicit-def: $sgpr79
	s_and_saveexec_b32 s6, s19
	s_xor_b32 s6, exec_lo, s6
	s_cbranch_execz .LBB198_282
; %bb.132:                              ;   in Loop: Header=BB198_18 Depth=1
	v_cmp_eq_u64_e32 vcc_lo, 1, v[2:3]
	s_cmp_eq_u64 s[12:13], 1
                                        ; implicit-def: $sgpr79
                                        ; implicit-def: $sgpr78
	s_cselect_b32 s18, -1, 0
	s_and_b32 s81, s18, vcc_lo
	s_mov_b32 s18, -1
	s_and_saveexec_b32 s80, s81
	s_cbranch_execz .LBB198_168
; %bb.133:                              ;   in Loop: Header=BB198_18 Depth=1
	ds_read_b64 v[4:5], v13 offset:5120
	s_waitcnt lgkmcnt(0)
	s_barrier
	buffer_gl0_inv
	v_readfirstlane_b32 s18, v4
	v_readfirstlane_b32 s19, v5
	s_and_saveexec_b32 s20, s8
; %bb.134:                              ;   in Loop: Header=BB198_18 Depth=1
	ds_write_b32 v26, v13
; %bb.135:                              ;   in Loop: Header=BB198_18 Depth=1
	s_or_b32 exec_lo, exec_lo, s20
	s_lshl_b32 s20, 1, s61
	v_or_b32_e32 v12, s9, v12
	v_and_or_b32 v9, v9, s24, s20
	s_mov_b32 s78, -1
	s_mov_b32 s79, 0
	s_cmp_eq_u64 s[18:19], 0
	s_mov_b32 s23, -1
	s_waitcnt lgkmcnt(0)
	s_barrier
	buffer_gl0_inv
                                        ; implicit-def: $vgpr5
	s_cbranch_scc1 .LBB198_152
; %bb.136:                              ;   in Loop: Header=BB198_18 Depth=1
	s_add_u32 s58, s18, s92
	s_addc_u32 s21, s19, s93
	s_mov_b32 s20, s69
	s_cmp_lg_u64 s[20:21], 0
	s_cbranch_scc0 .LBB198_195
; %bb.137:                              ;   in Loop: Header=BB198_18 Depth=1
	v_cvt_f32_u32_e32 v4, s53
	s_sub_u32 s23, 0, s53
	s_subb_u32 s44, 0, 0
	v_fmac_f32_e64 v4, 0x4f800000, 0
	v_rcp_f32_e32 v4, v4
	v_mul_f32_e32 v4, 0x5f7ffffc, v4
	v_mul_f32_e32 v5, 0x2f800000, v4
	v_trunc_f32_e32 v5, v5
	v_fmac_f32_e32 v4, 0xcf800000, v5
	v_cvt_u32_f32_e32 v5, v5
	v_cvt_u32_f32_e32 v4, v4
	v_readfirstlane_b32 s20, v5
	v_readfirstlane_b32 s22, v4
	s_mul_i32 s45, s23, s20
	s_mul_hi_u32 s47, s23, s22
	s_mul_i32 s46, s44, s22
	s_add_i32 s45, s47, s45
	s_mul_i32 s59, s23, s22
	s_add_i32 s45, s45, s46
	s_mul_hi_u32 s47, s22, s59
	s_mul_i32 s70, s22, s45
	s_mul_hi_u32 s68, s20, s59
	s_mul_i32 s46, s20, s59
	s_mul_hi_u32 s59, s22, s45
	s_add_u32 s47, s47, s70
	s_addc_u32 s59, 0, s59
	s_mul_hi_u32 s82, s20, s45
	s_add_u32 s46, s47, s46
	s_mul_i32 s45, s20, s45
	s_addc_u32 s46, s59, s68
	s_addc_u32 s47, s82, 0
	s_add_u32 s45, s46, s45
	s_addc_u32 s46, 0, s47
	s_add_u32 s22, s22, s45
	s_cselect_b32 s45, -1, 0
	s_mul_hi_u32 s47, s23, s22
	s_cmp_lg_u32 s45, 0
	s_mul_i32 s45, s23, s22
	s_addc_u32 s20, s20, s46
	s_mul_i32 s44, s44, s22
	s_mul_i32 s23, s23, s20
	s_mul_hi_u32 s46, s22, s45
	s_add_i32 s23, s47, s23
	s_mul_hi_u32 s47, s20, s45
	s_add_i32 s23, s23, s44
	s_mul_i32 s44, s20, s45
	s_mul_i32 s68, s22, s23
	s_mul_hi_u32 s59, s22, s23
	s_add_u32 s46, s46, s68
	s_addc_u32 s59, 0, s59
	s_mul_hi_u32 s45, s20, s23
	s_add_u32 s44, s46, s44
	s_mul_i32 s23, s20, s23
	s_addc_u32 s44, s59, s47
	s_addc_u32 s45, s45, 0
	s_add_u32 s23, s44, s23
	s_addc_u32 s44, 0, s45
	s_add_u32 s22, s22, s23
	s_cselect_b32 s23, -1, 0
	s_mul_hi_u32 s45, s58, s22
	s_cmp_lg_u32 s23, 0
	s_mul_hi_u32 s23, s21, s22
	s_addc_u32 s20, s20, s44
	s_mul_i32 s22, s21, s22
	s_mul_i32 s46, s58, s20
	s_mul_hi_u32 s44, s58, s20
	s_add_u32 s45, s45, s46
	s_addc_u32 s44, 0, s44
	s_mul_hi_u32 s47, s21, s20
	s_add_u32 s22, s45, s22
	s_mul_i32 s20, s21, s20
	s_addc_u32 s22, s44, s23
	s_addc_u32 s23, s47, 0
	s_add_u32 s20, s22, s20
	s_addc_u32 s22, 0, s23
	s_mul_hi_u32 s23, s53, s20
	s_mul_i32 s22, s53, s22
	s_mul_i32 s20, s53, s20
	s_add_i32 s23, s23, s22
	s_sub_u32 s20, s58, s20
	s_cselect_b32 s22, -1, 0
	s_cmp_lg_u32 s22, 0
	s_subb_u32 s22, s21, s23
	s_sub_u32 s23, s20, s53
	s_cselect_b32 s44, -1, 0
	s_cmp_lg_u32 s44, 0
	s_subb_u32 s44, s22, 0
	;; [unrolled: 4-line block ×3, first 2 shown]
	s_cmp_ge_u32 s23, s53
	s_cselect_b32 s47, -1, 0
	s_cmp_eq_u32 s44, 0
	s_cselect_b32 s47, s47, -1
	s_cmp_lg_u32 s47, 0
	s_cselect_b32 s44, s46, s44
	s_cselect_b32 s45, s45, s23
	s_cmp_ge_u32 s20, s53
	s_cselect_b32 s23, -1, 0
	s_cmp_eq_u32 s22, 0
	s_cselect_b32 s23, s23, -1
	s_cmp_lg_u32 s23, 0
	s_cselect_b32 s23, s44, s22
	s_cselect_b32 s22, s45, s20
	s_cbranch_execnz .LBB198_139
.LBB198_138:                            ;   in Loop: Header=BB198_18 Depth=1
	v_cvt_f32_u32_e32 v4, s53
	s_sub_i32 s22, 0, s53
	v_rcp_iflag_f32_e32 v4, v4
	v_mul_f32_e32 v4, 0x4f7ffffe, v4
	v_cvt_u32_f32_e32 v4, v4
	v_readfirstlane_b32 s20, v4
	s_mul_i32 s22, s22, s20
	s_mul_hi_u32 s22, s20, s22
	s_add_i32 s20, s20, s22
	s_mul_hi_u32 s20, s58, s20
	s_mul_i32 s20, s20, s53
	s_sub_i32 s20, s58, s20
	s_sub_i32 s22, s20, s53
	s_cmp_ge_u32 s20, s53
	s_cselect_b32 s20, s22, s20
	s_sub_i32 s22, s20, s53
	s_cmp_ge_u32 s20, s53
	s_cselect_b32 s68, s22, s20
	s_mov_b64 s[22:23], s[68:69]
.LBB198_139:                            ;   in Loop: Header=BB198_18 Depth=1
	s_sub_u32 s20, s58, s22
	s_subb_u32 s21, s21, s23
	s_mov_b32 s23, 0
	s_mov_b32 s22, 0
	s_mov_b32 s58, exec_lo
                                        ; implicit-def: $vgpr5
	v_cmpx_gt_u64_e64 s[20:21], v[0:1]
	s_cbranch_execz .LBB198_151
; %bb.140:                              ;   in Loop: Header=BB198_18 Depth=1
	v_mov_b32_e32 v7, v1
	v_mov_b32_e32 v21, v14
	;; [unrolled: 1-line block ×3, first 2 shown]
                                        ; implicit-def: $sgpr59
	s_inst_prefetch 0x1
	s_branch .LBB198_144
	.p2align	6
.LBB198_141:                            ;   in Loop: Header=BB198_144 Depth=2
	s_or_b32 exec_lo, exec_lo, s68
	s_waitcnt lgkmcnt(0)
	s_barrier
	buffer_gl0_inv
	ds_read_b64 v[4:5], v13 offset:3072
	s_waitcnt lgkmcnt(0)
	s_barrier
	buffer_gl0_inv
	v_cmp_neq_f32_e32 vcc_lo, 0, v4
	s_cbranch_vccnz .LBB198_147
; %bb.142:                              ;   in Loop: Header=BB198_144 Depth=2
	v_add_co_u32 v6, vcc_lo, v6, s53
	v_add_co_ci_u32_e64 v7, null, 0, v7, vcc_lo
	v_add_nc_u32_e32 v21, s98, v21
	s_mov_b32 s44, 0
	v_cmp_le_u64_e32 vcc_lo, s[20:21], v[6:7]
	s_orn2_b32 s45, vcc_lo, exec_lo
.LBB198_143:                            ;   in Loop: Header=BB198_144 Depth=2
	s_and_b32 s45, exec_lo, s45
	s_or_b32 s22, s45, s22
	s_andn2_b32 s45, s59, exec_lo
	s_and_b32 s44, s44, exec_lo
	s_or_b32 s59, s45, s44
	s_andn2_b32 exec_lo, exec_lo, s22
	s_cbranch_execz .LBB198_150
.LBB198_144:                            ;   Parent Loop BB198_18 Depth=1
                                        ; =>  This Inner Loop Header: Depth=2
	s_mov_b32 s68, exec_lo
	v_cmpx_gt_u64_e64 s[18:19], v[6:7]
	s_cbranch_execz .LBB198_141
; %bb.145:                              ;   in Loop: Header=BB198_144 Depth=2
	ds_read_b32 v17, v21
	s_waitcnt lgkmcnt(0)
	v_cmp_lt_i32_e32 vcc_lo, -1, v17
	v_cndmask_b32_e64 v4, -1, 0x80000000, vcc_lo
	v_cmp_o_f32_e32 vcc_lo, v17, v17
	v_xor_b32_e32 v4, v4, v17
	v_cndmask_b32_e32 v4, -1, v4, vcc_lo
	v_and_b32_e32 v4, v4, v12
	v_cmp_eq_u32_e32 vcc_lo, v4, v9
	s_and_b32 exec_lo, exec_lo, vcc_lo
	s_cbranch_execz .LBB198_141
; %bb.146:                              ;   in Loop: Header=BB198_144 Depth=2
	ds_write_b64 v13, v[16:17] offset:3072
	s_branch .LBB198_141
.LBB198_147:                            ;   in Loop: Header=BB198_144 Depth=2
	s_mov_b32 s45, -1
	s_mov_b32 s44, -1
                                        ; implicit-def: $vgpr6_vgpr7
                                        ; implicit-def: $vgpr21
	s_branch .LBB198_143
.LBB198_148:                            ;   in Loop: Header=BB198_18 Depth=1
                                        ; implicit-def: $sgpr22_sgpr23
	s_branch .LBB198_90
.LBB198_149:                            ;   in Loop: Header=BB198_18 Depth=1
                                        ; implicit-def: $sgpr18_sgpr19
	s_branch .LBB198_108
.LBB198_150:                            ;   in Loop: Header=BB198_18 Depth=1
	s_inst_prefetch 0x2
	s_or_b32 exec_lo, exec_lo, s22
	s_and_b32 s22, s59, exec_lo
.LBB198_151:                            ;   in Loop: Header=BB198_18 Depth=1
	s_or_b32 exec_lo, exec_lo, s58
.LBB198_152:                            ;   in Loop: Header=BB198_18 Depth=1
	s_and_b32 vcc_lo, exec_lo, s23
	s_cbranch_vccz .LBB198_167
; %bb.153:                              ;   in Loop: Header=BB198_18 Depth=1
	s_mov_b32 s70, s69
	s_cmp_lg_u64 s[70:71], 0
	s_cbranch_scc0 .LBB198_196
; %bb.154:                              ;   in Loop: Header=BB198_18 Depth=1
	v_cvt_f32_u32_e32 v4, s53
	s_sub_u32 s20, 0, s53
	s_subb_u32 s21, 0, 0
	v_fmac_f32_e64 v4, 0x4f800000, 0
	v_rcp_f32_e32 v4, v4
	v_mul_f32_e32 v4, 0x5f7ffffc, v4
	v_mul_f32_e32 v5, 0x2f800000, v4
	v_trunc_f32_e32 v5, v5
	v_fmac_f32_e32 v4, 0xcf800000, v5
	v_cvt_u32_f32_e32 v5, v5
	v_cvt_u32_f32_e32 v4, v4
	v_readfirstlane_b32 s18, v5
	v_readfirstlane_b32 s19, v4
	s_mul_i32 s23, s20, s18
	s_mul_hi_u32 s45, s20, s19
	s_mul_i32 s44, s21, s19
	s_add_i32 s23, s45, s23
	s_mul_i32 s46, s20, s19
	s_add_i32 s23, s23, s44
	s_mul_hi_u32 s45, s19, s46
	s_mul_i32 s58, s19, s23
	s_mul_hi_u32 s47, s18, s46
	s_mul_i32 s44, s18, s46
	s_mul_hi_u32 s46, s19, s23
	s_add_u32 s45, s45, s58
	s_addc_u32 s46, 0, s46
	s_mul_hi_u32 s59, s18, s23
	s_add_u32 s44, s45, s44
	s_mul_i32 s23, s18, s23
	s_addc_u32 s44, s46, s47
	s_addc_u32 s45, s59, 0
	s_add_u32 s23, s44, s23
	s_addc_u32 s44, 0, s45
	s_add_u32 s19, s19, s23
	s_cselect_b32 s23, -1, 0
	s_mul_hi_u32 s45, s20, s19
	s_cmp_lg_u32 s23, 0
	s_mul_i32 s23, s20, s19
	s_addc_u32 s18, s18, s44
	s_mul_i32 s21, s21, s19
	s_mul_i32 s20, s20, s18
	s_mul_hi_u32 s44, s19, s23
	s_add_i32 s20, s45, s20
	s_mul_hi_u32 s45, s18, s23
	s_add_i32 s20, s20, s21
	s_mul_i32 s21, s18, s23
	s_mul_i32 s47, s19, s20
	s_mul_hi_u32 s46, s19, s20
	s_add_u32 s44, s44, s47
	s_addc_u32 s46, 0, s46
	s_mul_hi_u32 s23, s18, s20
	s_add_u32 s21, s44, s21
	s_mul_i32 s20, s18, s20
	s_addc_u32 s21, s46, s45
	s_addc_u32 s23, s23, 0
	s_add_u32 s20, s21, s20
	s_addc_u32 s21, 0, s23
	s_add_u32 s19, s19, s20
	s_cselect_b32 s20, -1, 0
	s_mul_hi_u32 s23, s94, s19
	s_cmp_lg_u32 s20, 0
	s_mul_hi_u32 s20, s71, s19
	s_addc_u32 s18, s18, s21
	s_mul_i32 s19, s71, s19
	s_mul_i32 s44, s94, s18
	s_mul_hi_u32 s21, s94, s18
	s_add_u32 s23, s23, s44
	s_addc_u32 s21, 0, s21
	s_mul_hi_u32 s45, s71, s18
	s_add_u32 s19, s23, s19
	s_mul_i32 s18, s71, s18
	s_addc_u32 s19, s21, s20
	s_addc_u32 s20, s45, 0
	s_add_u32 s18, s19, s18
	s_addc_u32 s19, 0, s20
	s_mul_hi_u32 s20, s53, s18
	s_mul_i32 s19, s53, s19
	s_mul_i32 s18, s53, s18
	s_add_i32 s20, s20, s19
	s_sub_u32 s18, s94, s18
	s_cselect_b32 s19, -1, 0
	s_cmp_lg_u32 s19, 0
	s_subb_u32 s19, s71, s20
	s_sub_u32 s20, s18, s53
	s_cselect_b32 s21, -1, 0
	s_cmp_lg_u32 s21, 0
	s_subb_u32 s21, s19, 0
	;; [unrolled: 4-line block ×3, first 2 shown]
	s_cmp_ge_u32 s20, s53
	s_cselect_b32 s45, -1, 0
	s_cmp_eq_u32 s21, 0
	s_cselect_b32 s45, s45, -1
	s_cmp_lg_u32 s45, 0
	s_cselect_b32 s21, s44, s21
	s_cselect_b32 s20, s23, s20
	s_cmp_ge_u32 s18, s53
	s_cselect_b32 s23, -1, 0
	s_cmp_eq_u32 s19, 0
	s_cselect_b32 s23, s23, -1
	s_cmp_lg_u32 s23, 0
	s_cselect_b32 s19, s21, s19
	s_cselect_b32 s18, s20, s18
	s_cbranch_execnz .LBB198_156
.LBB198_155:                            ;   in Loop: Header=BB198_18 Depth=1
	v_cvt_f32_u32_e32 v4, s53
	s_sub_i32 s19, 0, s53
	v_rcp_iflag_f32_e32 v4, v4
	v_mul_f32_e32 v4, 0x4f7ffffe, v4
	v_cvt_u32_f32_e32 v4, v4
	v_readfirstlane_b32 s18, v4
	s_mul_i32 s19, s19, s18
	s_mul_hi_u32 s19, s18, s19
	s_add_i32 s18, s18, s19
	s_mul_hi_u32 s18, s94, s18
	s_mul_i32 s18, s18, s53
	s_sub_i32 s18, s94, s18
	s_sub_i32 s19, s18, s53
	s_cmp_ge_u32 s18, s53
	s_cselect_b32 s18, s19, s18
	s_sub_i32 s19, s18, s53
	s_cmp_ge_u32 s18, s53
	s_cselect_b32 s68, s19, s18
	s_mov_b64 s[18:19], s[68:69]
.LBB198_156:                            ;   in Loop: Header=BB198_18 Depth=1
	s_sub_u32 s18, s94, s18
	s_subb_u32 s19, s71, s19
	s_mov_b32 s20, exec_lo
                                        ; implicit-def: $vgpr5
	v_cmpx_gt_u64_e64 s[18:19], v[0:1]
	s_cbranch_execz .LBB198_166
; %bb.157:                              ;   in Loop: Header=BB198_18 Depth=1
	v_mov_b32_e32 v7, v1
	v_mov_b32_e32 v6, v0
	s_mov_b32 s21, 0
                                        ; implicit-def: $sgpr23
	s_branch .LBB198_161
.LBB198_158:                            ;   in Loop: Header=BB198_161 Depth=2
	s_or_b32 exec_lo, exec_lo, s58
	s_waitcnt lgkmcnt(0)
	s_barrier
	buffer_gl0_inv
	ds_read_b64 v[4:5], v13 offset:3072
	s_waitcnt lgkmcnt(0)
	s_barrier
	buffer_gl0_inv
	v_cmp_eq_f32_e32 vcc_lo, 0, v4
	s_cbranch_vccz .LBB198_164
; %bb.159:                              ;   in Loop: Header=BB198_161 Depth=2
	v_add_co_u32 v6, vcc_lo, v6, s53
	v_add_co_ci_u32_e64 v7, null, 0, v7, vcc_lo
	s_mov_b32 s44, 0
	v_cmp_le_u64_e32 vcc_lo, s[18:19], v[6:7]
	s_orn2_b32 s45, vcc_lo, exec_lo
.LBB198_160:                            ;   in Loop: Header=BB198_161 Depth=2
	s_and_b32 s45, exec_lo, s45
	s_or_b32 s21, s45, s21
	s_andn2_b32 s23, s23, exec_lo
	s_and_b32 s44, s44, exec_lo
	s_or_b32 s23, s23, s44
	s_andn2_b32 exec_lo, exec_lo, s21
	s_cbranch_execz .LBB198_165
.LBB198_161:                            ;   Parent Loop BB198_18 Depth=1
                                        ; =>  This Inner Loop Header: Depth=2
	s_mov_b32 s58, exec_lo
	v_cmpx_gt_u64_e64 s[28:29], v[6:7]
	s_cbranch_execz .LBB198_158
; %bb.162:                              ;   in Loop: Header=BB198_161 Depth=2
	v_mul_lo_u32 v17, v7, s26
	v_mul_lo_u32 v21, v6, s27
	v_mad_u64_u32 v[4:5], null, v6, s26, 0
	v_add3_u32 v5, v5, v21, v17
	v_lshlrev_b64 v[4:5], 2, v[4:5]
	v_add_co_u32 v4, vcc_lo, s33, v4
	v_add_co_ci_u32_e64 v5, null, s35, v5, vcc_lo
	global_load_dword v17, v[4:5], off
	s_waitcnt vmcnt(0)
	v_cmp_lt_i32_e32 vcc_lo, -1, v17
	v_cndmask_b32_e64 v4, -1, 0x80000000, vcc_lo
	v_cmp_o_f32_e32 vcc_lo, v17, v17
	v_xor_b32_e32 v4, v4, v17
	v_cndmask_b32_e32 v4, -1, v4, vcc_lo
	v_and_b32_e32 v4, v4, v12
	v_cmp_eq_u32_e32 vcc_lo, v4, v9
	s_and_b32 exec_lo, exec_lo, vcc_lo
	s_cbranch_execz .LBB198_158
; %bb.163:                              ;   in Loop: Header=BB198_161 Depth=2
	ds_write_b64 v13, v[16:17] offset:3072
	s_branch .LBB198_158
.LBB198_164:                            ;   in Loop: Header=BB198_161 Depth=2
	s_mov_b32 s45, -1
	s_mov_b32 s44, -1
                                        ; implicit-def: $vgpr6_vgpr7
	s_branch .LBB198_160
.LBB198_165:                            ;   in Loop: Header=BB198_18 Depth=1
	s_or_b32 exec_lo, exec_lo, s21
	s_andn2_b32 s18, s22, exec_lo
	s_and_b32 s19, s23, exec_lo
	s_or_b32 s22, s18, s19
.LBB198_166:                            ;   in Loop: Header=BB198_18 Depth=1
	s_or_b32 exec_lo, exec_lo, s20
	s_mov_b32 s78, 0
	s_mov_b32 s79, -1
.LBB198_167:                            ;   in Loop: Header=BB198_18 Depth=1
	s_orn2_b32 s18, s22, exec_lo
.LBB198_168:                            ;   in Loop: Header=BB198_18 Depth=1
	s_or_b32 exec_lo, exec_lo, s80
	s_mov_b32 s19, 0
	s_and_saveexec_b32 s80, s18
	s_cbranch_execz .LBB198_281
; %bb.169:                              ;   in Loop: Header=BB198_18 Depth=1
	v_mov_b32_e32 v6, 1
	v_mov_b32_e32 v7, 0
	;; [unrolled: 1-line block ×3, first 2 shown]
	s_xor_b32 s20, s81, -1
	s_and_saveexec_b32 s18, s20
	s_cbranch_execz .LBB198_178
; %bb.170:                              ;   in Loop: Header=BB198_18 Depth=1
	s_mov_b32 s19, exec_lo
	v_cmpx_ge_u64_e64 s[12:13], v[2:3]
	s_xor_b32 s19, exec_lo, s19
	s_cbranch_execz .LBB198_175
; %bb.171:                              ;   in Loop: Header=BB198_18 Depth=1
	ds_read_b64 v[6:7], v13 offset:5120
	s_lshl_b32 s20, 1, s61
	v_or_b32_e32 v12, s9, v12
	v_and_or_b32 v9, v9, s24, s20
	s_waitcnt lgkmcnt(0)
	v_cmp_ne_u64_e32 vcc_lo, 0, v[6:7]
	s_cbranch_vccnz .LBB198_175
; %bb.172:                              ;   in Loop: Header=BB198_18 Depth=1
	s_and_saveexec_b32 s20, s3
; %bb.173:                              ;   in Loop: Header=BB198_18 Depth=1
	v_mov_b32_e32 v6, s12
	v_mov_b32_e32 v7, s13
	ds_write_b64 v13, v[6:7] offset:5128
; %bb.174:                              ;   in Loop: Header=BB198_18 Depth=1
	s_or_b32 exec_lo, exec_lo, s20
	s_waitcnt lgkmcnt(0)
	s_barrier
	buffer_gl0_inv
.LBB198_175:                            ;   in Loop: Header=BB198_18 Depth=1
	s_or_saveexec_b32 s19, s19
	v_mov_b32_e32 v8, 8
	s_mov_b32 s20, 0
	s_xor_b32 exec_lo, exec_lo, s19
; %bb.176:                              ;   in Loop: Header=BB198_18 Depth=1
	v_sub_co_u32 v2, vcc_lo, v2, s12
	v_subrev_co_ci_u32_e64 v3, null, s13, v3, vcc_lo
	v_mov_b32_e32 v8, 0
	s_mov_b32 s20, exec_lo
; %bb.177:                              ;   in Loop: Header=BB198_18 Depth=1
	s_or_b32 exec_lo, exec_lo, s19
	v_mov_b32_e32 v7, v3
	v_mov_b32_e32 v6, v2
	s_and_b32 s19, s20, exec_lo
.LBB198_178:                            ;   in Loop: Header=BB198_18 Depth=1
	s_or_b32 exec_lo, exec_lo, s18
	s_mov_b32 s18, -1
                                        ; implicit-def: $sgpr82
                                        ; implicit-def: $sgpr83
	s_and_saveexec_b32 s81, s19
	s_cbranch_execz .LBB198_280
; %bb.179:                              ;   in Loop: Header=BB198_18 Depth=1
	v_cmp_eq_u64_e32 vcc_lo, 1, v[6:7]
	s_cmp_eq_u64 s[14:15], 1
                                        ; implicit-def: $sgpr83
                                        ; implicit-def: $sgpr82
	s_cselect_b32 s18, -1, 0
	s_and_b32 s85, s18, vcc_lo
	s_mov_b32 s18, -1
	s_and_saveexec_b32 s84, s85
	s_cbranch_execz .LBB198_215
; %bb.180:                              ;   in Loop: Header=BB198_18 Depth=1
	ds_read_b64 v[2:3], v13 offset:5120
	s_waitcnt lgkmcnt(0)
	s_barrier
	buffer_gl0_inv
	v_readfirstlane_b32 s18, v2
	v_readfirstlane_b32 s19, v3
	s_and_saveexec_b32 s20, s8
; %bb.181:                              ;   in Loop: Header=BB198_18 Depth=1
	ds_write_b32 v26, v13
; %bb.182:                              ;   in Loop: Header=BB198_18 Depth=1
	s_or_b32 exec_lo, exec_lo, s20
	s_lshl_b32 s20, 2, s61
	v_or_b32_e32 v12, s9, v12
	v_and_or_b32 v9, v9, s24, s20
	s_mov_b32 s82, -1
	s_mov_b32 s83, 0
	s_cmp_eq_u64 s[18:19], 0
	s_mov_b32 s22, 0
	s_mov_b32 s23, -1
	s_waitcnt lgkmcnt(0)
	s_barrier
	buffer_gl0_inv
                                        ; implicit-def: $vgpr5
	s_cbranch_scc1 .LBB198_199
; %bb.183:                              ;   in Loop: Header=BB198_18 Depth=1
	s_add_u32 s58, s18, s92
	s_addc_u32 s21, s19, s93
	s_mov_b32 s20, s69
	s_cmp_lg_u64 s[20:21], 0
	s_cbranch_scc0 .LBB198_232
; %bb.184:                              ;   in Loop: Header=BB198_18 Depth=1
	v_cvt_f32_u32_e32 v2, s53
	s_sub_u32 s23, 0, s53
	s_subb_u32 s44, 0, 0
	v_fmac_f32_e64 v2, 0x4f800000, 0
	v_rcp_f32_e32 v2, v2
	v_mul_f32_e32 v2, 0x5f7ffffc, v2
	v_mul_f32_e32 v3, 0x2f800000, v2
	v_trunc_f32_e32 v3, v3
	v_fmac_f32_e32 v2, 0xcf800000, v3
	v_cvt_u32_f32_e32 v3, v3
	v_cvt_u32_f32_e32 v2, v2
	v_readfirstlane_b32 s20, v3
	v_readfirstlane_b32 s22, v2
	s_mul_i32 s45, s23, s20
	s_mul_hi_u32 s47, s23, s22
	s_mul_i32 s46, s44, s22
	s_add_i32 s45, s47, s45
	s_mul_i32 s59, s23, s22
	s_add_i32 s45, s45, s46
	s_mul_hi_u32 s47, s22, s59
	s_mul_i32 s70, s22, s45
	s_mul_hi_u32 s68, s20, s59
	s_mul_i32 s46, s20, s59
	s_mul_hi_u32 s59, s22, s45
	s_add_u32 s47, s47, s70
	s_addc_u32 s59, 0, s59
	s_mul_hi_u32 s86, s20, s45
	s_add_u32 s46, s47, s46
	s_mul_i32 s45, s20, s45
	s_addc_u32 s46, s59, s68
	s_addc_u32 s47, s86, 0
	s_add_u32 s45, s46, s45
	s_addc_u32 s46, 0, s47
	s_add_u32 s22, s22, s45
	s_cselect_b32 s45, -1, 0
	s_mul_hi_u32 s47, s23, s22
	s_cmp_lg_u32 s45, 0
	s_mul_i32 s45, s23, s22
	s_addc_u32 s20, s20, s46
	s_mul_i32 s44, s44, s22
	s_mul_i32 s23, s23, s20
	s_mul_hi_u32 s46, s22, s45
	s_add_i32 s23, s47, s23
	s_mul_hi_u32 s47, s20, s45
	s_add_i32 s23, s23, s44
	s_mul_i32 s44, s20, s45
	s_mul_i32 s68, s22, s23
	s_mul_hi_u32 s59, s22, s23
	s_add_u32 s46, s46, s68
	s_addc_u32 s59, 0, s59
	s_mul_hi_u32 s45, s20, s23
	s_add_u32 s44, s46, s44
	s_mul_i32 s23, s20, s23
	s_addc_u32 s44, s59, s47
	s_addc_u32 s45, s45, 0
	s_add_u32 s23, s44, s23
	s_addc_u32 s44, 0, s45
	s_add_u32 s22, s22, s23
	s_cselect_b32 s23, -1, 0
	s_mul_hi_u32 s45, s58, s22
	s_cmp_lg_u32 s23, 0
	s_mul_hi_u32 s23, s21, s22
	s_addc_u32 s20, s20, s44
	s_mul_i32 s22, s21, s22
	s_mul_i32 s46, s58, s20
	s_mul_hi_u32 s44, s58, s20
	s_add_u32 s45, s45, s46
	s_addc_u32 s44, 0, s44
	s_mul_hi_u32 s47, s21, s20
	s_add_u32 s22, s45, s22
	s_mul_i32 s20, s21, s20
	s_addc_u32 s22, s44, s23
	s_addc_u32 s23, s47, 0
	s_add_u32 s20, s22, s20
	s_addc_u32 s22, 0, s23
	s_mul_hi_u32 s23, s53, s20
	s_mul_i32 s22, s53, s22
	s_mul_i32 s20, s53, s20
	s_add_i32 s23, s23, s22
	s_sub_u32 s20, s58, s20
	s_cselect_b32 s22, -1, 0
	s_cmp_lg_u32 s22, 0
	s_subb_u32 s22, s21, s23
	s_sub_u32 s23, s20, s53
	s_cselect_b32 s44, -1, 0
	s_cmp_lg_u32 s44, 0
	s_subb_u32 s44, s22, 0
	;; [unrolled: 4-line block ×3, first 2 shown]
	s_cmp_ge_u32 s23, s53
	s_cselect_b32 s47, -1, 0
	s_cmp_eq_u32 s44, 0
	s_cselect_b32 s47, s47, -1
	s_cmp_lg_u32 s47, 0
	s_cselect_b32 s44, s46, s44
	s_cselect_b32 s45, s45, s23
	s_cmp_ge_u32 s20, s53
	s_cselect_b32 s23, -1, 0
	s_cmp_eq_u32 s22, 0
	s_cselect_b32 s23, s23, -1
	s_cmp_lg_u32 s23, 0
	s_cselect_b32 s23, s44, s22
	s_cselect_b32 s22, s45, s20
	s_cbranch_execnz .LBB198_186
.LBB198_185:                            ;   in Loop: Header=BB198_18 Depth=1
	v_cvt_f32_u32_e32 v2, s53
	s_sub_i32 s22, 0, s53
	v_rcp_iflag_f32_e32 v2, v2
	v_mul_f32_e32 v2, 0x4f7ffffe, v2
	v_cvt_u32_f32_e32 v2, v2
	v_readfirstlane_b32 s20, v2
	s_mul_i32 s22, s22, s20
	s_mul_hi_u32 s22, s20, s22
	s_add_i32 s20, s20, s22
	s_mul_hi_u32 s20, s58, s20
	s_mul_i32 s20, s20, s53
	s_sub_i32 s20, s58, s20
	s_sub_i32 s22, s20, s53
	s_cmp_ge_u32 s20, s53
	s_cselect_b32 s20, s22, s20
	s_sub_i32 s22, s20, s53
	s_cmp_ge_u32 s20, s53
	s_cselect_b32 s68, s22, s20
	s_mov_b64 s[22:23], s[68:69]
.LBB198_186:                            ;   in Loop: Header=BB198_18 Depth=1
	s_sub_u32 s20, s58, s22
	s_subb_u32 s21, s21, s23
	s_mov_b32 s23, 0
	s_mov_b32 s22, 0
	s_mov_b32 s58, exec_lo
                                        ; implicit-def: $vgpr5
	v_cmpx_gt_u64_e64 s[20:21], v[0:1]
	s_cbranch_execz .LBB198_198
; %bb.187:                              ;   in Loop: Header=BB198_18 Depth=1
	v_mov_b32_e32 v3, v1
	v_mov_b32_e32 v21, v14
	;; [unrolled: 1-line block ×3, first 2 shown]
                                        ; implicit-def: $sgpr59
	s_inst_prefetch 0x1
	s_branch .LBB198_191
	.p2align	6
.LBB198_188:                            ;   in Loop: Header=BB198_191 Depth=2
	s_or_b32 exec_lo, exec_lo, s68
	s_waitcnt lgkmcnt(0)
	s_barrier
	buffer_gl0_inv
	ds_read_b64 v[4:5], v13 offset:3072
	s_waitcnt lgkmcnt(0)
	s_barrier
	buffer_gl0_inv
	v_cmp_neq_f32_e32 vcc_lo, 0, v4
	s_cbranch_vccnz .LBB198_194
; %bb.189:                              ;   in Loop: Header=BB198_191 Depth=2
	v_add_co_u32 v2, vcc_lo, v2, s53
	v_add_co_ci_u32_e64 v3, null, 0, v3, vcc_lo
	v_add_nc_u32_e32 v21, s98, v21
	s_mov_b32 s44, 0
	v_cmp_le_u64_e32 vcc_lo, s[20:21], v[2:3]
	s_orn2_b32 s45, vcc_lo, exec_lo
.LBB198_190:                            ;   in Loop: Header=BB198_191 Depth=2
	s_and_b32 s45, exec_lo, s45
	s_or_b32 s22, s45, s22
	s_andn2_b32 s45, s59, exec_lo
	s_and_b32 s44, s44, exec_lo
	s_or_b32 s59, s45, s44
	s_andn2_b32 exec_lo, exec_lo, s22
	s_cbranch_execz .LBB198_197
.LBB198_191:                            ;   Parent Loop BB198_18 Depth=1
                                        ; =>  This Inner Loop Header: Depth=2
	s_mov_b32 s68, exec_lo
	v_cmpx_gt_u64_e64 s[18:19], v[2:3]
	s_cbranch_execz .LBB198_188
; %bb.192:                              ;   in Loop: Header=BB198_191 Depth=2
	ds_read_b32 v17, v21
	s_waitcnt lgkmcnt(0)
	v_cmp_lt_i32_e32 vcc_lo, -1, v17
	v_cndmask_b32_e64 v4, -1, 0x80000000, vcc_lo
	v_cmp_o_f32_e32 vcc_lo, v17, v17
	v_xor_b32_e32 v4, v4, v17
	v_cndmask_b32_e32 v4, -1, v4, vcc_lo
	v_and_b32_e32 v4, v4, v12
	v_cmp_eq_u32_e32 vcc_lo, v4, v9
	s_and_b32 exec_lo, exec_lo, vcc_lo
	s_cbranch_execz .LBB198_188
; %bb.193:                              ;   in Loop: Header=BB198_191 Depth=2
	ds_write_b64 v13, v[16:17] offset:3072
	s_branch .LBB198_188
.LBB198_194:                            ;   in Loop: Header=BB198_191 Depth=2
	s_mov_b32 s45, -1
	s_mov_b32 s44, -1
                                        ; implicit-def: $vgpr2_vgpr3
                                        ; implicit-def: $vgpr21
	s_branch .LBB198_190
.LBB198_195:                            ;   in Loop: Header=BB198_18 Depth=1
                                        ; implicit-def: $sgpr22_sgpr23
	s_branch .LBB198_138
.LBB198_196:                            ;   in Loop: Header=BB198_18 Depth=1
                                        ; implicit-def: $sgpr18_sgpr19
	s_branch .LBB198_155
.LBB198_197:                            ;   in Loop: Header=BB198_18 Depth=1
	s_inst_prefetch 0x2
	s_or_b32 exec_lo, exec_lo, s22
	s_and_b32 s22, s59, exec_lo
.LBB198_198:                            ;   in Loop: Header=BB198_18 Depth=1
	s_or_b32 exec_lo, exec_lo, s58
.LBB198_199:                            ;   in Loop: Header=BB198_18 Depth=1
	s_and_b32 vcc_lo, exec_lo, s23
	s_cbranch_vccz .LBB198_214
; %bb.200:                              ;   in Loop: Header=BB198_18 Depth=1
	s_mov_b32 s70, s69
	s_cmp_lg_u64 s[70:71], 0
	s_cbranch_scc0 .LBB198_233
; %bb.201:                              ;   in Loop: Header=BB198_18 Depth=1
	v_cvt_f32_u32_e32 v2, s53
	s_sub_u32 s20, 0, s53
	s_subb_u32 s21, 0, 0
	v_fmac_f32_e64 v2, 0x4f800000, 0
	v_rcp_f32_e32 v2, v2
	v_mul_f32_e32 v2, 0x5f7ffffc, v2
	v_mul_f32_e32 v3, 0x2f800000, v2
	v_trunc_f32_e32 v3, v3
	v_fmac_f32_e32 v2, 0xcf800000, v3
	v_cvt_u32_f32_e32 v3, v3
	v_cvt_u32_f32_e32 v2, v2
	v_readfirstlane_b32 s18, v3
	v_readfirstlane_b32 s19, v2
	s_mul_i32 s23, s20, s18
	s_mul_hi_u32 s45, s20, s19
	s_mul_i32 s44, s21, s19
	s_add_i32 s23, s45, s23
	s_mul_i32 s46, s20, s19
	s_add_i32 s23, s23, s44
	s_mul_hi_u32 s45, s19, s46
	s_mul_i32 s58, s19, s23
	s_mul_hi_u32 s47, s18, s46
	s_mul_i32 s44, s18, s46
	s_mul_hi_u32 s46, s19, s23
	s_add_u32 s45, s45, s58
	s_addc_u32 s46, 0, s46
	s_mul_hi_u32 s59, s18, s23
	s_add_u32 s44, s45, s44
	s_mul_i32 s23, s18, s23
	s_addc_u32 s44, s46, s47
	s_addc_u32 s45, s59, 0
	s_add_u32 s23, s44, s23
	s_addc_u32 s44, 0, s45
	s_add_u32 s19, s19, s23
	s_cselect_b32 s23, -1, 0
	s_mul_hi_u32 s45, s20, s19
	s_cmp_lg_u32 s23, 0
	s_mul_i32 s23, s20, s19
	s_addc_u32 s18, s18, s44
	s_mul_i32 s21, s21, s19
	s_mul_i32 s20, s20, s18
	s_mul_hi_u32 s44, s19, s23
	s_add_i32 s20, s45, s20
	s_mul_hi_u32 s45, s18, s23
	s_add_i32 s20, s20, s21
	s_mul_i32 s21, s18, s23
	s_mul_i32 s47, s19, s20
	s_mul_hi_u32 s46, s19, s20
	s_add_u32 s44, s44, s47
	s_addc_u32 s46, 0, s46
	s_mul_hi_u32 s23, s18, s20
	s_add_u32 s21, s44, s21
	s_mul_i32 s20, s18, s20
	s_addc_u32 s21, s46, s45
	s_addc_u32 s23, s23, 0
	s_add_u32 s20, s21, s20
	s_addc_u32 s21, 0, s23
	s_add_u32 s19, s19, s20
	s_cselect_b32 s20, -1, 0
	s_mul_hi_u32 s23, s94, s19
	s_cmp_lg_u32 s20, 0
	s_mul_hi_u32 s20, s71, s19
	s_addc_u32 s18, s18, s21
	s_mul_i32 s19, s71, s19
	s_mul_i32 s44, s94, s18
	s_mul_hi_u32 s21, s94, s18
	s_add_u32 s23, s23, s44
	s_addc_u32 s21, 0, s21
	s_mul_hi_u32 s45, s71, s18
	s_add_u32 s19, s23, s19
	s_mul_i32 s18, s71, s18
	s_addc_u32 s19, s21, s20
	s_addc_u32 s20, s45, 0
	s_add_u32 s18, s19, s18
	s_addc_u32 s19, 0, s20
	s_mul_hi_u32 s20, s53, s18
	s_mul_i32 s19, s53, s19
	s_mul_i32 s18, s53, s18
	s_add_i32 s20, s20, s19
	s_sub_u32 s18, s94, s18
	s_cselect_b32 s19, -1, 0
	s_cmp_lg_u32 s19, 0
	s_subb_u32 s19, s71, s20
	s_sub_u32 s20, s18, s53
	s_cselect_b32 s21, -1, 0
	s_cmp_lg_u32 s21, 0
	s_subb_u32 s21, s19, 0
	;; [unrolled: 4-line block ×3, first 2 shown]
	s_cmp_ge_u32 s20, s53
	s_cselect_b32 s45, -1, 0
	s_cmp_eq_u32 s21, 0
	s_cselect_b32 s45, s45, -1
	s_cmp_lg_u32 s45, 0
	s_cselect_b32 s21, s44, s21
	s_cselect_b32 s20, s23, s20
	s_cmp_ge_u32 s18, s53
	s_cselect_b32 s23, -1, 0
	s_cmp_eq_u32 s19, 0
	s_cselect_b32 s23, s23, -1
	s_cmp_lg_u32 s23, 0
	s_cselect_b32 s19, s21, s19
	s_cselect_b32 s18, s20, s18
	s_cbranch_execnz .LBB198_203
.LBB198_202:                            ;   in Loop: Header=BB198_18 Depth=1
	v_cvt_f32_u32_e32 v2, s53
	s_sub_i32 s19, 0, s53
	v_rcp_iflag_f32_e32 v2, v2
	v_mul_f32_e32 v2, 0x4f7ffffe, v2
	v_cvt_u32_f32_e32 v2, v2
	v_readfirstlane_b32 s18, v2
	s_mul_i32 s19, s19, s18
	s_mul_hi_u32 s19, s18, s19
	s_add_i32 s18, s18, s19
	s_mul_hi_u32 s18, s94, s18
	s_mul_i32 s18, s18, s53
	s_sub_i32 s18, s94, s18
	s_sub_i32 s19, s18, s53
	s_cmp_ge_u32 s18, s53
	s_cselect_b32 s18, s19, s18
	s_sub_i32 s19, s18, s53
	s_cmp_ge_u32 s18, s53
	s_cselect_b32 s68, s19, s18
	s_mov_b64 s[18:19], s[68:69]
.LBB198_203:                            ;   in Loop: Header=BB198_18 Depth=1
	s_sub_u32 s18, s94, s18
	s_subb_u32 s19, s71, s19
	s_mov_b32 s20, exec_lo
                                        ; implicit-def: $vgpr5
	v_cmpx_gt_u64_e64 s[18:19], v[0:1]
	s_cbranch_execz .LBB198_213
; %bb.204:                              ;   in Loop: Header=BB198_18 Depth=1
	v_mov_b32_e32 v3, v1
	v_mov_b32_e32 v2, v0
	s_mov_b32 s21, 0
                                        ; implicit-def: $sgpr23
	s_branch .LBB198_208
.LBB198_205:                            ;   in Loop: Header=BB198_208 Depth=2
	s_or_b32 exec_lo, exec_lo, s58
	s_waitcnt lgkmcnt(0)
	s_barrier
	buffer_gl0_inv
	ds_read_b64 v[4:5], v13 offset:3072
	s_waitcnt lgkmcnt(0)
	s_barrier
	buffer_gl0_inv
	v_cmp_eq_f32_e32 vcc_lo, 0, v4
	s_cbranch_vccz .LBB198_211
; %bb.206:                              ;   in Loop: Header=BB198_208 Depth=2
	v_add_co_u32 v2, vcc_lo, v2, s53
	v_add_co_ci_u32_e64 v3, null, 0, v3, vcc_lo
	s_mov_b32 s44, 0
	v_cmp_le_u64_e32 vcc_lo, s[18:19], v[2:3]
	s_orn2_b32 s45, vcc_lo, exec_lo
.LBB198_207:                            ;   in Loop: Header=BB198_208 Depth=2
	s_and_b32 s45, exec_lo, s45
	s_or_b32 s21, s45, s21
	s_andn2_b32 s23, s23, exec_lo
	s_and_b32 s44, s44, exec_lo
	s_or_b32 s23, s23, s44
	s_andn2_b32 exec_lo, exec_lo, s21
	s_cbranch_execz .LBB198_212
.LBB198_208:                            ;   Parent Loop BB198_18 Depth=1
                                        ; =>  This Inner Loop Header: Depth=2
	s_mov_b32 s58, exec_lo
	v_cmpx_gt_u64_e64 s[28:29], v[2:3]
	s_cbranch_execz .LBB198_205
; %bb.209:                              ;   in Loop: Header=BB198_208 Depth=2
	v_mul_lo_u32 v17, v3, s26
	v_mul_lo_u32 v21, v2, s27
	v_mad_u64_u32 v[4:5], null, v2, s26, 0
	v_add3_u32 v5, v5, v21, v17
	v_lshlrev_b64 v[4:5], 2, v[4:5]
	v_add_co_u32 v4, vcc_lo, s33, v4
	v_add_co_ci_u32_e64 v5, null, s35, v5, vcc_lo
	global_load_dword v17, v[4:5], off
	s_waitcnt vmcnt(0)
	v_cmp_lt_i32_e32 vcc_lo, -1, v17
	v_cndmask_b32_e64 v4, -1, 0x80000000, vcc_lo
	v_cmp_o_f32_e32 vcc_lo, v17, v17
	v_xor_b32_e32 v4, v4, v17
	v_cndmask_b32_e32 v4, -1, v4, vcc_lo
	v_and_b32_e32 v4, v4, v12
	v_cmp_eq_u32_e32 vcc_lo, v4, v9
	s_and_b32 exec_lo, exec_lo, vcc_lo
	s_cbranch_execz .LBB198_205
; %bb.210:                              ;   in Loop: Header=BB198_208 Depth=2
	ds_write_b64 v13, v[16:17] offset:3072
	s_branch .LBB198_205
.LBB198_211:                            ;   in Loop: Header=BB198_208 Depth=2
	s_mov_b32 s45, -1
	s_mov_b32 s44, -1
                                        ; implicit-def: $vgpr2_vgpr3
	s_branch .LBB198_207
.LBB198_212:                            ;   in Loop: Header=BB198_18 Depth=1
	s_or_b32 exec_lo, exec_lo, s21
	s_andn2_b32 s18, s22, exec_lo
	s_and_b32 s19, s23, exec_lo
	s_or_b32 s22, s18, s19
.LBB198_213:                            ;   in Loop: Header=BB198_18 Depth=1
	s_or_b32 exec_lo, exec_lo, s20
	s_mov_b32 s82, 0
	s_mov_b32 s83, -1
.LBB198_214:                            ;   in Loop: Header=BB198_18 Depth=1
	s_orn2_b32 s18, s22, exec_lo
.LBB198_215:                            ;   in Loop: Header=BB198_18 Depth=1
	s_or_b32 exec_lo, exec_lo, s84
	s_mov_b32 s19, 0
	s_and_saveexec_b32 s84, s18
	s_cbranch_execz .LBB198_279
; %bb.216:                              ;   in Loop: Header=BB198_18 Depth=1
	v_mov_b32_e32 v2, 1
	v_mov_b32_e32 v3, 0
	;; [unrolled: 1-line block ×3, first 2 shown]
	s_xor_b32 s20, s85, -1
	s_and_saveexec_b32 s18, s20
	s_cbranch_execz .LBB198_225
; %bb.217:                              ;   in Loop: Header=BB198_18 Depth=1
	s_mov_b32 s19, exec_lo
	v_cmpx_ge_u64_e64 s[14:15], v[6:7]
	s_xor_b32 s19, exec_lo, s19
	s_cbranch_execz .LBB198_222
; %bb.218:                              ;   in Loop: Header=BB198_18 Depth=1
	ds_read_b64 v[2:3], v13 offset:5120
	s_lshl_b32 s20, 2, s61
	v_or_b32_e32 v12, s9, v12
	v_and_or_b32 v9, v9, s24, s20
	s_waitcnt lgkmcnt(0)
	v_cmp_ne_u64_e32 vcc_lo, 0, v[2:3]
	s_cbranch_vccnz .LBB198_222
; %bb.219:                              ;   in Loop: Header=BB198_18 Depth=1
	s_and_saveexec_b32 s20, s3
; %bb.220:                              ;   in Loop: Header=BB198_18 Depth=1
	v_mov_b32_e32 v2, s14
	v_mov_b32_e32 v3, s15
	ds_write_b64 v13, v[2:3] offset:5128
; %bb.221:                              ;   in Loop: Header=BB198_18 Depth=1
	s_or_b32 exec_lo, exec_lo, s20
	s_waitcnt lgkmcnt(0)
	s_barrier
	buffer_gl0_inv
.LBB198_222:                            ;   in Loop: Header=BB198_18 Depth=1
	s_or_saveexec_b32 s19, s19
	v_mov_b32_e32 v8, 8
	s_mov_b32 s20, 0
	s_xor_b32 exec_lo, exec_lo, s19
; %bb.223:                              ;   in Loop: Header=BB198_18 Depth=1
	v_sub_co_u32 v6, vcc_lo, v6, s14
	v_subrev_co_ci_u32_e64 v7, null, s15, v7, vcc_lo
	v_mov_b32_e32 v8, 0
	s_mov_b32 s20, exec_lo
; %bb.224:                              ;   in Loop: Header=BB198_18 Depth=1
	s_or_b32 exec_lo, exec_lo, s19
	v_mov_b32_e32 v2, v6
	v_mov_b32_e32 v3, v7
	s_and_b32 s19, s20, exec_lo
.LBB198_225:                            ;   in Loop: Header=BB198_18 Depth=1
	s_or_b32 exec_lo, exec_lo, s18
	s_mov_b32 s18, -1
                                        ; implicit-def: $sgpr58
                                        ; implicit-def: $sgpr70
	s_and_saveexec_b32 s85, s19
	s_cbranch_execz .LBB198_278
; %bb.226:                              ;   in Loop: Header=BB198_18 Depth=1
	v_cmp_eq_u64_e32 vcc_lo, 1, v[2:3]
	s_cmp_eq_u64 s[16:17], 1
	s_mov_b32 s19, -1
	s_cselect_b32 s18, -1, 0
                                        ; implicit-def: $sgpr58
                                        ; implicit-def: $sgpr70
	s_and_b32 s86, s18, vcc_lo
	s_and_saveexec_b32 s87, s86
	s_cbranch_execz .LBB198_266
; %bb.227:                              ;   in Loop: Header=BB198_18 Depth=1
	ds_read_b64 v[4:5], v13 offset:5120
	s_waitcnt lgkmcnt(0)
	s_barrier
	buffer_gl0_inv
	v_readfirstlane_b32 s18, v4
	v_readfirstlane_b32 s19, v5
	s_and_saveexec_b32 s20, s8
; %bb.228:                              ;   in Loop: Header=BB198_18 Depth=1
	ds_write_b32 v26, v13
; %bb.229:                              ;   in Loop: Header=BB198_18 Depth=1
	s_or_b32 exec_lo, exec_lo, s20
	v_or_b32_e32 v9, s9, v9
	v_or_b32_e32 v12, s9, v12
	s_mov_b32 s70, -1
	s_mov_b32 s58, 0
	s_cmp_eq_u64 s[18:19], 0
	s_mov_b32 s22, 0
	s_mov_b32 s23, -1
	s_waitcnt lgkmcnt(0)
	s_barrier
	buffer_gl0_inv
                                        ; implicit-def: $vgpr5
	s_cbranch_scc1 .LBB198_248
; %bb.230:                              ;   in Loop: Header=BB198_18 Depth=1
	s_add_u32 s59, s18, s92
	s_addc_u32 s21, s19, s93
	s_mov_b32 s20, s69
	s_cmp_lg_u64 s[20:21], 0
	s_cbranch_scc0 .LBB198_234
; %bb.231:                              ;   in Loop: Header=BB198_18 Depth=1
	v_cvt_f32_u32_e32 v4, s53
	s_sub_u32 s23, 0, s53
	s_subb_u32 s44, 0, 0
	v_fmac_f32_e64 v4, 0x4f800000, 0
	v_rcp_f32_e32 v4, v4
	v_mul_f32_e32 v4, 0x5f7ffffc, v4
	v_mul_f32_e32 v5, 0x2f800000, v4
	v_trunc_f32_e32 v5, v5
	v_fmac_f32_e32 v4, 0xcf800000, v5
	v_cvt_u32_f32_e32 v5, v5
	v_cvt_u32_f32_e32 v4, v4
	v_readfirstlane_b32 s20, v5
	v_readfirstlane_b32 s22, v4
	s_mul_i32 s45, s23, s20
	s_mul_hi_u32 s47, s23, s22
	s_mul_i32 s46, s44, s22
	s_add_i32 s45, s47, s45
	s_mul_i32 s68, s23, s22
	s_add_i32 s45, s45, s46
	s_mul_hi_u32 s47, s22, s68
	s_mul_i32 s52, s22, s45
	s_mul_hi_u32 vcc_lo, s20, s68
	s_mul_i32 s46, s20, s68
	s_mul_hi_u32 s68, s22, s45
	s_add_u32 s47, s47, s52
	s_addc_u32 s52, 0, s68
	s_mul_hi_u32 s56, s20, s45
	s_add_u32 s46, s47, s46
	s_mul_i32 s45, s20, s45
	s_addc_u32 s46, s52, vcc_lo
	s_addc_u32 s47, s56, 0
	s_add_u32 s45, s46, s45
	s_addc_u32 s46, 0, s47
	s_add_u32 s22, s22, s45
	s_cselect_b32 s45, -1, 0
	s_mul_hi_u32 s47, s23, s22
	s_cmp_lg_u32 s45, 0
	s_mul_i32 s45, s23, s22
	s_addc_u32 s20, s20, s46
	s_mul_i32 s44, s44, s22
	s_mul_i32 s23, s23, s20
	s_mul_hi_u32 s46, s22, s45
	s_add_i32 s23, s47, s23
	s_mul_hi_u32 s47, s20, s45
	s_add_i32 s23, s23, s44
	s_mul_i32 s44, s20, s45
	s_mul_i32 s56, s22, s23
	s_mul_hi_u32 s52, s22, s23
	s_add_u32 s46, s46, s56
	s_addc_u32 s52, 0, s52
	s_mul_hi_u32 s45, s20, s23
	s_add_u32 s44, s46, s44
	s_mul_i32 s23, s20, s23
	s_addc_u32 s44, s52, s47
	s_addc_u32 s45, s45, 0
	s_add_u32 s23, s44, s23
	s_addc_u32 s44, 0, s45
	s_add_u32 s22, s22, s23
	s_cselect_b32 s23, -1, 0
	s_mul_hi_u32 s45, s59, s22
	s_cmp_lg_u32 s23, 0
	s_mul_hi_u32 s23, s21, s22
	s_addc_u32 s20, s20, s44
	s_mul_i32 s22, s21, s22
	s_mul_i32 s46, s59, s20
	s_mul_hi_u32 s44, s59, s20
	s_add_u32 s45, s45, s46
	s_addc_u32 s44, 0, s44
	s_mul_hi_u32 s47, s21, s20
	s_add_u32 s22, s45, s22
	s_mul_i32 s20, s21, s20
	s_addc_u32 s22, s44, s23
	s_addc_u32 s23, s47, 0
	s_add_u32 s20, s22, s20
	s_addc_u32 s22, 0, s23
	s_mul_hi_u32 s23, s53, s20
	s_mul_i32 s22, s53, s22
	s_mul_i32 s20, s53, s20
	s_add_i32 s23, s23, s22
	s_sub_u32 s20, s59, s20
	s_cselect_b32 s22, -1, 0
	s_cmp_lg_u32 s22, 0
	s_subb_u32 s22, s21, s23
	s_sub_u32 s23, s20, s53
	s_cselect_b32 s44, -1, 0
	s_cmp_lg_u32 s44, 0
	s_subb_u32 s44, s22, 0
	;; [unrolled: 4-line block ×3, first 2 shown]
	s_cmp_ge_u32 s23, s53
	s_cselect_b32 s47, -1, 0
	s_cmp_eq_u32 s44, 0
	s_cselect_b32 s47, s47, -1
	s_cmp_lg_u32 s47, 0
	s_cselect_b32 s44, s46, s44
	s_cselect_b32 s45, s45, s23
	s_cmp_ge_u32 s20, s53
	s_cselect_b32 s23, -1, 0
	s_cmp_eq_u32 s22, 0
	s_cselect_b32 s23, s23, -1
	s_cmp_lg_u32 s23, 0
	s_cselect_b32 s23, s44, s22
	s_cselect_b32 s22, s45, s20
	s_mov_b32 s20, 0
	s_branch .LBB198_235
.LBB198_232:                            ;   in Loop: Header=BB198_18 Depth=1
                                        ; implicit-def: $sgpr22_sgpr23
	s_branch .LBB198_185
.LBB198_233:                            ;   in Loop: Header=BB198_18 Depth=1
                                        ; implicit-def: $sgpr18_sgpr19
	s_branch .LBB198_202
.LBB198_234:                            ;   in Loop: Header=BB198_18 Depth=1
	s_mov_b32 s20, -1
                                        ; implicit-def: $sgpr22_sgpr23
.LBB198_235:                            ;   in Loop: Header=BB198_18 Depth=1
	s_andn2_b32 vcc_lo, exec_lo, s20
	s_cbranch_vccnz .LBB198_237
; %bb.236:                              ;   in Loop: Header=BB198_18 Depth=1
	v_cvt_f32_u32_e32 v4, s53
	s_sub_i32 s22, 0, s53
	v_rcp_iflag_f32_e32 v4, v4
	v_mul_f32_e32 v4, 0x4f7ffffe, v4
	v_cvt_u32_f32_e32 v4, v4
	v_readfirstlane_b32 s20, v4
	s_mul_i32 s22, s22, s20
	s_mul_hi_u32 s22, s20, s22
	s_add_i32 s20, s20, s22
	s_mul_hi_u32 s20, s59, s20
	s_mul_i32 s20, s20, s53
	s_sub_i32 s20, s59, s20
	s_sub_i32 s22, s20, s53
	s_cmp_ge_u32 s20, s53
	s_cselect_b32 s20, s22, s20
	s_sub_i32 s22, s20, s53
	s_cmp_ge_u32 s20, s53
	s_cselect_b32 s68, s22, s20
	s_mov_b64 s[22:23], s[68:69]
.LBB198_237:                            ;   in Loop: Header=BB198_18 Depth=1
	s_sub_u32 s20, s59, s22
	s_subb_u32 s21, s21, s23
	s_mov_b32 s23, 0
	s_mov_b32 s22, 0
	s_mov_b32 s59, exec_lo
                                        ; implicit-def: $vgpr5
	v_cmpx_gt_u64_e64 s[20:21], v[0:1]
	s_cbranch_execz .LBB198_247
; %bb.238:                              ;   in Loop: Header=BB198_18 Depth=1
	v_mov_b32_e32 v7, v1
	v_mov_b32_e32 v21, v14
	;; [unrolled: 1-line block ×3, first 2 shown]
                                        ; implicit-def: $sgpr68
	s_inst_prefetch 0x1
	s_branch .LBB198_242
	.p2align	6
.LBB198_239:                            ;   in Loop: Header=BB198_242 Depth=2
	s_or_b32 exec_lo, exec_lo, s44
	s_waitcnt lgkmcnt(0)
	s_barrier
	buffer_gl0_inv
	ds_read_b64 v[4:5], v13 offset:3072
	s_waitcnt lgkmcnt(0)
	s_barrier
	buffer_gl0_inv
	v_cmp_neq_f32_e32 vcc_lo, 0, v4
	s_cbranch_vccnz .LBB198_245
; %bb.240:                              ;   in Loop: Header=BB198_242 Depth=2
	v_add_co_u32 v6, vcc_lo, v6, s53
	v_add_co_ci_u32_e64 v7, null, 0, v7, vcc_lo
	v_add_nc_u32_e32 v21, s98, v21
	s_mov_b32 s44, 0
	v_cmp_le_u64_e32 vcc_lo, s[20:21], v[6:7]
	s_orn2_b32 s45, vcc_lo, exec_lo
.LBB198_241:                            ;   in Loop: Header=BB198_242 Depth=2
	s_and_b32 s45, exec_lo, s45
	s_or_b32 s22, s45, s22
	s_andn2_b32 s45, s68, exec_lo
	s_and_b32 s44, s44, exec_lo
	s_or_b32 s68, s45, s44
	s_andn2_b32 exec_lo, exec_lo, s22
	s_cbranch_execz .LBB198_246
.LBB198_242:                            ;   Parent Loop BB198_18 Depth=1
                                        ; =>  This Inner Loop Header: Depth=2
	s_mov_b32 s44, exec_lo
	v_cmpx_gt_u64_e64 s[18:19], v[6:7]
	s_cbranch_execz .LBB198_239
; %bb.243:                              ;   in Loop: Header=BB198_242 Depth=2
	ds_read_b32 v17, v21
	s_waitcnt lgkmcnt(0)
	v_cmp_lt_i32_e32 vcc_lo, -1, v17
	v_cndmask_b32_e64 v4, -1, 0x80000000, vcc_lo
	v_cmp_o_f32_e32 vcc_lo, v17, v17
	v_xor_b32_e32 v4, v4, v17
	v_cndmask_b32_e32 v4, -1, v4, vcc_lo
	v_and_b32_e32 v4, v4, v12
	v_cmp_eq_u32_e32 vcc_lo, v4, v9
	s_and_b32 exec_lo, exec_lo, vcc_lo
	s_cbranch_execz .LBB198_239
; %bb.244:                              ;   in Loop: Header=BB198_242 Depth=2
	ds_write_b64 v13, v[16:17] offset:3072
	s_branch .LBB198_239
.LBB198_245:                            ;   in Loop: Header=BB198_242 Depth=2
	s_mov_b32 s45, -1
	s_mov_b32 s44, -1
                                        ; implicit-def: $vgpr6_vgpr7
                                        ; implicit-def: $vgpr21
	s_branch .LBB198_241
.LBB198_246:                            ;   in Loop: Header=BB198_18 Depth=1
	s_inst_prefetch 0x2
	s_or_b32 exec_lo, exec_lo, s22
	s_and_b32 s22, s68, exec_lo
.LBB198_247:                            ;   in Loop: Header=BB198_18 Depth=1
	s_or_b32 exec_lo, exec_lo, s59
.LBB198_248:                            ;   in Loop: Header=BB198_18 Depth=1
	s_and_b32 vcc_lo, exec_lo, s23
	s_cbranch_vccz .LBB198_265
; %bb.249:                              ;   in Loop: Header=BB198_18 Depth=1
	s_mov_b32 s70, s69
	s_cmp_lg_u64 s[70:71], 0
	s_cbranch_scc0 .LBB198_251
; %bb.250:                              ;   in Loop: Header=BB198_18 Depth=1
	v_cvt_f32_u32_e32 v4, s53
	s_sub_u32 s20, 0, s53
	s_subb_u32 s21, 0, 0
	v_fmac_f32_e64 v4, 0x4f800000, 0
	v_rcp_f32_e32 v4, v4
	v_mul_f32_e32 v4, 0x5f7ffffc, v4
	v_mul_f32_e32 v5, 0x2f800000, v4
	v_trunc_f32_e32 v5, v5
	v_fmac_f32_e32 v4, 0xcf800000, v5
	v_cvt_u32_f32_e32 v5, v5
	v_cvt_u32_f32_e32 v4, v4
	v_readfirstlane_b32 s18, v5
	v_readfirstlane_b32 s19, v4
	s_mul_i32 s23, s20, s18
	s_mul_hi_u32 s45, s20, s19
	s_mul_i32 s44, s21, s19
	s_add_i32 s23, s45, s23
	s_mul_i32 s46, s20, s19
	s_add_i32 s23, s23, s44
	s_mul_hi_u32 s45, s19, s46
	s_mul_i32 s52, s19, s23
	s_mul_hi_u32 s47, s18, s46
	s_mul_i32 s44, s18, s46
	s_mul_hi_u32 s46, s19, s23
	s_add_u32 s45, s45, s52
	s_addc_u32 s46, 0, s46
	s_mul_hi_u32 s56, s18, s23
	s_add_u32 s44, s45, s44
	s_mul_i32 s23, s18, s23
	s_addc_u32 s44, s46, s47
	s_addc_u32 s45, s56, 0
	s_add_u32 s23, s44, s23
	s_addc_u32 s44, 0, s45
	s_add_u32 s19, s19, s23
	s_cselect_b32 s23, -1, 0
	s_mul_hi_u32 s45, s20, s19
	s_cmp_lg_u32 s23, 0
	s_mul_i32 s23, s20, s19
	s_addc_u32 s18, s18, s44
	s_mul_i32 s21, s21, s19
	s_mul_i32 s20, s20, s18
	s_mul_hi_u32 s44, s19, s23
	s_add_i32 s20, s45, s20
	s_mul_hi_u32 s45, s18, s23
	s_add_i32 s20, s20, s21
	s_mul_i32 s21, s18, s23
	s_mul_i32 s47, s19, s20
	s_mul_hi_u32 s46, s19, s20
	s_add_u32 s44, s44, s47
	s_addc_u32 s46, 0, s46
	s_mul_hi_u32 s23, s18, s20
	s_add_u32 s21, s44, s21
	s_mul_i32 s20, s18, s20
	s_addc_u32 s21, s46, s45
	s_addc_u32 s23, s23, 0
	s_add_u32 s20, s21, s20
	s_addc_u32 s21, 0, s23
	s_add_u32 s19, s19, s20
	s_cselect_b32 s20, -1, 0
	s_mul_hi_u32 s23, s94, s19
	s_cmp_lg_u32 s20, 0
	s_mul_hi_u32 s20, s71, s19
	s_addc_u32 s18, s18, s21
	s_mul_i32 s19, s71, s19
	s_mul_i32 s44, s94, s18
	s_mul_hi_u32 s21, s94, s18
	s_add_u32 s23, s23, s44
	s_addc_u32 s21, 0, s21
	s_mul_hi_u32 s45, s71, s18
	s_add_u32 s19, s23, s19
	s_mul_i32 s18, s71, s18
	s_addc_u32 s19, s21, s20
	s_addc_u32 s20, s45, 0
	s_add_u32 s18, s19, s18
	s_addc_u32 s19, 0, s20
	s_mul_hi_u32 s20, s53, s18
	s_mul_i32 s19, s53, s19
	s_mul_i32 s18, s53, s18
	s_add_i32 s20, s20, s19
	s_sub_u32 s18, s94, s18
	s_cselect_b32 s19, -1, 0
	s_cmp_lg_u32 s19, 0
	s_subb_u32 s19, s71, s20
	s_sub_u32 s20, s18, s53
	s_cselect_b32 s21, -1, 0
	s_cmp_lg_u32 s21, 0
	s_subb_u32 s21, s19, 0
	;; [unrolled: 4-line block ×3, first 2 shown]
	s_cmp_ge_u32 s20, s53
	s_cselect_b32 s45, -1, 0
	s_cmp_eq_u32 s21, 0
	s_cselect_b32 s45, s45, -1
	s_cmp_lg_u32 s45, 0
	s_cselect_b32 s21, s44, s21
	s_cselect_b32 s20, s23, s20
	s_cmp_ge_u32 s18, s53
	s_cselect_b32 s23, -1, 0
	s_cmp_eq_u32 s19, 0
	s_cselect_b32 s23, s23, -1
	s_cmp_lg_u32 s23, 0
	s_cselect_b32 s19, s21, s19
	s_cselect_b32 s18, s20, s18
	s_mov_b32 s20, 0
	s_branch .LBB198_252
.LBB198_251:                            ;   in Loop: Header=BB198_18 Depth=1
	s_mov_b32 s20, -1
                                        ; implicit-def: $sgpr18_sgpr19
.LBB198_252:                            ;   in Loop: Header=BB198_18 Depth=1
	s_andn2_b32 vcc_lo, exec_lo, s20
	s_cbranch_vccnz .LBB198_254
; %bb.253:                              ;   in Loop: Header=BB198_18 Depth=1
	v_cvt_f32_u32_e32 v4, s53
	s_sub_i32 s19, 0, s53
	v_rcp_iflag_f32_e32 v4, v4
	v_mul_f32_e32 v4, 0x4f7ffffe, v4
	v_cvt_u32_f32_e32 v4, v4
	v_readfirstlane_b32 s18, v4
	s_mul_i32 s19, s19, s18
	s_mul_hi_u32 s19, s18, s19
	s_add_i32 s18, s18, s19
	s_mul_hi_u32 s18, s94, s18
	s_mul_i32 s18, s18, s53
	s_sub_i32 s18, s94, s18
	s_sub_i32 s19, s18, s53
	s_cmp_ge_u32 s18, s53
	s_cselect_b32 s18, s19, s18
	s_sub_i32 s19, s18, s53
	s_cmp_ge_u32 s18, s53
	s_cselect_b32 s68, s19, s18
	s_mov_b64 s[18:19], s[68:69]
.LBB198_254:                            ;   in Loop: Header=BB198_18 Depth=1
	s_sub_u32 s18, s94, s18
	s_subb_u32 s19, s71, s19
	s_mov_b32 s20, exec_lo
                                        ; implicit-def: $vgpr5
	v_cmpx_gt_u64_e64 s[18:19], v[0:1]
	s_cbranch_execz .LBB198_264
; %bb.255:                              ;   in Loop: Header=BB198_18 Depth=1
	v_mov_b32_e32 v7, v1
	v_mov_b32_e32 v6, v0
	s_mov_b32 s21, 0
                                        ; implicit-def: $sgpr23
	s_branch .LBB198_259
.LBB198_256:                            ;   in Loop: Header=BB198_259 Depth=2
	s_or_b32 exec_lo, exec_lo, s58
	s_waitcnt lgkmcnt(0)
	s_barrier
	buffer_gl0_inv
	ds_read_b64 v[4:5], v13 offset:3072
	s_waitcnt lgkmcnt(0)
	s_barrier
	buffer_gl0_inv
	v_cmp_eq_f32_e32 vcc_lo, 0, v4
	s_cbranch_vccz .LBB198_262
; %bb.257:                              ;   in Loop: Header=BB198_259 Depth=2
	v_add_co_u32 v6, vcc_lo, v6, s53
	v_add_co_ci_u32_e64 v7, null, 0, v7, vcc_lo
	s_mov_b32 s44, 0
	v_cmp_le_u64_e32 vcc_lo, s[18:19], v[6:7]
	s_orn2_b32 s45, vcc_lo, exec_lo
.LBB198_258:                            ;   in Loop: Header=BB198_259 Depth=2
	s_and_b32 s45, exec_lo, s45
	s_or_b32 s21, s45, s21
	s_andn2_b32 s23, s23, exec_lo
	s_and_b32 s44, s44, exec_lo
	s_or_b32 s23, s23, s44
	s_andn2_b32 exec_lo, exec_lo, s21
	s_cbranch_execz .LBB198_263
.LBB198_259:                            ;   Parent Loop BB198_18 Depth=1
                                        ; =>  This Inner Loop Header: Depth=2
	s_mov_b32 s58, exec_lo
	v_cmpx_gt_u64_e64 s[28:29], v[6:7]
	s_cbranch_execz .LBB198_256
; %bb.260:                              ;   in Loop: Header=BB198_259 Depth=2
	v_mul_lo_u32 v17, v7, s26
	v_mul_lo_u32 v21, v6, s27
	v_mad_u64_u32 v[4:5], null, v6, s26, 0
	v_add3_u32 v5, v5, v21, v17
	v_lshlrev_b64 v[4:5], 2, v[4:5]
	v_add_co_u32 v4, vcc_lo, s33, v4
	v_add_co_ci_u32_e64 v5, null, s35, v5, vcc_lo
	global_load_dword v17, v[4:5], off
	s_waitcnt vmcnt(0)
	v_cmp_lt_i32_e32 vcc_lo, -1, v17
	v_cndmask_b32_e64 v4, -1, 0x80000000, vcc_lo
	v_cmp_o_f32_e32 vcc_lo, v17, v17
	v_xor_b32_e32 v4, v4, v17
	v_cndmask_b32_e32 v4, -1, v4, vcc_lo
	v_and_b32_e32 v4, v4, v12
	v_cmp_eq_u32_e32 vcc_lo, v4, v9
	s_and_b32 exec_lo, exec_lo, vcc_lo
	s_cbranch_execz .LBB198_256
; %bb.261:                              ;   in Loop: Header=BB198_259 Depth=2
	ds_write_b64 v13, v[16:17] offset:3072
	s_branch .LBB198_256
.LBB198_262:                            ;   in Loop: Header=BB198_259 Depth=2
	s_mov_b32 s45, -1
	s_mov_b32 s44, -1
                                        ; implicit-def: $vgpr6_vgpr7
	s_branch .LBB198_258
.LBB198_263:                            ;   in Loop: Header=BB198_18 Depth=1
	s_or_b32 exec_lo, exec_lo, s21
	s_andn2_b32 s18, s22, exec_lo
	s_and_b32 s19, s23, exec_lo
	s_or_b32 s22, s18, s19
.LBB198_264:                            ;   in Loop: Header=BB198_18 Depth=1
	s_or_b32 exec_lo, exec_lo, s20
	s_mov_b32 s70, 0
	s_mov_b32 s58, -1
.LBB198_265:                            ;   in Loop: Header=BB198_18 Depth=1
	s_orn2_b32 s19, s22, exec_lo
.LBB198_266:                            ;   in Loop: Header=BB198_18 Depth=1
	s_or_b32 exec_lo, exec_lo, s87
	s_mov_b32 s20, 0
	s_and_saveexec_b32 s18, s19
	s_cbranch_execz .LBB198_277
; %bb.267:                              ;   in Loop: Header=BB198_18 Depth=1
	v_mov_b32_e32 v6, 1
	v_mov_b32_e32 v7, 0
	;; [unrolled: 1-line block ×3, first 2 shown]
	s_xor_b32 s20, s86, -1
	s_and_saveexec_b32 s19, s20
	s_cbranch_execz .LBB198_276
; %bb.268:                              ;   in Loop: Header=BB198_18 Depth=1
	s_mov_b32 s20, exec_lo
	v_cmpx_ge_u64_e64 s[16:17], v[2:3]
	s_xor_b32 s20, exec_lo, s20
	s_cbranch_execz .LBB198_273
; %bb.269:                              ;   in Loop: Header=BB198_18 Depth=1
	ds_read_b64 v[6:7], v13 offset:5120
	v_or_b32_e32 v9, s9, v9
	v_or_b32_e32 v12, s9, v12
	s_waitcnt lgkmcnt(0)
	v_cmp_ne_u64_e32 vcc_lo, 0, v[6:7]
	s_cbranch_vccnz .LBB198_273
; %bb.270:                              ;   in Loop: Header=BB198_18 Depth=1
	s_and_saveexec_b32 s21, s3
; %bb.271:                              ;   in Loop: Header=BB198_18 Depth=1
	v_mov_b32_e32 v6, s16
	v_mov_b32_e32 v7, s17
	ds_write_b64 v13, v[6:7] offset:5128
; %bb.272:                              ;   in Loop: Header=BB198_18 Depth=1
	s_or_b32 exec_lo, exec_lo, s21
	s_waitcnt lgkmcnt(0)
	s_barrier
	buffer_gl0_inv
.LBB198_273:                            ;   in Loop: Header=BB198_18 Depth=1
	s_andn2_saveexec_b32 s20, s20
; %bb.274:                              ;   in Loop: Header=BB198_18 Depth=1
	v_sub_co_u32 v2, vcc_lo, v2, s16
	v_subrev_co_ci_u32_e64 v3, null, s17, v3, vcc_lo
; %bb.275:                              ;   in Loop: Header=BB198_18 Depth=1
	s_or_b32 exec_lo, exec_lo, s20
	v_mov_b32_e32 v7, v3
	v_mov_b32_e32 v8, 8
	;; [unrolled: 1-line block ×3, first 2 shown]
.LBB198_276:                            ;   in Loop: Header=BB198_18 Depth=1
	s_or_b32 exec_lo, exec_lo, s19
	v_mov_b32_e32 v2, v6
	v_mov_b32_e32 v3, v7
	s_mov_b32 s20, exec_lo
.LBB198_277:                            ;   in Loop: Header=BB198_18 Depth=1
	s_or_b32 exec_lo, exec_lo, s18
	s_orn2_b32 s18, s20, exec_lo
.LBB198_278:                            ;   in Loop: Header=BB198_18 Depth=1
	s_or_b32 exec_lo, exec_lo, s85
	v_mov_b32_e32 v7, v3
	v_mov_b32_e32 v6, v2
	s_andn2_b32 s19, s83, exec_lo
	s_and_b32 s20, s58, exec_lo
	s_andn2_b32 s21, s82, exec_lo
	s_and_b32 s22, s70, exec_lo
	s_or_b32 s83, s19, s20
	s_or_b32 s82, s21, s22
	s_and_b32 s19, s18, exec_lo
.LBB198_279:                            ;   in Loop: Header=BB198_18 Depth=1
	s_or_b32 exec_lo, exec_lo, s84
	s_orn2_b32 s18, s19, exec_lo
.LBB198_280:                            ;   in Loop: Header=BB198_18 Depth=1
	s_or_b32 exec_lo, exec_lo, s81
	v_mov_b32_e32 v2, v6
	v_mov_b32_e32 v3, v7
	s_andn2_b32 s19, s79, exec_lo
	s_and_b32 s20, s83, exec_lo
	s_andn2_b32 s21, s78, exec_lo
	s_and_b32 s22, s82, exec_lo
	s_or_b32 s79, s19, s20
	s_or_b32 s78, s21, s22
	s_and_b32 s19, s18, exec_lo
.LBB198_281:                            ;   in Loop: Header=BB198_18 Depth=1
	s_or_b32 exec_lo, exec_lo, s80
	s_orn2_b32 s18, s19, exec_lo
.LBB198_282:                            ;   in Loop: Header=BB198_18 Depth=1
	s_or_b32 exec_lo, exec_lo, s6
	s_mov_b32 s6, 0
	s_mov_b32 s19, 0
	s_and_saveexec_b32 s20, s18
	s_xor_b32 s18, exec_lo, s20
; %bb.283:                              ;   in Loop: Header=BB198_18 Depth=1
	v_cmp_ne_u32_e32 vcc_lo, 8, v8
	v_cmp_eq_u32_e64 s6, 8, v8
	s_and_b32 s19, vcc_lo, exec_lo
	s_and_b32 s6, s6, exec_lo
; %bb.284:                              ;   in Loop: Header=BB198_18 Depth=1
	s_or_b32 exec_lo, exec_lo, s18
	s_andn2_b32 s18, s75, exec_lo
	s_and_b32 s20, s79, exec_lo
	s_andn2_b32 s21, s74, exec_lo
	s_and_b32 s22, s78, exec_lo
	s_or_b32 s75, s18, s20
	s_or_b32 s74, s21, s22
	s_and_b32 s22, s19, exec_lo
	s_and_b32 s23, s6, exec_lo
.LBB198_285:                            ;   in Loop: Header=BB198_18 Depth=1
	s_or_b32 exec_lo, exec_lo, s77
.LBB198_286:                            ;   in Loop: Header=BB198_18 Depth=1
	s_and_b32 vcc_lo, exec_lo, s76
	s_cbranch_vccz .LBB198_303
; %bb.287:                              ;   in Loop: Header=BB198_18 Depth=1
	s_cmp_eq_u64 s[16:17], 1
                                        ; implicit-def: $sgpr76
                                        ; implicit-def: $sgpr25
	s_cselect_b32 s6, -1, 0
	s_and_b32 s74, s6, s7
	s_mov_b32 s6, -1
	s_and_saveexec_b32 s75, s74
	s_cbranch_execz .LBB198_322
; %bb.288:                              ;   in Loop: Header=BB198_18 Depth=1
	ds_read_b64 v[2:3], v13 offset:5120
	s_waitcnt lgkmcnt(0)
	s_barrier
	buffer_gl0_inv
	v_readfirstlane_b32 s6, v2
	v_readfirstlane_b32 s7, v3
	s_and_saveexec_b32 s18, s8
; %bb.289:                              ;   in Loop: Header=BB198_18 Depth=1
	ds_write_b32 v26, v13
; %bb.290:                              ;   in Loop: Header=BB198_18 Depth=1
	s_or_b32 exec_lo, exec_lo, s18
	v_or_b32_e32 v25, s9, v25
	v_or_b32_e32 v30, s9, v30
	s_mov_b32 s25, -1
	s_mov_b32 s76, 0
	s_cmp_eq_u64 s[6:7], 0
	s_mov_b32 s20, 0
	s_mov_b32 s21, -1
	s_waitcnt lgkmcnt(0)
	s_barrier
	buffer_gl0_inv
                                        ; implicit-def: $vgpr18
	s_cbranch_scc1 .LBB198_306
; %bb.291:                              ;   in Loop: Header=BB198_18 Depth=1
	s_add_u32 s58, s6, s92
	s_addc_u32 s19, s7, s93
	s_mov_b32 s18, s69
	s_cmp_lg_u64 s[18:19], 0
	s_cbranch_scc0 .LBB198_349
; %bb.292:                              ;   in Loop: Header=BB198_18 Depth=1
	v_cvt_f32_u32_e32 v2, s53
	s_sub_u32 s21, 0, s53
	s_subb_u32 s44, 0, 0
	v_fmac_f32_e64 v2, 0x4f800000, 0
	v_rcp_f32_e32 v2, v2
	v_mul_f32_e32 v2, 0x5f7ffffc, v2
	v_mul_f32_e32 v3, 0x2f800000, v2
	v_trunc_f32_e32 v3, v3
	v_fmac_f32_e32 v2, 0xcf800000, v3
	v_cvt_u32_f32_e32 v3, v3
	v_cvt_u32_f32_e32 v2, v2
	v_readfirstlane_b32 s18, v3
	v_readfirstlane_b32 s20, v2
	s_mul_i32 s45, s21, s18
	s_mul_hi_u32 s47, s21, s20
	s_mul_i32 s46, s44, s20
	s_add_i32 s45, s47, s45
	s_mul_i32 s59, s21, s20
	s_add_i32 s45, s45, s46
	s_mul_hi_u32 s47, s20, s59
	s_mul_i32 s70, s20, s45
	s_mul_hi_u32 s68, s18, s59
	s_mul_i32 s46, s18, s59
	s_mul_hi_u32 s59, s20, s45
	s_add_u32 s47, s47, s70
	s_addc_u32 s59, 0, s59
	s_mul_hi_u32 s77, s18, s45
	s_add_u32 s46, s47, s46
	s_mul_i32 s45, s18, s45
	s_addc_u32 s46, s59, s68
	s_addc_u32 s47, s77, 0
	s_add_u32 s45, s46, s45
	s_addc_u32 s46, 0, s47
	s_add_u32 s20, s20, s45
	s_cselect_b32 s45, -1, 0
	s_mul_hi_u32 s47, s21, s20
	s_cmp_lg_u32 s45, 0
	s_mul_i32 s45, s21, s20
	s_addc_u32 s18, s18, s46
	s_mul_i32 s44, s44, s20
	s_mul_i32 s21, s21, s18
	s_mul_hi_u32 s46, s20, s45
	s_add_i32 s21, s47, s21
	s_mul_hi_u32 s47, s18, s45
	s_add_i32 s21, s21, s44
	s_mul_i32 s44, s18, s45
	s_mul_i32 s68, s20, s21
	s_mul_hi_u32 s59, s20, s21
	s_add_u32 s46, s46, s68
	s_addc_u32 s59, 0, s59
	s_mul_hi_u32 s45, s18, s21
	s_add_u32 s44, s46, s44
	s_mul_i32 s21, s18, s21
	s_addc_u32 s44, s59, s47
	s_addc_u32 s45, s45, 0
	s_add_u32 s21, s44, s21
	s_addc_u32 s44, 0, s45
	s_add_u32 s20, s20, s21
	s_cselect_b32 s21, -1, 0
	s_mul_hi_u32 s45, s58, s20
	s_cmp_lg_u32 s21, 0
	s_mul_hi_u32 s21, s19, s20
	s_addc_u32 s18, s18, s44
	s_mul_i32 s20, s19, s20
	s_mul_i32 s46, s58, s18
	s_mul_hi_u32 s44, s58, s18
	s_add_u32 s45, s45, s46
	s_addc_u32 s44, 0, s44
	s_mul_hi_u32 s47, s19, s18
	s_add_u32 s20, s45, s20
	s_mul_i32 s18, s19, s18
	s_addc_u32 s20, s44, s21
	s_addc_u32 s21, s47, 0
	s_add_u32 s18, s20, s18
	s_addc_u32 s20, 0, s21
	s_mul_hi_u32 s21, s53, s18
	s_mul_i32 s20, s53, s20
	s_mul_i32 s18, s53, s18
	s_add_i32 s21, s21, s20
	s_sub_u32 s18, s58, s18
	s_cselect_b32 s20, -1, 0
	s_cmp_lg_u32 s20, 0
	s_subb_u32 s20, s19, s21
	s_sub_u32 s21, s18, s53
	s_cselect_b32 s44, -1, 0
	s_cmp_lg_u32 s44, 0
	s_subb_u32 s44, s20, 0
	;; [unrolled: 4-line block ×3, first 2 shown]
	s_cmp_ge_u32 s21, s53
	s_cselect_b32 s47, -1, 0
	s_cmp_eq_u32 s44, 0
	s_cselect_b32 s47, s47, -1
	s_cmp_lg_u32 s47, 0
	s_cselect_b32 s44, s46, s44
	s_cselect_b32 s45, s45, s21
	s_cmp_ge_u32 s18, s53
	s_cselect_b32 s21, -1, 0
	s_cmp_eq_u32 s20, 0
	s_cselect_b32 s21, s21, -1
	s_cmp_lg_u32 s21, 0
	s_cselect_b32 s21, s44, s20
	s_cselect_b32 s20, s45, s18
	s_cbranch_execnz .LBB198_294
.LBB198_293:                            ;   in Loop: Header=BB198_18 Depth=1
	v_cvt_f32_u32_e32 v2, s53
	s_sub_i32 s20, 0, s53
	v_rcp_iflag_f32_e32 v2, v2
	v_mul_f32_e32 v2, 0x4f7ffffe, v2
	v_cvt_u32_f32_e32 v2, v2
	v_readfirstlane_b32 s18, v2
	s_mul_i32 s20, s20, s18
	s_mul_hi_u32 s20, s18, s20
	s_add_i32 s18, s18, s20
	s_mul_hi_u32 s18, s58, s18
	s_mul_i32 s18, s18, s53
	s_sub_i32 s18, s58, s18
	s_sub_i32 s20, s18, s53
	s_cmp_ge_u32 s18, s53
	s_cselect_b32 s18, s20, s18
	s_sub_i32 s20, s18, s53
	s_cmp_ge_u32 s18, s53
	s_cselect_b32 s68, s20, s18
	s_mov_b64 s[20:21], s[68:69]
.LBB198_294:                            ;   in Loop: Header=BB198_18 Depth=1
	s_sub_u32 s18, s58, s20
	s_subb_u32 s19, s19, s21
	s_mov_b32 s21, 0
	s_mov_b32 s20, 0
	s_mov_b32 s58, exec_lo
                                        ; implicit-def: $vgpr18
	v_cmpx_gt_u64_e64 s[18:19], v[0:1]
	s_cbranch_execz .LBB198_305
; %bb.295:                              ;   in Loop: Header=BB198_18 Depth=1
	v_mov_b32_e32 v3, v1
	v_mov_b32_e32 v4, v14
	v_mov_b32_e32 v2, v0
                                        ; implicit-def: $sgpr59
	s_inst_prefetch 0x1
	s_branch .LBB198_299
	.p2align	6
.LBB198_296:                            ;   in Loop: Header=BB198_299 Depth=2
	s_or_b32 exec_lo, exec_lo, s68
	s_waitcnt lgkmcnt(0)
	s_barrier
	buffer_gl0_inv
	ds_read_b64 v[17:18], v13 offset:3072
	s_waitcnt lgkmcnt(0)
	s_barrier
	buffer_gl0_inv
	v_cmp_neq_f32_e32 vcc_lo, 0, v17
	s_cbranch_vccnz .LBB198_302
; %bb.297:                              ;   in Loop: Header=BB198_299 Depth=2
	v_add_co_u32 v2, vcc_lo, v2, s53
	v_add_co_ci_u32_e64 v3, null, 0, v3, vcc_lo
	v_add_nc_u32_e32 v4, s98, v4
	s_mov_b32 s44, 0
	v_cmp_le_u64_e32 vcc_lo, s[18:19], v[2:3]
	s_orn2_b32 s45, vcc_lo, exec_lo
.LBB198_298:                            ;   in Loop: Header=BB198_299 Depth=2
	s_and_b32 s45, exec_lo, s45
	s_or_b32 s20, s45, s20
	s_andn2_b32 s45, s59, exec_lo
	s_and_b32 s44, s44, exec_lo
	s_or_b32 s59, s45, s44
	s_andn2_b32 exec_lo, exec_lo, s20
	s_cbranch_execz .LBB198_304
.LBB198_299:                            ;   Parent Loop BB198_18 Depth=1
                                        ; =>  This Inner Loop Header: Depth=2
	s_mov_b32 s68, exec_lo
	v_cmpx_gt_u64_e64 s[6:7], v[2:3]
	s_cbranch_execz .LBB198_296
; %bb.300:                              ;   in Loop: Header=BB198_299 Depth=2
	ds_read_b32 v17, v4
	s_waitcnt lgkmcnt(0)
	v_cmp_lt_i32_e32 vcc_lo, -1, v17
	v_cndmask_b32_e64 v5, -1, 0x80000000, vcc_lo
	v_cmp_o_f32_e32 vcc_lo, v17, v17
	v_xor_b32_e32 v5, v5, v17
	v_cndmask_b32_e32 v5, -1, v5, vcc_lo
	v_and_b32_e32 v5, v5, v30
	v_cmp_eq_u32_e32 vcc_lo, v5, v25
	s_and_b32 exec_lo, exec_lo, vcc_lo
	s_cbranch_execz .LBB198_296
; %bb.301:                              ;   in Loop: Header=BB198_299 Depth=2
	ds_write_b64 v13, v[16:17] offset:3072
	s_branch .LBB198_296
.LBB198_302:                            ;   in Loop: Header=BB198_299 Depth=2
	s_mov_b32 s45, -1
	s_mov_b32 s44, -1
                                        ; implicit-def: $vgpr2_vgpr3
                                        ; implicit-def: $vgpr4
	s_branch .LBB198_298
.LBB198_303:                            ;   in Loop: Header=BB198_18 Depth=1
	v_mov_b32_e32 v25, v9
	v_mov_b32_e32 v30, v12
	v_mov_b32_e32 v18, v5
	s_mov_b32 s76, 0
	s_and_saveexec_b32 s6, s23
	s_cbranch_execnz .LBB198_487
	s_branch .LBB198_488
.LBB198_304:                            ;   in Loop: Header=BB198_18 Depth=1
	s_inst_prefetch 0x2
	s_or_b32 exec_lo, exec_lo, s20
	s_and_b32 s20, s59, exec_lo
.LBB198_305:                            ;   in Loop: Header=BB198_18 Depth=1
	s_or_b32 exec_lo, exec_lo, s58
.LBB198_306:                            ;   in Loop: Header=BB198_18 Depth=1
	s_and_b32 vcc_lo, exec_lo, s21
	s_cbranch_vccz .LBB198_321
; %bb.307:                              ;   in Loop: Header=BB198_18 Depth=1
	s_mov_b32 s70, s69
	s_cmp_lg_u64 s[70:71], 0
	s_cbranch_scc0 .LBB198_350
; %bb.308:                              ;   in Loop: Header=BB198_18 Depth=1
	v_cvt_f32_u32_e32 v2, s53
	s_sub_u32 s18, 0, s53
	s_subb_u32 s19, 0, 0
	v_fmac_f32_e64 v2, 0x4f800000, 0
	v_rcp_f32_e32 v2, v2
	v_mul_f32_e32 v2, 0x5f7ffffc, v2
	v_mul_f32_e32 v3, 0x2f800000, v2
	v_trunc_f32_e32 v3, v3
	v_fmac_f32_e32 v2, 0xcf800000, v3
	v_cvt_u32_f32_e32 v3, v3
	v_cvt_u32_f32_e32 v2, v2
	v_readfirstlane_b32 s6, v3
	v_readfirstlane_b32 s7, v2
	s_mul_i32 s21, s18, s6
	s_mul_hi_u32 s44, s18, s7
	s_mul_i32 s25, s19, s7
	s_add_i32 s21, s44, s21
	s_mul_i32 s45, s18, s7
	s_add_i32 s21, s21, s25
	s_mul_hi_u32 s44, s7, s45
	s_mul_i32 s47, s7, s21
	s_mul_hi_u32 s46, s6, s45
	s_mul_i32 s25, s6, s45
	s_mul_hi_u32 s45, s7, s21
	s_add_u32 s44, s44, s47
	s_addc_u32 s45, 0, s45
	s_mul_hi_u32 s58, s6, s21
	s_add_u32 s25, s44, s25
	s_mul_i32 s21, s6, s21
	s_addc_u32 s25, s45, s46
	s_addc_u32 s44, s58, 0
	s_add_u32 s21, s25, s21
	s_addc_u32 s25, 0, s44
	s_add_u32 s7, s7, s21
	s_cselect_b32 s21, -1, 0
	s_mul_hi_u32 s44, s18, s7
	s_cmp_lg_u32 s21, 0
	s_mul_i32 s21, s18, s7
	s_addc_u32 s6, s6, s25
	s_mul_i32 s19, s19, s7
	s_mul_i32 s18, s18, s6
	s_mul_hi_u32 s25, s7, s21
	s_add_i32 s18, s44, s18
	s_mul_hi_u32 s44, s6, s21
	s_add_i32 s18, s18, s19
	s_mul_i32 s19, s6, s21
	s_mul_i32 s46, s7, s18
	s_mul_hi_u32 s45, s7, s18
	s_add_u32 s25, s25, s46
	s_addc_u32 s45, 0, s45
	s_mul_hi_u32 s21, s6, s18
	s_add_u32 s19, s25, s19
	s_mul_i32 s18, s6, s18
	s_addc_u32 s19, s45, s44
	s_addc_u32 s21, s21, 0
	s_add_u32 s18, s19, s18
	s_addc_u32 s19, 0, s21
	s_add_u32 s7, s7, s18
	s_cselect_b32 s18, -1, 0
	s_mul_hi_u32 s21, s94, s7
	s_cmp_lg_u32 s18, 0
	s_mul_hi_u32 s18, s71, s7
	s_addc_u32 s6, s6, s19
	s_mul_i32 s7, s71, s7
	s_mul_i32 s25, s94, s6
	s_mul_hi_u32 s19, s94, s6
	s_add_u32 s21, s21, s25
	s_addc_u32 s19, 0, s19
	s_mul_hi_u32 s44, s71, s6
	s_add_u32 s7, s21, s7
	s_mul_i32 s6, s71, s6
	s_addc_u32 s7, s19, s18
	s_addc_u32 s18, s44, 0
	s_add_u32 s6, s7, s6
	s_addc_u32 s7, 0, s18
	s_mul_hi_u32 s18, s53, s6
	s_mul_i32 s7, s53, s7
	s_mul_i32 s6, s53, s6
	s_add_i32 s18, s18, s7
	s_sub_u32 s6, s94, s6
	s_cselect_b32 s7, -1, 0
	s_cmp_lg_u32 s7, 0
	s_subb_u32 s7, s71, s18
	s_sub_u32 s18, s6, s53
	s_cselect_b32 s19, -1, 0
	s_cmp_lg_u32 s19, 0
	s_subb_u32 s19, s7, 0
	;; [unrolled: 4-line block ×3, first 2 shown]
	s_cmp_ge_u32 s18, s53
	s_cselect_b32 s44, -1, 0
	s_cmp_eq_u32 s19, 0
	s_cselect_b32 s44, s44, -1
	s_cmp_lg_u32 s44, 0
	s_cselect_b32 s19, s25, s19
	s_cselect_b32 s18, s21, s18
	s_cmp_ge_u32 s6, s53
	s_cselect_b32 s21, -1, 0
	s_cmp_eq_u32 s7, 0
	s_cselect_b32 s21, s21, -1
	s_cmp_lg_u32 s21, 0
	s_cselect_b32 s7, s19, s7
	s_cselect_b32 s6, s18, s6
	s_cbranch_execnz .LBB198_310
.LBB198_309:                            ;   in Loop: Header=BB198_18 Depth=1
	v_cvt_f32_u32_e32 v2, s53
	s_sub_i32 s7, 0, s53
	v_rcp_iflag_f32_e32 v2, v2
	v_mul_f32_e32 v2, 0x4f7ffffe, v2
	v_cvt_u32_f32_e32 v2, v2
	v_readfirstlane_b32 s6, v2
	s_mul_i32 s7, s7, s6
	s_mul_hi_u32 s7, s6, s7
	s_add_i32 s6, s6, s7
	s_mul_hi_u32 s6, s94, s6
	s_mul_i32 s6, s6, s53
	s_sub_i32 s6, s94, s6
	s_sub_i32 s7, s6, s53
	s_cmp_ge_u32 s6, s53
	s_cselect_b32 s6, s7, s6
	s_sub_i32 s7, s6, s53
	s_cmp_ge_u32 s6, s53
	s_cselect_b32 s68, s7, s6
	s_mov_b64 s[6:7], s[68:69]
.LBB198_310:                            ;   in Loop: Header=BB198_18 Depth=1
	s_sub_u32 s6, s94, s6
	s_subb_u32 s7, s71, s7
	s_mov_b32 s18, exec_lo
                                        ; implicit-def: $vgpr18
	v_cmpx_gt_u64_e64 s[6:7], v[0:1]
	s_cbranch_execz .LBB198_320
; %bb.311:                              ;   in Loop: Header=BB198_18 Depth=1
	v_mov_b32_e32 v3, v1
	v_mov_b32_e32 v2, v0
	s_mov_b32 s19, 0
                                        ; implicit-def: $sgpr21
	s_branch .LBB198_315
.LBB198_312:                            ;   in Loop: Header=BB198_315 Depth=2
	s_or_b32 exec_lo, exec_lo, s25
	s_waitcnt lgkmcnt(0)
	s_barrier
	buffer_gl0_inv
	ds_read_b64 v[17:18], v13 offset:3072
	s_waitcnt lgkmcnt(0)
	s_barrier
	buffer_gl0_inv
	v_cmp_neq_f32_e32 vcc_lo, 0, v17
	s_cbranch_vccnz .LBB198_318
; %bb.313:                              ;   in Loop: Header=BB198_315 Depth=2
	v_add_co_u32 v2, vcc_lo, v2, s53
	v_add_co_ci_u32_e64 v3, null, 0, v3, vcc_lo
	s_mov_b32 s25, 0
	v_cmp_le_u64_e32 vcc_lo, s[6:7], v[2:3]
	s_orn2_b32 s44, vcc_lo, exec_lo
.LBB198_314:                            ;   in Loop: Header=BB198_315 Depth=2
	s_and_b32 s44, exec_lo, s44
	s_or_b32 s19, s44, s19
	s_andn2_b32 s21, s21, exec_lo
	s_and_b32 s25, s25, exec_lo
	s_or_b32 s21, s21, s25
	s_andn2_b32 exec_lo, exec_lo, s19
	s_cbranch_execz .LBB198_319
.LBB198_315:                            ;   Parent Loop BB198_18 Depth=1
                                        ; =>  This Inner Loop Header: Depth=2
	s_mov_b32 s25, exec_lo
	v_cmpx_gt_u64_e64 s[28:29], v[2:3]
	s_cbranch_execz .LBB198_312
; %bb.316:                              ;   in Loop: Header=BB198_315 Depth=2
	v_mul_lo_u32 v6, v3, s26
	v_mul_lo_u32 v7, v2, s27
	v_mad_u64_u32 v[4:5], null, v2, s26, 0
	v_add3_u32 v5, v5, v7, v6
	v_lshlrev_b64 v[4:5], 2, v[4:5]
	v_add_co_u32 v4, vcc_lo, s33, v4
	v_add_co_ci_u32_e64 v5, null, s35, v5, vcc_lo
	global_load_dword v17, v[4:5], off
	s_waitcnt vmcnt(0)
	v_cmp_lt_i32_e32 vcc_lo, -1, v17
	v_cndmask_b32_e64 v4, -1, 0x80000000, vcc_lo
	v_cmp_o_f32_e32 vcc_lo, v17, v17
	v_xor_b32_e32 v4, v4, v17
	v_cndmask_b32_e32 v4, -1, v4, vcc_lo
	v_and_b32_e32 v4, v4, v30
	v_cmp_eq_u32_e32 vcc_lo, v4, v25
	s_and_b32 exec_lo, exec_lo, vcc_lo
	s_cbranch_execz .LBB198_312
; %bb.317:                              ;   in Loop: Header=BB198_315 Depth=2
	ds_write_b64 v13, v[16:17] offset:3072
	s_branch .LBB198_312
.LBB198_318:                            ;   in Loop: Header=BB198_315 Depth=2
	s_mov_b32 s44, -1
	s_mov_b32 s25, -1
                                        ; implicit-def: $vgpr2_vgpr3
	s_branch .LBB198_314
.LBB198_319:                            ;   in Loop: Header=BB198_18 Depth=1
	s_or_b32 exec_lo, exec_lo, s19
	s_andn2_b32 s6, s20, exec_lo
	s_and_b32 s7, s21, exec_lo
	s_or_b32 s20, s6, s7
.LBB198_320:                            ;   in Loop: Header=BB198_18 Depth=1
	s_or_b32 exec_lo, exec_lo, s18
	s_mov_b32 s25, 0
	s_mov_b32 s76, -1
.LBB198_321:                            ;   in Loop: Header=BB198_18 Depth=1
	s_orn2_b32 s6, s20, exec_lo
.LBB198_322:                            ;   in Loop: Header=BB198_18 Depth=1
	s_or_b32 exec_lo, exec_lo, s75
                                        ; implicit-def: $vgpr2_vgpr3
                                        ; implicit-def: $vgpr8
	s_and_saveexec_b32 s20, s6
	s_cbranch_execz .LBB198_486
; %bb.323:                              ;   in Loop: Header=BB198_18 Depth=1
	v_mov_b32_e32 v2, 1
	v_mov_b32_e32 v3, 0
	;; [unrolled: 1-line block ×3, first 2 shown]
	s_xor_b32 s18, s74, -1
	s_mov_b32 s7, 0
	s_and_saveexec_b32 s6, s18
	s_cbranch_execz .LBB198_332
; %bb.324:                              ;   in Loop: Header=BB198_18 Depth=1
	s_mov_b32 s7, exec_lo
	v_cmpx_ge_u64_e64 s[16:17], v[19:20]
	s_xor_b32 s7, exec_lo, s7
	s_cbranch_execz .LBB198_329
; %bb.325:                              ;   in Loop: Header=BB198_18 Depth=1
	ds_read_b64 v[2:3], v13 offset:5120
	v_or_b32_e32 v25, s9, v25
	v_or_b32_e32 v30, s9, v30
	s_waitcnt lgkmcnt(0)
	v_cmp_ne_u64_e32 vcc_lo, 0, v[2:3]
	s_cbranch_vccnz .LBB198_329
; %bb.326:                              ;   in Loop: Header=BB198_18 Depth=1
	s_and_saveexec_b32 s18, s3
; %bb.327:                              ;   in Loop: Header=BB198_18 Depth=1
	v_mov_b32_e32 v2, s16
	v_mov_b32_e32 v3, s17
	ds_write_b64 v13, v[2:3] offset:5128
; %bb.328:                              ;   in Loop: Header=BB198_18 Depth=1
	s_or_b32 exec_lo, exec_lo, s18
	s_waitcnt lgkmcnt(0)
	s_barrier
	buffer_gl0_inv
.LBB198_329:                            ;   in Loop: Header=BB198_18 Depth=1
	s_or_saveexec_b32 s7, s7
	v_mov_b32_e32 v8, 5
	s_mov_b32 s18, 0
	s_xor_b32 exec_lo, exec_lo, s7
; %bb.330:                              ;   in Loop: Header=BB198_18 Depth=1
	v_sub_co_u32 v19, vcc_lo, v19, s16
	v_subrev_co_ci_u32_e64 v20, null, s17, v20, vcc_lo
	v_mov_b32_e32 v8, 0
	s_mov_b32 s18, exec_lo
; %bb.331:                              ;   in Loop: Header=BB198_18 Depth=1
	s_or_b32 exec_lo, exec_lo, s7
	v_mov_b32_e32 v2, v19
	v_mov_b32_e32 v3, v20
	s_and_b32 s7, s18, exec_lo
.LBB198_332:                            ;   in Loop: Header=BB198_18 Depth=1
	s_or_b32 exec_lo, exec_lo, s6
	s_mov_b32 s6, -1
                                        ; implicit-def: $sgpr74
                                        ; implicit-def: $sgpr75
	s_and_saveexec_b32 s16, s7
	s_xor_b32 s21, exec_lo, s16
	s_cbranch_execz .LBB198_483
; %bb.333:                              ;   in Loop: Header=BB198_18 Depth=1
	v_cmp_eq_u64_e32 vcc_lo, 1, v[2:3]
	s_cmp_eq_u64 s[14:15], 1
                                        ; implicit-def: $sgpr75
                                        ; implicit-def: $sgpr74
	s_cselect_b32 s6, -1, 0
	s_and_b32 s77, s6, vcc_lo
	s_mov_b32 s6, -1
	s_and_saveexec_b32 s78, s77
	s_cbranch_execz .LBB198_369
; %bb.334:                              ;   in Loop: Header=BB198_18 Depth=1
	ds_read_b64 v[4:5], v13 offset:5120
	s_waitcnt lgkmcnt(0)
	s_barrier
	buffer_gl0_inv
	v_readfirstlane_b32 s6, v4
	v_readfirstlane_b32 s7, v5
	s_and_saveexec_b32 s16, s8
; %bb.335:                              ;   in Loop: Header=BB198_18 Depth=1
	ds_write_b32 v26, v13
; %bb.336:                              ;   in Loop: Header=BB198_18 Depth=1
	s_or_b32 exec_lo, exec_lo, s16
	s_lshl_b32 s16, 2, s61
	v_or_b32_e32 v30, s9, v30
	v_and_or_b32 v25, v25, s24, s16
	s_mov_b32 s74, -1
	s_mov_b32 s75, 0
	s_cmp_eq_u64 s[6:7], 0
	s_mov_b32 s18, 0
	s_mov_b32 s19, -1
	s_waitcnt lgkmcnt(0)
	s_barrier
	buffer_gl0_inv
                                        ; implicit-def: $vgpr18
	s_cbranch_scc1 .LBB198_353
; %bb.337:                              ;   in Loop: Header=BB198_18 Depth=1
	s_add_u32 s58, s6, s92
	s_addc_u32 s17, s7, s93
	s_mov_b32 s16, s69
	s_cmp_lg_u64 s[16:17], 0
	s_cbranch_scc0 .LBB198_396
; %bb.338:                              ;   in Loop: Header=BB198_18 Depth=1
	v_cvt_f32_u32_e32 v4, s53
	s_sub_u32 s19, 0, s53
	s_subb_u32 s44, 0, 0
	v_fmac_f32_e64 v4, 0x4f800000, 0
	v_rcp_f32_e32 v4, v4
	v_mul_f32_e32 v4, 0x5f7ffffc, v4
	v_mul_f32_e32 v5, 0x2f800000, v4
	v_trunc_f32_e32 v5, v5
	v_fmac_f32_e32 v4, 0xcf800000, v5
	v_cvt_u32_f32_e32 v5, v5
	v_cvt_u32_f32_e32 v4, v4
	v_readfirstlane_b32 s16, v5
	v_readfirstlane_b32 s18, v4
	s_mul_i32 s45, s19, s16
	s_mul_hi_u32 s47, s19, s18
	s_mul_i32 s46, s44, s18
	s_add_i32 s45, s47, s45
	s_mul_i32 s59, s19, s18
	s_add_i32 s45, s45, s46
	s_mul_hi_u32 s47, s18, s59
	s_mul_i32 s70, s18, s45
	s_mul_hi_u32 s68, s16, s59
	s_mul_i32 s46, s16, s59
	s_mul_hi_u32 s59, s18, s45
	s_add_u32 s47, s47, s70
	s_addc_u32 s59, 0, s59
	s_mul_hi_u32 s79, s16, s45
	s_add_u32 s46, s47, s46
	s_mul_i32 s45, s16, s45
	s_addc_u32 s46, s59, s68
	s_addc_u32 s47, s79, 0
	s_add_u32 s45, s46, s45
	s_addc_u32 s46, 0, s47
	s_add_u32 s18, s18, s45
	s_cselect_b32 s45, -1, 0
	s_mul_hi_u32 s47, s19, s18
	s_cmp_lg_u32 s45, 0
	s_mul_i32 s45, s19, s18
	s_addc_u32 s16, s16, s46
	s_mul_i32 s44, s44, s18
	s_mul_i32 s19, s19, s16
	s_mul_hi_u32 s46, s18, s45
	s_add_i32 s19, s47, s19
	s_mul_hi_u32 s47, s16, s45
	s_add_i32 s19, s19, s44
	s_mul_i32 s44, s16, s45
	s_mul_i32 s68, s18, s19
	s_mul_hi_u32 s59, s18, s19
	s_add_u32 s46, s46, s68
	s_addc_u32 s59, 0, s59
	s_mul_hi_u32 s45, s16, s19
	s_add_u32 s44, s46, s44
	s_mul_i32 s19, s16, s19
	s_addc_u32 s44, s59, s47
	s_addc_u32 s45, s45, 0
	s_add_u32 s19, s44, s19
	s_addc_u32 s44, 0, s45
	s_add_u32 s18, s18, s19
	s_cselect_b32 s19, -1, 0
	s_mul_hi_u32 s45, s58, s18
	s_cmp_lg_u32 s19, 0
	s_mul_hi_u32 s19, s17, s18
	s_addc_u32 s16, s16, s44
	s_mul_i32 s18, s17, s18
	s_mul_i32 s46, s58, s16
	s_mul_hi_u32 s44, s58, s16
	s_add_u32 s45, s45, s46
	s_addc_u32 s44, 0, s44
	s_mul_hi_u32 s47, s17, s16
	s_add_u32 s18, s45, s18
	s_mul_i32 s16, s17, s16
	s_addc_u32 s18, s44, s19
	s_addc_u32 s19, s47, 0
	s_add_u32 s16, s18, s16
	s_addc_u32 s18, 0, s19
	s_mul_hi_u32 s19, s53, s16
	s_mul_i32 s18, s53, s18
	s_mul_i32 s16, s53, s16
	s_add_i32 s19, s19, s18
	s_sub_u32 s16, s58, s16
	s_cselect_b32 s18, -1, 0
	s_cmp_lg_u32 s18, 0
	s_subb_u32 s18, s17, s19
	s_sub_u32 s19, s16, s53
	s_cselect_b32 s44, -1, 0
	s_cmp_lg_u32 s44, 0
	s_subb_u32 s44, s18, 0
	;; [unrolled: 4-line block ×3, first 2 shown]
	s_cmp_ge_u32 s19, s53
	s_cselect_b32 s47, -1, 0
	s_cmp_eq_u32 s44, 0
	s_cselect_b32 s47, s47, -1
	s_cmp_lg_u32 s47, 0
	s_cselect_b32 s44, s46, s44
	s_cselect_b32 s45, s45, s19
	s_cmp_ge_u32 s16, s53
	s_cselect_b32 s19, -1, 0
	s_cmp_eq_u32 s18, 0
	s_cselect_b32 s19, s19, -1
	s_cmp_lg_u32 s19, 0
	s_cselect_b32 s19, s44, s18
	s_cselect_b32 s18, s45, s16
	s_cbranch_execnz .LBB198_340
.LBB198_339:                            ;   in Loop: Header=BB198_18 Depth=1
	v_cvt_f32_u32_e32 v4, s53
	s_sub_i32 s18, 0, s53
	v_rcp_iflag_f32_e32 v4, v4
	v_mul_f32_e32 v4, 0x4f7ffffe, v4
	v_cvt_u32_f32_e32 v4, v4
	v_readfirstlane_b32 s16, v4
	s_mul_i32 s18, s18, s16
	s_mul_hi_u32 s18, s16, s18
	s_add_i32 s16, s16, s18
	s_mul_hi_u32 s16, s58, s16
	s_mul_i32 s16, s16, s53
	s_sub_i32 s16, s58, s16
	s_sub_i32 s18, s16, s53
	s_cmp_ge_u32 s16, s53
	s_cselect_b32 s16, s18, s16
	s_sub_i32 s18, s16, s53
	s_cmp_ge_u32 s16, s53
	s_cselect_b32 s68, s18, s16
	s_mov_b64 s[18:19], s[68:69]
.LBB198_340:                            ;   in Loop: Header=BB198_18 Depth=1
	s_sub_u32 s16, s58, s18
	s_subb_u32 s17, s17, s19
	s_mov_b32 s19, 0
	s_mov_b32 s18, 0
	s_mov_b32 s58, exec_lo
                                        ; implicit-def: $vgpr18
	v_cmpx_gt_u64_e64 s[16:17], v[0:1]
	s_cbranch_execz .LBB198_352
; %bb.341:                              ;   in Loop: Header=BB198_18 Depth=1
	v_mov_b32_e32 v5, v1
	v_mov_b32_e32 v6, v14
	v_mov_b32_e32 v4, v0
                                        ; implicit-def: $sgpr59
	s_inst_prefetch 0x1
	s_branch .LBB198_345
	.p2align	6
.LBB198_342:                            ;   in Loop: Header=BB198_345 Depth=2
	s_or_b32 exec_lo, exec_lo, s68
	s_waitcnt lgkmcnt(0)
	s_barrier
	buffer_gl0_inv
	ds_read_b64 v[17:18], v13 offset:3072
	s_waitcnt lgkmcnt(0)
	s_barrier
	buffer_gl0_inv
	v_cmp_neq_f32_e32 vcc_lo, 0, v17
	s_cbranch_vccnz .LBB198_348
; %bb.343:                              ;   in Loop: Header=BB198_345 Depth=2
	v_add_co_u32 v4, vcc_lo, v4, s53
	v_add_co_ci_u32_e64 v5, null, 0, v5, vcc_lo
	v_add_nc_u32_e32 v6, s98, v6
	s_mov_b32 s44, 0
	v_cmp_le_u64_e32 vcc_lo, s[16:17], v[4:5]
	s_orn2_b32 s45, vcc_lo, exec_lo
.LBB198_344:                            ;   in Loop: Header=BB198_345 Depth=2
	s_and_b32 s45, exec_lo, s45
	s_or_b32 s18, s45, s18
	s_andn2_b32 s45, s59, exec_lo
	s_and_b32 s44, s44, exec_lo
	s_or_b32 s59, s45, s44
	s_andn2_b32 exec_lo, exec_lo, s18
	s_cbranch_execz .LBB198_351
.LBB198_345:                            ;   Parent Loop BB198_18 Depth=1
                                        ; =>  This Inner Loop Header: Depth=2
	s_mov_b32 s68, exec_lo
	v_cmpx_gt_u64_e64 s[6:7], v[4:5]
	s_cbranch_execz .LBB198_342
; %bb.346:                              ;   in Loop: Header=BB198_345 Depth=2
	ds_read_b32 v17, v6
	s_waitcnt lgkmcnt(0)
	v_cmp_lt_i32_e32 vcc_lo, -1, v17
	v_cndmask_b32_e64 v7, -1, 0x80000000, vcc_lo
	v_cmp_o_f32_e32 vcc_lo, v17, v17
	v_xor_b32_e32 v7, v7, v17
	v_cndmask_b32_e32 v7, -1, v7, vcc_lo
	v_and_b32_e32 v7, v7, v30
	v_cmp_eq_u32_e32 vcc_lo, v7, v25
	s_and_b32 exec_lo, exec_lo, vcc_lo
	s_cbranch_execz .LBB198_342
; %bb.347:                              ;   in Loop: Header=BB198_345 Depth=2
	ds_write_b64 v13, v[16:17] offset:3072
	s_branch .LBB198_342
.LBB198_348:                            ;   in Loop: Header=BB198_345 Depth=2
	s_mov_b32 s45, -1
	s_mov_b32 s44, -1
                                        ; implicit-def: $vgpr4_vgpr5
                                        ; implicit-def: $vgpr6
	s_branch .LBB198_344
.LBB198_349:                            ;   in Loop: Header=BB198_18 Depth=1
                                        ; implicit-def: $sgpr20_sgpr21
	s_branch .LBB198_293
.LBB198_350:                            ;   in Loop: Header=BB198_18 Depth=1
                                        ; implicit-def: $sgpr6_sgpr7
	s_branch .LBB198_309
.LBB198_351:                            ;   in Loop: Header=BB198_18 Depth=1
	s_inst_prefetch 0x2
	s_or_b32 exec_lo, exec_lo, s18
	s_and_b32 s18, s59, exec_lo
.LBB198_352:                            ;   in Loop: Header=BB198_18 Depth=1
	s_or_b32 exec_lo, exec_lo, s58
.LBB198_353:                            ;   in Loop: Header=BB198_18 Depth=1
	s_and_b32 vcc_lo, exec_lo, s19
	s_cbranch_vccz .LBB198_368
; %bb.354:                              ;   in Loop: Header=BB198_18 Depth=1
	s_mov_b32 s70, s69
	s_cmp_lg_u64 s[70:71], 0
	s_cbranch_scc0 .LBB198_397
; %bb.355:                              ;   in Loop: Header=BB198_18 Depth=1
	v_cvt_f32_u32_e32 v4, s53
	s_sub_u32 s16, 0, s53
	s_subb_u32 s17, 0, 0
	v_fmac_f32_e64 v4, 0x4f800000, 0
	v_rcp_f32_e32 v4, v4
	v_mul_f32_e32 v4, 0x5f7ffffc, v4
	v_mul_f32_e32 v5, 0x2f800000, v4
	v_trunc_f32_e32 v5, v5
	v_fmac_f32_e32 v4, 0xcf800000, v5
	v_cvt_u32_f32_e32 v5, v5
	v_cvt_u32_f32_e32 v4, v4
	v_readfirstlane_b32 s6, v5
	v_readfirstlane_b32 s7, v4
	s_mul_i32 s19, s16, s6
	s_mul_hi_u32 s45, s16, s7
	s_mul_i32 s44, s17, s7
	s_add_i32 s19, s45, s19
	s_mul_i32 s46, s16, s7
	s_add_i32 s19, s19, s44
	s_mul_hi_u32 s45, s7, s46
	s_mul_i32 s58, s7, s19
	s_mul_hi_u32 s47, s6, s46
	s_mul_i32 s44, s6, s46
	s_mul_hi_u32 s46, s7, s19
	s_add_u32 s45, s45, s58
	s_addc_u32 s46, 0, s46
	s_mul_hi_u32 s59, s6, s19
	s_add_u32 s44, s45, s44
	s_mul_i32 s19, s6, s19
	s_addc_u32 s44, s46, s47
	s_addc_u32 s45, s59, 0
	s_add_u32 s19, s44, s19
	s_addc_u32 s44, 0, s45
	s_add_u32 s7, s7, s19
	s_cselect_b32 s19, -1, 0
	s_mul_hi_u32 s45, s16, s7
	s_cmp_lg_u32 s19, 0
	s_mul_i32 s19, s16, s7
	s_addc_u32 s6, s6, s44
	s_mul_i32 s17, s17, s7
	s_mul_i32 s16, s16, s6
	s_mul_hi_u32 s44, s7, s19
	s_add_i32 s16, s45, s16
	s_mul_hi_u32 s45, s6, s19
	s_add_i32 s16, s16, s17
	s_mul_i32 s17, s6, s19
	s_mul_i32 s47, s7, s16
	s_mul_hi_u32 s46, s7, s16
	s_add_u32 s44, s44, s47
	s_addc_u32 s46, 0, s46
	s_mul_hi_u32 s19, s6, s16
	s_add_u32 s17, s44, s17
	s_mul_i32 s16, s6, s16
	s_addc_u32 s17, s46, s45
	s_addc_u32 s19, s19, 0
	s_add_u32 s16, s17, s16
	s_addc_u32 s17, 0, s19
	s_add_u32 s7, s7, s16
	s_cselect_b32 s16, -1, 0
	s_mul_hi_u32 s19, s94, s7
	s_cmp_lg_u32 s16, 0
	s_mul_hi_u32 s16, s71, s7
	s_addc_u32 s6, s6, s17
	s_mul_i32 s7, s71, s7
	s_mul_i32 s44, s94, s6
	s_mul_hi_u32 s17, s94, s6
	s_add_u32 s19, s19, s44
	s_addc_u32 s17, 0, s17
	s_mul_hi_u32 s45, s71, s6
	s_add_u32 s7, s19, s7
	s_mul_i32 s6, s71, s6
	s_addc_u32 s7, s17, s16
	s_addc_u32 s16, s45, 0
	s_add_u32 s6, s7, s6
	s_addc_u32 s7, 0, s16
	s_mul_hi_u32 s16, s53, s6
	s_mul_i32 s7, s53, s7
	s_mul_i32 s6, s53, s6
	s_add_i32 s16, s16, s7
	s_sub_u32 s6, s94, s6
	s_cselect_b32 s7, -1, 0
	s_cmp_lg_u32 s7, 0
	s_subb_u32 s7, s71, s16
	s_sub_u32 s16, s6, s53
	s_cselect_b32 s17, -1, 0
	s_cmp_lg_u32 s17, 0
	s_subb_u32 s17, s7, 0
	;; [unrolled: 4-line block ×3, first 2 shown]
	s_cmp_ge_u32 s16, s53
	s_cselect_b32 s45, -1, 0
	s_cmp_eq_u32 s17, 0
	s_cselect_b32 s45, s45, -1
	s_cmp_lg_u32 s45, 0
	s_cselect_b32 s17, s44, s17
	s_cselect_b32 s16, s19, s16
	s_cmp_ge_u32 s6, s53
	s_cselect_b32 s19, -1, 0
	s_cmp_eq_u32 s7, 0
	s_cselect_b32 s19, s19, -1
	s_cmp_lg_u32 s19, 0
	s_cselect_b32 s7, s17, s7
	s_cselect_b32 s6, s16, s6
	s_cbranch_execnz .LBB198_357
.LBB198_356:                            ;   in Loop: Header=BB198_18 Depth=1
	v_cvt_f32_u32_e32 v4, s53
	s_sub_i32 s7, 0, s53
	v_rcp_iflag_f32_e32 v4, v4
	v_mul_f32_e32 v4, 0x4f7ffffe, v4
	v_cvt_u32_f32_e32 v4, v4
	v_readfirstlane_b32 s6, v4
	s_mul_i32 s7, s7, s6
	s_mul_hi_u32 s7, s6, s7
	s_add_i32 s6, s6, s7
	s_mul_hi_u32 s6, s94, s6
	s_mul_i32 s6, s6, s53
	s_sub_i32 s6, s94, s6
	s_sub_i32 s7, s6, s53
	s_cmp_ge_u32 s6, s53
	s_cselect_b32 s6, s7, s6
	s_sub_i32 s7, s6, s53
	s_cmp_ge_u32 s6, s53
	s_cselect_b32 s68, s7, s6
	s_mov_b64 s[6:7], s[68:69]
.LBB198_357:                            ;   in Loop: Header=BB198_18 Depth=1
	s_sub_u32 s6, s94, s6
	s_subb_u32 s7, s71, s7
	s_mov_b32 s16, exec_lo
                                        ; implicit-def: $vgpr18
	v_cmpx_gt_u64_e64 s[6:7], v[0:1]
	s_cbranch_execz .LBB198_367
; %bb.358:                              ;   in Loop: Header=BB198_18 Depth=1
	v_mov_b32_e32 v5, v1
	v_mov_b32_e32 v4, v0
	s_mov_b32 s17, 0
                                        ; implicit-def: $sgpr19
	s_branch .LBB198_362
.LBB198_359:                            ;   in Loop: Header=BB198_362 Depth=2
	s_or_b32 exec_lo, exec_lo, s58
	s_waitcnt lgkmcnt(0)
	s_barrier
	buffer_gl0_inv
	ds_read_b64 v[17:18], v13 offset:3072
	s_waitcnt lgkmcnt(0)
	s_barrier
	buffer_gl0_inv
	v_cmp_eq_f32_e32 vcc_lo, 0, v17
	s_cbranch_vccz .LBB198_365
; %bb.360:                              ;   in Loop: Header=BB198_362 Depth=2
	v_add_co_u32 v4, vcc_lo, v4, s53
	v_add_co_ci_u32_e64 v5, null, 0, v5, vcc_lo
	s_mov_b32 s44, 0
	v_cmp_le_u64_e32 vcc_lo, s[6:7], v[4:5]
	s_orn2_b32 s45, vcc_lo, exec_lo
.LBB198_361:                            ;   in Loop: Header=BB198_362 Depth=2
	s_and_b32 s45, exec_lo, s45
	s_or_b32 s17, s45, s17
	s_andn2_b32 s19, s19, exec_lo
	s_and_b32 s44, s44, exec_lo
	s_or_b32 s19, s19, s44
	s_andn2_b32 exec_lo, exec_lo, s17
	s_cbranch_execz .LBB198_366
.LBB198_362:                            ;   Parent Loop BB198_18 Depth=1
                                        ; =>  This Inner Loop Header: Depth=2
	s_mov_b32 s58, exec_lo
	v_cmpx_gt_u64_e64 s[28:29], v[4:5]
	s_cbranch_execz .LBB198_359
; %bb.363:                              ;   in Loop: Header=BB198_362 Depth=2
	v_mul_lo_u32 v9, v5, s26
	v_mul_lo_u32 v12, v4, s27
	v_mad_u64_u32 v[6:7], null, v4, s26, 0
	v_add3_u32 v7, v7, v12, v9
	v_lshlrev_b64 v[6:7], 2, v[6:7]
	v_add_co_u32 v6, vcc_lo, s33, v6
	v_add_co_ci_u32_e64 v7, null, s35, v7, vcc_lo
	global_load_dword v17, v[6:7], off
	s_waitcnt vmcnt(0)
	v_cmp_lt_i32_e32 vcc_lo, -1, v17
	v_cndmask_b32_e64 v6, -1, 0x80000000, vcc_lo
	v_cmp_o_f32_e32 vcc_lo, v17, v17
	v_xor_b32_e32 v6, v6, v17
	v_cndmask_b32_e32 v6, -1, v6, vcc_lo
	v_and_b32_e32 v6, v6, v30
	v_cmp_eq_u32_e32 vcc_lo, v6, v25
	s_and_b32 exec_lo, exec_lo, vcc_lo
	s_cbranch_execz .LBB198_359
; %bb.364:                              ;   in Loop: Header=BB198_362 Depth=2
	ds_write_b64 v13, v[16:17] offset:3072
	s_branch .LBB198_359
.LBB198_365:                            ;   in Loop: Header=BB198_362 Depth=2
	s_mov_b32 s45, -1
	s_mov_b32 s44, -1
                                        ; implicit-def: $vgpr4_vgpr5
	s_branch .LBB198_361
.LBB198_366:                            ;   in Loop: Header=BB198_18 Depth=1
	s_or_b32 exec_lo, exec_lo, s17
	s_andn2_b32 s6, s18, exec_lo
	s_and_b32 s7, s19, exec_lo
	s_or_b32 s18, s6, s7
.LBB198_367:                            ;   in Loop: Header=BB198_18 Depth=1
	s_or_b32 exec_lo, exec_lo, s16
	s_mov_b32 s74, 0
	s_mov_b32 s75, -1
.LBB198_368:                            ;   in Loop: Header=BB198_18 Depth=1
	s_orn2_b32 s6, s18, exec_lo
.LBB198_369:                            ;   in Loop: Header=BB198_18 Depth=1
	s_or_b32 exec_lo, exec_lo, s78
	s_mov_b32 s7, 0
	s_and_saveexec_b32 s18, s6
	s_cbranch_execz .LBB198_482
; %bb.370:                              ;   in Loop: Header=BB198_18 Depth=1
	v_mov_b32_e32 v4, 1
	v_mov_b32_e32 v5, 0
	v_mov_b32_e32 v8, 1
	s_xor_b32 s16, s77, -1
	s_and_saveexec_b32 s6, s16
	s_cbranch_execz .LBB198_379
; %bb.371:                              ;   in Loop: Header=BB198_18 Depth=1
	s_mov_b32 s7, exec_lo
	v_cmpx_ge_u64_e64 s[14:15], v[2:3]
	s_xor_b32 s7, exec_lo, s7
	s_cbranch_execz .LBB198_376
; %bb.372:                              ;   in Loop: Header=BB198_18 Depth=1
	ds_read_b64 v[4:5], v13 offset:5120
	s_lshl_b32 s16, 2, s61
	v_or_b32_e32 v30, s9, v30
	v_and_or_b32 v25, v25, s24, s16
	s_waitcnt lgkmcnt(0)
	v_cmp_ne_u64_e32 vcc_lo, 0, v[4:5]
	s_cbranch_vccnz .LBB198_376
; %bb.373:                              ;   in Loop: Header=BB198_18 Depth=1
	s_and_saveexec_b32 s16, s3
; %bb.374:                              ;   in Loop: Header=BB198_18 Depth=1
	v_mov_b32_e32 v4, s14
	v_mov_b32_e32 v5, s15
	ds_write_b64 v13, v[4:5] offset:5128
; %bb.375:                              ;   in Loop: Header=BB198_18 Depth=1
	s_or_b32 exec_lo, exec_lo, s16
	s_waitcnt lgkmcnt(0)
	s_barrier
	buffer_gl0_inv
.LBB198_376:                            ;   in Loop: Header=BB198_18 Depth=1
	s_or_saveexec_b32 s7, s7
	v_mov_b32_e32 v8, 5
	s_mov_b32 s16, 0
	s_xor_b32 exec_lo, exec_lo, s7
; %bb.377:                              ;   in Loop: Header=BB198_18 Depth=1
	v_sub_co_u32 v2, vcc_lo, v2, s14
	v_subrev_co_ci_u32_e64 v3, null, s15, v3, vcc_lo
	v_mov_b32_e32 v8, 0
	s_mov_b32 s16, exec_lo
; %bb.378:                              ;   in Loop: Header=BB198_18 Depth=1
	s_or_b32 exec_lo, exec_lo, s7
	v_mov_b32_e32 v5, v3
	v_mov_b32_e32 v4, v2
	s_and_b32 s7, s16, exec_lo
.LBB198_379:                            ;   in Loop: Header=BB198_18 Depth=1
	s_or_b32 exec_lo, exec_lo, s6
	s_mov_b32 s6, -1
                                        ; implicit-def: $sgpr77
                                        ; implicit-def: $sgpr78
	s_and_saveexec_b32 s19, s7
	s_cbranch_execz .LBB198_481
; %bb.380:                              ;   in Loop: Header=BB198_18 Depth=1
	v_cmp_eq_u64_e32 vcc_lo, 1, v[4:5]
	s_cmp_eq_u64 s[12:13], 1
                                        ; implicit-def: $sgpr78
                                        ; implicit-def: $sgpr77
	s_cselect_b32 s6, -1, 0
	s_and_b32 s79, s6, vcc_lo
	s_mov_b32 s6, -1
	s_and_saveexec_b32 s80, s79
	s_cbranch_execz .LBB198_416
; %bb.381:                              ;   in Loop: Header=BB198_18 Depth=1
	ds_read_b64 v[2:3], v13 offset:5120
	s_waitcnt lgkmcnt(0)
	s_barrier
	buffer_gl0_inv
	v_readfirstlane_b32 s6, v2
	v_readfirstlane_b32 s7, v3
	s_and_saveexec_b32 s14, s8
; %bb.382:                              ;   in Loop: Header=BB198_18 Depth=1
	ds_write_b32 v26, v13
; %bb.383:                              ;   in Loop: Header=BB198_18 Depth=1
	s_or_b32 exec_lo, exec_lo, s14
	s_lshl_b32 s14, 1, s61
	v_or_b32_e32 v30, s9, v30
	v_and_or_b32 v25, v25, s24, s14
	s_mov_b32 s77, -1
	s_mov_b32 s78, 0
	s_cmp_eq_u64 s[6:7], 0
	s_mov_b32 s16, 0
	s_mov_b32 s17, -1
	s_waitcnt lgkmcnt(0)
	s_barrier
	buffer_gl0_inv
                                        ; implicit-def: $vgpr18
	s_cbranch_scc1 .LBB198_400
; %bb.384:                              ;   in Loop: Header=BB198_18 Depth=1
	s_add_u32 s58, s6, s92
	s_addc_u32 s15, s7, s93
	s_mov_b32 s14, s69
	s_cmp_lg_u64 s[14:15], 0
	s_cbranch_scc0 .LBB198_433
; %bb.385:                              ;   in Loop: Header=BB198_18 Depth=1
	v_cvt_f32_u32_e32 v2, s53
	s_sub_u32 s17, 0, s53
	s_subb_u32 s44, 0, 0
	v_fmac_f32_e64 v2, 0x4f800000, 0
	v_rcp_f32_e32 v2, v2
	v_mul_f32_e32 v2, 0x5f7ffffc, v2
	v_mul_f32_e32 v3, 0x2f800000, v2
	v_trunc_f32_e32 v3, v3
	v_fmac_f32_e32 v2, 0xcf800000, v3
	v_cvt_u32_f32_e32 v3, v3
	v_cvt_u32_f32_e32 v2, v2
	v_readfirstlane_b32 s14, v3
	v_readfirstlane_b32 s16, v2
	s_mul_i32 s45, s17, s14
	s_mul_hi_u32 s47, s17, s16
	s_mul_i32 s46, s44, s16
	s_add_i32 s45, s47, s45
	s_mul_i32 s59, s17, s16
	s_add_i32 s45, s45, s46
	s_mul_hi_u32 s47, s16, s59
	s_mul_i32 s70, s16, s45
	s_mul_hi_u32 s68, s14, s59
	s_mul_i32 s46, s14, s59
	s_mul_hi_u32 s59, s16, s45
	s_add_u32 s47, s47, s70
	s_addc_u32 s59, 0, s59
	s_mul_hi_u32 s81, s14, s45
	s_add_u32 s46, s47, s46
	s_mul_i32 s45, s14, s45
	s_addc_u32 s46, s59, s68
	s_addc_u32 s47, s81, 0
	s_add_u32 s45, s46, s45
	s_addc_u32 s46, 0, s47
	s_add_u32 s16, s16, s45
	s_cselect_b32 s45, -1, 0
	s_mul_hi_u32 s47, s17, s16
	s_cmp_lg_u32 s45, 0
	s_mul_i32 s45, s17, s16
	s_addc_u32 s14, s14, s46
	s_mul_i32 s44, s44, s16
	s_mul_i32 s17, s17, s14
	s_mul_hi_u32 s46, s16, s45
	s_add_i32 s17, s47, s17
	s_mul_hi_u32 s47, s14, s45
	s_add_i32 s17, s17, s44
	s_mul_i32 s44, s14, s45
	s_mul_i32 s68, s16, s17
	s_mul_hi_u32 s59, s16, s17
	s_add_u32 s46, s46, s68
	s_addc_u32 s59, 0, s59
	s_mul_hi_u32 s45, s14, s17
	s_add_u32 s44, s46, s44
	s_mul_i32 s17, s14, s17
	s_addc_u32 s44, s59, s47
	s_addc_u32 s45, s45, 0
	s_add_u32 s17, s44, s17
	s_addc_u32 s44, 0, s45
	s_add_u32 s16, s16, s17
	s_cselect_b32 s17, -1, 0
	s_mul_hi_u32 s45, s58, s16
	s_cmp_lg_u32 s17, 0
	s_mul_hi_u32 s17, s15, s16
	s_addc_u32 s14, s14, s44
	s_mul_i32 s16, s15, s16
	s_mul_i32 s46, s58, s14
	s_mul_hi_u32 s44, s58, s14
	s_add_u32 s45, s45, s46
	s_addc_u32 s44, 0, s44
	s_mul_hi_u32 s47, s15, s14
	s_add_u32 s16, s45, s16
	s_mul_i32 s14, s15, s14
	s_addc_u32 s16, s44, s17
	s_addc_u32 s17, s47, 0
	s_add_u32 s14, s16, s14
	s_addc_u32 s16, 0, s17
	s_mul_hi_u32 s17, s53, s14
	s_mul_i32 s16, s53, s16
	s_mul_i32 s14, s53, s14
	s_add_i32 s17, s17, s16
	s_sub_u32 s14, s58, s14
	s_cselect_b32 s16, -1, 0
	s_cmp_lg_u32 s16, 0
	s_subb_u32 s16, s15, s17
	s_sub_u32 s17, s14, s53
	s_cselect_b32 s44, -1, 0
	s_cmp_lg_u32 s44, 0
	s_subb_u32 s44, s16, 0
	;; [unrolled: 4-line block ×3, first 2 shown]
	s_cmp_ge_u32 s17, s53
	s_cselect_b32 s47, -1, 0
	s_cmp_eq_u32 s44, 0
	s_cselect_b32 s47, s47, -1
	s_cmp_lg_u32 s47, 0
	s_cselect_b32 s44, s46, s44
	s_cselect_b32 s45, s45, s17
	s_cmp_ge_u32 s14, s53
	s_cselect_b32 s17, -1, 0
	s_cmp_eq_u32 s16, 0
	s_cselect_b32 s17, s17, -1
	s_cmp_lg_u32 s17, 0
	s_cselect_b32 s17, s44, s16
	s_cselect_b32 s16, s45, s14
	s_cbranch_execnz .LBB198_387
.LBB198_386:                            ;   in Loop: Header=BB198_18 Depth=1
	v_cvt_f32_u32_e32 v2, s53
	s_sub_i32 s16, 0, s53
	v_rcp_iflag_f32_e32 v2, v2
	v_mul_f32_e32 v2, 0x4f7ffffe, v2
	v_cvt_u32_f32_e32 v2, v2
	v_readfirstlane_b32 s14, v2
	s_mul_i32 s16, s16, s14
	s_mul_hi_u32 s16, s14, s16
	s_add_i32 s14, s14, s16
	s_mul_hi_u32 s14, s58, s14
	s_mul_i32 s14, s14, s53
	s_sub_i32 s14, s58, s14
	s_sub_i32 s16, s14, s53
	s_cmp_ge_u32 s14, s53
	s_cselect_b32 s14, s16, s14
	s_sub_i32 s16, s14, s53
	s_cmp_ge_u32 s14, s53
	s_cselect_b32 s68, s16, s14
	s_mov_b64 s[16:17], s[68:69]
.LBB198_387:                            ;   in Loop: Header=BB198_18 Depth=1
	s_sub_u32 s14, s58, s16
	s_subb_u32 s15, s15, s17
	s_mov_b32 s17, 0
	s_mov_b32 s16, 0
	s_mov_b32 s58, exec_lo
                                        ; implicit-def: $vgpr18
	v_cmpx_gt_u64_e64 s[14:15], v[0:1]
	s_cbranch_execz .LBB198_399
; %bb.388:                              ;   in Loop: Header=BB198_18 Depth=1
	v_mov_b32_e32 v3, v1
	v_mov_b32_e32 v6, v14
	;; [unrolled: 1-line block ×3, first 2 shown]
                                        ; implicit-def: $sgpr59
	s_inst_prefetch 0x1
	s_branch .LBB198_392
	.p2align	6
.LBB198_389:                            ;   in Loop: Header=BB198_392 Depth=2
	s_or_b32 exec_lo, exec_lo, s68
	s_waitcnt lgkmcnt(0)
	s_barrier
	buffer_gl0_inv
	ds_read_b64 v[17:18], v13 offset:3072
	s_waitcnt lgkmcnt(0)
	s_barrier
	buffer_gl0_inv
	v_cmp_neq_f32_e32 vcc_lo, 0, v17
	s_cbranch_vccnz .LBB198_395
; %bb.390:                              ;   in Loop: Header=BB198_392 Depth=2
	v_add_co_u32 v2, vcc_lo, v2, s53
	v_add_co_ci_u32_e64 v3, null, 0, v3, vcc_lo
	v_add_nc_u32_e32 v6, s98, v6
	s_mov_b32 s44, 0
	v_cmp_le_u64_e32 vcc_lo, s[14:15], v[2:3]
	s_orn2_b32 s45, vcc_lo, exec_lo
.LBB198_391:                            ;   in Loop: Header=BB198_392 Depth=2
	s_and_b32 s45, exec_lo, s45
	s_or_b32 s16, s45, s16
	s_andn2_b32 s45, s59, exec_lo
	s_and_b32 s44, s44, exec_lo
	s_or_b32 s59, s45, s44
	s_andn2_b32 exec_lo, exec_lo, s16
	s_cbranch_execz .LBB198_398
.LBB198_392:                            ;   Parent Loop BB198_18 Depth=1
                                        ; =>  This Inner Loop Header: Depth=2
	s_mov_b32 s68, exec_lo
	v_cmpx_gt_u64_e64 s[6:7], v[2:3]
	s_cbranch_execz .LBB198_389
; %bb.393:                              ;   in Loop: Header=BB198_392 Depth=2
	ds_read_b32 v17, v6
	s_waitcnt lgkmcnt(0)
	v_cmp_lt_i32_e32 vcc_lo, -1, v17
	v_cndmask_b32_e64 v7, -1, 0x80000000, vcc_lo
	v_cmp_o_f32_e32 vcc_lo, v17, v17
	v_xor_b32_e32 v7, v7, v17
	v_cndmask_b32_e32 v7, -1, v7, vcc_lo
	v_and_b32_e32 v7, v7, v30
	v_cmp_eq_u32_e32 vcc_lo, v7, v25
	s_and_b32 exec_lo, exec_lo, vcc_lo
	s_cbranch_execz .LBB198_389
; %bb.394:                              ;   in Loop: Header=BB198_392 Depth=2
	ds_write_b64 v13, v[16:17] offset:3072
	s_branch .LBB198_389
.LBB198_395:                            ;   in Loop: Header=BB198_392 Depth=2
	s_mov_b32 s45, -1
	s_mov_b32 s44, -1
                                        ; implicit-def: $vgpr2_vgpr3
                                        ; implicit-def: $vgpr6
	s_branch .LBB198_391
.LBB198_396:                            ;   in Loop: Header=BB198_18 Depth=1
                                        ; implicit-def: $sgpr18_sgpr19
	s_branch .LBB198_339
.LBB198_397:                            ;   in Loop: Header=BB198_18 Depth=1
                                        ; implicit-def: $sgpr6_sgpr7
	s_branch .LBB198_356
.LBB198_398:                            ;   in Loop: Header=BB198_18 Depth=1
	s_inst_prefetch 0x2
	s_or_b32 exec_lo, exec_lo, s16
	s_and_b32 s16, s59, exec_lo
.LBB198_399:                            ;   in Loop: Header=BB198_18 Depth=1
	s_or_b32 exec_lo, exec_lo, s58
.LBB198_400:                            ;   in Loop: Header=BB198_18 Depth=1
	s_and_b32 vcc_lo, exec_lo, s17
	s_cbranch_vccz .LBB198_415
; %bb.401:                              ;   in Loop: Header=BB198_18 Depth=1
	s_mov_b32 s70, s69
	s_cmp_lg_u64 s[70:71], 0
	s_cbranch_scc0 .LBB198_434
; %bb.402:                              ;   in Loop: Header=BB198_18 Depth=1
	v_cvt_f32_u32_e32 v2, s53
	s_sub_u32 s14, 0, s53
	s_subb_u32 s15, 0, 0
	v_fmac_f32_e64 v2, 0x4f800000, 0
	v_rcp_f32_e32 v2, v2
	v_mul_f32_e32 v2, 0x5f7ffffc, v2
	v_mul_f32_e32 v3, 0x2f800000, v2
	v_trunc_f32_e32 v3, v3
	v_fmac_f32_e32 v2, 0xcf800000, v3
	v_cvt_u32_f32_e32 v3, v3
	v_cvt_u32_f32_e32 v2, v2
	v_readfirstlane_b32 s6, v3
	v_readfirstlane_b32 s7, v2
	s_mul_i32 s17, s14, s6
	s_mul_hi_u32 s45, s14, s7
	s_mul_i32 s44, s15, s7
	s_add_i32 s17, s45, s17
	s_mul_i32 s46, s14, s7
	s_add_i32 s17, s17, s44
	s_mul_hi_u32 s45, s7, s46
	s_mul_i32 s58, s7, s17
	s_mul_hi_u32 s47, s6, s46
	s_mul_i32 s44, s6, s46
	s_mul_hi_u32 s46, s7, s17
	s_add_u32 s45, s45, s58
	s_addc_u32 s46, 0, s46
	s_mul_hi_u32 s59, s6, s17
	s_add_u32 s44, s45, s44
	s_mul_i32 s17, s6, s17
	s_addc_u32 s44, s46, s47
	s_addc_u32 s45, s59, 0
	s_add_u32 s17, s44, s17
	s_addc_u32 s44, 0, s45
	s_add_u32 s7, s7, s17
	s_cselect_b32 s17, -1, 0
	s_mul_hi_u32 s45, s14, s7
	s_cmp_lg_u32 s17, 0
	s_mul_i32 s17, s14, s7
	s_addc_u32 s6, s6, s44
	s_mul_i32 s15, s15, s7
	s_mul_i32 s14, s14, s6
	s_mul_hi_u32 s44, s7, s17
	s_add_i32 s14, s45, s14
	s_mul_hi_u32 s45, s6, s17
	s_add_i32 s14, s14, s15
	s_mul_i32 s15, s6, s17
	s_mul_i32 s47, s7, s14
	s_mul_hi_u32 s46, s7, s14
	s_add_u32 s44, s44, s47
	s_addc_u32 s46, 0, s46
	s_mul_hi_u32 s17, s6, s14
	s_add_u32 s15, s44, s15
	s_mul_i32 s14, s6, s14
	s_addc_u32 s15, s46, s45
	s_addc_u32 s17, s17, 0
	s_add_u32 s14, s15, s14
	s_addc_u32 s15, 0, s17
	s_add_u32 s7, s7, s14
	s_cselect_b32 s14, -1, 0
	s_mul_hi_u32 s17, s94, s7
	s_cmp_lg_u32 s14, 0
	s_mul_hi_u32 s14, s71, s7
	s_addc_u32 s6, s6, s15
	s_mul_i32 s7, s71, s7
	s_mul_i32 s44, s94, s6
	s_mul_hi_u32 s15, s94, s6
	s_add_u32 s17, s17, s44
	s_addc_u32 s15, 0, s15
	s_mul_hi_u32 s45, s71, s6
	s_add_u32 s7, s17, s7
	s_mul_i32 s6, s71, s6
	s_addc_u32 s7, s15, s14
	s_addc_u32 s14, s45, 0
	s_add_u32 s6, s7, s6
	s_addc_u32 s7, 0, s14
	s_mul_hi_u32 s14, s53, s6
	s_mul_i32 s7, s53, s7
	s_mul_i32 s6, s53, s6
	s_add_i32 s14, s14, s7
	s_sub_u32 s6, s94, s6
	s_cselect_b32 s7, -1, 0
	s_cmp_lg_u32 s7, 0
	s_subb_u32 s7, s71, s14
	s_sub_u32 s14, s6, s53
	s_cselect_b32 s15, -1, 0
	s_cmp_lg_u32 s15, 0
	s_subb_u32 s15, s7, 0
	;; [unrolled: 4-line block ×3, first 2 shown]
	s_cmp_ge_u32 s14, s53
	s_cselect_b32 s45, -1, 0
	s_cmp_eq_u32 s15, 0
	s_cselect_b32 s45, s45, -1
	s_cmp_lg_u32 s45, 0
	s_cselect_b32 s15, s44, s15
	s_cselect_b32 s14, s17, s14
	s_cmp_ge_u32 s6, s53
	s_cselect_b32 s17, -1, 0
	s_cmp_eq_u32 s7, 0
	s_cselect_b32 s17, s17, -1
	s_cmp_lg_u32 s17, 0
	s_cselect_b32 s7, s15, s7
	s_cselect_b32 s6, s14, s6
	s_cbranch_execnz .LBB198_404
.LBB198_403:                            ;   in Loop: Header=BB198_18 Depth=1
	v_cvt_f32_u32_e32 v2, s53
	s_sub_i32 s7, 0, s53
	v_rcp_iflag_f32_e32 v2, v2
	v_mul_f32_e32 v2, 0x4f7ffffe, v2
	v_cvt_u32_f32_e32 v2, v2
	v_readfirstlane_b32 s6, v2
	s_mul_i32 s7, s7, s6
	s_mul_hi_u32 s7, s6, s7
	s_add_i32 s6, s6, s7
	s_mul_hi_u32 s6, s94, s6
	s_mul_i32 s6, s6, s53
	s_sub_i32 s6, s94, s6
	s_sub_i32 s7, s6, s53
	s_cmp_ge_u32 s6, s53
	s_cselect_b32 s6, s7, s6
	s_sub_i32 s7, s6, s53
	s_cmp_ge_u32 s6, s53
	s_cselect_b32 s68, s7, s6
	s_mov_b64 s[6:7], s[68:69]
.LBB198_404:                            ;   in Loop: Header=BB198_18 Depth=1
	s_sub_u32 s6, s94, s6
	s_subb_u32 s7, s71, s7
	s_mov_b32 s14, exec_lo
                                        ; implicit-def: $vgpr18
	v_cmpx_gt_u64_e64 s[6:7], v[0:1]
	s_cbranch_execz .LBB198_414
; %bb.405:                              ;   in Loop: Header=BB198_18 Depth=1
	v_mov_b32_e32 v3, v1
	v_mov_b32_e32 v2, v0
	s_mov_b32 s15, 0
                                        ; implicit-def: $sgpr17
	s_branch .LBB198_409
.LBB198_406:                            ;   in Loop: Header=BB198_409 Depth=2
	s_or_b32 exec_lo, exec_lo, s58
	s_waitcnt lgkmcnt(0)
	s_barrier
	buffer_gl0_inv
	ds_read_b64 v[17:18], v13 offset:3072
	s_waitcnt lgkmcnt(0)
	s_barrier
	buffer_gl0_inv
	v_cmp_eq_f32_e32 vcc_lo, 0, v17
	s_cbranch_vccz .LBB198_412
; %bb.407:                              ;   in Loop: Header=BB198_409 Depth=2
	v_add_co_u32 v2, vcc_lo, v2, s53
	v_add_co_ci_u32_e64 v3, null, 0, v3, vcc_lo
	s_mov_b32 s44, 0
	v_cmp_le_u64_e32 vcc_lo, s[6:7], v[2:3]
	s_orn2_b32 s45, vcc_lo, exec_lo
.LBB198_408:                            ;   in Loop: Header=BB198_409 Depth=2
	s_and_b32 s45, exec_lo, s45
	s_or_b32 s15, s45, s15
	s_andn2_b32 s17, s17, exec_lo
	s_and_b32 s44, s44, exec_lo
	s_or_b32 s17, s17, s44
	s_andn2_b32 exec_lo, exec_lo, s15
	s_cbranch_execz .LBB198_413
.LBB198_409:                            ;   Parent Loop BB198_18 Depth=1
                                        ; =>  This Inner Loop Header: Depth=2
	s_mov_b32 s58, exec_lo
	v_cmpx_gt_u64_e64 s[28:29], v[2:3]
	s_cbranch_execz .LBB198_406
; %bb.410:                              ;   in Loop: Header=BB198_409 Depth=2
	v_mul_lo_u32 v9, v3, s26
	v_mul_lo_u32 v12, v2, s27
	v_mad_u64_u32 v[6:7], null, v2, s26, 0
	v_add3_u32 v7, v7, v12, v9
	v_lshlrev_b64 v[6:7], 2, v[6:7]
	v_add_co_u32 v6, vcc_lo, s33, v6
	v_add_co_ci_u32_e64 v7, null, s35, v7, vcc_lo
	global_load_dword v17, v[6:7], off
	s_waitcnt vmcnt(0)
	v_cmp_lt_i32_e32 vcc_lo, -1, v17
	v_cndmask_b32_e64 v6, -1, 0x80000000, vcc_lo
	v_cmp_o_f32_e32 vcc_lo, v17, v17
	v_xor_b32_e32 v6, v6, v17
	v_cndmask_b32_e32 v6, -1, v6, vcc_lo
	v_and_b32_e32 v6, v6, v30
	v_cmp_eq_u32_e32 vcc_lo, v6, v25
	s_and_b32 exec_lo, exec_lo, vcc_lo
	s_cbranch_execz .LBB198_406
; %bb.411:                              ;   in Loop: Header=BB198_409 Depth=2
	ds_write_b64 v13, v[16:17] offset:3072
	s_branch .LBB198_406
.LBB198_412:                            ;   in Loop: Header=BB198_409 Depth=2
	s_mov_b32 s45, -1
	s_mov_b32 s44, -1
                                        ; implicit-def: $vgpr2_vgpr3
	s_branch .LBB198_408
.LBB198_413:                            ;   in Loop: Header=BB198_18 Depth=1
	s_or_b32 exec_lo, exec_lo, s15
	s_andn2_b32 s6, s16, exec_lo
	s_and_b32 s7, s17, exec_lo
	s_or_b32 s16, s6, s7
.LBB198_414:                            ;   in Loop: Header=BB198_18 Depth=1
	s_or_b32 exec_lo, exec_lo, s14
	s_mov_b32 s77, 0
	s_mov_b32 s78, -1
.LBB198_415:                            ;   in Loop: Header=BB198_18 Depth=1
	s_orn2_b32 s6, s16, exec_lo
.LBB198_416:                            ;   in Loop: Header=BB198_18 Depth=1
	s_or_b32 exec_lo, exec_lo, s80
	s_mov_b32 s7, 0
	s_and_saveexec_b32 s16, s6
	s_cbranch_execz .LBB198_480
; %bb.417:                              ;   in Loop: Header=BB198_18 Depth=1
	v_mov_b32_e32 v2, 1
	v_mov_b32_e32 v3, 0
	;; [unrolled: 1-line block ×3, first 2 shown]
	s_xor_b32 s14, s79, -1
	s_and_saveexec_b32 s6, s14
	s_cbranch_execz .LBB198_426
; %bb.418:                              ;   in Loop: Header=BB198_18 Depth=1
	s_mov_b32 s7, exec_lo
	v_cmpx_ge_u64_e64 s[12:13], v[4:5]
	s_xor_b32 s7, exec_lo, s7
	s_cbranch_execz .LBB198_423
; %bb.419:                              ;   in Loop: Header=BB198_18 Depth=1
	ds_read_b64 v[2:3], v13 offset:5120
	s_lshl_b32 s14, 1, s61
	v_or_b32_e32 v30, s9, v30
	v_and_or_b32 v25, v25, s24, s14
	s_waitcnt lgkmcnt(0)
	v_cmp_ne_u64_e32 vcc_lo, 0, v[2:3]
	s_cbranch_vccnz .LBB198_423
; %bb.420:                              ;   in Loop: Header=BB198_18 Depth=1
	s_and_saveexec_b32 s14, s3
; %bb.421:                              ;   in Loop: Header=BB198_18 Depth=1
	v_mov_b32_e32 v2, s12
	v_mov_b32_e32 v3, s13
	ds_write_b64 v13, v[2:3] offset:5128
; %bb.422:                              ;   in Loop: Header=BB198_18 Depth=1
	s_or_b32 exec_lo, exec_lo, s14
	s_waitcnt lgkmcnt(0)
	s_barrier
	buffer_gl0_inv
.LBB198_423:                            ;   in Loop: Header=BB198_18 Depth=1
	s_or_saveexec_b32 s7, s7
	v_mov_b32_e32 v8, 5
	s_mov_b32 s14, 0
	s_xor_b32 exec_lo, exec_lo, s7
; %bb.424:                              ;   in Loop: Header=BB198_18 Depth=1
	v_sub_co_u32 v4, vcc_lo, v4, s12
	v_subrev_co_ci_u32_e64 v5, null, s13, v5, vcc_lo
	v_mov_b32_e32 v8, 0
	s_mov_b32 s14, exec_lo
; %bb.425:                              ;   in Loop: Header=BB198_18 Depth=1
	s_or_b32 exec_lo, exec_lo, s7
	v_mov_b32_e32 v2, v4
	v_mov_b32_e32 v3, v5
	s_and_b32 s7, s14, exec_lo
.LBB198_426:                            ;   in Loop: Header=BB198_18 Depth=1
	s_or_b32 exec_lo, exec_lo, s6
	s_mov_b32 s6, -1
                                        ; implicit-def: $sgpr58
                                        ; implicit-def: $sgpr70
	s_and_saveexec_b32 s17, s7
	s_cbranch_execz .LBB198_479
; %bb.427:                              ;   in Loop: Header=BB198_18 Depth=1
	v_cmp_eq_u64_e32 vcc_lo, 1, v[2:3]
	s_cmp_eq_u64 s[10:11], 1
	s_mov_b32 s7, -1
	s_cselect_b32 s6, -1, 0
                                        ; implicit-def: $sgpr58
                                        ; implicit-def: $sgpr70
	s_and_b32 s79, s6, vcc_lo
	s_and_saveexec_b32 s80, s79
	s_cbranch_execz .LBB198_467
; %bb.428:                              ;   in Loop: Header=BB198_18 Depth=1
	ds_read_b64 v[4:5], v13 offset:5120
	s_waitcnt lgkmcnt(0)
	s_barrier
	buffer_gl0_inv
	v_readfirstlane_b32 s6, v4
	v_readfirstlane_b32 s7, v5
	s_and_saveexec_b32 s12, s8
; %bb.429:                              ;   in Loop: Header=BB198_18 Depth=1
	ds_write_b32 v26, v13
; %bb.430:                              ;   in Loop: Header=BB198_18 Depth=1
	s_or_b32 exec_lo, exec_lo, s12
	v_and_b32_e32 v25, s24, v25
	v_or_b32_e32 v30, s9, v30
	s_mov_b32 s70, -1
	s_mov_b32 s58, 0
	s_cmp_eq_u64 s[6:7], 0
	s_mov_b32 s14, 0
	s_mov_b32 s15, -1
	s_waitcnt lgkmcnt(0)
	s_barrier
	buffer_gl0_inv
                                        ; implicit-def: $vgpr18
	s_cbranch_scc1 .LBB198_449
; %bb.431:                              ;   in Loop: Header=BB198_18 Depth=1
	s_add_u32 s59, s6, s92
	s_addc_u32 s13, s7, s93
	s_mov_b32 s12, s69
	s_cmp_lg_u64 s[12:13], 0
	s_cbranch_scc0 .LBB198_435
; %bb.432:                              ;   in Loop: Header=BB198_18 Depth=1
	v_cvt_f32_u32_e32 v4, s53
	s_sub_u32 s15, 0, s53
	s_subb_u32 s44, 0, 0
	v_fmac_f32_e64 v4, 0x4f800000, 0
	v_rcp_f32_e32 v4, v4
	v_mul_f32_e32 v4, 0x5f7ffffc, v4
	v_mul_f32_e32 v5, 0x2f800000, v4
	v_trunc_f32_e32 v5, v5
	v_fmac_f32_e32 v4, 0xcf800000, v5
	v_cvt_u32_f32_e32 v5, v5
	v_cvt_u32_f32_e32 v4, v4
	v_readfirstlane_b32 s12, v5
	v_readfirstlane_b32 s14, v4
	s_mul_i32 s45, s15, s12
	s_mul_hi_u32 s47, s15, s14
	s_mul_i32 s46, s44, s14
	s_add_i32 s45, s47, s45
	s_mul_i32 s68, s15, s14
	s_add_i32 s45, s45, s46
	s_mul_hi_u32 s47, s14, s68
	s_mul_i32 s82, s14, s45
	s_mul_hi_u32 s81, s12, s68
	s_mul_i32 s46, s12, s68
	s_mul_hi_u32 s68, s14, s45
	s_add_u32 s47, s47, s82
	s_addc_u32 s68, 0, s68
	s_mul_hi_u32 s83, s12, s45
	s_add_u32 s46, s47, s46
	s_mul_i32 s45, s12, s45
	s_addc_u32 s46, s68, s81
	s_addc_u32 s47, s83, 0
	s_add_u32 s45, s46, s45
	s_addc_u32 s46, 0, s47
	s_add_u32 s14, s14, s45
	s_cselect_b32 s45, -1, 0
	s_mul_hi_u32 s47, s15, s14
	s_cmp_lg_u32 s45, 0
	s_mul_i32 s45, s15, s14
	s_addc_u32 s12, s12, s46
	s_mul_i32 s44, s44, s14
	s_mul_i32 s15, s15, s12
	s_mul_hi_u32 s46, s14, s45
	s_add_i32 s15, s47, s15
	s_mul_hi_u32 s47, s12, s45
	s_add_i32 s15, s15, s44
	s_mul_i32 s44, s12, s45
	s_mul_i32 s81, s14, s15
	s_mul_hi_u32 s68, s14, s15
	s_add_u32 s46, s46, s81
	s_addc_u32 s68, 0, s68
	s_mul_hi_u32 s45, s12, s15
	s_add_u32 s44, s46, s44
	s_mul_i32 s15, s12, s15
	s_addc_u32 s44, s68, s47
	s_addc_u32 s45, s45, 0
	s_add_u32 s15, s44, s15
	s_addc_u32 s44, 0, s45
	s_add_u32 s14, s14, s15
	s_cselect_b32 s15, -1, 0
	s_mul_hi_u32 s45, s59, s14
	s_cmp_lg_u32 s15, 0
	s_mul_hi_u32 s15, s13, s14
	s_addc_u32 s12, s12, s44
	s_mul_i32 s14, s13, s14
	s_mul_i32 s46, s59, s12
	s_mul_hi_u32 s44, s59, s12
	s_add_u32 s45, s45, s46
	s_addc_u32 s44, 0, s44
	s_mul_hi_u32 s47, s13, s12
	s_add_u32 s14, s45, s14
	s_mul_i32 s12, s13, s12
	s_addc_u32 s14, s44, s15
	s_addc_u32 s15, s47, 0
	s_add_u32 s12, s14, s12
	s_addc_u32 s14, 0, s15
	s_mul_hi_u32 s15, s53, s12
	s_mul_i32 s14, s53, s14
	s_mul_i32 s12, s53, s12
	s_add_i32 s15, s15, s14
	s_sub_u32 s12, s59, s12
	s_cselect_b32 s14, -1, 0
	s_cmp_lg_u32 s14, 0
	s_subb_u32 s14, s13, s15
	s_sub_u32 s15, s12, s53
	s_cselect_b32 s44, -1, 0
	s_cmp_lg_u32 s44, 0
	s_subb_u32 s44, s14, 0
	;; [unrolled: 4-line block ×3, first 2 shown]
	s_cmp_ge_u32 s15, s53
	s_cselect_b32 s47, -1, 0
	s_cmp_eq_u32 s44, 0
	s_cselect_b32 s47, s47, -1
	s_cmp_lg_u32 s47, 0
	s_cselect_b32 s44, s46, s44
	s_cselect_b32 s45, s45, s15
	s_cmp_ge_u32 s12, s53
	s_cselect_b32 s15, -1, 0
	s_cmp_eq_u32 s14, 0
	s_cselect_b32 s15, s15, -1
	s_cmp_lg_u32 s15, 0
	s_cselect_b32 s15, s44, s14
	s_cselect_b32 s14, s45, s12
	s_mov_b32 s12, 0
	s_branch .LBB198_436
.LBB198_433:                            ;   in Loop: Header=BB198_18 Depth=1
                                        ; implicit-def: $sgpr16_sgpr17
	s_branch .LBB198_386
.LBB198_434:                            ;   in Loop: Header=BB198_18 Depth=1
                                        ; implicit-def: $sgpr6_sgpr7
	s_branch .LBB198_403
.LBB198_435:                            ;   in Loop: Header=BB198_18 Depth=1
	s_mov_b32 s12, -1
                                        ; implicit-def: $sgpr14_sgpr15
.LBB198_436:                            ;   in Loop: Header=BB198_18 Depth=1
	s_andn2_b32 vcc_lo, exec_lo, s12
	s_cbranch_vccnz .LBB198_438
; %bb.437:                              ;   in Loop: Header=BB198_18 Depth=1
	v_cvt_f32_u32_e32 v4, s53
	s_sub_i32 s14, 0, s53
	v_rcp_iflag_f32_e32 v4, v4
	v_mul_f32_e32 v4, 0x4f7ffffe, v4
	v_cvt_u32_f32_e32 v4, v4
	v_readfirstlane_b32 s12, v4
	s_mul_i32 s14, s14, s12
	s_mul_hi_u32 s14, s12, s14
	s_add_i32 s12, s12, s14
	s_mul_hi_u32 s12, s59, s12
	s_mul_i32 s12, s12, s53
	s_sub_i32 s12, s59, s12
	s_sub_i32 s14, s12, s53
	s_cmp_ge_u32 s12, s53
	s_cselect_b32 s12, s14, s12
	s_sub_i32 s14, s12, s53
	s_cmp_ge_u32 s12, s53
	s_cselect_b32 s68, s14, s12
	s_mov_b64 s[14:15], s[68:69]
.LBB198_438:                            ;   in Loop: Header=BB198_18 Depth=1
	s_sub_u32 s12, s59, s14
	s_subb_u32 s13, s13, s15
	s_mov_b32 s15, 0
	s_mov_b32 s14, 0
	s_mov_b32 s59, exec_lo
                                        ; implicit-def: $vgpr18
	v_cmpx_gt_u64_e64 s[12:13], v[0:1]
	s_cbranch_execz .LBB198_448
; %bb.439:                              ;   in Loop: Header=BB198_18 Depth=1
	v_mov_b32_e32 v5, v1
	v_mov_b32_e32 v6, v14
	;; [unrolled: 1-line block ×3, first 2 shown]
                                        ; implicit-def: $sgpr68
	s_inst_prefetch 0x1
	s_branch .LBB198_443
	.p2align	6
.LBB198_440:                            ;   in Loop: Header=BB198_443 Depth=2
	s_or_b32 exec_lo, exec_lo, s81
	s_waitcnt lgkmcnt(0)
	s_barrier
	buffer_gl0_inv
	ds_read_b64 v[17:18], v13 offset:3072
	s_waitcnt lgkmcnt(0)
	s_barrier
	buffer_gl0_inv
	v_cmp_neq_f32_e32 vcc_lo, 0, v17
	s_cbranch_vccnz .LBB198_446
; %bb.441:                              ;   in Loop: Header=BB198_443 Depth=2
	v_add_co_u32 v4, vcc_lo, v4, s53
	v_add_co_ci_u32_e64 v5, null, 0, v5, vcc_lo
	v_add_nc_u32_e32 v6, s98, v6
	s_mov_b32 s44, 0
	v_cmp_le_u64_e32 vcc_lo, s[12:13], v[4:5]
	s_orn2_b32 s45, vcc_lo, exec_lo
.LBB198_442:                            ;   in Loop: Header=BB198_443 Depth=2
	s_and_b32 s45, exec_lo, s45
	s_or_b32 s14, s45, s14
	s_andn2_b32 s45, s68, exec_lo
	s_and_b32 s44, s44, exec_lo
	s_or_b32 s68, s45, s44
	s_andn2_b32 exec_lo, exec_lo, s14
	s_cbranch_execz .LBB198_447
.LBB198_443:                            ;   Parent Loop BB198_18 Depth=1
                                        ; =>  This Inner Loop Header: Depth=2
	s_mov_b32 s81, exec_lo
	v_cmpx_gt_u64_e64 s[6:7], v[4:5]
	s_cbranch_execz .LBB198_440
; %bb.444:                              ;   in Loop: Header=BB198_443 Depth=2
	ds_read_b32 v17, v6
	s_waitcnt lgkmcnt(0)
	v_cmp_lt_i32_e32 vcc_lo, -1, v17
	v_cndmask_b32_e64 v7, -1, 0x80000000, vcc_lo
	v_cmp_o_f32_e32 vcc_lo, v17, v17
	v_xor_b32_e32 v7, v7, v17
	v_cndmask_b32_e32 v7, -1, v7, vcc_lo
	v_and_b32_e32 v7, v7, v30
	v_cmp_eq_u32_e32 vcc_lo, v7, v25
	s_and_b32 exec_lo, exec_lo, vcc_lo
	s_cbranch_execz .LBB198_440
; %bb.445:                              ;   in Loop: Header=BB198_443 Depth=2
	ds_write_b64 v13, v[16:17] offset:3072
	s_branch .LBB198_440
.LBB198_446:                            ;   in Loop: Header=BB198_443 Depth=2
	s_mov_b32 s45, -1
	s_mov_b32 s44, -1
                                        ; implicit-def: $vgpr4_vgpr5
                                        ; implicit-def: $vgpr6
	s_branch .LBB198_442
.LBB198_447:                            ;   in Loop: Header=BB198_18 Depth=1
	s_inst_prefetch 0x2
	s_or_b32 exec_lo, exec_lo, s14
	s_and_b32 s14, s68, exec_lo
.LBB198_448:                            ;   in Loop: Header=BB198_18 Depth=1
	s_or_b32 exec_lo, exec_lo, s59
.LBB198_449:                            ;   in Loop: Header=BB198_18 Depth=1
	s_and_b32 vcc_lo, exec_lo, s15
	s_cbranch_vccz .LBB198_466
; %bb.450:                              ;   in Loop: Header=BB198_18 Depth=1
	s_mov_b32 s70, s69
	s_cmp_lg_u64 s[70:71], 0
	s_cbranch_scc0 .LBB198_452
; %bb.451:                              ;   in Loop: Header=BB198_18 Depth=1
	v_cvt_f32_u32_e32 v4, s53
	s_sub_u32 s12, 0, s53
	s_subb_u32 s13, 0, 0
	v_fmac_f32_e64 v4, 0x4f800000, 0
	v_rcp_f32_e32 v4, v4
	v_mul_f32_e32 v4, 0x5f7ffffc, v4
	v_mul_f32_e32 v5, 0x2f800000, v4
	v_trunc_f32_e32 v5, v5
	v_fmac_f32_e32 v4, 0xcf800000, v5
	v_cvt_u32_f32_e32 v5, v5
	v_cvt_u32_f32_e32 v4, v4
	v_readfirstlane_b32 s6, v5
	v_readfirstlane_b32 s7, v4
	s_mul_i32 s15, s12, s6
	s_mul_hi_u32 s45, s12, s7
	s_mul_i32 s44, s13, s7
	s_add_i32 s15, s45, s15
	s_mul_i32 s46, s12, s7
	s_add_i32 s15, s15, s44
	s_mul_hi_u32 s45, s7, s46
	s_mul_i32 s58, s7, s15
	s_mul_hi_u32 s47, s6, s46
	s_mul_i32 s44, s6, s46
	s_mul_hi_u32 s46, s7, s15
	s_add_u32 s45, s45, s58
	s_addc_u32 s46, 0, s46
	s_mul_hi_u32 s59, s6, s15
	s_add_u32 s44, s45, s44
	s_mul_i32 s15, s6, s15
	s_addc_u32 s44, s46, s47
	s_addc_u32 s45, s59, 0
	s_add_u32 s15, s44, s15
	s_addc_u32 s44, 0, s45
	s_add_u32 s7, s7, s15
	s_cselect_b32 s15, -1, 0
	s_mul_hi_u32 s45, s12, s7
	s_cmp_lg_u32 s15, 0
	s_mul_i32 s15, s12, s7
	s_addc_u32 s6, s6, s44
	s_mul_i32 s13, s13, s7
	s_mul_i32 s12, s12, s6
	s_mul_hi_u32 s44, s7, s15
	s_add_i32 s12, s45, s12
	s_mul_hi_u32 s45, s6, s15
	s_add_i32 s12, s12, s13
	s_mul_i32 s13, s6, s15
	s_mul_i32 s47, s7, s12
	s_mul_hi_u32 s46, s7, s12
	s_add_u32 s44, s44, s47
	s_addc_u32 s46, 0, s46
	s_mul_hi_u32 s15, s6, s12
	s_add_u32 s13, s44, s13
	s_mul_i32 s12, s6, s12
	s_addc_u32 s13, s46, s45
	s_addc_u32 s15, s15, 0
	s_add_u32 s12, s13, s12
	s_addc_u32 s13, 0, s15
	s_add_u32 s7, s7, s12
	s_cselect_b32 s12, -1, 0
	s_mul_hi_u32 s15, s94, s7
	s_cmp_lg_u32 s12, 0
	s_mul_hi_u32 s12, s71, s7
	s_addc_u32 s6, s6, s13
	s_mul_i32 s7, s71, s7
	s_mul_i32 s44, s94, s6
	s_mul_hi_u32 s13, s94, s6
	s_add_u32 s15, s15, s44
	s_addc_u32 s13, 0, s13
	s_mul_hi_u32 s45, s71, s6
	s_add_u32 s7, s15, s7
	s_mul_i32 s6, s71, s6
	s_addc_u32 s7, s13, s12
	s_addc_u32 s12, s45, 0
	s_add_u32 s6, s7, s6
	s_addc_u32 s7, 0, s12
	s_mul_hi_u32 s12, s53, s6
	s_mul_i32 s7, s53, s7
	s_mul_i32 s6, s53, s6
	s_add_i32 s12, s12, s7
	s_sub_u32 s6, s94, s6
	s_cselect_b32 s7, -1, 0
	s_cmp_lg_u32 s7, 0
	s_subb_u32 s7, s71, s12
	s_sub_u32 s12, s6, s53
	s_cselect_b32 s13, -1, 0
	s_cmp_lg_u32 s13, 0
	s_subb_u32 s13, s7, 0
	;; [unrolled: 4-line block ×3, first 2 shown]
	s_cmp_ge_u32 s12, s53
	s_cselect_b32 s45, -1, 0
	s_cmp_eq_u32 s13, 0
	s_cselect_b32 s45, s45, -1
	s_cmp_lg_u32 s45, 0
	s_cselect_b32 s13, s44, s13
	s_cselect_b32 s12, s15, s12
	s_cmp_ge_u32 s6, s53
	s_cselect_b32 s15, -1, 0
	s_cmp_eq_u32 s7, 0
	s_cselect_b32 s15, s15, -1
	s_cmp_lg_u32 s15, 0
	s_cselect_b32 s7, s13, s7
	s_cselect_b32 s6, s12, s6
	s_mov_b32 s12, 0
	s_branch .LBB198_453
.LBB198_452:                            ;   in Loop: Header=BB198_18 Depth=1
	s_mov_b32 s12, -1
                                        ; implicit-def: $sgpr6_sgpr7
.LBB198_453:                            ;   in Loop: Header=BB198_18 Depth=1
	s_andn2_b32 vcc_lo, exec_lo, s12
	s_cbranch_vccnz .LBB198_455
; %bb.454:                              ;   in Loop: Header=BB198_18 Depth=1
	v_cvt_f32_u32_e32 v4, s53
	s_sub_i32 s7, 0, s53
	v_rcp_iflag_f32_e32 v4, v4
	v_mul_f32_e32 v4, 0x4f7ffffe, v4
	v_cvt_u32_f32_e32 v4, v4
	v_readfirstlane_b32 s6, v4
	s_mul_i32 s7, s7, s6
	s_mul_hi_u32 s7, s6, s7
	s_add_i32 s6, s6, s7
	s_mul_hi_u32 s6, s94, s6
	s_mul_i32 s6, s6, s53
	s_sub_i32 s6, s94, s6
	s_sub_i32 s7, s6, s53
	s_cmp_ge_u32 s6, s53
	s_cselect_b32 s6, s7, s6
	s_sub_i32 s7, s6, s53
	s_cmp_ge_u32 s6, s53
	s_cselect_b32 s68, s7, s6
	s_mov_b64 s[6:7], s[68:69]
.LBB198_455:                            ;   in Loop: Header=BB198_18 Depth=1
	s_sub_u32 s6, s94, s6
	s_subb_u32 s7, s71, s7
	s_mov_b32 s12, exec_lo
                                        ; implicit-def: $vgpr18
	v_cmpx_gt_u64_e64 s[6:7], v[0:1]
	s_cbranch_execz .LBB198_465
; %bb.456:                              ;   in Loop: Header=BB198_18 Depth=1
	v_mov_b32_e32 v5, v1
	v_mov_b32_e32 v4, v0
	s_mov_b32 s13, 0
                                        ; implicit-def: $sgpr15
	s_branch .LBB198_460
.LBB198_457:                            ;   in Loop: Header=BB198_460 Depth=2
	s_or_b32 exec_lo, exec_lo, s58
	s_waitcnt lgkmcnt(0)
	s_barrier
	buffer_gl0_inv
	ds_read_b64 v[17:18], v13 offset:3072
	s_waitcnt lgkmcnt(0)
	s_barrier
	buffer_gl0_inv
	v_cmp_eq_f32_e32 vcc_lo, 0, v17
	s_cbranch_vccz .LBB198_463
; %bb.458:                              ;   in Loop: Header=BB198_460 Depth=2
	v_add_co_u32 v4, vcc_lo, v4, s53
	v_add_co_ci_u32_e64 v5, null, 0, v5, vcc_lo
	s_mov_b32 s44, 0
	v_cmp_le_u64_e32 vcc_lo, s[6:7], v[4:5]
	s_orn2_b32 s45, vcc_lo, exec_lo
.LBB198_459:                            ;   in Loop: Header=BB198_460 Depth=2
	s_and_b32 s45, exec_lo, s45
	s_or_b32 s13, s45, s13
	s_andn2_b32 s15, s15, exec_lo
	s_and_b32 s44, s44, exec_lo
	s_or_b32 s15, s15, s44
	s_andn2_b32 exec_lo, exec_lo, s13
	s_cbranch_execz .LBB198_464
.LBB198_460:                            ;   Parent Loop BB198_18 Depth=1
                                        ; =>  This Inner Loop Header: Depth=2
	s_mov_b32 s58, exec_lo
	v_cmpx_gt_u64_e64 s[28:29], v[4:5]
	s_cbranch_execz .LBB198_457
; %bb.461:                              ;   in Loop: Header=BB198_460 Depth=2
	v_mul_lo_u32 v9, v5, s26
	v_mul_lo_u32 v12, v4, s27
	v_mad_u64_u32 v[6:7], null, v4, s26, 0
	v_add3_u32 v7, v7, v12, v9
	v_lshlrev_b64 v[6:7], 2, v[6:7]
	v_add_co_u32 v6, vcc_lo, s33, v6
	v_add_co_ci_u32_e64 v7, null, s35, v7, vcc_lo
	global_load_dword v17, v[6:7], off
	s_waitcnt vmcnt(0)
	v_cmp_lt_i32_e32 vcc_lo, -1, v17
	v_cndmask_b32_e64 v6, -1, 0x80000000, vcc_lo
	v_cmp_o_f32_e32 vcc_lo, v17, v17
	v_xor_b32_e32 v6, v6, v17
	v_cndmask_b32_e32 v6, -1, v6, vcc_lo
	v_and_b32_e32 v6, v6, v30
	v_cmp_eq_u32_e32 vcc_lo, v6, v25
	s_and_b32 exec_lo, exec_lo, vcc_lo
	s_cbranch_execz .LBB198_457
; %bb.462:                              ;   in Loop: Header=BB198_460 Depth=2
	ds_write_b64 v13, v[16:17] offset:3072
	s_branch .LBB198_457
.LBB198_463:                            ;   in Loop: Header=BB198_460 Depth=2
	s_mov_b32 s45, -1
	s_mov_b32 s44, -1
                                        ; implicit-def: $vgpr4_vgpr5
	s_branch .LBB198_459
.LBB198_464:                            ;   in Loop: Header=BB198_18 Depth=1
	s_or_b32 exec_lo, exec_lo, s13
	s_andn2_b32 s6, s14, exec_lo
	s_and_b32 s7, s15, exec_lo
	s_or_b32 s14, s6, s7
.LBB198_465:                            ;   in Loop: Header=BB198_18 Depth=1
	s_or_b32 exec_lo, exec_lo, s12
	s_mov_b32 s70, 0
	s_mov_b32 s58, -1
.LBB198_466:                            ;   in Loop: Header=BB198_18 Depth=1
	s_orn2_b32 s7, s14, exec_lo
.LBB198_467:                            ;   in Loop: Header=BB198_18 Depth=1
	s_or_b32 exec_lo, exec_lo, s80
	s_mov_b32 s12, 0
	s_and_saveexec_b32 s6, s7
	s_cbranch_execz .LBB198_478
; %bb.468:                              ;   in Loop: Header=BB198_18 Depth=1
	v_mov_b32_e32 v4, 1
	v_mov_b32_e32 v5, 0
	;; [unrolled: 1-line block ×3, first 2 shown]
	s_xor_b32 s12, s79, -1
	s_and_saveexec_b32 s7, s12
	s_cbranch_execz .LBB198_477
; %bb.469:                              ;   in Loop: Header=BB198_18 Depth=1
	s_mov_b32 s12, exec_lo
	v_cmpx_ge_u64_e64 s[10:11], v[2:3]
	s_xor_b32 s12, exec_lo, s12
	s_cbranch_execz .LBB198_474
; %bb.470:                              ;   in Loop: Header=BB198_18 Depth=1
	ds_read_b64 v[4:5], v13 offset:5120
	v_and_b32_e32 v25, s24, v25
	v_or_b32_e32 v30, s9, v30
	s_waitcnt lgkmcnt(0)
	v_cmp_ne_u64_e32 vcc_lo, 0, v[4:5]
	s_cbranch_vccnz .LBB198_474
; %bb.471:                              ;   in Loop: Header=BB198_18 Depth=1
	s_and_saveexec_b32 s9, s3
; %bb.472:                              ;   in Loop: Header=BB198_18 Depth=1
	v_mov_b32_e32 v4, s10
	v_mov_b32_e32 v5, s11
	ds_write_b64 v13, v[4:5] offset:5128
; %bb.473:                              ;   in Loop: Header=BB198_18 Depth=1
	s_or_b32 exec_lo, exec_lo, s9
	s_waitcnt lgkmcnt(0)
	s_barrier
	buffer_gl0_inv
.LBB198_474:                            ;   in Loop: Header=BB198_18 Depth=1
	s_andn2_saveexec_b32 s9, s12
; %bb.475:                              ;   in Loop: Header=BB198_18 Depth=1
	v_sub_co_u32 v2, vcc_lo, v2, s10
	v_subrev_co_ci_u32_e64 v3, null, s11, v3, vcc_lo
; %bb.476:                              ;   in Loop: Header=BB198_18 Depth=1
	s_or_b32 exec_lo, exec_lo, s9
	v_mov_b32_e32 v5, v3
	v_mov_b32_e32 v8, 5
	;; [unrolled: 1-line block ×3, first 2 shown]
.LBB198_477:                            ;   in Loop: Header=BB198_18 Depth=1
	s_or_b32 exec_lo, exec_lo, s7
	v_mov_b32_e32 v2, v4
	v_mov_b32_e32 v3, v5
	s_mov_b32 s12, exec_lo
.LBB198_478:                            ;   in Loop: Header=BB198_18 Depth=1
	s_or_b32 exec_lo, exec_lo, s6
	s_orn2_b32 s6, s12, exec_lo
.LBB198_479:                            ;   in Loop: Header=BB198_18 Depth=1
	s_or_b32 exec_lo, exec_lo, s17
	s_andn2_b32 s7, s78, exec_lo
	s_and_b32 s9, s58, exec_lo
	s_andn2_b32 s10, s77, exec_lo
	s_and_b32 s11, s70, exec_lo
	v_mov_b32_e32 v5, v3
	v_mov_b32_e32 v4, v2
	s_or_b32 s78, s7, s9
	s_or_b32 s77, s10, s11
	s_and_b32 s7, s6, exec_lo
.LBB198_480:                            ;   in Loop: Header=BB198_18 Depth=1
	s_or_b32 exec_lo, exec_lo, s16
	s_orn2_b32 s6, s7, exec_lo
.LBB198_481:                            ;   in Loop: Header=BB198_18 Depth=1
	s_or_b32 exec_lo, exec_lo, s19
	s_andn2_b32 s7, s75, exec_lo
	s_and_b32 s9, s78, exec_lo
	s_andn2_b32 s10, s74, exec_lo
	s_and_b32 s11, s77, exec_lo
	v_mov_b32_e32 v2, v4
	v_mov_b32_e32 v3, v5
	s_or_b32 s75, s7, s9
	s_or_b32 s74, s10, s11
	s_and_b32 s7, s6, exec_lo
.LBB198_482:                            ;   in Loop: Header=BB198_18 Depth=1
	s_or_b32 exec_lo, exec_lo, s18
	s_orn2_b32 s6, s7, exec_lo
.LBB198_483:                            ;   in Loop: Header=BB198_18 Depth=1
	s_or_b32 exec_lo, exec_lo, s21
	s_mov_b32 s7, s23
	s_mov_b32 s9, s22
	s_and_saveexec_b32 s10, s6
; %bb.484:                              ;   in Loop: Header=BB198_18 Depth=1
	v_cmp_ne_u32_e32 vcc_lo, 5, v8
	v_cmp_eq_u32_e64 s6, 5, v8
	s_andn2_b32 s7, s22, exec_lo
	s_andn2_b32 s11, s23, exec_lo
	s_and_b32 s9, vcc_lo, exec_lo
	s_and_b32 s6, s6, exec_lo
	s_or_b32 s9, s7, s9
	s_or_b32 s7, s11, s6
; %bb.485:                              ;   in Loop: Header=BB198_18 Depth=1
	s_or_b32 exec_lo, exec_lo, s10
	s_andn2_b32 s6, s76, exec_lo
	s_and_b32 s10, s75, exec_lo
	s_andn2_b32 s11, s25, exec_lo
	s_and_b32 s12, s74, exec_lo
	s_or_b32 s76, s6, s10
	s_andn2_b32 s6, s22, exec_lo
	s_and_b32 s9, s9, exec_lo
	s_andn2_b32 s10, s23, exec_lo
	s_and_b32 s7, s7, exec_lo
	s_or_b32 s25, s11, s12
	s_or_b32 s22, s6, s9
	;; [unrolled: 1-line block ×3, first 2 shown]
.LBB198_486:                            ;   in Loop: Header=BB198_18 Depth=1
	s_or_b32 exec_lo, exec_lo, s20
	s_mov_b32 s74, 0
	s_mov_b32 s75, 0
	s_and_saveexec_b32 s6, s23
.LBB198_487:                            ;   in Loop: Header=BB198_18 Depth=1
	v_mov_b32_e32 v8, 0
	s_or_b32 s22, s22, exec_lo
.LBB198_488:                            ;   in Loop: Header=BB198_18 Depth=1
	s_or_b32 exec_lo, exec_lo, s6
	s_andn2_b32 s6, s51, exec_lo
	s_and_b32 s9, s76, exec_lo
	s_andn2_b32 s10, s49, exec_lo
	s_and_b32 s11, s25, exec_lo
	v_mov_b32_e32 v20, v3
	v_mov_b32_e32 v19, v2
	s_or_b32 s51, s6, s9
	s_or_b32 s49, s10, s11
	s_andn2_b32 s6, s65, exec_lo
	s_and_b32 s9, s75, exec_lo
	s_andn2_b32 s10, s64, exec_lo
	s_and_b32 s11, s74, exec_lo
	s_mov_b32 s7, -1
	s_andn2_b32 s50, s50, exec_lo
	s_or_b32 s65, s6, s9
	s_or_b32 s64, s10, s11
	s_and_saveexec_b32 s6, s22
	s_xor_b32 s6, exec_lo, s6
	s_cbranch_execz .LBB198_17
; %bb.489:                              ;   in Loop: Header=BB198_18 Depth=1
	s_mov_b32 s9, -1
	s_mov_b32 s10, exec_lo
	v_cmpx_eq_u32_e32 0, v8
	s_cbranch_execz .LBB198_16
; %bb.490:                              ;   in Loop: Header=BB198_18 Depth=1
	s_xor_b32 vcc_hi, vcc_hi, 1
	s_add_i32 s11, s61, -2
	s_cmp_eq_u32 s61, 0
	s_mov_b32 s61, s11
	s_cselect_b32 s7, -1, 0
	s_xor_b32 s9, exec_lo, -1
	s_orn2_b32 s7, s7, exec_lo
	s_branch .LBB198_16
.LBB198_491:
	s_or_b32 exec_lo, exec_lo, s99
	s_xor_b32 s7, s48, -1
	s_xor_b32 s9, s67, -1
	;; [unrolled: 1-line block ×5, first 2 shown]
	s_mov_b32 s8, 0
	s_and_saveexec_b32 s12, s11
	s_xor_b32 s14, exec_lo, s12
	s_cbranch_execnz .LBB198_496
; %bb.492:
	s_andn2_saveexec_b32 s0, s14
	s_cbranch_execnz .LBB198_515
.LBB198_493:
	s_or_b32 exec_lo, exec_lo, s0
	s_and_saveexec_b32 s0, s8
.LBB198_494:
	; divergent unreachable
.LBB198_495:
	s_endpgm
.LBB198_496:
	s_and_saveexec_b32 s11, s10
	s_xor_b32 s15, exec_lo, s11
	s_cbranch_execz .LBB198_513
; %bb.497:
	s_and_saveexec_b32 s10, s9
	s_xor_b32 s16, exec_lo, s10
	s_cbranch_execz .LBB198_511
; %bb.498:
	;; [unrolled: 4-line block ×3, first 2 shown]
	s_and_saveexec_b32 s7, s6
	s_xor_b32 s6, exec_lo, s7
; %bb.500:
	v_cmp_lt_i32_e32 vcc_lo, -1, v25
	v_cndmask_b32_e64 v2, 0x80000000, -1, vcc_lo
	v_xor_b32_e32 v18, v2, v25
; %bb.501:
	s_or_b32 exec_lo, exec_lo, s6
	s_and_saveexec_b32 s6, s3
; %bb.502:
	v_mov_b32_e32 v2, 0
	v_mov_b32_e32 v3, v2
	ds_write_b64 v2, v[2:3] offset:5136
; %bb.503:
	s_or_b32 exec_lo, exec_lo, s6
	v_mov_b32_e32 v15, 0
	s_waitcnt lgkmcnt(0)
	s_barrier
	buffer_gl0_inv
	s_and_saveexec_b32 s3, s1
	s_cbranch_execz .LBB198_505
; %bb.504:
	global_load_dword v15, v[10:11], off
.LBB198_505:
	s_or_b32 exec_lo, exec_lo, s3
	s_add_u32 s3, s28, 31
	s_addc_u32 s7, s29, 0
	s_and_b32 s6, s3, 0xffffffe0
	s_mul_i32 s3, s62, s43
	s_mul_hi_u32 s8, s62, s42
	s_mul_i32 s9, s62, s42
	s_clause 0x2
	s_load_dwordx2 s[42:43], s[4:5], 0x450
	s_load_dwordx4 s[48:51], s[4:5], 0x298
	s_load_dwordx2 s[44:45], s[4:5], 0x2a8
	s_add_i32 s8, s8, s3
	s_sub_u32 s3, s34, s9
	s_subb_u32 s8, 0, s8
	s_mul_i32 s18, s54, s38
	v_readlane_b32 s22, v39, 2
	v_readlane_b32 s23, v39, 3
	v_cmp_lt_i32_e32 vcc_lo, -1, v18
	s_mov_b32 s21, -1
	s_mul_i32 s20, s22, s40
	v_cndmask_b32_e64 v2, -1, 0x80000000, vcc_lo
	v_cmp_o_f32_e32 vcc_lo, v18, v18
	v_xor_b32_e32 v2, v2, v18
	s_waitcnt lgkmcnt(0)
	s_mul_i32 s9, s3, s43
	s_mul_hi_u32 s10, s3, s42
	s_mul_i32 s8, s8, s42
	s_add_i32 s9, s10, s9
	v_cndmask_b32_e32 v14, -1, v2, vcc_lo
	s_add_i32 s13, s9, s8
	v_readlane_b32 s8, v39, 0
	v_readlane_b32 s9, v39, 1
	v_cmp_gt_u64_e32 vcc_lo, s[6:7], v[0:1]
	s_mov_b32 s24, s8
	s_mul_i32 s8, s8, s37
	s_mul_hi_u32 s9, s24, s36
	s_mul_i32 s10, s24, s36
	s_add_i32 s9, s9, s8
	s_sub_u32 s8, s54, s10
	s_subb_u32 s9, s55, s9
	s_mul_i32 s10, s8, s51
	s_mul_hi_u32 s11, s8, s50
	s_mul_i32 s9, s9, s50
	s_add_i32 s10, s11, s10
	s_mul_i32 s11, s24, s49
	s_mul_hi_u32 s12, s24, s48
	s_add_i32 s9, s10, s9
	s_add_i32 s11, s12, s11
	s_mul_i32 s10, s54, s39
	s_mul_hi_u32 s12, s54, s38
	s_load_dwordx4 s[36:39], s[4:5], 0x440
	s_add_i32 s12, s12, s10
	s_sub_u32 s18, s34, s18
	s_subb_u32 s12, 0, s12
	s_mul_i32 s10, s18, s45
	s_mul_hi_u32 s19, s18, s44
	s_mul_i32 s12, s12, s44
	s_add_i32 s10, s19, s10
	s_mov_b32 s34, s22
	s_add_i32 s19, s10, s12
	s_mul_i32 s10, s22, s41
	s_mul_hi_u32 s12, s22, s40
	s_load_dwordx2 s[40:41], s[4:5], 0x1c8
	s_add_i32 s12, s12, s10
	s_sub_u32 s20, s62, s20
	s_subb_u32 s12, s63, s12
	s_mul_i32 s8, s8, s50
	s_mul_i32 s18, s18, s44
	s_waitcnt lgkmcnt(0)
	s_mul_i32 s10, s20, s39
	s_mul_hi_u32 s22, s20, s38
	s_mul_i32 s12, s12, s38
	s_add_i32 s22, s22, s10
	s_mul_i32 s10, s24, s48
	s_add_i32 s23, s22, s12
	s_mul_i32 s12, s34, s37
	s_mul_hi_u32 s22, s34, s36
	s_lshl_b64 s[10:11], s[10:11], 2
	s_add_i32 s25, s22, s12
	s_mul_i32 s24, s34, s36
	v_readlane_b32 s36, v39, 4
	s_add_u32 s10, s40, s10
	s_addc_u32 s11, s41, s11
	s_lshl_b64 s[8:9], s[8:9], 2
	v_readlane_b32 s37, v39, 5
	s_add_u32 s12, s10, s8
	s_addc_u32 s22, s11, s9
	s_clause 0x1
	s_load_dwordx2 s[8:9], s[4:5], 0x368
	s_load_dwordx2 s[10:11], s[4:5], 0x510
	s_lshl_b64 s[18:19], s[18:19], 2
	s_add_u32 s5, s12, s18
	s_addc_u32 s18, s22, s19
	s_lshl_b64 s[24:25], s[24:25], 3
	s_mul_i32 s22, s20, s38
	s_add_u32 s4, s36, s24
	s_addc_u32 s19, s37, s25
	s_lshl_b64 s[22:23], s[22:23], 3
	s_mul_i32 s12, s3, s42
	s_add_u32 s3, s4, s22
	s_addc_u32 s4, s19, s23
	s_lshl_b64 s[12:13], s[12:13], 3
	s_mov_b32 s19, 0
	s_add_u32 s12, s3, s12
	s_addc_u32 s13, s4, s13
	s_mov_b32 s3, 0
	s_and_saveexec_b32 s20, vcc_lo
	s_cbranch_execnz .LBB198_516
; %bb.506:
	s_or_b32 exec_lo, exec_lo, s20
	s_and_saveexec_b32 s2, s21
	s_cbranch_execnz .LBB198_533
.LBB198_507:
	s_or_b32 exec_lo, exec_lo, s2
	s_and_saveexec_b32 s0, s3
	s_xor_b32 s0, exec_lo, s0
	s_cbranch_execnz .LBB198_556
.LBB198_508:
	s_or_b32 exec_lo, exec_lo, s0
	s_waitcnt lgkmcnt(0)
	s_and_b32 s8, s19, exec_lo
.LBB198_509:
	s_andn2_saveexec_b32 s0, s17
	s_cbranch_execnz .LBB198_558
.LBB198_510:
	s_or_b32 exec_lo, exec_lo, s0
	s_and_b32 s8, s8, exec_lo
.LBB198_511:
	s_andn2_saveexec_b32 s0, s16
	s_cbranch_execnz .LBB198_557
.LBB198_512:
	s_or_b32 exec_lo, exec_lo, s0
	s_and_b32 s8, s8, exec_lo
.LBB198_513:
	s_andn2_saveexec_b32 s0, s15
	s_cbranch_execnz .LBB198_552
.LBB198_514:
	s_or_b32 exec_lo, exec_lo, s0
	s_and_b32 s8, s8, exec_lo
	s_andn2_saveexec_b32 s0, s14
	s_cbranch_execz .LBB198_493
.LBB198_515:
	s_or_b32 s8, s8, exec_lo
	s_trap 2
	s_or_b32 exec_lo, exec_lo, s0
	s_and_saveexec_b32 s0, s8
	s_cbranch_execnz .LBB198_494
	s_branch .LBB198_495
.LBB198_516:
	v_mov_b32_e32 v9, v1
	v_mov_b32_e32 v3, 0
	;; [unrolled: 1-line block ×3, first 2 shown]
	s_mov_b32 s21, 0
                                        ; implicit-def: $sgpr22
                                        ; implicit-def: $vgpr6_vgpr7
	s_branch .LBB198_518
.LBB198_517:                            ;   in Loop: Header=BB198_518 Depth=1
	s_or_b32 exec_lo, exec_lo, s24
	s_xor_b32 s3, s23, -1
	s_and_b32 s4, exec_lo, s4
	v_mov_b32_e32 v9, v5
	s_waitcnt vmcnt(0)
	v_mov_b32_e32 v15, v16
	s_or_b32 s21, s4, s21
	v_mov_b32_e32 v8, v4
	s_andn2_b32 s4, s22, exec_lo
	s_and_b32 s3, s3, exec_lo
	s_or_b32 s22, s4, s3
	s_andn2_b32 exec_lo, exec_lo, s21
	s_cbranch_execz .LBB198_532
.LBB198_518:                            ; =>This Inner Loop Header: Depth=1
	v_add_co_u32 v4, s3, v8, s53
	v_add_co_ci_u32_e64 v5, null, 0, v9, s3
	v_mov_b32_e32 v16, 0
	s_mov_b32 s4, exec_lo
	v_cmpx_gt_u64_e64 s[28:29], v[4:5]
	s_cbranch_execz .LBB198_520
; %bb.519:                              ;   in Loop: Header=BB198_518 Depth=1
	v_mul_lo_u32 v2, v5, s26
	v_mul_lo_u32 v16, v4, s27
	v_mad_u64_u32 v[12:13], null, v4, s26, 0
	v_add3_u32 v13, v13, v16, v2
	v_lshlrev_b64 v[12:13], 2, v[12:13]
	v_add_co_u32 v12, s3, s33, v12
	v_add_co_ci_u32_e64 v13, null, s35, v13, s3
	global_load_dword v16, v[12:13], off
.LBB198_520:                            ;   in Loop: Header=BB198_518 Depth=1
	s_or_b32 exec_lo, exec_lo, s4
	s_mov_b32 s23, 0
	s_mov_b32 s4, exec_lo
	v_cmpx_gt_u64_e64 s[28:29], v[8:9]
	s_cbranch_execz .LBB198_522
; %bb.521:                              ;   in Loop: Header=BB198_518 Depth=1
	s_waitcnt vmcnt(0)
	v_cmp_lt_i32_e64 s3, -1, v15
	v_cndmask_b32_e64 v2, -1, 0x80000000, s3
	v_cmp_o_f32_e64 s3, v15, v15
	v_xor_b32_e32 v2, v2, v15
	v_cndmask_b32_e64 v2, -1, v2, s3
	v_cmp_gt_u32_e64 s3, v2, v14
	v_cndmask_b32_e64 v12, 0, 1, s3
	v_cmp_lt_u32_e64 s3, v2, v14
	v_cndmask_b32_e64 v2, 0, 1, s3
	v_cndmask_b32_e64 v2, v2, v12, s2
	v_and_b32_e32 v2, 1, v2
	v_cmp_eq_u32_e64 s3, 1, v2
	s_and_b32 s23, s3, exec_lo
.LBB198_522:                            ;   in Loop: Header=BB198_518 Depth=1
	s_or_b32 exec_lo, exec_lo, s4
	v_cndmask_b32_e64 v2, 0, 1, s23
	v_cmp_ne_u32_e64 s3, 0, v2
	s_cmp_lg_u32 s3, 0
	s_cselect_b32 s4, -1, 0
	s_and_b32 s4, s0, s4
	s_and_saveexec_b32 s24, s4
	s_cbranch_execz .LBB198_526
; %bb.523:                              ;   in Loop: Header=BB198_518 Depth=1
	s_mov_b32 s36, exec_lo
	s_bcnt1_i32_b32 s25, s3
	v_mbcnt_lo_u32_b32 v12, s36, 0
	s_mov_b32 s34, exec_lo
                                        ; implicit-def: $vgpr6_vgpr7
	v_cmpx_eq_u32_e32 0, v12
	s_cbranch_execz .LBB198_525
; %bb.524:                              ;   in Loop: Header=BB198_518 Depth=1
	s_bcnt1_i32_b32 s4, s36
	s_mul_i32 s4, s25, s4
	v_mov_b32_e32 v2, s4
	s_waitcnt lgkmcnt(0)
	ds_add_rtn_u64 v[6:7], v3, v[2:3] offset:5136
.LBB198_525:                            ;   in Loop: Header=BB198_518 Depth=1
	s_or_b32 exec_lo, exec_lo, s34
	s_waitcnt lgkmcnt(0)
	v_readfirstlane_b32 s37, v7
	v_readfirstlane_b32 s36, v6
	v_mad_u64_u32 v[6:7], null, s25, v12, s[36:37]
.LBB198_526:                            ;   in Loop: Header=BB198_518 Depth=1
	s_or_b32 exec_lo, exec_lo, s24
	s_waitcnt lgkmcnt(0)
	ds_bpermute_b32 v6, v3, v6
	ds_bpermute_b32 v7, v3, v7
	s_mov_b32 s4, -1
	s_mov_b32 s25, -1
	s_and_saveexec_b32 s24, s23
	s_cbranch_execz .LBB198_530
; %bb.527:                              ;   in Loop: Header=BB198_518 Depth=1
	v_and_b32_e32 v2, s3, v23
	s_mov_b32 s23, 0
	s_mov_b32 s25, exec_lo
	v_bcnt_u32_b32 v2, v2, 0
	s_waitcnt lgkmcnt(0)
	v_add_co_u32 v12, s3, v6, v2
	v_add_co_ci_u32_e64 v13, null, 0, v7, s3
	v_cmpx_gt_u64_e64 s[30:31], v[12:13]
	s_cbranch_execz .LBB198_529
; %bb.528:                              ;   in Loop: Header=BB198_518 Depth=1
	v_mul_lo_u32 v2, v13, s8
	v_mul_lo_u32 v19, v12, s9
	v_mad_u64_u32 v[17:18], null, v12, s8, 0
	v_mul_lo_u32 v20, v13, s10
	v_mul_lo_u32 v21, v12, s11
	v_mad_u64_u32 v[12:13], null, v12, s10, 0
	s_mov_b32 s23, exec_lo
	v_add3_u32 v18, v18, v19, v2
	v_add3_u32 v13, v13, v21, v20
	v_lshlrev_b64 v[17:18], 2, v[17:18]
	v_lshlrev_b64 v[12:13], 3, v[12:13]
	v_add_co_u32 v17, s3, s5, v17
	v_add_co_ci_u32_e64 v18, null, s18, v18, s3
	v_add_co_u32 v12, s3, s12, v12
	v_add_co_ci_u32_e64 v13, null, s13, v13, s3
	s_waitcnt vmcnt(0)
	global_store_dword v[17:18], v15, off
	global_store_dwordx2 v[12:13], v[8:9], off
.LBB198_529:                            ;   in Loop: Header=BB198_518 Depth=1
	s_or_b32 exec_lo, exec_lo, s25
	s_orn2_b32 s25, s23, exec_lo
.LBB198_530:                            ;   in Loop: Header=BB198_518 Depth=1
	s_or_b32 exec_lo, exec_lo, s24
	s_mov_b32 s23, -1
	s_and_saveexec_b32 s24, s25
	s_cbranch_execz .LBB198_517
; %bb.531:                              ;   in Loop: Header=BB198_518 Depth=1
	v_cmp_le_u64_e64 s3, s[6:7], v[4:5]
	s_xor_b32 s23, exec_lo, -1
	s_orn2_b32 s4, s3, exec_lo
	s_branch .LBB198_517
.LBB198_532:
	s_or_b32 exec_lo, exec_lo, s21
	s_mov_b32 s3, exec_lo
	s_orn2_b32 s21, s22, exec_lo
	s_or_b32 exec_lo, exec_lo, s20
	s_and_saveexec_b32 s2, s21
	s_cbranch_execz .LBB198_507
.LBB198_533:
	v_mov_b32_e32 v12, 0
	s_waitcnt vmcnt(0) lgkmcnt(0)
	s_waitcnt_vscnt null, 0x0
	s_barrier
	buffer_gl0_inv
	s_and_saveexec_b32 s4, s1
	s_cbranch_execz .LBB198_535
; %bb.534:
	global_load_dword v12, v[10:11], off
.LBB198_535:
	s_or_b32 exec_lo, exec_lo, s4
	s_mov_b32 s1, 0
	s_and_saveexec_b32 s4, vcc_lo
	s_cbranch_execz .LBB198_555
; %bb.536:
	v_mov_b32_e32 v3, 0
	s_mov_b32 s19, 0
                                        ; implicit-def: $sgpr20
                                        ; implicit-def: $vgpr6_vgpr7
	s_branch .LBB198_539
.LBB198_537:                            ;   in Loop: Header=BB198_539 Depth=1
	s_or_b32 exec_lo, exec_lo, s21
	s_orn2_b32 s23, s24, exec_lo
	s_orn2_b32 s22, s22, exec_lo
.LBB198_538:                            ;   in Loop: Header=BB198_539 Depth=1
	s_or_b32 exec_lo, exec_lo, s1
	s_xor_b32 s1, s23, -1
	s_and_b32 s21, exec_lo, s22
	v_mov_b32_e32 v0, v4
	v_mov_b32_e32 v1, v5
	s_or_b32 s19, s21, s19
	v_mov_b32_e32 v12, v10
	s_andn2_b32 s20, s20, exec_lo
	s_and_b32 s1, s1, exec_lo
	s_or_b32 s20, s20, s1
	s_andn2_b32 exec_lo, exec_lo, s19
	s_cbranch_execz .LBB198_553
.LBB198_539:                            ; =>This Inner Loop Header: Depth=1
	v_add_co_u32 v4, vcc_lo, v0, s53
	v_add_co_ci_u32_e64 v5, null, 0, v1, vcc_lo
	v_mov_b32_e32 v10, 0
	s_mov_b32 s1, exec_lo
	v_cmpx_gt_u64_e64 s[28:29], v[4:5]
	s_cbranch_execz .LBB198_541
; %bb.540:                              ;   in Loop: Header=BB198_539 Depth=1
	v_mul_lo_u32 v2, v5, s26
	v_mul_lo_u32 v10, v4, s27
	v_mad_u64_u32 v[8:9], null, v4, s26, 0
	v_add3_u32 v9, v9, v10, v2
	v_lshlrev_b64 v[8:9], 2, v[8:9]
	v_add_co_u32 v8, vcc_lo, s33, v8
	v_add_co_ci_u32_e64 v9, null, s35, v9, vcc_lo
	global_load_dword v10, v[8:9], off
.LBB198_541:                            ;   in Loop: Header=BB198_539 Depth=1
	s_or_b32 exec_lo, exec_lo, s1
	s_waitcnt vmcnt(0)
	v_cmp_lt_i32_e32 vcc_lo, -1, v12
	v_cndmask_b32_e64 v2, -1, 0x80000000, vcc_lo
	v_cmp_o_f32_e32 vcc_lo, v12, v12
	v_xor_b32_e32 v2, v2, v12
	v_cndmask_b32_e32 v2, -1, v2, vcc_lo
	v_cmp_gt_u64_e32 vcc_lo, s[28:29], v[0:1]
	v_cmp_eq_u32_e64 s1, v2, v14
	s_and_b32 s21, vcc_lo, s1
	v_cndmask_b32_e64 v2, 0, 1, s21
	v_cmp_ne_u32_e32 vcc_lo, 0, v2
	s_cmp_lg_u32 vcc_lo, 0
	s_cselect_b32 s1, -1, 0
	s_and_b32 s1, s0, s1
	s_and_saveexec_b32 s22, s1
	s_cbranch_execz .LBB198_545
; %bb.542:                              ;   in Loop: Header=BB198_539 Depth=1
	s_mov_b32 s25, exec_lo
	s_bcnt1_i32_b32 s23, vcc_lo
	v_mbcnt_lo_u32_b32 v8, s25, 0
	s_mov_b32 s24, exec_lo
                                        ; implicit-def: $vgpr6_vgpr7
	v_cmpx_eq_u32_e32 0, v8
; %bb.543:                              ;   in Loop: Header=BB198_539 Depth=1
	s_bcnt1_i32_b32 s1, s25
	s_mul_i32 s1, s23, s1
	v_mov_b32_e32 v2, s1
	ds_add_rtn_u64 v[6:7], v3, v[2:3] offset:5136
; %bb.544:                              ;   in Loop: Header=BB198_539 Depth=1
	s_or_b32 exec_lo, exec_lo, s24
	s_waitcnt lgkmcnt(0)
	v_readfirstlane_b32 s25, v7
	v_readfirstlane_b32 s24, v6
	v_mad_u64_u32 v[6:7], null, s23, v8, s[24:25]
.LBB198_545:                            ;   in Loop: Header=BB198_539 Depth=1
	s_or_b32 exec_lo, exec_lo, s22
	ds_bpermute_b32 v6, v3, v6
	ds_bpermute_b32 v7, v3, v7
	s_cmp_eq_u32 vcc_lo, 0
	s_mov_b32 s22, -1
	s_cselect_b32 s23, -1, 0
	s_waitcnt lgkmcnt(0)
	v_cmp_gt_u64_e64 s1, s[30:31], v[6:7]
	s_or_b32 s24, s23, s1
	s_mov_b32 s23, -1
	s_and_saveexec_b32 s1, s24
	s_cbranch_execz .LBB198_538
; %bb.546:                              ;   in Loop: Header=BB198_539 Depth=1
	v_and_b32_e32 v2, vcc_lo, v23
	v_sub_co_u32 v8, vcc_lo, s30, v6
	v_sub_co_ci_u32_e64 v9, null, s31, v7, vcc_lo
	v_bcnt_u32_b32 v2, v2, 0
	s_mov_b32 s24, -1
	v_bcnt_u32_b32 v2, 0, v2
	v_cmp_gt_u64_e32 vcc_lo, v[8:9], v[2:3]
	s_and_b32 s25, s21, vcc_lo
	s_and_saveexec_b32 s21, s25
	s_cbranch_execz .LBB198_550
; %bb.547:                              ;   in Loop: Header=BB198_539 Depth=1
	v_add_co_u32 v8, vcc_lo, v6, v2
	v_add_co_ci_u32_e64 v9, null, 0, v7, vcc_lo
	s_mov_b32 s23, 0
	s_mov_b32 s24, exec_lo
	v_cmpx_gt_u64_e64 s[30:31], v[8:9]
; %bb.548:                              ;   in Loop: Header=BB198_539 Depth=1
	v_mul_lo_u32 v2, v9, s8
	v_mul_lo_u32 v11, v8, s9
	v_mad_u64_u32 v[15:16], null, v8, s8, 0
	v_mul_lo_u32 v13, v9, s10
	v_mul_lo_u32 v17, v8, s11
	v_mad_u64_u32 v[8:9], null, v8, s10, 0
	s_mov_b32 s23, exec_lo
	v_add3_u32 v16, v16, v11, v2
	v_add3_u32 v9, v9, v17, v13
	v_lshlrev_b64 v[15:16], 2, v[15:16]
	v_lshlrev_b64 v[8:9], 3, v[8:9]
	v_add_co_u32 v15, vcc_lo, s5, v15
	v_add_co_ci_u32_e64 v16, null, s18, v16, vcc_lo
	v_add_co_u32 v8, vcc_lo, s12, v8
	v_add_co_ci_u32_e64 v9, null, s13, v9, vcc_lo
	global_store_dword v[15:16], v12, off
	global_store_dwordx2 v[8:9], v[0:1], off
; %bb.549:                              ;   in Loop: Header=BB198_539 Depth=1
	s_or_b32 exec_lo, exec_lo, s24
	s_xor_b32 s24, exec_lo, -1
	s_orn2_b32 s23, s23, exec_lo
.LBB198_550:                            ;   in Loop: Header=BB198_539 Depth=1
	s_or_b32 exec_lo, exec_lo, s21
	s_and_saveexec_b32 s21, s23
	s_cbranch_execz .LBB198_537
; %bb.551:                              ;   in Loop: Header=BB198_539 Depth=1
	v_cmp_le_u64_e32 vcc_lo, s[6:7], v[4:5]
	s_or_b32 s24, s24, exec_lo
	s_orn2_b32 s22, vcc_lo, exec_lo
	s_branch .LBB198_537
.LBB198_552:
	s_or_b32 s8, s8, exec_lo
	s_trap 2
	s_branch .LBB198_514
.LBB198_553:
	s_or_b32 exec_lo, exec_lo, s19
	s_mov_b32 s0, 0
	s_and_saveexec_b32 s1, s20
	s_xor_b32 s1, exec_lo, s1
	s_cbranch_execnz .LBB198_559
.LBB198_554:
	s_or_b32 exec_lo, exec_lo, s1
	s_and_b32 s1, s0, exec_lo
.LBB198_555:
	s_or_b32 exec_lo, exec_lo, s4
	s_and_b32 s19, s1, exec_lo
	s_andn2_b32 s3, s3, exec_lo
	s_or_b32 exec_lo, exec_lo, s2
	s_and_saveexec_b32 s0, s3
	s_xor_b32 s0, exec_lo, s0
	s_cbranch_execz .LBB198_508
.LBB198_556:
	s_or_b32 s19, s19, exec_lo
	s_trap 2
	s_branch .LBB198_508
.LBB198_557:
	s_or_b32 s8, s8, exec_lo
	s_trap 2
	s_branch .LBB198_512
.LBB198_558:
	s_or_b32 s8, s8, exec_lo
	s_trap 2
	s_branch .LBB198_510
.LBB198_559:
	s_mov_b32 s0, exec_lo
	s_trap 2
	s_branch .LBB198_554
	.section	.rodata,"a",@progbits
	.p2align	6, 0x0
	.amdhsa_kernel _ZN2at6native6sbtopk10gatherTopKIfmLi3ELb0EEEvNS_4cuda6detail10TensorInfoIKT_T0_EES8_S8_bS8_S8_NS5_IS6_S8_EES8_NS5_IlS8_EES8_PS6_
		.amdhsa_group_segment_fixed_size 5152
		.amdhsa_private_segment_fixed_size 0
		.amdhsa_kernarg_size 1568
		.amdhsa_user_sgpr_count 6
		.amdhsa_user_sgpr_private_segment_buffer 1
		.amdhsa_user_sgpr_dispatch_ptr 0
		.amdhsa_user_sgpr_queue_ptr 0
		.amdhsa_user_sgpr_kernarg_segment_ptr 1
		.amdhsa_user_sgpr_dispatch_id 0
		.amdhsa_user_sgpr_flat_scratch_init 0
		.amdhsa_user_sgpr_private_segment_size 0
		.amdhsa_wavefront_size32 1
		.amdhsa_uses_dynamic_stack 0
		.amdhsa_system_sgpr_private_segment_wavefront_offset 0
		.amdhsa_system_sgpr_workgroup_id_x 1
		.amdhsa_system_sgpr_workgroup_id_y 1
		.amdhsa_system_sgpr_workgroup_id_z 1
		.amdhsa_system_sgpr_workgroup_info 0
		.amdhsa_system_vgpr_workitem_id 0
		.amdhsa_next_free_vgpr 40
		.amdhsa_next_free_sgpr 105
		.amdhsa_reserve_vcc 1
		.amdhsa_reserve_flat_scratch 0
		.amdhsa_float_round_mode_32 0
		.amdhsa_float_round_mode_16_64 0
		.amdhsa_float_denorm_mode_32 3
		.amdhsa_float_denorm_mode_16_64 3
		.amdhsa_dx10_clamp 1
		.amdhsa_ieee_mode 1
		.amdhsa_fp16_overflow 0
		.amdhsa_workgroup_processor_mode 1
		.amdhsa_memory_ordered 1
		.amdhsa_forward_progress 1
		.amdhsa_shared_vgpr_count 0
		.amdhsa_exception_fp_ieee_invalid_op 0
		.amdhsa_exception_fp_denorm_src 0
		.amdhsa_exception_fp_ieee_div_zero 0
		.amdhsa_exception_fp_ieee_overflow 0
		.amdhsa_exception_fp_ieee_underflow 0
		.amdhsa_exception_fp_ieee_inexact 0
		.amdhsa_exception_int_div_zero 0
	.end_amdhsa_kernel
	.section	.text._ZN2at6native6sbtopk10gatherTopKIfmLi3ELb0EEEvNS_4cuda6detail10TensorInfoIKT_T0_EES8_S8_bS8_S8_NS5_IS6_S8_EES8_NS5_IlS8_EES8_PS6_,"axG",@progbits,_ZN2at6native6sbtopk10gatherTopKIfmLi3ELb0EEEvNS_4cuda6detail10TensorInfoIKT_T0_EES8_S8_bS8_S8_NS5_IS6_S8_EES8_NS5_IlS8_EES8_PS6_,comdat
.Lfunc_end198:
	.size	_ZN2at6native6sbtopk10gatherTopKIfmLi3ELb0EEEvNS_4cuda6detail10TensorInfoIKT_T0_EES8_S8_bS8_S8_NS5_IS6_S8_EES8_NS5_IlS8_EES8_PS6_, .Lfunc_end198-_ZN2at6native6sbtopk10gatherTopKIfmLi3ELb0EEEvNS_4cuda6detail10TensorInfoIKT_T0_EES8_S8_bS8_S8_NS5_IS6_S8_EES8_NS5_IlS8_EES8_PS6_
                                        ; -- End function
	.set _ZN2at6native6sbtopk10gatherTopKIfmLi3ELb0EEEvNS_4cuda6detail10TensorInfoIKT_T0_EES8_S8_bS8_S8_NS5_IS6_S8_EES8_NS5_IlS8_EES8_PS6_.num_vgpr, 40
	.set _ZN2at6native6sbtopk10gatherTopKIfmLi3ELb0EEEvNS_4cuda6detail10TensorInfoIKT_T0_EES8_S8_bS8_S8_NS5_IS6_S8_EES8_NS5_IlS8_EES8_PS6_.num_agpr, 0
	.set _ZN2at6native6sbtopk10gatherTopKIfmLi3ELb0EEEvNS_4cuda6detail10TensorInfoIKT_T0_EES8_S8_bS8_S8_NS5_IS6_S8_EES8_NS5_IlS8_EES8_PS6_.numbered_sgpr, 105
	.set _ZN2at6native6sbtopk10gatherTopKIfmLi3ELb0EEEvNS_4cuda6detail10TensorInfoIKT_T0_EES8_S8_bS8_S8_NS5_IS6_S8_EES8_NS5_IlS8_EES8_PS6_.num_named_barrier, 0
	.set _ZN2at6native6sbtopk10gatherTopKIfmLi3ELb0EEEvNS_4cuda6detail10TensorInfoIKT_T0_EES8_S8_bS8_S8_NS5_IS6_S8_EES8_NS5_IlS8_EES8_PS6_.private_seg_size, 0
	.set _ZN2at6native6sbtopk10gatherTopKIfmLi3ELb0EEEvNS_4cuda6detail10TensorInfoIKT_T0_EES8_S8_bS8_S8_NS5_IS6_S8_EES8_NS5_IlS8_EES8_PS6_.uses_vcc, 1
	.set _ZN2at6native6sbtopk10gatherTopKIfmLi3ELb0EEEvNS_4cuda6detail10TensorInfoIKT_T0_EES8_S8_bS8_S8_NS5_IS6_S8_EES8_NS5_IlS8_EES8_PS6_.uses_flat_scratch, 0
	.set _ZN2at6native6sbtopk10gatherTopKIfmLi3ELb0EEEvNS_4cuda6detail10TensorInfoIKT_T0_EES8_S8_bS8_S8_NS5_IS6_S8_EES8_NS5_IlS8_EES8_PS6_.has_dyn_sized_stack, 0
	.set _ZN2at6native6sbtopk10gatherTopKIfmLi3ELb0EEEvNS_4cuda6detail10TensorInfoIKT_T0_EES8_S8_bS8_S8_NS5_IS6_S8_EES8_NS5_IlS8_EES8_PS6_.has_recursion, 0
	.set _ZN2at6native6sbtopk10gatherTopKIfmLi3ELb0EEEvNS_4cuda6detail10TensorInfoIKT_T0_EES8_S8_bS8_S8_NS5_IS6_S8_EES8_NS5_IlS8_EES8_PS6_.has_indirect_call, 0
	.section	.AMDGPU.csdata,"",@progbits
; Kernel info:
; codeLenInByte = 26320
; TotalNumSgprs: 107
; NumVgprs: 40
; ScratchSize: 0
; MemoryBound: 0
; FloatMode: 240
; IeeeMode: 1
; LDSByteSize: 5152 bytes/workgroup (compile time only)
; SGPRBlocks: 0
; VGPRBlocks: 4
; NumSGPRsForWavesPerEU: 107
; NumVGPRsForWavesPerEU: 40
; Occupancy: 16
; WaveLimiterHint : 1
; COMPUTE_PGM_RSRC2:SCRATCH_EN: 0
; COMPUTE_PGM_RSRC2:USER_SGPR: 6
; COMPUTE_PGM_RSRC2:TRAP_HANDLER: 0
; COMPUTE_PGM_RSRC2:TGID_X_EN: 1
; COMPUTE_PGM_RSRC2:TGID_Y_EN: 1
; COMPUTE_PGM_RSRC2:TGID_Z_EN: 1
; COMPUTE_PGM_RSRC2:TIDIG_COMP_CNT: 0
	.section	.text._ZN2at6native6mbtopk23computeBlockDigitCountsIfmjLin1EEEvNS_4cuda6detail10TensorInfoIKT_T0_EEjPjjS8_iijT1_PSB_Ps,"axG",@progbits,_ZN2at6native6mbtopk23computeBlockDigitCountsIfmjLin1EEEvNS_4cuda6detail10TensorInfoIKT_T0_EEjPjjS8_iijT1_PSB_Ps,comdat
	.protected	_ZN2at6native6mbtopk23computeBlockDigitCountsIfmjLin1EEEvNS_4cuda6detail10TensorInfoIKT_T0_EEjPjjS8_iijT1_PSB_Ps ; -- Begin function _ZN2at6native6mbtopk23computeBlockDigitCountsIfmjLin1EEEvNS_4cuda6detail10TensorInfoIKT_T0_EEjPjjS8_iijT1_PSB_Ps
	.globl	_ZN2at6native6mbtopk23computeBlockDigitCountsIfmjLin1EEEvNS_4cuda6detail10TensorInfoIKT_T0_EEjPjjS8_iijT1_PSB_Ps
	.p2align	8
	.type	_ZN2at6native6mbtopk23computeBlockDigitCountsIfmjLin1EEEvNS_4cuda6detail10TensorInfoIKT_T0_EEjPjjS8_iijT1_PSB_Ps,@function
_ZN2at6native6mbtopk23computeBlockDigitCountsIfmjLin1EEEvNS_4cuda6detail10TensorInfoIKT_T0_EEjPjjS8_iijT1_PSB_Ps: ; @_ZN2at6native6mbtopk23computeBlockDigitCountsIfmjLin1EEEvNS_4cuda6detail10TensorInfoIKT_T0_EEjPjjS8_iijT1_PSB_Ps
; %bb.0:
	s_clause 0x2
	s_load_dwordx4 s[0:3], s[4:5], 0x1c0
	s_load_dword s13, s[4:5], 0x1b0
	s_load_dwordx2 s[10:11], s[4:5], 0x1e0
	s_waitcnt lgkmcnt(0)
	v_cvt_f32_u32_e32 v1, s2
	s_mul_i32 s8, s11, s8
	s_sub_i32 s11, 0, s2
	s_add_i32 s7, s8, s7
	v_rcp_iflag_f32_e32 v1, v1
	s_mul_i32 s24, s7, s10
	s_add_i32 s24, s24, s6
	v_mul_f32_e32 v1, 0x4f7ffffe, v1
	v_cvt_u32_f32_e32 v1, v1
	v_readfirstlane_b32 s9, v1
	s_mul_i32 s11, s11, s9
	s_mul_hi_u32 s7, s9, s11
	s_add_i32 s9, s9, s7
	s_mul_hi_u32 s6, s24, s9
	s_mul_i32 s7, s6, s2
	s_add_i32 s8, s6, 1
	s_sub_i32 s7, s24, s7
	s_sub_i32 s9, s7, s2
	s_cmp_ge_u32 s7, s2
	s_cselect_b32 s6, s8, s6
	s_cselect_b32 s7, s9, s7
	s_add_i32 s8, s6, 1
	s_cmp_ge_u32 s7, s2
	s_cselect_b32 s12, s8, s6
	s_cmp_ge_u32 s12, s13
	s_mov_b32 s13, 0
	s_cbranch_scc1 .LBB199_28
; %bb.1:
	s_clause 0x1
	s_load_dwordx4 s[8:11], s[4:5], 0x1d0
	s_load_dword s14, s[4:5], 0x198
	s_lshl_b64 s[6:7], s[12:13], 2
	s_mov_b64 s[20:21], s[12:13]
	s_waitcnt lgkmcnt(0)
	s_add_u32 s8, s8, s6
	s_addc_u32 s9, s9, s7
	s_cmp_lt_i32 s14, 2
	s_mov_b64 s[6:7], 0
	s_cbranch_scc1 .LBB199_7
; %bb.2:
	s_add_i32 s16, s14, -1
	s_mov_b32 s17, 0
	s_add_i32 s13, s14, 1
	s_lshl_b64 s[6:7], s[16:17], 3
	s_add_u32 s6, s4, s6
	s_addc_u32 s7, s5, s7
	s_add_u32 s18, s6, 8
	s_addc_u32 s19, s7, 0
	s_mov_b64 s[6:7], 0
.LBB199_3:                              ; =>This Inner Loop Header: Depth=1
	s_load_dwordx2 s[22:23], s[18:19], 0x0
	s_waitcnt lgkmcnt(0)
	v_cmp_lt_u64_e64 s14, s[20:21], s[22:23]
	s_and_b32 vcc_lo, exec_lo, s14
	s_mov_b64 s[14:15], 0
	s_cbranch_vccnz .LBB199_5
; %bb.4:                                ;   in Loop: Header=BB199_3 Depth=1
	v_cvt_f32_u32_e32 v1, s22
	s_sub_i32 s15, 0, s22
	v_rcp_iflag_f32_e32 v1, v1
	v_mul_f32_e32 v1, 0x4f7ffffe, v1
	v_cvt_u32_f32_e32 v1, v1
	v_readfirstlane_b32 s14, v1
	s_mul_i32 s15, s15, s14
	s_mul_hi_u32 s15, s14, s15
	s_add_i32 s14, s14, s15
	s_mul_hi_u32 s14, s20, s14
	s_mul_i32 s15, s14, s22
	s_add_i32 s16, s14, 1
	s_sub_i32 s15, s20, s15
	s_sub_i32 s25, s15, s22
	s_cmp_ge_u32 s15, s22
	s_cselect_b32 s14, s16, s14
	s_cselect_b32 s15, s25, s15
	s_add_i32 s16, s14, 1
	s_cmp_ge_u32 s15, s22
	s_cselect_b32 s16, s16, s14
	s_mov_b64 s[14:15], s[16:17]
.LBB199_5:                              ;   in Loop: Header=BB199_3 Depth=1
	s_load_dwordx2 s[26:27], s[18:19], 0xc8
	s_mul_i32 s16, s14, s23
	s_mul_hi_u32 s23, s14, s22
	s_mul_i32 s22, s14, s22
	s_add_i32 s23, s23, s16
	s_sub_u32 s16, s20, s22
	s_subb_u32 s20, s21, s23
	s_waitcnt lgkmcnt(0)
	s_mul_i32 s20, s26, s20
	s_mul_hi_u32 s21, s26, s16
	s_mul_i32 s22, s27, s16
	s_add_i32 s20, s21, s20
	s_mul_i32 s16, s26, s16
	s_add_i32 s20, s20, s22
	s_add_u32 s6, s16, s6
	s_addc_u32 s7, s20, s7
	s_add_i32 s13, s13, -1
	s_add_u32 s18, s18, -8
	s_addc_u32 s19, s19, -1
	s_cmp_gt_u32 s13, 2
	s_cbranch_scc0 .LBB199_8
; %bb.6:                                ;   in Loop: Header=BB199_3 Depth=1
	s_mov_b64 s[20:21], s[14:15]
	s_branch .LBB199_3
.LBB199_7:
	s_mov_b64 s[14:15], s[20:21]
.LBB199_8:
	s_load_dword s13, s[8:9], 0x0
	v_cmp_gt_u32_e32 vcc_lo, 0x100, v0
	v_lshlrev_b32_e32 v1, 2, v0
	s_and_saveexec_b32 s8, vcc_lo
; %bb.9:
	v_mov_b32_e32 v2, 0
	ds_write_b32 v1, v2
; %bb.10:
	s_or_b32 exec_lo, exec_lo, s8
	s_load_dword s15, s[4:5], 0x1a0
	s_mul_i32 s8, s12, s2
	s_waitcnt lgkmcnt(0)
	s_sub_i32 s8, s24, s8
	s_barrier
	s_mul_i32 s9, s1, s8
	s_add_i32 s12, s8, 1
	s_lshl_b32 s16, s9, 8
	buffer_gl0_inv
	s_sub_i32 s9, s15, s16
	s_add_u32 s8, s9, 0xff
	s_addc_u32 s9, 0, 0
	s_lshr_b64 s[8:9], s[8:9], 8
	s_cmp_lt_u32 s12, s2
	s_mov_b32 s12, 0
	s_cselect_b32 s2, s1, s8
	s_cmp_lt_i32 s2, 1
	s_cbranch_scc1 .LBB199_26
; %bb.11:
	s_clause 0x2
	s_load_dwordx2 s[18:19], s[4:5], 0xd0
	s_load_dwordx2 s[8:9], s[4:5], 0x1b8
	;; [unrolled: 1-line block ×3, first 2 shown]
	v_add_nc_u32_e32 v2, s16, v0
	s_waitcnt lgkmcnt(0)
	s_mul_i32 s1, s19, s14
	s_mul_hi_u32 s17, s18, s14
	s_mul_i32 s18, s18, s14
	s_add_i32 s19, s17, s1
	s_lshl_b64 s[18:19], s[18:19], 2
	s_add_u32 s1, s4, s18
	s_addc_u32 s14, s5, s19
	s_lshl_b64 s[4:5], s[6:7], 2
	s_add_u32 s4, s1, s4
	s_addc_u32 s5, s14, s5
	s_and_b32 s1, s0, 0xff
	s_cmp_eq_u32 s2, 1
	s_cbranch_scc1 .LBB199_21
; %bb.12:
	v_mov_b32_e32 v3, 1
	v_mov_b32_e32 v4, v2
	s_and_b32 s6, s2, 0x7ffffffe
	s_mov_b32 s7, 0
	s_branch .LBB199_14
.LBB199_13:                             ;   in Loop: Header=BB199_14 Depth=1
	s_or_b32 exec_lo, exec_lo, s12
	v_add_nc_u32_e32 v4, 0x200, v4
	s_add_i32 s7, s7, 2
	s_cmp_eq_u32 s6, s7
	s_cbranch_scc1 .LBB199_20
.LBB199_14:                             ; =>This Inner Loop Header: Depth=1
	s_mov_b32 s12, exec_lo
	v_cmpx_gt_u32_e64 s15, v4
	s_cbranch_execz .LBB199_17
; %bb.15:                               ;   in Loop: Header=BB199_14 Depth=1
	v_mad_u64_u32 v[5:6], null, s8, v4, 0
	v_mad_u64_u32 v[6:7], null, s9, v4, v[6:7]
	v_lshlrev_b64 v[5:6], 2, v[5:6]
	v_add_co_u32 v5, s0, s4, v5
	v_add_co_ci_u32_e64 v6, null, s5, v6, s0
	global_load_dword v5, v[5:6], off
	s_waitcnt vmcnt(0)
	v_cmp_lt_i32_e64 s0, -1, v5
	v_cndmask_b32_e64 v6, -1, 0x80000000, s0
	v_cmp_o_f32_e64 s0, v5, v5
	v_xor_b32_e32 v6, v6, v5
	v_cndmask_b32_e64 v5, -1, v6, s0
	v_xor_b32_e32 v6, s13, v5
	v_and_b32_e32 v6, s3, v6
	v_cmp_eq_u32_e64 s0, 0, v6
	s_and_b32 exec_lo, exec_lo, s0
; %bb.16:                               ;   in Loop: Header=BB199_14 Depth=1
	v_bfe_u32 v5, v5, s1, 8
	v_lshlrev_b32_e32 v5, 2, v5
	ds_add_u32 v5, v3
.LBB199_17:                             ;   in Loop: Header=BB199_14 Depth=1
	s_or_b32 exec_lo, exec_lo, s12
	v_add_nc_u32_e32 v5, 0x100, v4
	s_mov_b32 s12, exec_lo
	v_cmpx_gt_u32_e64 s15, v5
	s_cbranch_execz .LBB199_13
; %bb.18:                               ;   in Loop: Header=BB199_14 Depth=1
	v_mad_u64_u32 v[6:7], null, s8, v5, 0
	v_mad_u64_u32 v[7:8], null, s9, v5, v[7:8]
	v_lshlrev_b64 v[5:6], 2, v[6:7]
	v_add_co_u32 v5, s0, s4, v5
	v_add_co_ci_u32_e64 v6, null, s5, v6, s0
	global_load_dword v5, v[5:6], off
	s_waitcnt vmcnt(0)
	v_cmp_lt_i32_e64 s0, -1, v5
	v_cndmask_b32_e64 v6, -1, 0x80000000, s0
	v_cmp_o_f32_e64 s0, v5, v5
	v_xor_b32_e32 v6, v6, v5
	v_cndmask_b32_e64 v5, -1, v6, s0
	v_xor_b32_e32 v6, s13, v5
	v_and_b32_e32 v6, s3, v6
	v_cmp_eq_u32_e64 s0, 0, v6
	s_and_b32 exec_lo, exec_lo, s0
	s_cbranch_execz .LBB199_13
; %bb.19:                               ;   in Loop: Header=BB199_14 Depth=1
	v_bfe_u32 v5, v5, s1, 8
	v_lshlrev_b32_e32 v5, 2, v5
	ds_add_u32 v5, v3
	s_branch .LBB199_13
.LBB199_20:
	s_lshl_b32 s12, s6, 8
.LBB199_21:
	s_bitcmp0_b32 s2, 0
	s_cbranch_scc1 .LBB199_26
; %bb.22:
	v_add_nc_u32_e32 v2, s12, v2
	s_mov_b32 s2, exec_lo
	v_cmpx_gt_u32_e64 s15, v2
	s_cbranch_execz .LBB199_25
; %bb.23:
	v_mad_u64_u32 v[3:4], null, s8, v2, 0
	v_mad_u64_u32 v[4:5], null, s9, v2, v[4:5]
	v_lshlrev_b64 v[2:3], 2, v[3:4]
	v_add_co_u32 v2, s0, s4, v2
	v_add_co_ci_u32_e64 v3, null, s5, v3, s0
	global_load_dword v2, v[2:3], off
	s_waitcnt vmcnt(0)
	v_cmp_lt_i32_e64 s0, -1, v2
	v_cndmask_b32_e64 v3, -1, 0x80000000, s0
	v_cmp_o_f32_e64 s0, v2, v2
	v_xor_b32_e32 v3, v3, v2
	v_cndmask_b32_e64 v2, -1, v3, s0
	v_xor_b32_e32 v3, s13, v2
	v_and_b32_e32 v3, s3, v3
	v_cmp_eq_u32_e64 s0, 0, v3
	s_and_b32 exec_lo, exec_lo, s0
	s_cbranch_execz .LBB199_25
; %bb.24:
	v_bfe_u32 v2, v2, s1, 8
	v_mov_b32_e32 v3, 1
	v_lshlrev_b32_e32 v2, 2, v2
	ds_add_u32 v2, v3
.LBB199_25:
	s_or_b32 exec_lo, exec_lo, s2
.LBB199_26:
	s_waitcnt lgkmcnt(0)
	s_barrier
	buffer_gl0_inv
	s_and_saveexec_b32 s0, vcc_lo
	s_cbranch_execz .LBB199_28
; %bb.27:
	ds_read_b32 v2, v1
	v_lshl_or_b32 v0, s24, 8, v0
	v_mov_b32_e32 v1, 0
	v_lshlrev_b64 v[0:1], 1, v[0:1]
	v_add_co_u32 v0, vcc_lo, s10, v0
	v_add_co_ci_u32_e64 v1, null, s11, v1, vcc_lo
	s_waitcnt lgkmcnt(0)
	global_store_short v[0:1], v2, off
.LBB199_28:
	s_endpgm
	.section	.rodata,"a",@progbits
	.p2align	6, 0x0
	.amdhsa_kernel _ZN2at6native6mbtopk23computeBlockDigitCountsIfmjLin1EEEvNS_4cuda6detail10TensorInfoIKT_T0_EEjPjjS8_iijT1_PSB_Ps
		.amdhsa_group_segment_fixed_size 1024
		.amdhsa_private_segment_fixed_size 0
		.amdhsa_kernarg_size 736
		.amdhsa_user_sgpr_count 6
		.amdhsa_user_sgpr_private_segment_buffer 1
		.amdhsa_user_sgpr_dispatch_ptr 0
		.amdhsa_user_sgpr_queue_ptr 0
		.amdhsa_user_sgpr_kernarg_segment_ptr 1
		.amdhsa_user_sgpr_dispatch_id 0
		.amdhsa_user_sgpr_flat_scratch_init 0
		.amdhsa_user_sgpr_private_segment_size 0
		.amdhsa_wavefront_size32 1
		.amdhsa_uses_dynamic_stack 0
		.amdhsa_system_sgpr_private_segment_wavefront_offset 0
		.amdhsa_system_sgpr_workgroup_id_x 1
		.amdhsa_system_sgpr_workgroup_id_y 1
		.amdhsa_system_sgpr_workgroup_id_z 1
		.amdhsa_system_sgpr_workgroup_info 0
		.amdhsa_system_vgpr_workitem_id 0
		.amdhsa_next_free_vgpr 9
		.amdhsa_next_free_sgpr 28
		.amdhsa_reserve_vcc 1
		.amdhsa_reserve_flat_scratch 0
		.amdhsa_float_round_mode_32 0
		.amdhsa_float_round_mode_16_64 0
		.amdhsa_float_denorm_mode_32 3
		.amdhsa_float_denorm_mode_16_64 3
		.amdhsa_dx10_clamp 1
		.amdhsa_ieee_mode 1
		.amdhsa_fp16_overflow 0
		.amdhsa_workgroup_processor_mode 1
		.amdhsa_memory_ordered 1
		.amdhsa_forward_progress 1
		.amdhsa_shared_vgpr_count 0
		.amdhsa_exception_fp_ieee_invalid_op 0
		.amdhsa_exception_fp_denorm_src 0
		.amdhsa_exception_fp_ieee_div_zero 0
		.amdhsa_exception_fp_ieee_overflow 0
		.amdhsa_exception_fp_ieee_underflow 0
		.amdhsa_exception_fp_ieee_inexact 0
		.amdhsa_exception_int_div_zero 0
	.end_amdhsa_kernel
	.section	.text._ZN2at6native6mbtopk23computeBlockDigitCountsIfmjLin1EEEvNS_4cuda6detail10TensorInfoIKT_T0_EEjPjjS8_iijT1_PSB_Ps,"axG",@progbits,_ZN2at6native6mbtopk23computeBlockDigitCountsIfmjLin1EEEvNS_4cuda6detail10TensorInfoIKT_T0_EEjPjjS8_iijT1_PSB_Ps,comdat
.Lfunc_end199:
	.size	_ZN2at6native6mbtopk23computeBlockDigitCountsIfmjLin1EEEvNS_4cuda6detail10TensorInfoIKT_T0_EEjPjjS8_iijT1_PSB_Ps, .Lfunc_end199-_ZN2at6native6mbtopk23computeBlockDigitCountsIfmjLin1EEEvNS_4cuda6detail10TensorInfoIKT_T0_EEjPjjS8_iijT1_PSB_Ps
                                        ; -- End function
	.set _ZN2at6native6mbtopk23computeBlockDigitCountsIfmjLin1EEEvNS_4cuda6detail10TensorInfoIKT_T0_EEjPjjS8_iijT1_PSB_Ps.num_vgpr, 9
	.set _ZN2at6native6mbtopk23computeBlockDigitCountsIfmjLin1EEEvNS_4cuda6detail10TensorInfoIKT_T0_EEjPjjS8_iijT1_PSB_Ps.num_agpr, 0
	.set _ZN2at6native6mbtopk23computeBlockDigitCountsIfmjLin1EEEvNS_4cuda6detail10TensorInfoIKT_T0_EEjPjjS8_iijT1_PSB_Ps.numbered_sgpr, 28
	.set _ZN2at6native6mbtopk23computeBlockDigitCountsIfmjLin1EEEvNS_4cuda6detail10TensorInfoIKT_T0_EEjPjjS8_iijT1_PSB_Ps.num_named_barrier, 0
	.set _ZN2at6native6mbtopk23computeBlockDigitCountsIfmjLin1EEEvNS_4cuda6detail10TensorInfoIKT_T0_EEjPjjS8_iijT1_PSB_Ps.private_seg_size, 0
	.set _ZN2at6native6mbtopk23computeBlockDigitCountsIfmjLin1EEEvNS_4cuda6detail10TensorInfoIKT_T0_EEjPjjS8_iijT1_PSB_Ps.uses_vcc, 1
	.set _ZN2at6native6mbtopk23computeBlockDigitCountsIfmjLin1EEEvNS_4cuda6detail10TensorInfoIKT_T0_EEjPjjS8_iijT1_PSB_Ps.uses_flat_scratch, 0
	.set _ZN2at6native6mbtopk23computeBlockDigitCountsIfmjLin1EEEvNS_4cuda6detail10TensorInfoIKT_T0_EEjPjjS8_iijT1_PSB_Ps.has_dyn_sized_stack, 0
	.set _ZN2at6native6mbtopk23computeBlockDigitCountsIfmjLin1EEEvNS_4cuda6detail10TensorInfoIKT_T0_EEjPjjS8_iijT1_PSB_Ps.has_recursion, 0
	.set _ZN2at6native6mbtopk23computeBlockDigitCountsIfmjLin1EEEvNS_4cuda6detail10TensorInfoIKT_T0_EEjPjjS8_iijT1_PSB_Ps.has_indirect_call, 0
	.section	.AMDGPU.csdata,"",@progbits
; Kernel info:
; codeLenInByte = 1292
; TotalNumSgprs: 30
; NumVgprs: 9
; ScratchSize: 0
; MemoryBound: 0
; FloatMode: 240
; IeeeMode: 1
; LDSByteSize: 1024 bytes/workgroup (compile time only)
; SGPRBlocks: 0
; VGPRBlocks: 1
; NumSGPRsForWavesPerEU: 30
; NumVGPRsForWavesPerEU: 9
; Occupancy: 16
; WaveLimiterHint : 0
; COMPUTE_PGM_RSRC2:SCRATCH_EN: 0
; COMPUTE_PGM_RSRC2:USER_SGPR: 6
; COMPUTE_PGM_RSRC2:TRAP_HANDLER: 0
; COMPUTE_PGM_RSRC2:TGID_X_EN: 1
; COMPUTE_PGM_RSRC2:TGID_Y_EN: 1
; COMPUTE_PGM_RSRC2:TGID_Z_EN: 1
; COMPUTE_PGM_RSRC2:TIDIG_COMP_CNT: 0
	.section	.text._ZN2at6native6mbtopk10gatherTopKIfmLin1EEEvNS_4cuda6detail10TensorInfoIKT_T0_EES8_S8_bjS8_NS5_IS6_S8_EES8_NS5_IlS8_EES8_jjPS6_PjSD_j,"axG",@progbits,_ZN2at6native6mbtopk10gatherTopKIfmLin1EEEvNS_4cuda6detail10TensorInfoIKT_T0_EES8_S8_bjS8_NS5_IS6_S8_EES8_NS5_IlS8_EES8_jjPS6_PjSD_j,comdat
	.protected	_ZN2at6native6mbtopk10gatherTopKIfmLin1EEEvNS_4cuda6detail10TensorInfoIKT_T0_EES8_S8_bjS8_NS5_IS6_S8_EES8_NS5_IlS8_EES8_jjPS6_PjSD_j ; -- Begin function _ZN2at6native6mbtopk10gatherTopKIfmLin1EEEvNS_4cuda6detail10TensorInfoIKT_T0_EES8_S8_bjS8_NS5_IS6_S8_EES8_NS5_IlS8_EES8_jjPS6_PjSD_j
	.globl	_ZN2at6native6mbtopk10gatherTopKIfmLin1EEEvNS_4cuda6detail10TensorInfoIKT_T0_EES8_S8_bjS8_NS5_IS6_S8_EES8_NS5_IlS8_EES8_jjPS6_PjSD_j
	.p2align	8
	.type	_ZN2at6native6mbtopk10gatherTopKIfmLin1EEEvNS_4cuda6detail10TensorInfoIKT_T0_EES8_S8_bjS8_NS5_IS6_S8_EES8_NS5_IlS8_EES8_jjPS6_PjSD_j,@function
_ZN2at6native6mbtopk10gatherTopKIfmLin1EEEvNS_4cuda6detail10TensorInfoIKT_T0_EES8_S8_bjS8_NS5_IS6_S8_EES8_NS5_IlS8_EES8_jjPS6_PjSD_j: ; @_ZN2at6native6mbtopk10gatherTopKIfmLin1EEEvNS_4cuda6detail10TensorInfoIKT_T0_EES8_S8_bjS8_NS5_IS6_S8_EES8_NS5_IlS8_EES8_jjPS6_PjSD_j
; %bb.0:
	s_clause 0x1
	s_load_dwordx2 s[0:1], s[4:5], 0x538
	s_load_dword s2, s[4:5], 0x530
	s_waitcnt lgkmcnt(0)
	s_mul_i32 s1, s1, s8
	s_add_i32 s1, s1, s7
	s_mul_i32 s0, s1, s0
	s_add_i32 s0, s0, s6
	s_cmp_ge_u32 s0, s2
	s_cbranch_scc1 .LBB200_61
; %bb.1:
	s_clause 0x1
	s_load_dwordx2 s[6:7], s[4:5], 0x510
	s_load_dwordx4 s[8:11], s[4:5], 0x1a0
	s_mov_b32 s13, 0
	s_waitcnt lgkmcnt(0)
	v_cvt_f32_u32_e32 v1, s7
	s_sub_i32 s2, 0, s7
	s_lshl_b32 s33, s6, 8
	v_rcp_iflag_f32_e32 v1, v1
	v_mul_f32_e32 v1, 0x4f7ffffe, v1
	v_cvt_u32_f32_e32 v1, v1
	v_readfirstlane_b32 s1, v1
	s_mul_i32 s2, s2, s1
	s_mul_hi_u32 s2, s1, s2
	s_add_i32 s1, s1, s2
	s_mul_hi_u32 s1, s0, s1
	s_mul_i32 s2, s1, s7
	s_add_i32 s3, s1, 1
	s_sub_i32 s2, s0, s2
	s_sub_i32 s12, s2, s7
	s_cmp_ge_u32 s2, s7
	s_cselect_b32 s1, s3, s1
	s_cselect_b32 s2, s12, s2
	s_add_i32 s3, s1, 1
	s_cmp_ge_u32 s2, s7
	s_cselect_b32 s12, s3, s1
	s_mul_i32 s18, s12, s7
	s_sub_i32 s50, s0, s18
	s_add_i32 s0, s50, 1
	s_cmp_lt_u32 s0, s7
	s_cbranch_scc1 .LBB200_3
; %bb.2:
	s_mul_i32 s0, s50, s33
	s_sub_u32 s0, s8, s0
	s_subb_u32 s1, s9, 0
	s_add_u32 s0, s0, 0xff
	s_addc_u32 s1, s1, 0
	s_ashr_i32 s2, s1, 31
	s_lshr_b32 s2, s2, 24
	s_add_u32 s0, s0, s2
	s_addc_u32 s1, s1, 0
	s_lshr_b64 s[0:1], s[0:1], 8
	s_mov_b32 s6, s0
.LBB200_3:
	s_load_dword s2, s[4:5], 0x198
	s_mov_b64 s[16:17], 0
	s_mov_b64 s[20:21], s[12:13]
	s_waitcnt lgkmcnt(0)
	s_cmp_lt_i32 s2, 2
	s_cbranch_scc1 .LBB200_9
; %bb.4:
	s_add_i32 s0, s2, -1
	s_mov_b32 s1, 0
	s_add_i32 s19, s2, 1
	s_lshl_b64 s[14:15], s[0:1], 3
	s_add_u32 s0, s4, s14
	s_addc_u32 s3, s5, s15
	s_add_u32 s2, s0, 8
	s_addc_u32 s3, s3, 0
	s_mov_b64 s[14:15], s[12:13]
.LBB200_5:                              ; =>This Inner Loop Header: Depth=1
	s_load_dwordx2 s[22:23], s[2:3], 0x0
	s_mov_b64 s[20:21], 0
	s_waitcnt lgkmcnt(0)
	v_cmp_lt_u64_e64 s0, s[14:15], s[22:23]
	s_and_b32 vcc_lo, exec_lo, s0
	s_cbranch_vccnz .LBB200_7
; %bb.6:                                ;   in Loop: Header=BB200_5 Depth=1
	v_cvt_f32_u32_e32 v1, s22
	s_sub_i32 s20, 0, s22
	v_rcp_iflag_f32_e32 v1, v1
	v_mul_f32_e32 v1, 0x4f7ffffe, v1
	v_cvt_u32_f32_e32 v1, v1
	v_readfirstlane_b32 s0, v1
	s_mul_i32 s20, s20, s0
	s_mul_hi_u32 s20, s0, s20
	s_add_i32 s0, s0, s20
	s_mul_hi_u32 s0, s14, s0
	s_mul_i32 s20, s0, s22
	s_add_i32 s21, s0, 1
	s_sub_i32 s20, s14, s20
	s_sub_i32 s24, s20, s22
	s_cmp_ge_u32 s20, s22
	s_cselect_b32 s0, s21, s0
	s_cselect_b32 s20, s24, s20
	s_add_i32 s21, s0, 1
	s_cmp_ge_u32 s20, s22
	s_cselect_b32 s0, s21, s0
	s_mov_b64 s[20:21], s[0:1]
.LBB200_7:                              ;   in Loop: Header=BB200_5 Depth=1
	s_load_dwordx2 s[24:25], s[2:3], 0xc8
	s_mul_i32 s0, s20, s23
	s_mul_hi_u32 s23, s20, s22
	s_mul_i32 s22, s20, s22
	s_add_i32 s23, s23, s0
	s_sub_u32 s0, s14, s22
	s_subb_u32 s14, s15, s23
	s_waitcnt lgkmcnt(0)
	s_mul_i32 s14, s24, s14
	s_mul_hi_u32 s15, s24, s0
	s_mul_i32 s22, s25, s0
	s_add_i32 s14, s15, s14
	s_mul_i32 s0, s24, s0
	s_add_i32 s14, s14, s22
	s_add_u32 s16, s0, s16
	s_addc_u32 s17, s14, s17
	s_add_i32 s19, s19, -1
	s_add_u32 s2, s2, -8
	s_addc_u32 s3, s3, -1
	s_cmp_gt_u32 s19, 2
	s_cbranch_scc0 .LBB200_9
; %bb.8:                                ;   in Loop: Header=BB200_5 Depth=1
	s_mov_b64 s[14:15], s[20:21]
	s_branch .LBB200_5
.LBB200_9:
	s_clause 0x1
	s_load_dword s14, s[4:5], 0x358
	s_load_dwordx2 s[24:25], s[4:5], 0xd0
	s_add_u32 s0, s4, 0x1c0
	s_addc_u32 s1, s5, 0
	s_mov_b64 s[22:23], 0
	s_mov_b64 s[26:27], s[12:13]
	s_waitcnt lgkmcnt(0)
	s_cmp_lt_i32 s14, 2
	s_cbranch_scc1 .LBB200_15
; %bb.10:
	s_add_i32 s2, s14, -1
	s_mov_b32 s3, 0
	s_add_i32 s19, s14, 1
	s_lshl_b64 s[22:23], s[2:3], 3
	s_mov_b64 s[28:29], s[12:13]
	s_add_u32 s2, s0, s22
	s_addc_u32 s15, s1, s23
	s_add_u32 s14, s2, 8
	s_addc_u32 s15, s15, 0
	s_mov_b64 s[22:23], 0
.LBB200_11:                             ; =>This Inner Loop Header: Depth=1
	s_load_dwordx2 s[30:31], s[14:15], 0x0
	s_mov_b64 s[26:27], 0
	s_waitcnt lgkmcnt(0)
	v_cmp_lt_u64_e64 s2, s[28:29], s[30:31]
	s_and_b32 vcc_lo, exec_lo, s2
	s_cbranch_vccnz .LBB200_13
; %bb.12:                               ;   in Loop: Header=BB200_11 Depth=1
	v_cvt_f32_u32_e32 v1, s30
	s_sub_i32 s21, 0, s30
	v_rcp_iflag_f32_e32 v1, v1
	v_mul_f32_e32 v1, 0x4f7ffffe, v1
	v_cvt_u32_f32_e32 v1, v1
	v_readfirstlane_b32 s2, v1
	s_mul_i32 s21, s21, s2
	s_mul_hi_u32 s21, s2, s21
	s_add_i32 s2, s2, s21
	s_mul_hi_u32 s2, s28, s2
	s_mul_i32 s21, s2, s30
	s_add_i32 s26, s2, 1
	s_sub_i32 s21, s28, s21
	s_sub_i32 s27, s21, s30
	s_cmp_ge_u32 s21, s30
	s_cselect_b32 s2, s26, s2
	s_cselect_b32 s21, s27, s21
	s_add_i32 s26, s2, 1
	s_cmp_ge_u32 s21, s30
	s_cselect_b32 s2, s26, s2
	s_mov_b64 s[26:27], s[2:3]
.LBB200_13:                             ;   in Loop: Header=BB200_11 Depth=1
	s_load_dwordx2 s[34:35], s[14:15], 0xc8
	s_mul_i32 s2, s26, s31
	s_mul_hi_u32 s21, s26, s30
	s_mul_i32 s30, s26, s30
	s_add_i32 s21, s21, s2
	s_sub_u32 s2, s28, s30
	s_subb_u32 s21, s29, s21
	s_waitcnt lgkmcnt(0)
	s_mul_i32 s21, s34, s21
	s_mul_hi_u32 s28, s34, s2
	s_mul_i32 s29, s35, s2
	s_add_i32 s21, s28, s21
	s_mul_i32 s2, s34, s2
	s_add_i32 s21, s21, s29
	s_add_u32 s22, s2, s22
	s_addc_u32 s23, s21, s23
	s_add_i32 s19, s19, -1
	s_add_u32 s14, s14, -8
	s_addc_u32 s15, s15, -1
	s_cmp_gt_u32 s19, 2
	s_cbranch_scc0 .LBB200_15
; %bb.14:                               ;   in Loop: Header=BB200_11 Depth=1
	s_mov_b64 s[28:29], s[26:27]
	s_branch .LBB200_11
.LBB200_15:
	s_clause 0x1
	s_load_dword s2, s[4:5], 0x500
	s_load_dwordx2 s[30:31], s[0:1], 0xd0
	s_add_u32 s3, s4, 0x368
	s_addc_u32 s14, s5, 0
	s_mov_b64 s[28:29], 0
	s_waitcnt lgkmcnt(0)
	s_cmp_lt_i32 s2, 2
	s_cbranch_scc1 .LBB200_21
; %bb.16:
	s_add_i32 s0, s2, -1
	s_mov_b32 s1, 0
	s_add_i32 s19, s2, 1
	s_lshl_b64 s[28:29], s[0:1], 3
	s_add_u32 s0, s3, s28
	s_addc_u32 s3, s14, s29
	s_add_u32 s2, s0, 8
	s_addc_u32 s3, s3, 0
	s_mov_b64 s[28:29], 0
	s_mov_b64 s[14:15], s[12:13]
.LBB200_17:                             ; =>This Inner Loop Header: Depth=1
	s_load_dwordx2 s[36:37], s[2:3], 0x0
	s_mov_b64 s[34:35], 0
	s_waitcnt lgkmcnt(0)
	v_cmp_lt_u64_e64 s0, s[14:15], s[36:37]
	s_and_b32 vcc_lo, exec_lo, s0
	s_cbranch_vccnz .LBB200_19
; %bb.18:                               ;   in Loop: Header=BB200_17 Depth=1
	v_cvt_f32_u32_e32 v1, s36
	s_sub_i32 s21, 0, s36
	v_rcp_iflag_f32_e32 v1, v1
	v_mul_f32_e32 v1, 0x4f7ffffe, v1
	v_cvt_u32_f32_e32 v1, v1
	v_readfirstlane_b32 s0, v1
	s_mul_i32 s21, s21, s0
	s_mul_hi_u32 s21, s0, s21
	s_add_i32 s0, s0, s21
	s_mul_hi_u32 s0, s14, s0
	s_mul_i32 s21, s0, s36
	s_add_i32 s27, s0, 1
	s_sub_i32 s21, s14, s21
	s_sub_i32 s34, s21, s36
	s_cmp_ge_u32 s21, s36
	s_cselect_b32 s0, s27, s0
	s_cselect_b32 s21, s34, s21
	s_add_i32 s27, s0, 1
	s_cmp_ge_u32 s21, s36
	s_cselect_b32 s0, s27, s0
	s_mov_b64 s[34:35], s[0:1]
.LBB200_19:                             ;   in Loop: Header=BB200_17 Depth=1
	s_load_dwordx2 s[38:39], s[2:3], 0xc8
	s_mul_i32 s0, s34, s37
	s_mul_hi_u32 s21, s34, s36
	s_mul_i32 s27, s34, s36
	s_add_i32 s21, s21, s0
	s_sub_u32 s0, s14, s27
	s_subb_u32 s14, s15, s21
	s_waitcnt lgkmcnt(0)
	s_mul_i32 s14, s38, s14
	s_mul_hi_u32 s15, s38, s0
	s_mul_i32 s21, s39, s0
	s_add_i32 s14, s15, s14
	s_mul_i32 s0, s38, s0
	s_add_i32 s14, s14, s21
	s_add_u32 s28, s0, s28
	s_addc_u32 s29, s14, s29
	s_add_i32 s19, s19, -1
	s_add_u32 s2, s2, -8
	s_addc_u32 s3, s3, -1
	s_cmp_gt_u32 s19, 2
	s_cbranch_scc0 .LBB200_22
; %bb.20:                               ;   in Loop: Header=BB200_17 Depth=1
	s_mov_b64 s[14:15], s[34:35]
	s_branch .LBB200_17
.LBB200_21:
	s_mov_b64 s[34:35], s[12:13]
.LBB200_22:
	s_load_dwordx4 s[0:3], s[4:5], 0x518
	s_lshl_b64 s[12:13], s[12:13], 2
	s_mov_b32 s19, 0
	s_waitcnt lgkmcnt(0)
	s_add_u32 s0, s0, s12
	s_addc_u32 s1, s1, s13
	s_clause 0x3
	s_load_dwordx2 s[38:39], s[4:5], 0x438
	s_load_dwordx2 s[42:43], s[4:5], 0x0
	;; [unrolled: 1-line block ×4, first 2 shown]
	s_load_dword s21, s[0:1], 0x0
	v_cmp_ne_u32_e64 s0, 0, v0
	v_cmp_eq_u32_e64 s1, 0, v0
	s_and_saveexec_b32 s27, s1
	s_cbranch_execz .LBB200_38
; %bb.23:
	s_load_dwordx2 s[44:45], s[4:5], 0x528
	s_lshl_b64 s[46:47], s[18:19], 2
	s_mov_b32 s18, 0
	s_add_u32 s12, s2, s46
	s_addc_u32 s13, s3, s47
	s_mov_b32 s35, 0
	s_waitcnt lgkmcnt(0)
	s_add_u32 s14, s44, s46
	s_addc_u32 s15, s45, s47
	s_cmp_lt_u32 s7, 4
	s_cbranch_scc1 .LBB200_35
; %bb.24:
	s_mov_b32 s51, 0
.LBB200_25:                             ; =>This Inner Loop Header: Depth=1
	s_add_u32 s12, s2, s46
	s_addc_u32 s13, s3, s47
	s_add_u32 s48, s44, s46
	s_load_dwordx4 s[12:15], s[12:13], 0x0
	s_addc_u32 s49, s45, s47
	s_cmp_ge_u32 s51, s50
	s_cbranch_scc0 .LBB200_32
; %bb.26:                               ;   in Loop: Header=BB200_25 Depth=1
	s_add_i32 s52, s51, 1
	s_cmp_ge_u32 s52, s50
	s_cbranch_scc0 .LBB200_33
.LBB200_27:                             ;   in Loop: Header=BB200_25 Depth=1
	s_add_i32 s52, s52, 1
	s_cmp_ge_u32 s52, s50
	s_cbranch_scc0 .LBB200_34
.LBB200_28:                             ;   in Loop: Header=BB200_25 Depth=1
	s_add_i32 s52, s52, 1
	s_cmp_ge_u32 s52, s50
	s_cbranch_scc1 .LBB200_30
.LBB200_29:                             ;   in Loop: Header=BB200_25 Depth=1
	s_load_dword s48, s[48:49], 0xc
	s_waitcnt lgkmcnt(0)
	s_add_i32 s19, s19, s15
	s_add_i32 s18, s48, s18
.LBB200_30:                             ;   in Loop: Header=BB200_25 Depth=1
	s_waitcnt lgkmcnt(0)
	s_add_i32 s12, s12, s35
	s_add_i32 s12, s12, s13
	;; [unrolled: 1-line block ×4, first 2 shown]
	s_add_u32 s2, s2, 16
	s_addc_u32 s3, s3, 0
	s_add_u32 s44, s44, 16
	s_addc_u32 s45, s45, 0
	s_add_i32 s49, s52, 4
	s_add_u32 s14, s44, s46
	s_addc_u32 s15, s45, s47
	s_add_u32 s12, s2, s46
	s_addc_u32 s13, s3, s47
	s_add_i32 s48, s52, 1
	s_cmp_ge_u32 s49, s7
	s_cbranch_scc1 .LBB200_36
; %bb.31:                               ;   in Loop: Header=BB200_25 Depth=1
	s_mov_b32 s51, s48
	s_branch .LBB200_25
.LBB200_32:                             ;   in Loop: Header=BB200_25 Depth=1
	s_load_dword s52, s[48:49], 0x0
	s_waitcnt lgkmcnt(0)
	s_add_i32 s19, s12, s19
	s_add_i32 s18, s52, s18
	;; [unrolled: 1-line block ×3, first 2 shown]
	s_cmp_ge_u32 s52, s50
	s_cbranch_scc1 .LBB200_27
.LBB200_33:                             ;   in Loop: Header=BB200_25 Depth=1
	s_load_dword s53, s[48:49], 0x4
	s_waitcnt lgkmcnt(0)
	s_add_i32 s19, s19, s13
	s_add_i32 s18, s53, s18
	;; [unrolled: 1-line block ×3, first 2 shown]
	s_cmp_ge_u32 s52, s50
	s_cbranch_scc1 .LBB200_28
.LBB200_34:                             ;   in Loop: Header=BB200_25 Depth=1
	s_load_dword s53, s[48:49], 0x8
	s_waitcnt lgkmcnt(0)
	s_add_i32 s19, s19, s14
	s_add_i32 s18, s53, s18
	;; [unrolled: 1-line block ×3, first 2 shown]
	s_cmp_ge_u32 s52, s50
	s_cbranch_scc0 .LBB200_29
	s_branch .LBB200_30
.LBB200_35:
	s_mov_b32 s2, 0
	s_cmp_ge_u32 s2, s7
	s_cbranch_scc0 .LBB200_59
	s_branch .LBB200_37
.LBB200_36:
	s_add_i32 s2, s51, 4
	s_cmp_ge_u32 s2, s7
	s_cbranch_scc0 .LBB200_59
.LBB200_37:
	v_mov_b32_e32 v1, s18
	v_mov_b32_e32 v2, s35
	;; [unrolled: 1-line block ×4, first 2 shown]
	ds_write_b96 v4, v[1:3] offset:1056
.LBB200_38:
	s_or_b32 exec_lo, exec_lo, s27
	s_cmp_eq_u32 s6, 0
	s_waitcnt lgkmcnt(0)
	s_barrier
	buffer_gl0_inv
	s_cbranch_scc1 .LBB200_61
; %bb.39:
	s_mul_i32 s7, s25, s20
	s_mul_hi_u32 s12, s24, s20
	s_mul_i32 s2, s31, s26
	s_mul_hi_u32 s3, s30, s26
	s_add_i32 s13, s12, s7
	s_mul_i32 s12, s24, s20
	s_add_i32 s3, s3, s2
	s_mul_i32 s2, s39, s34
	s_mul_hi_u32 s7, s38, s34
	s_lshl_b64 s[12:13], s[12:13], 2
	s_add_i32 s15, s7, s2
	s_add_u32 s7, s42, s12
	s_addc_u32 s14, s43, s13
	s_lshl_b64 s[12:13], s[16:17], 2
	v_mov_b32_e32 v5, 0
	s_mul_i32 s2, s30, s26
	s_add_u32 s7, s7, s12
	s_addc_u32 s16, s14, s13
	s_lshl_b64 s[2:3], s[2:3], 2
	ds_read_b96 v[1:3], v5 offset:1056
	s_add_u32 s12, s40, s2
	s_addc_u32 s13, s41, s3
	s_lshl_b64 s[2:3], s[22:23], 2
	s_mul_i32 s14, s38, s34
	s_add_u32 s17, s12, s2
	s_addc_u32 s18, s13, s3
	s_lshl_b64 s[2:3], s[14:15], 3
	v_add_nc_u32_e32 v10, -1, v0
	s_add_u32 s12, s36, s2
	s_addc_u32 s13, s37, s3
	s_lshl_b64 s[2:3], s[28:29], 3
	v_lshrrev_b32_e32 v4, 3, v0
	s_add_u32 s19, s12, s2
	s_addc_u32 s20, s13, s3
	s_cmp_gt_i32 s21, -1
	v_cmp_o_f32_e64 s2, s21, s21
	s_cselect_b32 s3, 0x80000000, -1
	v_lshrrev_b32_e32 v6, 3, v10
	s_xor_b32 s3, s3, s21
	s_waitcnt lgkmcnt(0)
	v_add_nc_u32_e32 v1, v1, v2
	s_and_b32 s2, s2, exec_lo
	s_cselect_b32 s21, s3, -1
	s_clause 0x3
	s_load_dword s3, s[4:5], 0x1b0
	s_load_dwordx2 s[12:13], s[4:5], 0x1b8
	s_load_dwordx2 s[14:15], s[4:5], 0x360
	;; [unrolled: 1-line block ×3, first 2 shown]
	v_and_b32_e32 v12, 0x1ffffffc, v6
	v_mad_u64_u32 v[6:7], null, s50, s33, v[0:1]
	v_and_b32_e32 v2, 28, v4
	v_and_b32_e32 v4, 0xfc, v0
	v_lshlrev_b32_e32 v11, 5, v0
	v_mbcnt_lo_u32_b32 v8, -1, 0
	v_cmp_gt_u32_e64 s2, 32, v0
	v_lshl_add_u32 v9, v0, 2, v2
	v_lshl_add_u32 v0, v10, 2, v12
	v_add_nc_u32_e32 v10, v4, v11
	v_and_b32_e32 v11, 15, v8
	v_bfe_i32 v12, v8, 4, 1
	v_add_nc_u32_e32 v13, -1, v8
	v_mov_b32_e32 v4, v6
                                        ; implicit-def: $vgpr14
	s_waitcnt lgkmcnt(0)
	s_bitcmp1_b32 s3, 0
	s_cselect_b32 s3, -1, 0
	s_branch .LBB200_42
.LBB200_40:                             ;   in Loop: Header=BB200_42 Depth=1
	s_or_b32 exec_lo, exec_lo, s22
	v_add_nc_u32_e32 v1, v2, v1
.LBB200_41:                             ;   in Loop: Header=BB200_42 Depth=1
	v_add_nc_u32_e32 v3, v15, v3
	v_add_nc_u32_e32 v4, 0x100, v4
	s_add_i32 s6, s6, -1
	s_cmp_lg_u32 s6, 0
	s_cbranch_scc0 .LBB200_61
.LBB200_42:                             ; =>This Inner Loop Header: Depth=1
	v_mov_b32_e32 v2, v5
	v_mov_b32_e32 v6, v5
	s_mov_b32 s22, exec_lo
	v_cmpx_gt_u64_e64 s[8:9], v[4:5]
	s_cbranch_execz .LBB200_44
; %bb.43:                               ;   in Loop: Header=BB200_42 Depth=1
	v_mad_u64_u32 v[6:7], null, s12, v4, 0
	v_mov_b32_e32 v2, v7
	v_mad_u64_u32 v[14:15], null, s13, v4, v[2:3]
	v_mov_b32_e32 v7, v14
	v_lshlrev_b64 v[6:7], 2, v[6:7]
	v_add_co_u32 v6, vcc_lo, s7, v6
	v_add_co_ci_u32_e64 v7, null, s16, v7, vcc_lo
	global_load_dword v14, v[6:7], off
	s_waitcnt vmcnt(0)
	v_cmp_lt_i32_e32 vcc_lo, -1, v14
	v_cndmask_b32_e64 v2, -1, 0x80000000, vcc_lo
	v_cmp_o_f32_e32 vcc_lo, v14, v14
	v_xor_b32_e32 v2, v2, v14
	v_cndmask_b32_e32 v6, -1, v2, vcc_lo
	v_cmp_lt_u32_e32 vcc_lo, s21, v6
	v_cndmask_b32_e64 v2, 0, 1, vcc_lo
	v_cmp_gt_u32_e32 vcc_lo, s21, v6
	v_cndmask_b32_e64 v7, 0, 1, vcc_lo
	v_cmp_eq_u32_e32 vcc_lo, s21, v6
	v_cndmask_b32_e64 v2, v7, v2, s3
	v_cndmask_b32_e64 v6, 0, 1, vcc_lo
	v_and_b32_e32 v2, 1, v2
.LBB200_44:                             ;   in Loop: Header=BB200_42 Depth=1
	s_or_b32 exec_lo, exec_lo, s22
	ds_write_b32 v9, v2
	s_waitcnt lgkmcnt(0)
	s_barrier
	buffer_gl0_inv
	s_and_saveexec_b32 s22, s2
	s_cbranch_execz .LBB200_46
; %bb.45:                               ;   in Loop: Header=BB200_42 Depth=1
	ds_read2_b32 v[15:16], v10 offset1:1
	ds_read2_b32 v[17:18], v10 offset0:2 offset1:3
	ds_read2_b32 v[19:20], v10 offset0:4 offset1:5
	;; [unrolled: 1-line block ×3, first 2 shown]
	v_cmp_ne_u32_e32 vcc_lo, 0, v11
	; wave barrier
	s_waitcnt lgkmcnt(3)
	v_add_nc_u32_e32 v7, v16, v15
	s_waitcnt lgkmcnt(2)
	v_add3_u32 v7, v7, v17, v18
	s_waitcnt lgkmcnt(1)
	v_add3_u32 v7, v7, v19, v20
	;; [unrolled: 2-line block ×3, first 2 shown]
	v_mov_b32_dpp v16, v7 row_shr:1 row_mask:0xf bank_mask:0xf
	v_cndmask_b32_e32 v16, 0, v16, vcc_lo
	v_cmp_lt_u32_e32 vcc_lo, 1, v11
	v_add_nc_u32_e32 v7, v16, v7
	v_mov_b32_dpp v16, v7 row_shr:2 row_mask:0xf bank_mask:0xf
	v_cndmask_b32_e32 v16, 0, v16, vcc_lo
	v_cmp_lt_u32_e32 vcc_lo, 3, v11
	v_add_nc_u32_e32 v7, v7, v16
	;; [unrolled: 4-line block ×3, first 2 shown]
	v_mov_b32_dpp v16, v7 row_shr:8 row_mask:0xf bank_mask:0xf
	v_cndmask_b32_e32 v16, 0, v16, vcc_lo
	v_cmp_gt_i32_e32 vcc_lo, 0, v13
	v_add_nc_u32_e32 v7, v7, v16
	v_cndmask_b32_e32 v17, v13, v8, vcc_lo
	ds_swizzle_b32 v16, v7 offset:swizzle(BROADCAST,32,15)
	v_lshlrev_b32_e32 v17, 2, v17
	s_waitcnt lgkmcnt(0)
	v_and_b32_e32 v16, v12, v16
	v_add_nc_u32_e32 v7, v7, v16
	ds_bpermute_b32 v7, v17, v7
	s_waitcnt lgkmcnt(0)
	v_add_nc_u32_e32 v7, v7, v15
	v_cndmask_b32_e64 v7, v7, v2, s1
	ds_write_b32 v10, v7
	; wave barrier
	ds_read2_b32 v[15:16], v10 offset0:1 offset1:2
	ds_read2_b32 v[17:18], v10 offset0:3 offset1:4
	;; [unrolled: 1-line block ×3, first 2 shown]
	ds_read_b32 v21, v10 offset:28
	s_waitcnt lgkmcnt(3)
	v_add_nc_u32_e32 v7, v15, v7
	v_add_nc_u32_e32 v15, v16, v7
	s_waitcnt lgkmcnt(2)
	v_add_nc_u32_e32 v16, v17, v15
	v_add_nc_u32_e32 v17, v18, v16
	;; [unrolled: 3-line block ×3, first 2 shown]
	s_waitcnt lgkmcnt(0)
	v_add_nc_u32_e32 v20, v21, v19
	ds_write2_b32 v10, v7, v15 offset0:1 offset1:2
	ds_write2_b32 v10, v16, v17 offset0:3 offset1:4
	;; [unrolled: 1-line block ×3, first 2 shown]
	ds_write_b32 v10, v20 offset:28
.LBB200_46:                             ;   in Loop: Header=BB200_42 Depth=1
	s_or_b32 exec_lo, exec_lo, s22
	v_mov_b32_e32 v7, 0
	s_waitcnt lgkmcnt(0)
	s_barrier
	buffer_gl0_inv
	s_and_saveexec_b32 s22, s0
; %bb.47:                               ;   in Loop: Header=BB200_42 Depth=1
	ds_read_b32 v7, v0
; %bb.48:                               ;   in Loop: Header=BB200_42 Depth=1
	s_or_b32 exec_lo, exec_lo, s22
	ds_read_b32 v15, v5 offset:1048
	s_mov_b32 s22, exec_lo
	s_waitcnt lgkmcnt(0)
	s_barrier
	buffer_gl0_inv
	v_cmpx_ne_u32_e32 0, v2
	s_cbranch_execz .LBB200_50
; %bb.49:                               ;   in Loop: Header=BB200_42 Depth=1
	v_add_nc_u32_e32 v21, v7, v3
	v_mad_u64_u32 v[16:17], null, s14, v21, 0
	v_mad_u64_u32 v[18:19], null, s4, v21, 0
	v_mov_b32_e32 v2, v17
	v_mov_b32_e32 v7, v19
	v_mad_u64_u32 v[19:20], null, s15, v21, v[2:3]
	v_mad_u64_u32 v[20:21], null, s5, v21, v[7:8]
	v_mov_b32_e32 v17, v19
	v_mov_b32_e32 v19, v20
	v_lshlrev_b64 v[16:17], 2, v[16:17]
	v_lshlrev_b64 v[18:19], 3, v[18:19]
	v_add_co_u32 v16, vcc_lo, s17, v16
	v_add_co_ci_u32_e64 v17, null, s18, v17, vcc_lo
	v_add_co_u32 v18, vcc_lo, s19, v18
	v_add_co_ci_u32_e64 v19, null, s20, v19, vcc_lo
	global_store_dword v[16:17], v14, off
	global_store_dwordx2 v[18:19], v[4:5], off
.LBB200_50:                             ;   in Loop: Header=BB200_42 Depth=1
	s_or_b32 exec_lo, exec_lo, s22
	v_mov_b32_e32 v2, v5
	v_cmp_le_u64_e32 vcc_lo, s[10:11], v[1:2]
	s_cbranch_vccnz .LBB200_41
; %bb.51:                               ;   in Loop: Header=BB200_42 Depth=1
	ds_write_b32 v9, v6
	s_waitcnt lgkmcnt(0)
	s_waitcnt_vscnt null, 0x0
	s_barrier
	buffer_gl0_inv
	s_and_saveexec_b32 s22, s2
	s_cbranch_execz .LBB200_53
; %bb.52:                               ;   in Loop: Header=BB200_42 Depth=1
	ds_read2_b32 v[16:17], v10 offset1:1
	ds_read2_b32 v[18:19], v10 offset0:2 offset1:3
	ds_read2_b32 v[20:21], v10 offset0:4 offset1:5
	ds_read2_b32 v[22:23], v10 offset0:6 offset1:7
	v_cmp_ne_u32_e32 vcc_lo, 0, v11
	; wave barrier
	s_waitcnt lgkmcnt(3)
	v_add_nc_u32_e32 v2, v17, v16
	s_waitcnt lgkmcnt(2)
	v_add3_u32 v2, v2, v18, v19
	s_waitcnt lgkmcnt(1)
	v_add3_u32 v2, v2, v20, v21
	;; [unrolled: 2-line block ×3, first 2 shown]
	v_mov_b32_dpp v7, v2 row_shr:1 row_mask:0xf bank_mask:0xf
	v_cndmask_b32_e32 v7, 0, v7, vcc_lo
	v_cmp_lt_u32_e32 vcc_lo, 1, v11
	v_add_nc_u32_e32 v2, v7, v2
	v_mov_b32_dpp v7, v2 row_shr:2 row_mask:0xf bank_mask:0xf
	v_cndmask_b32_e32 v7, 0, v7, vcc_lo
	v_cmp_lt_u32_e32 vcc_lo, 3, v11
	v_add_nc_u32_e32 v2, v2, v7
	;; [unrolled: 4-line block ×3, first 2 shown]
	v_mov_b32_dpp v7, v2 row_shr:8 row_mask:0xf bank_mask:0xf
	v_cndmask_b32_e32 v7, 0, v7, vcc_lo
	v_cmp_gt_i32_e32 vcc_lo, 0, v13
	v_add_nc_u32_e32 v2, v2, v7
	v_cndmask_b32_e32 v17, v13, v8, vcc_lo
	ds_swizzle_b32 v7, v2 offset:swizzle(BROADCAST,32,15)
	v_lshlrev_b32_e32 v17, 2, v17
	s_waitcnt lgkmcnt(0)
	v_and_b32_e32 v7, v12, v7
	v_add_nc_u32_e32 v2, v2, v7
	ds_bpermute_b32 v2, v17, v2
	s_waitcnt lgkmcnt(0)
	v_add_nc_u32_e32 v2, v2, v16
	v_cndmask_b32_e64 v2, v2, v6, s1
	ds_write_b32 v10, v2
	; wave barrier
	ds_read2_b32 v[16:17], v10 offset0:1 offset1:2
	ds_read2_b32 v[18:19], v10 offset0:3 offset1:4
	;; [unrolled: 1-line block ×3, first 2 shown]
	ds_read_b32 v7, v10 offset:28
	s_waitcnt lgkmcnt(3)
	v_add_nc_u32_e32 v2, v16, v2
	v_add_nc_u32_e32 v16, v17, v2
	s_waitcnt lgkmcnt(2)
	v_add_nc_u32_e32 v17, v18, v16
	v_add_nc_u32_e32 v18, v19, v17
	;; [unrolled: 3-line block ×3, first 2 shown]
	s_waitcnt lgkmcnt(0)
	v_add_nc_u32_e32 v7, v7, v20
	ds_write2_b32 v10, v2, v16 offset0:1 offset1:2
	ds_write2_b32 v10, v17, v18 offset0:3 offset1:4
	;; [unrolled: 1-line block ×3, first 2 shown]
	ds_write_b32 v10, v7 offset:28
.LBB200_53:                             ;   in Loop: Header=BB200_42 Depth=1
	s_or_b32 exec_lo, exec_lo, s22
	v_mov_b32_e32 v7, 0
	s_waitcnt lgkmcnt(0)
	s_barrier
	buffer_gl0_inv
	s_and_saveexec_b32 s22, s0
; %bb.54:                               ;   in Loop: Header=BB200_42 Depth=1
	ds_read_b32 v7, v0
; %bb.55:                               ;   in Loop: Header=BB200_42 Depth=1
	s_or_b32 exec_lo, exec_lo, s22
	ds_read_b32 v2, v5 offset:1048
	s_mov_b32 s22, exec_lo
	s_waitcnt lgkmcnt(0)
	s_barrier
	buffer_gl0_inv
	v_cmpx_ne_u32_e32 0, v6
	s_cbranch_execz .LBB200_40
; %bb.56:                               ;   in Loop: Header=BB200_42 Depth=1
	v_add_nc_u32_e32 v6, v7, v1
	v_mov_b32_e32 v7, v5
	v_cmp_gt_u64_e32 vcc_lo, s[10:11], v[6:7]
	s_and_b32 exec_lo, exec_lo, vcc_lo
	s_cbranch_execz .LBB200_40
; %bb.57:                               ;   in Loop: Header=BB200_42 Depth=1
	v_mad_u64_u32 v[16:17], null, s14, v6, 0
	v_mad_u64_u32 v[18:19], null, s4, v6, 0
	v_mov_b32_e32 v7, v17
	v_mov_b32_e32 v17, v19
	v_mad_u64_u32 v[19:20], null, s15, v6, v[7:8]
	v_mad_u64_u32 v[6:7], null, s5, v6, v[17:18]
	v_mov_b32_e32 v17, v19
	v_mov_b32_e32 v19, v6
	v_lshlrev_b64 v[6:7], 2, v[16:17]
	v_lshlrev_b64 v[16:17], 3, v[18:19]
	v_add_co_u32 v6, vcc_lo, s17, v6
	v_add_co_ci_u32_e64 v7, null, s18, v7, vcc_lo
	v_add_co_u32 v16, vcc_lo, s19, v16
	v_add_co_ci_u32_e64 v17, null, s20, v17, vcc_lo
	global_store_dword v[6:7], v14, off
	global_store_dwordx2 v[16:17], v[4:5], off
	s_branch .LBB200_40
	.p2align	6
.LBB200_58:                             ;   in Loop: Header=BB200_59 Depth=1
	s_add_u32 s12, s12, 4
	s_addc_u32 s13, s13, 0
	s_waitcnt lgkmcnt(0)
	s_add_i32 s35, s3, s35
	s_add_u32 s14, s14, 4
	s_addc_u32 s15, s15, 0
	s_add_i32 s2, s2, 1
	s_cmp_lt_u32 s2, s7
	s_cbranch_scc0 .LBB200_37
.LBB200_59:                             ; =>This Inner Loop Header: Depth=1
	s_load_dword s3, s[12:13], 0x0
	s_cmp_ge_u32 s2, s50
	s_cbranch_scc1 .LBB200_58
; %bb.60:                               ;   in Loop: Header=BB200_59 Depth=1
	s_load_dword s44, s[14:15], 0x0
	s_waitcnt lgkmcnt(0)
	s_add_i32 s19, s3, s19
	s_add_i32 s18, s44, s18
	s_branch .LBB200_58
.LBB200_61:
	s_endpgm
	.section	.rodata,"a",@progbits
	.p2align	6, 0x0
	.amdhsa_kernel _ZN2at6native6mbtopk10gatherTopKIfmLin1EEEvNS_4cuda6detail10TensorInfoIKT_T0_EES8_S8_bjS8_NS5_IS6_S8_EES8_NS5_IlS8_EES8_jjPS6_PjSD_j
		.amdhsa_group_segment_fixed_size 1068
		.amdhsa_private_segment_fixed_size 0
		.amdhsa_kernarg_size 1592
		.amdhsa_user_sgpr_count 6
		.amdhsa_user_sgpr_private_segment_buffer 1
		.amdhsa_user_sgpr_dispatch_ptr 0
		.amdhsa_user_sgpr_queue_ptr 0
		.amdhsa_user_sgpr_kernarg_segment_ptr 1
		.amdhsa_user_sgpr_dispatch_id 0
		.amdhsa_user_sgpr_flat_scratch_init 0
		.amdhsa_user_sgpr_private_segment_size 0
		.amdhsa_wavefront_size32 1
		.amdhsa_uses_dynamic_stack 0
		.amdhsa_system_sgpr_private_segment_wavefront_offset 0
		.amdhsa_system_sgpr_workgroup_id_x 1
		.amdhsa_system_sgpr_workgroup_id_y 1
		.amdhsa_system_sgpr_workgroup_id_z 1
		.amdhsa_system_sgpr_workgroup_info 0
		.amdhsa_system_vgpr_workitem_id 0
		.amdhsa_next_free_vgpr 24
		.amdhsa_next_free_sgpr 54
		.amdhsa_reserve_vcc 1
		.amdhsa_reserve_flat_scratch 0
		.amdhsa_float_round_mode_32 0
		.amdhsa_float_round_mode_16_64 0
		.amdhsa_float_denorm_mode_32 3
		.amdhsa_float_denorm_mode_16_64 3
		.amdhsa_dx10_clamp 1
		.amdhsa_ieee_mode 1
		.amdhsa_fp16_overflow 0
		.amdhsa_workgroup_processor_mode 1
		.amdhsa_memory_ordered 1
		.amdhsa_forward_progress 1
		.amdhsa_shared_vgpr_count 0
		.amdhsa_exception_fp_ieee_invalid_op 0
		.amdhsa_exception_fp_denorm_src 0
		.amdhsa_exception_fp_ieee_div_zero 0
		.amdhsa_exception_fp_ieee_overflow 0
		.amdhsa_exception_fp_ieee_underflow 0
		.amdhsa_exception_fp_ieee_inexact 0
		.amdhsa_exception_int_div_zero 0
	.end_amdhsa_kernel
	.section	.text._ZN2at6native6mbtopk10gatherTopKIfmLin1EEEvNS_4cuda6detail10TensorInfoIKT_T0_EES8_S8_bjS8_NS5_IS6_S8_EES8_NS5_IlS8_EES8_jjPS6_PjSD_j,"axG",@progbits,_ZN2at6native6mbtopk10gatherTopKIfmLin1EEEvNS_4cuda6detail10TensorInfoIKT_T0_EES8_S8_bjS8_NS5_IS6_S8_EES8_NS5_IlS8_EES8_jjPS6_PjSD_j,comdat
.Lfunc_end200:
	.size	_ZN2at6native6mbtopk10gatherTopKIfmLin1EEEvNS_4cuda6detail10TensorInfoIKT_T0_EES8_S8_bjS8_NS5_IS6_S8_EES8_NS5_IlS8_EES8_jjPS6_PjSD_j, .Lfunc_end200-_ZN2at6native6mbtopk10gatherTopKIfmLin1EEEvNS_4cuda6detail10TensorInfoIKT_T0_EES8_S8_bjS8_NS5_IS6_S8_EES8_NS5_IlS8_EES8_jjPS6_PjSD_j
                                        ; -- End function
	.set _ZN2at6native6mbtopk10gatherTopKIfmLin1EEEvNS_4cuda6detail10TensorInfoIKT_T0_EES8_S8_bjS8_NS5_IS6_S8_EES8_NS5_IlS8_EES8_jjPS6_PjSD_j.num_vgpr, 24
	.set _ZN2at6native6mbtopk10gatherTopKIfmLin1EEEvNS_4cuda6detail10TensorInfoIKT_T0_EES8_S8_bjS8_NS5_IS6_S8_EES8_NS5_IlS8_EES8_jjPS6_PjSD_j.num_agpr, 0
	.set _ZN2at6native6mbtopk10gatherTopKIfmLin1EEEvNS_4cuda6detail10TensorInfoIKT_T0_EES8_S8_bjS8_NS5_IS6_S8_EES8_NS5_IlS8_EES8_jjPS6_PjSD_j.numbered_sgpr, 54
	.set _ZN2at6native6mbtopk10gatherTopKIfmLin1EEEvNS_4cuda6detail10TensorInfoIKT_T0_EES8_S8_bjS8_NS5_IS6_S8_EES8_NS5_IlS8_EES8_jjPS6_PjSD_j.num_named_barrier, 0
	.set _ZN2at6native6mbtopk10gatherTopKIfmLin1EEEvNS_4cuda6detail10TensorInfoIKT_T0_EES8_S8_bjS8_NS5_IS6_S8_EES8_NS5_IlS8_EES8_jjPS6_PjSD_j.private_seg_size, 0
	.set _ZN2at6native6mbtopk10gatherTopKIfmLin1EEEvNS_4cuda6detail10TensorInfoIKT_T0_EES8_S8_bjS8_NS5_IS6_S8_EES8_NS5_IlS8_EES8_jjPS6_PjSD_j.uses_vcc, 1
	.set _ZN2at6native6mbtopk10gatherTopKIfmLin1EEEvNS_4cuda6detail10TensorInfoIKT_T0_EES8_S8_bjS8_NS5_IS6_S8_EES8_NS5_IlS8_EES8_jjPS6_PjSD_j.uses_flat_scratch, 0
	.set _ZN2at6native6mbtopk10gatherTopKIfmLin1EEEvNS_4cuda6detail10TensorInfoIKT_T0_EES8_S8_bjS8_NS5_IS6_S8_EES8_NS5_IlS8_EES8_jjPS6_PjSD_j.has_dyn_sized_stack, 0
	.set _ZN2at6native6mbtopk10gatherTopKIfmLin1EEEvNS_4cuda6detail10TensorInfoIKT_T0_EES8_S8_bjS8_NS5_IS6_S8_EES8_NS5_IlS8_EES8_jjPS6_PjSD_j.has_recursion, 0
	.set _ZN2at6native6mbtopk10gatherTopKIfmLin1EEEvNS_4cuda6detail10TensorInfoIKT_T0_EES8_S8_bjS8_NS5_IS6_S8_EES8_NS5_IlS8_EES8_jjPS6_PjSD_j.has_indirect_call, 0
	.section	.AMDGPU.csdata,"",@progbits
; Kernel info:
; codeLenInByte = 3408
; TotalNumSgprs: 56
; NumVgprs: 24
; ScratchSize: 0
; MemoryBound: 0
; FloatMode: 240
; IeeeMode: 1
; LDSByteSize: 1068 bytes/workgroup (compile time only)
; SGPRBlocks: 0
; VGPRBlocks: 2
; NumSGPRsForWavesPerEU: 56
; NumVGPRsForWavesPerEU: 24
; Occupancy: 16
; WaveLimiterHint : 1
; COMPUTE_PGM_RSRC2:SCRATCH_EN: 0
; COMPUTE_PGM_RSRC2:USER_SGPR: 6
; COMPUTE_PGM_RSRC2:TRAP_HANDLER: 0
; COMPUTE_PGM_RSRC2:TGID_X_EN: 1
; COMPUTE_PGM_RSRC2:TGID_Y_EN: 1
; COMPUTE_PGM_RSRC2:TGID_Z_EN: 1
; COMPUTE_PGM_RSRC2:TIDIG_COMP_CNT: 0
	.section	.text._ZN2at6native6sbtopk10gatherTopKIfmLin1ELb0EEEvNS_4cuda6detail10TensorInfoIKT_T0_EES8_S8_bS8_S8_NS5_IS6_S8_EES8_NS5_IlS8_EES8_PS6_,"axG",@progbits,_ZN2at6native6sbtopk10gatherTopKIfmLin1ELb0EEEvNS_4cuda6detail10TensorInfoIKT_T0_EES8_S8_bS8_S8_NS5_IS6_S8_EES8_NS5_IlS8_EES8_PS6_,comdat
	.protected	_ZN2at6native6sbtopk10gatherTopKIfmLin1ELb0EEEvNS_4cuda6detail10TensorInfoIKT_T0_EES8_S8_bS8_S8_NS5_IS6_S8_EES8_NS5_IlS8_EES8_PS6_ ; -- Begin function _ZN2at6native6sbtopk10gatherTopKIfmLin1ELb0EEEvNS_4cuda6detail10TensorInfoIKT_T0_EES8_S8_bS8_S8_NS5_IS6_S8_EES8_NS5_IlS8_EES8_PS6_
	.globl	_ZN2at6native6sbtopk10gatherTopKIfmLin1ELb0EEEvNS_4cuda6detail10TensorInfoIKT_T0_EES8_S8_bS8_S8_NS5_IS6_S8_EES8_NS5_IlS8_EES8_PS6_
	.p2align	8
	.type	_ZN2at6native6sbtopk10gatherTopKIfmLin1ELb0EEEvNS_4cuda6detail10TensorInfoIKT_T0_EES8_S8_bS8_S8_NS5_IS6_S8_EES8_NS5_IlS8_EES8_PS6_,@function
_ZN2at6native6sbtopk10gatherTopKIfmLin1ELb0EEEvNS_4cuda6detail10TensorInfoIKT_T0_EES8_S8_bS8_S8_NS5_IS6_S8_EES8_NS5_IlS8_EES8_PS6_: ; @_ZN2at6native6sbtopk10gatherTopKIfmLin1ELb0EEEvNS_4cuda6detail10TensorInfoIKT_T0_EES8_S8_bS8_S8_NS5_IS6_S8_EES8_NS5_IlS8_EES8_PS6_
; %bb.0:
	s_clause 0x1
	s_load_dwordx2 s[12:13], s[4:5], 0x520
	s_load_dwordx4 s[24:27], s[4:5], 0x1b8
	s_add_u32 s10, s4, 0x520
	s_addc_u32 s11, s5, 0
	s_mov_b32 s3, 0
	s_waitcnt lgkmcnt(0)
	s_mul_i32 s0, s13, s8
	s_add_i32 s0, s0, s7
	s_mul_i32 s0, s0, s12
	s_add_i32 s2, s0, s6
	v_cmp_le_u64_e64 s0, s[24:25], s[2:3]
	s_and_b32 vcc_lo, exec_lo, s0
	s_cbranch_vccnz .LBB201_508
; %bb.1:
	s_load_dword s7, s[4:5], 0x198
	s_mov_b64 s[0:1], 0
	s_mov_b64 s[8:9], s[2:3]
	s_waitcnt lgkmcnt(0)
	s_cmp_lt_i32 s7, 2
	s_cbranch_scc1 .LBB201_9
; %bb.2:
	s_mov_b32 s14, 0
	s_add_i32 s0, s7, -1
	s_mov_b32 s1, s14
	s_add_i32 s7, s7, 1
	s_lshl_b64 s[8:9], s[0:1], 3
	s_mov_b64 s[0:1], 0
	s_add_u32 s8, s4, s8
	s_addc_u32 s9, s5, s9
	s_add_u32 s16, s8, 8
	s_addc_u32 s17, s9, 0
	s_mov_b64 s[18:19], s[2:3]
.LBB201_3:                              ; =>This Inner Loop Header: Depth=1
	s_load_dwordx2 s[20:21], s[16:17], 0x0
	s_mov_b32 s13, -1
	s_waitcnt lgkmcnt(0)
	s_or_b64 s[8:9], s[18:19], s[20:21]
	s_mov_b32 s15, s9
                                        ; implicit-def: $sgpr8_sgpr9
	s_cmp_lg_u64 s[14:15], 0
	s_cbranch_scc0 .LBB201_5
; %bb.4:                                ;   in Loop: Header=BB201_3 Depth=1
	v_cvt_f32_u32_e32 v1, s20
	v_cvt_f32_u32_e32 v2, s21
	s_sub_u32 s13, 0, s20
	s_subb_u32 s15, 0, s21
	v_fmac_f32_e32 v1, 0x4f800000, v2
	v_rcp_f32_e32 v1, v1
	v_mul_f32_e32 v1, 0x5f7ffffc, v1
	v_mul_f32_e32 v2, 0x2f800000, v1
	v_trunc_f32_e32 v2, v2
	v_fmac_f32_e32 v1, 0xcf800000, v2
	v_cvt_u32_f32_e32 v2, v2
	v_cvt_u32_f32_e32 v1, v1
	v_readfirstlane_b32 s8, v2
	v_readfirstlane_b32 s9, v1
	s_mul_i32 s22, s13, s8
	s_mul_hi_u32 s24, s13, s9
	s_mul_i32 s23, s15, s9
	s_add_i32 s22, s24, s22
	s_mul_i32 s25, s13, s9
	s_add_i32 s22, s22, s23
	s_mul_hi_u32 s24, s9, s25
	s_mul_i32 s29, s9, s22
	s_mul_hi_u32 s28, s8, s25
	s_mul_i32 s23, s8, s25
	s_mul_hi_u32 s25, s9, s22
	s_add_u32 s24, s24, s29
	s_addc_u32 s25, 0, s25
	s_mul_hi_u32 s30, s8, s22
	s_add_u32 s23, s24, s23
	s_mul_i32 s22, s8, s22
	s_addc_u32 s23, s25, s28
	s_addc_u32 s24, s30, 0
	s_add_u32 s22, s23, s22
	s_addc_u32 s23, 0, s24
	s_add_u32 s9, s9, s22
	s_cselect_b32 s22, -1, 0
	s_mul_hi_u32 s24, s13, s9
	s_cmp_lg_u32 s22, 0
	s_mul_i32 s22, s13, s9
	s_addc_u32 s8, s8, s23
	s_mul_i32 s15, s15, s9
	s_mul_i32 s13, s13, s8
	s_mul_hi_u32 s23, s9, s22
	s_add_i32 s13, s24, s13
	s_mul_hi_u32 s24, s8, s22
	s_add_i32 s13, s13, s15
	s_mul_i32 s15, s8, s22
	s_mul_i32 s28, s9, s13
	s_mul_hi_u32 s25, s9, s13
	s_add_u32 s23, s23, s28
	s_addc_u32 s25, 0, s25
	s_mul_hi_u32 s22, s8, s13
	s_add_u32 s15, s23, s15
	s_mul_i32 s13, s8, s13
	s_addc_u32 s15, s25, s24
	s_addc_u32 s22, s22, 0
	s_add_u32 s13, s15, s13
	s_addc_u32 s15, 0, s22
	s_add_u32 s9, s9, s13
	s_cselect_b32 s13, -1, 0
	s_mul_hi_u32 s22, s18, s9
	s_cmp_lg_u32 s13, 0
	s_mul_hi_u32 s13, s19, s9
	s_addc_u32 s8, s8, s15
	s_mul_i32 s9, s19, s9
	s_mul_i32 s23, s18, s8
	s_mul_hi_u32 s15, s18, s8
	s_add_u32 s22, s22, s23
	s_addc_u32 s15, 0, s15
	s_mul_hi_u32 s24, s19, s8
	s_add_u32 s9, s22, s9
	s_mul_i32 s8, s19, s8
	s_addc_u32 s9, s15, s13
	s_addc_u32 s13, s24, 0
	s_add_u32 s8, s9, s8
	s_addc_u32 s9, 0, s13
	s_mul_hi_u32 s13, s20, s8
	s_mul_i32 s15, s20, s9
	s_mul_i32 s22, s21, s8
	s_add_i32 s13, s13, s15
	s_mul_i32 s15, s20, s8
	s_add_i32 s13, s13, s22
	s_sub_i32 s22, s19, s13
	s_sub_u32 s15, s18, s15
	s_cselect_b32 s23, -1, 0
	s_cmp_lg_u32 s23, 0
	s_subb_u32 s22, s22, s21
	s_sub_u32 s24, s15, s20
	s_cselect_b32 s25, -1, 0
	s_cmp_lg_u32 s25, 0
	s_subb_u32 s22, s22, 0
	s_cmp_ge_u32 s22, s21
	s_cselect_b32 s25, -1, 0
	s_cmp_ge_u32 s24, s20
	s_cselect_b32 s24, -1, 0
	s_cmp_eq_u32 s22, s21
	s_cselect_b32 s22, s24, s25
	s_add_u32 s24, s8, 1
	s_addc_u32 s25, s9, 0
	s_add_u32 s28, s8, 2
	s_addc_u32 s29, s9, 0
	s_cmp_lg_u32 s22, 0
	s_cselect_b32 s22, s28, s24
	s_cselect_b32 s24, s29, s25
	s_cmp_lg_u32 s23, 0
	s_subb_u32 s13, s19, s13
	s_cmp_ge_u32 s13, s21
	s_cselect_b32 s23, -1, 0
	s_cmp_ge_u32 s15, s20
	s_cselect_b32 s15, -1, 0
	s_cmp_eq_u32 s13, s21
	s_cselect_b32 s13, s15, s23
	s_cmp_lg_u32 s13, 0
	s_mov_b32 s13, 0
	s_cselect_b32 s9, s24, s9
	s_cselect_b32 s8, s22, s8
.LBB201_5:                              ;   in Loop: Header=BB201_3 Depth=1
	s_andn2_b32 vcc_lo, exec_lo, s13
	s_cbranch_vccnz .LBB201_7
; %bb.6:                                ;   in Loop: Header=BB201_3 Depth=1
	v_cvt_f32_u32_e32 v1, s20
	s_sub_i32 s9, 0, s20
	v_rcp_iflag_f32_e32 v1, v1
	v_mul_f32_e32 v1, 0x4f7ffffe, v1
	v_cvt_u32_f32_e32 v1, v1
	v_readfirstlane_b32 s8, v1
	s_mul_i32 s9, s9, s8
	s_mul_hi_u32 s9, s8, s9
	s_add_i32 s8, s8, s9
	s_mul_hi_u32 s8, s18, s8
	s_mul_i32 s9, s8, s20
	s_add_i32 s13, s8, 1
	s_sub_i32 s9, s18, s9
	s_sub_i32 s15, s9, s20
	s_cmp_ge_u32 s9, s20
	s_cselect_b32 s8, s13, s8
	s_cselect_b32 s9, s15, s9
	s_add_i32 s13, s8, 1
	s_cmp_ge_u32 s9, s20
	s_mov_b32 s9, s14
	s_cselect_b32 s8, s13, s8
.LBB201_7:                              ;   in Loop: Header=BB201_3 Depth=1
	s_load_dwordx2 s[22:23], s[16:17], 0xc8
	s_mul_i32 s13, s8, s21
	s_mul_hi_u32 s15, s8, s20
	s_mul_i32 s21, s9, s20
	s_add_i32 s13, s15, s13
	s_mul_i32 s15, s8, s20
	s_add_i32 s13, s13, s21
	s_sub_u32 s15, s18, s15
	s_subb_u32 s13, s19, s13
	s_waitcnt lgkmcnt(0)
	s_mul_i32 s13, s22, s13
	s_mul_hi_u32 s18, s22, s15
	s_mul_i32 s19, s23, s15
	s_add_i32 s13, s18, s13
	s_mul_i32 s15, s22, s15
	s_add_i32 s13, s13, s19
	s_add_u32 s0, s15, s0
	s_addc_u32 s1, s13, s1
	s_add_i32 s7, s7, -1
	s_add_u32 s16, s16, -8
	s_addc_u32 s17, s17, -1
	s_cmp_gt_u32 s7, 2
	s_cbranch_scc0 .LBB201_9
; %bb.8:                                ;   in Loop: Header=BB201_3 Depth=1
	s_mov_b64 s[18:19], s[8:9]
	s_branch .LBB201_3
.LBB201_9:
	s_clause 0x1
	s_load_dword s7, s[4:5], 0x360
	s_load_dwordx2 s[14:15], s[4:5], 0xd0
	s_add_u32 s16, s4, 0x1c8
	s_addc_u32 s17, s5, 0
	s_mov_b64 s[34:35], 0
	s_mov_b64 s[36:37], s[2:3]
	s_waitcnt lgkmcnt(0)
	s_cmp_lt_i32 s7, 2
	s_cbranch_scc1 .LBB201_17
; %bb.10:
	s_mov_b32 s18, 0
	s_add_i32 s20, s7, -1
	s_mov_b32 s21, s18
	s_add_i32 s7, s7, 1
	s_lshl_b64 s[20:21], s[20:21], 3
	s_mov_b64 s[22:23], s[2:3]
	s_add_u32 s13, s16, s20
	s_addc_u32 s19, s17, s21
	s_add_u32 s20, s13, 8
	s_addc_u32 s21, s19, 0
.LBB201_11:                             ; =>This Inner Loop Header: Depth=1
	s_load_dwordx2 s[24:25], s[20:21], 0x0
	s_mov_b32 s13, -1
                                        ; implicit-def: $sgpr36_sgpr37
	s_waitcnt lgkmcnt(0)
	s_or_b64 s[28:29], s[22:23], s[24:25]
	s_mov_b32 s19, s29
	s_cmp_lg_u64 s[18:19], 0
	s_cbranch_scc0 .LBB201_13
; %bb.12:                               ;   in Loop: Header=BB201_11 Depth=1
	v_cvt_f32_u32_e32 v1, s24
	v_cvt_f32_u32_e32 v2, s25
	s_sub_u32 s28, 0, s24
	s_subb_u32 s29, 0, s25
	v_fmac_f32_e32 v1, 0x4f800000, v2
	v_rcp_f32_e32 v1, v1
	v_mul_f32_e32 v1, 0x5f7ffffc, v1
	v_mul_f32_e32 v2, 0x2f800000, v1
	v_trunc_f32_e32 v2, v2
	v_fmac_f32_e32 v1, 0xcf800000, v2
	v_cvt_u32_f32_e32 v2, v2
	v_cvt_u32_f32_e32 v1, v1
	v_readfirstlane_b32 s13, v2
	v_readfirstlane_b32 s19, v1
	s_mul_i32 s30, s28, s13
	s_mul_hi_u32 s33, s28, s19
	s_mul_i32 s31, s29, s19
	s_add_i32 s30, s33, s30
	s_mul_i32 s36, s28, s19
	s_add_i32 s30, s30, s31
	s_mul_hi_u32 s33, s19, s36
	s_mul_i32 s38, s19, s30
	s_mul_hi_u32 s37, s13, s36
	s_mul_i32 s31, s13, s36
	s_mul_hi_u32 s36, s19, s30
	s_add_u32 s33, s33, s38
	s_addc_u32 s36, 0, s36
	s_mul_hi_u32 s39, s13, s30
	s_add_u32 s31, s33, s31
	s_mul_i32 s30, s13, s30
	s_addc_u32 s31, s36, s37
	s_addc_u32 s33, s39, 0
	s_add_u32 s30, s31, s30
	s_addc_u32 s31, 0, s33
	s_add_u32 s19, s19, s30
	s_cselect_b32 s30, -1, 0
	s_mul_hi_u32 s33, s28, s19
	s_cmp_lg_u32 s30, 0
	s_mul_i32 s30, s28, s19
	s_addc_u32 s13, s13, s31
	s_mul_i32 s29, s29, s19
	s_mul_i32 s28, s28, s13
	s_mul_hi_u32 s31, s19, s30
	s_add_i32 s28, s33, s28
	s_mul_hi_u32 s33, s13, s30
	s_add_i32 s28, s28, s29
	s_mul_i32 s29, s13, s30
	s_mul_i32 s37, s19, s28
	s_mul_hi_u32 s36, s19, s28
	s_add_u32 s31, s31, s37
	s_addc_u32 s36, 0, s36
	s_mul_hi_u32 s30, s13, s28
	s_add_u32 s29, s31, s29
	s_mul_i32 s28, s13, s28
	s_addc_u32 s29, s36, s33
	s_addc_u32 s30, s30, 0
	s_add_u32 s28, s29, s28
	s_addc_u32 s29, 0, s30
	s_add_u32 s19, s19, s28
	s_cselect_b32 s28, -1, 0
	s_mul_hi_u32 s30, s22, s19
	s_cmp_lg_u32 s28, 0
	s_mul_hi_u32 s28, s23, s19
	s_addc_u32 s13, s13, s29
	s_mul_i32 s19, s23, s19
	s_mul_i32 s31, s22, s13
	s_mul_hi_u32 s29, s22, s13
	s_add_u32 s30, s30, s31
	s_addc_u32 s29, 0, s29
	s_mul_hi_u32 s33, s23, s13
	s_add_u32 s19, s30, s19
	s_mul_i32 s13, s23, s13
	s_addc_u32 s19, s29, s28
	s_addc_u32 s28, s33, 0
	s_add_u32 s13, s19, s13
	s_addc_u32 s19, 0, s28
	s_mul_hi_u32 s28, s24, s13
	s_mul_i32 s29, s24, s19
	s_mul_i32 s30, s25, s13
	s_add_i32 s28, s28, s29
	s_mul_i32 s29, s24, s13
	s_add_i32 s28, s28, s30
	s_sub_i32 s30, s23, s28
	s_sub_u32 s29, s22, s29
	s_cselect_b32 s31, -1, 0
	s_cmp_lg_u32 s31, 0
	s_subb_u32 s30, s30, s25
	s_sub_u32 s33, s29, s24
	s_cselect_b32 s36, -1, 0
	s_cmp_lg_u32 s36, 0
	s_subb_u32 s30, s30, 0
	s_cmp_ge_u32 s30, s25
	s_cselect_b32 s36, -1, 0
	s_cmp_ge_u32 s33, s24
	s_cselect_b32 s33, -1, 0
	s_cmp_eq_u32 s30, s25
	s_cselect_b32 s30, s33, s36
	s_add_u32 s33, s13, 1
	s_addc_u32 s36, s19, 0
	s_add_u32 s37, s13, 2
	s_addc_u32 s38, s19, 0
	s_cmp_lg_u32 s30, 0
	s_cselect_b32 s30, s37, s33
	s_cselect_b32 s33, s38, s36
	s_cmp_lg_u32 s31, 0
	s_subb_u32 s28, s23, s28
	s_cmp_ge_u32 s28, s25
	s_cselect_b32 s31, -1, 0
	s_cmp_ge_u32 s29, s24
	s_cselect_b32 s29, -1, 0
	s_cmp_eq_u32 s28, s25
	s_cselect_b32 s28, s29, s31
	s_cmp_lg_u32 s28, 0
	s_cselect_b32 s37, s33, s19
	s_cselect_b32 s36, s30, s13
	s_mov_b32 s13, 0
.LBB201_13:                             ;   in Loop: Header=BB201_11 Depth=1
	s_andn2_b32 vcc_lo, exec_lo, s13
	s_cbranch_vccnz .LBB201_15
; %bb.14:                               ;   in Loop: Header=BB201_11 Depth=1
	v_cvt_f32_u32_e32 v1, s24
	s_sub_i32 s19, 0, s24
	s_mov_b32 s37, s18
	v_rcp_iflag_f32_e32 v1, v1
	v_mul_f32_e32 v1, 0x4f7ffffe, v1
	v_cvt_u32_f32_e32 v1, v1
	v_readfirstlane_b32 s13, v1
	s_mul_i32 s19, s19, s13
	s_mul_hi_u32 s19, s13, s19
	s_add_i32 s13, s13, s19
	s_mul_hi_u32 s13, s22, s13
	s_mul_i32 s19, s13, s24
	s_add_i32 s28, s13, 1
	s_sub_i32 s19, s22, s19
	s_sub_i32 s29, s19, s24
	s_cmp_ge_u32 s19, s24
	s_cselect_b32 s13, s28, s13
	s_cselect_b32 s19, s29, s19
	s_add_i32 s28, s13, 1
	s_cmp_ge_u32 s19, s24
	s_cselect_b32 s36, s28, s13
.LBB201_15:                             ;   in Loop: Header=BB201_11 Depth=1
	s_load_dwordx2 s[28:29], s[20:21], 0xc8
	s_mul_i32 s13, s36, s25
	s_mul_hi_u32 s19, s36, s24
	s_mul_i32 s25, s37, s24
	s_add_i32 s13, s19, s13
	s_mul_i32 s19, s36, s24
	s_add_i32 s13, s13, s25
	s_sub_u32 s19, s22, s19
	s_subb_u32 s13, s23, s13
	s_waitcnt lgkmcnt(0)
	s_mul_i32 s13, s28, s13
	s_mul_hi_u32 s22, s28, s19
	s_mul_i32 s23, s29, s19
	s_add_i32 s13, s22, s13
	s_mul_i32 s19, s28, s19
	s_add_i32 s13, s13, s23
	s_add_u32 s34, s19, s34
	s_addc_u32 s35, s13, s35
	s_add_i32 s7, s7, -1
	s_add_u32 s20, s20, -8
	s_addc_u32 s21, s21, -1
	s_cmp_gt_u32 s7, 2
	s_cbranch_scc0 .LBB201_17
; %bb.16:                               ;   in Loop: Header=BB201_11 Depth=1
	s_mov_b64 s[22:23], s[36:37]
	s_branch .LBB201_11
.LBB201_17:
	s_clause 0x1
	s_load_dword s7, s[4:5], 0x508
	s_load_dwordx2 s[16:17], s[16:17], 0xd0
                                        ; implicit-def: $vgpr49 : SGPR spill to VGPR lane
	s_add_u32 s13, s4, 0x370
	s_mov_b64 s[42:43], 0
	s_waitcnt lgkmcnt(0)
	v_writelane_b32 v49, s16, 0
	v_writelane_b32 v49, s17, 1
	s_addc_u32 s17, s5, 0
	s_cmp_lt_i32 s7, 2
	s_cbranch_scc1 .LBB201_25
; %bb.18:
	s_mov_b32 s16, 0
	s_add_i32 s18, s7, -1
	s_mov_b32 s19, s16
	s_add_i32 s7, s7, 1
	s_lshl_b64 s[18:19], s[18:19], 3
	s_add_u32 s13, s13, s18
	s_addc_u32 s17, s17, s19
	s_add_u32 s18, s13, 8
	s_addc_u32 s19, s17, 0
.LBB201_19:                             ; =>This Inner Loop Header: Depth=1
	s_load_dwordx2 s[20:21], s[18:19], 0x0
	s_mov_b32 s13, -1
                                        ; implicit-def: $sgpr50_sgpr51
	s_waitcnt lgkmcnt(0)
	s_or_b64 s[22:23], s[2:3], s[20:21]
	s_mov_b32 s17, s23
	s_cmp_lg_u64 s[16:17], 0
	s_cbranch_scc0 .LBB201_21
; %bb.20:                               ;   in Loop: Header=BB201_19 Depth=1
	v_cvt_f32_u32_e32 v1, s20
	v_cvt_f32_u32_e32 v2, s21
	s_sub_u32 s22, 0, s20
	s_subb_u32 s23, 0, s21
	v_fmac_f32_e32 v1, 0x4f800000, v2
	v_rcp_f32_e32 v1, v1
	v_mul_f32_e32 v1, 0x5f7ffffc, v1
	v_mul_f32_e32 v2, 0x2f800000, v1
	v_trunc_f32_e32 v2, v2
	v_fmac_f32_e32 v1, 0xcf800000, v2
	v_cvt_u32_f32_e32 v2, v2
	v_cvt_u32_f32_e32 v1, v1
	v_readfirstlane_b32 s13, v2
	v_readfirstlane_b32 s17, v1
	s_mul_i32 s24, s22, s13
	s_mul_hi_u32 s28, s22, s17
	s_mul_i32 s25, s23, s17
	s_add_i32 s24, s28, s24
	s_mul_i32 s29, s22, s17
	s_add_i32 s24, s24, s25
	s_mul_hi_u32 s28, s17, s29
	s_mul_i32 s31, s17, s24
	s_mul_hi_u32 s30, s13, s29
	s_mul_i32 s25, s13, s29
	s_mul_hi_u32 s29, s17, s24
	s_add_u32 s28, s28, s31
	s_addc_u32 s29, 0, s29
	s_mul_hi_u32 s33, s13, s24
	s_add_u32 s25, s28, s25
	s_mul_i32 s24, s13, s24
	s_addc_u32 s25, s29, s30
	s_addc_u32 s28, s33, 0
	s_add_u32 s24, s25, s24
	s_addc_u32 s25, 0, s28
	s_add_u32 s17, s17, s24
	s_cselect_b32 s24, -1, 0
	s_mul_hi_u32 s28, s22, s17
	s_cmp_lg_u32 s24, 0
	s_mul_i32 s24, s22, s17
	s_addc_u32 s13, s13, s25
	s_mul_i32 s23, s23, s17
	s_mul_i32 s22, s22, s13
	s_mul_hi_u32 s25, s17, s24
	s_add_i32 s22, s28, s22
	s_mul_hi_u32 s28, s13, s24
	s_add_i32 s22, s22, s23
	s_mul_i32 s23, s13, s24
	s_mul_i32 s30, s17, s22
	s_mul_hi_u32 s29, s17, s22
	s_add_u32 s25, s25, s30
	s_addc_u32 s29, 0, s29
	s_mul_hi_u32 s24, s13, s22
	s_add_u32 s23, s25, s23
	s_mul_i32 s22, s13, s22
	s_addc_u32 s23, s29, s28
	s_addc_u32 s24, s24, 0
	s_add_u32 s22, s23, s22
	s_addc_u32 s23, 0, s24
	s_add_u32 s17, s17, s22
	s_cselect_b32 s22, -1, 0
	s_mul_hi_u32 s24, s2, s17
	s_cmp_lg_u32 s22, 0
	s_mul_hi_u32 s22, s3, s17
	s_addc_u32 s13, s13, s23
	s_mul_i32 s17, s3, s17
	s_mul_i32 s25, s2, s13
	s_mul_hi_u32 s23, s2, s13
	s_add_u32 s24, s24, s25
	s_addc_u32 s23, 0, s23
	s_mul_hi_u32 s28, s3, s13
	s_add_u32 s17, s24, s17
	s_mul_i32 s13, s3, s13
	s_addc_u32 s17, s23, s22
	s_addc_u32 s22, s28, 0
	s_add_u32 s13, s17, s13
	s_addc_u32 s17, 0, s22
	s_mul_hi_u32 s22, s20, s13
	s_mul_i32 s23, s20, s17
	s_mul_i32 s24, s21, s13
	s_add_i32 s22, s22, s23
	s_mul_i32 s23, s20, s13
	s_add_i32 s22, s22, s24
	s_sub_i32 s24, s3, s22
	s_sub_u32 s23, s2, s23
	s_cselect_b32 s25, -1, 0
	s_cmp_lg_u32 s25, 0
	s_subb_u32 s24, s24, s21
	s_sub_u32 s28, s23, s20
	s_cselect_b32 s29, -1, 0
	s_cmp_lg_u32 s29, 0
	s_subb_u32 s24, s24, 0
	s_cmp_ge_u32 s24, s21
	s_cselect_b32 s29, -1, 0
	s_cmp_ge_u32 s28, s20
	s_cselect_b32 s28, -1, 0
	s_cmp_eq_u32 s24, s21
	s_cselect_b32 s24, s28, s29
	s_add_u32 s28, s13, 1
	s_addc_u32 s29, s17, 0
	s_add_u32 s30, s13, 2
	s_addc_u32 s31, s17, 0
	s_cmp_lg_u32 s24, 0
	s_cselect_b32 s24, s30, s28
	s_cselect_b32 s28, s31, s29
	s_cmp_lg_u32 s25, 0
	s_subb_u32 s22, s3, s22
	s_cmp_ge_u32 s22, s21
	s_cselect_b32 s25, -1, 0
	s_cmp_ge_u32 s23, s20
	s_cselect_b32 s23, -1, 0
	s_cmp_eq_u32 s22, s21
	s_cselect_b32 s22, s23, s25
	s_cmp_lg_u32 s22, 0
	s_cselect_b32 s51, s28, s17
	s_cselect_b32 s50, s24, s13
	s_mov_b32 s13, 0
.LBB201_21:                             ;   in Loop: Header=BB201_19 Depth=1
	s_andn2_b32 vcc_lo, exec_lo, s13
	s_cbranch_vccnz .LBB201_23
; %bb.22:                               ;   in Loop: Header=BB201_19 Depth=1
	v_cvt_f32_u32_e32 v1, s20
	s_sub_i32 s17, 0, s20
	s_mov_b32 s51, s16
	v_rcp_iflag_f32_e32 v1, v1
	v_mul_f32_e32 v1, 0x4f7ffffe, v1
	v_cvt_u32_f32_e32 v1, v1
	v_readfirstlane_b32 s13, v1
	s_mul_i32 s17, s17, s13
	s_mul_hi_u32 s17, s13, s17
	s_add_i32 s13, s13, s17
	s_mul_hi_u32 s13, s2, s13
	s_mul_i32 s17, s13, s20
	s_add_i32 s22, s13, 1
	s_sub_i32 s17, s2, s17
	s_sub_i32 s23, s17, s20
	s_cmp_ge_u32 s17, s20
	s_cselect_b32 s13, s22, s13
	s_cselect_b32 s17, s23, s17
	s_add_i32 s22, s13, 1
	s_cmp_ge_u32 s17, s20
	s_cselect_b32 s50, s22, s13
.LBB201_23:                             ;   in Loop: Header=BB201_19 Depth=1
	s_load_dwordx2 s[22:23], s[18:19], 0xc8
	s_mul_i32 s13, s50, s21
	s_mul_hi_u32 s17, s50, s20
	s_mul_i32 s21, s51, s20
	s_add_i32 s13, s17, s13
	s_mul_i32 s17, s50, s20
	s_add_i32 s13, s13, s21
	s_sub_u32 s2, s2, s17
	s_subb_u32 s3, s3, s13
	s_waitcnt lgkmcnt(0)
	s_mul_i32 s3, s22, s3
	s_mul_hi_u32 s13, s22, s2
	s_mul_i32 s17, s23, s2
	s_add_i32 s3, s13, s3
	s_mul_i32 s2, s22, s2
	s_add_i32 s3, s3, s17
	s_add_u32 s42, s2, s42
	s_addc_u32 s43, s3, s43
	s_add_i32 s7, s7, -1
	s_add_u32 s18, s18, -8
	s_addc_u32 s19, s19, -1
	s_cmp_gt_u32 s7, 2
	s_cbranch_scc0 .LBB201_26
; %bb.24:                               ;   in Loop: Header=BB201_19 Depth=1
	s_mov_b64 s[2:3], s[50:51]
	s_branch .LBB201_19
.LBB201_25:
	s_mov_b64 s[50:51], s[2:3]
.LBB201_26:
	s_clause 0x2
	s_load_dwordx4 s[28:31], s[4:5], 0x1a0
	s_load_dwordx2 s[16:17], s[4:5], 0x0
	s_load_dwordx2 s[2:3], s[4:5], 0x1c8
	s_mov_b32 s59, 0
	s_waitcnt lgkmcnt(0)
	v_writelane_b32 v49, s2, 2
	v_writelane_b32 v49, s3, 3
	s_load_dwordx2 s[2:3], s[4:5], 0x370
	s_waitcnt lgkmcnt(0)
	v_writelane_b32 v49, s2, 4
	v_writelane_b32 v49, s3, 5
	v_cmp_eq_u32_e64 s3, 0, v0
	s_and_saveexec_b32 s2, s3
	s_cbranch_execz .LBB201_28
; %bb.27:
	v_mov_b32_e32 v1, 0
	v_mov_b32_e32 v3, s28
	;; [unrolled: 1-line block ×4, first 2 shown]
	ds_write_b32 v1, v1 offset:5144
	ds_write_b128 v1, v[1:4] offset:5120
.LBB201_28:
	s_or_b32 exec_lo, exec_lo, s2
	s_mul_i32 s2, s14, s9
	s_mul_hi_u32 s7, s14, s8
	s_load_dword s13, s[4:5], 0x1b0
	s_add_i32 s2, s7, s2
	s_mul_i32 s7, s15, s8
	s_waitcnt lgkmcnt(0)
	s_add_i32 s9, s2, s7
	s_barrier
	buffer_gl0_inv
	s_load_dword s2, s[10:11], 0xc
	s_mul_i32 s8, s14, s8
	v_mbcnt_lo_u32_b32 v42, -1, 0
	s_lshl_b64 s[18:19], s[8:9], 2
	v_cmp_gt_u32_e32 vcc_lo, 32, v0
	s_add_u32 s14, s16, s18
	s_addc_u32 s15, s17, s19
	s_lshl_b64 s[48:49], s[0:1], 2
	v_cmp_gt_i32_e64 s1, 4, v42
	s_add_u32 s84, s14, s48
	s_addc_u32 s85, s15, s49
	v_mad_u64_u32 v[2:3], null, s26, v0, 0
	s_bitcmp1_b32 s13, 0
	v_lshlrev_b32_e32 v44, 4, v0
	s_cselect_b32 s94, -1, 0
	s_and_b32 s87, vcc_lo, s1
	s_xor_b32 s86, s94, -1
	v_lshlrev_b64 v[6:7], v42, -1
	v_or_b32_e32 v9, 12, v44
	s_waitcnt lgkmcnt(0)
	s_and_b32 s33, s2, 0xffff
	s_bfe_u32 s2, s2, 0xb0005
	s_bfe_u32 s7, s33, 0x80008
	v_or_b32_e32 v12, 8, v44
	s_lshl_b32 s89, s7, 3
	s_cmp_gt_u32 s33, 31
	v_or_b32_e32 v23, 4, v44
	s_cselect_b32 s90, -1, 0
	s_add_u32 s91, s33, -1
	s_addc_u32 s92, 0, -1
	s_add_u32 s93, s91, s28
	s_addc_u32 s61, s92, s29
	s_cmp_lt_u32 s6, s12
	v_mov_b32_e32 v1, v3
	s_cselect_b32 s6, 12, 18
	v_mad_u64_u32 v[16:17], null, s26, v9, s[14:15]
	s_add_u32 s62, s10, s6
	s_addc_u32 s63, s11, 0
	s_add_i32 s2, s2, -1
	v_mad_u64_u32 v[18:19], null, s26, v12, s[14:15]
	s_and_b32 s2, s2, 0xffff
	v_mad_u64_u32 v[20:21], null, s26, v23, s[14:15]
	s_bfe_u32 s7, s33, 0x30005
	v_mad_u64_u32 v[3:4], null, s27, v0, v[1:2]
	s_cmp_gt_u32 s2, 6
	s_movk_i32 s6, 0x3e0
	s_cselect_b32 s95, -1, 0
	s_cmp_lg_u32 s7, 0
	v_writelane_b32 v49, s7, 6
	s_cselect_b32 s96, -1, 0
	s_add_u32 s2, s18, s48
	v_and_or_b32 v45, v0, s6, 0xc00
	s_addc_u32 s6, s19, s49
	v_not_b32_e32 v41, v6
	v_mov_b32_e32 v6, v17
	v_mov_b32_e32 v7, v19
	v_mov_b32_e32 v8, v21
	s_add_u32 s10, s16, s2
	s_addc_u32 s11, s17, s6
	v_lshlrev_b64 v[4:5], 2, v[2:3]
	v_writelane_b32 v49, s10, 7
	v_mov_b32_e32 v13, 0
	v_lshlrev_b64 v[2:3], 4, v[2:3]
	v_mad_u64_u32 v[21:22], null, s27, v9, v[6:7]
	v_mad_u64_u32 v[6:7], null, s27, v12, v[7:8]
	;; [unrolled: 1-line block ×3, first 2 shown]
	v_writelane_b32 v49, s11, 8
	s_lshl_b64 s[66:67], s[26:27], 2
	s_lshl_b64 s[68:69], s[26:27], 4
	s_lshl_b32 s97, s33, 2
	v_mov_b32_e32 v1, v13
	v_add_co_u32 v10, vcc_lo, s84, v4
	s_add_u32 s2, s16, s48
	v_lshlrev_b32_e32 v14, 2, v0
	s_addc_u32 s6, s17, s49
	v_add_co_ci_u32_e64 v11, null, s85, v5, vcc_lo
	v_add_co_u32 v22, vcc_lo, s14, v2
	s_add_u32 s2, s2, s18
	v_add_co_ci_u32_e64 v23, null, s15, v3, vcc_lo
	v_writelane_b32 v49, s18, 9
	s_addc_u32 s10, s6, s19
	v_add_co_u32 v24, vcc_lo, s2, v4
	v_cmp_lt_u64_e64 s88, 0x300, s[28:29]
	v_cmp_gt_u64_e64 s1, s[28:29], v[0:1]
	s_mul_i32 s7, s27, s33
	s_mul_hi_u32 s9, s26, s33
	v_mov_b32_e32 v29, s30
	v_cmp_eq_u32_e64 s0, 0, v42
	v_mov_b32_e32 v15, v13
	v_cmp_gt_u32_e64 s8, 2, v0
	v_add_nc_u32_e32 v43, 0xc00, v14
	v_mov_b32_e32 v17, v21
	v_mov_b32_e32 v19, v6
	;; [unrolled: 1-line block ×3, first 2 shown]
	v_lshl_or_b32 v47, v42, 3, 0xc00
	v_add_co_ci_u32_e64 v25, null, s10, v5, vcc_lo
	v_mov_b32_e32 v30, s31
	v_mov_b32_e32 v26, 1.0
	v_mov_b32_e32 v28, 0
	v_mov_b32_e32 v46, 0
	;; [unrolled: 1-line block ×3, first 2 shown]
	s_add_i32 s7, s9, s7
	s_mul_i32 s6, s26, s33
	s_mov_b32 s56, 30
	s_lshl_b64 s[38:39], s[6:7], 2
	s_mov_b32 s98, 0
	s_mov_b32 s104, 0
	v_writelane_b32 v49, s19, 10
                                        ; implicit-def: $sgpr99
                                        ; implicit-def: $sgpr53
                                        ; implicit-def: $sgpr52
                                        ; implicit-def: $sgpr57
                                        ; implicit-def: $vcc_hi
                                        ; implicit-def: $sgpr55
                                        ; implicit-def: $sgpr2
                                        ; implicit-def: $sgpr44
                                        ; implicit-def: $sgpr54
                                        ; implicit-def: $sgpr45
	s_branch .LBB201_31
.LBB201_29:                             ;   in Loop: Header=BB201_31 Depth=1
	s_or_b32 exec_lo, exec_lo, s10
	v_mov_b32_e32 v30, v3
	v_mov_b32_e32 v29, v2
	s_andn2_b32 s10, s45, exec_lo
	s_and_b32 s9, s9, exec_lo
	s_andn2_b32 s54, s54, exec_lo
	s_or_b32 s45, s10, s9
	s_andn2_b32 s44, s44, exec_lo
	s_andn2_b32 s2, s2, exec_lo
	;; [unrolled: 1-line block ×3, first 2 shown]
	s_orn2_b32 s7, s7, exec_lo
.LBB201_30:                             ;   in Loop: Header=BB201_31 Depth=1
	s_or_b32 exec_lo, exec_lo, s6
	s_and_b32 s6, exec_lo, s7
	s_or_b32 s98, s6, s98
	s_andn2_b32 s6, vcc_hi, exec_lo
	s_and_b32 s7, s45, exec_lo
	s_andn2_b32 s9, s57, exec_lo
	s_or_b32 vcc_hi, s6, s7
	s_and_b32 s6, s54, exec_lo
	s_andn2_b32 s7, s52, exec_lo
	s_and_b32 s10, s44, exec_lo
	s_or_b32 s57, s9, s6
	s_or_b32 s52, s7, s10
	s_andn2_b32 s6, s53, exec_lo
	s_and_b32 s7, s2, exec_lo
	s_andn2_b32 s9, s99, exec_lo
	s_and_b32 s10, s55, exec_lo
	s_or_b32 s53, s6, s7
	s_or_b32 s99, s9, s10
	s_andn2_b32 exec_lo, exec_lo, s98
	s_cbranch_execz .LBB201_504
.LBB201_31:                             ; =>This Loop Header: Depth=1
                                        ;     Child Loop BB201_37 Depth 2
                                        ;     Child Loop BB201_50 Depth 2
	;; [unrolled: 1-line block ×24, first 2 shown]
	ds_read_b128 v[2:5], v13 offset:5120
	s_waitcnt lgkmcnt(0)
	v_readfirstlane_b32 s71, v3
	v_readfirstlane_b32 s70, v2
	s_cmp_lg_u64 s[70:71], 0
	s_cbranch_scc1 .LBB201_58
; %bb.32:                               ;   in Loop: Header=BB201_31 Depth=1
	s_and_b32 vcc_lo, exec_lo, s88
	s_cbranch_vccz .LBB201_45
; %bb.33:                               ;   in Loop: Header=BB201_31 Depth=1
	v_cmp_gt_u64_e32 vcc_lo, 0x301, v[4:5]
	s_mov_b32 s9, 0
	s_mov_b32 s6, 0
	s_cbranch_vccz .LBB201_46
; %bb.34:                               ;   in Loop: Header=BB201_31 Depth=1
	s_and_saveexec_b32 s10, s1
	s_cbranch_execz .LBB201_113
; %bb.35:                               ;   in Loop: Header=BB201_31 Depth=1
	global_load_ushort v5, v13, s[62:63]
	global_load_dword v6, v[10:11], off
	v_readlane_b32 s12, v49, 7
	v_readlane_b32 s13, v49, 8
	s_waitcnt vmcnt(1)
	v_readfirstlane_b32 s6, v5
	v_and_b32_e32 v7, 0xffff, v5
	s_and_b32 s6, 0xffff, s6
	v_add_nc_u32_e32 v4, s6, v0
	s_mul_i32 s7, s67, s6
	s_mul_hi_u32 s11, s66, s6
	s_add_i32 s11, s11, s7
	v_mad_u64_u32 v[2:3], null, s66, v4, s[12:13]
	s_mul_i32 s12, s66, s6
	s_mov_b32 s13, 0
	v_mad_u64_u32 v[3:4], null, s67, v4, v[3:4]
	v_mov_b32_e32 v5, v1
	v_mov_b32_e32 v4, v0
	s_branch .LBB201_37
.LBB201_36:                             ;   in Loop: Header=BB201_37 Depth=2
	s_or_b32 exec_lo, exec_lo, s7
	v_add_co_u32 v2, vcc_lo, v2, s12
	v_add_co_ci_u32_e64 v3, null, s11, v3, vcc_lo
	v_mov_b32_e32 v6, v8
	s_andn2_b32 exec_lo, exec_lo, s13
	s_cbranch_execz .LBB201_113
.LBB201_37:                             ;   Parent Loop BB201_31 Depth=1
                                        ; =>  This Inner Loop Header: Depth=2
	v_add_co_u32 v4, vcc_lo, v4, v7
	v_add_co_ci_u32_e64 v5, null, 0, v5, vcc_lo
	s_waitcnt lgkmcnt(0)
	v_mov_b32_e32 v9, 0
	v_mov_b32_e32 v8, 0
	s_mov_b32 s7, exec_lo
	v_cmp_le_u64_e32 vcc_lo, s[28:29], v[4:5]
	v_cmpx_gt_u64_e64 s[28:29], v[4:5]
	s_cbranch_execz .LBB201_39
; %bb.38:                               ;   in Loop: Header=BB201_37 Depth=2
	global_load_dword v8, v[2:3], off
.LBB201_39:                             ;   in Loop: Header=BB201_37 Depth=2
	s_or_b32 exec_lo, exec_lo, s7
	s_waitcnt vmcnt(0)
	v_cmp_lt_i32_e64 s6, -1, v6
	v_cndmask_b32_e64 v12, -1, 0x80000000, s6
	v_cmp_o_f32_e64 s6, v6, v6
	v_xor_b32_e32 v12, v12, v6
	v_cndmask_b32_e64 v12, -1, v12, s6
	v_and_b32_e32 v12, v12, v48
	v_cmp_eq_u32_e64 s6, v12, v46
	s_cmp_lg_u32 s6, 0
	s_cselect_b32 s7, -1, 0
	s_and_b32 s7, s0, s7
	s_and_saveexec_b32 s14, s7
	s_cbranch_execz .LBB201_43
; %bb.40:                               ;   in Loop: Header=BB201_37 Depth=2
	s_mov_b32 s17, exec_lo
	s_bcnt1_i32_b32 s15, s6
	v_mbcnt_lo_u32_b32 v9, s17, 0
	s_mov_b32 s16, exec_lo
                                        ; implicit-def: $vgpr12
	v_cmpx_eq_u32_e32 0, v9
; %bb.41:                               ;   in Loop: Header=BB201_37 Depth=2
	s_bcnt1_i32_b32 s7, s17
	s_mul_i32 s7, s15, s7
	v_mov_b32_e32 v12, s7
	ds_add_rtn_u32 v12, v13, v12 offset:5144
; %bb.42:                               ;   in Loop: Header=BB201_37 Depth=2
	s_or_b32 exec_lo, exec_lo, s16
	s_waitcnt lgkmcnt(0)
	v_readfirstlane_b32 s7, v12
	v_mad_u32_u24 v9, s15, v9, s7
.LBB201_43:                             ;   in Loop: Header=BB201_37 Depth=2
	s_or_b32 exec_lo, exec_lo, s14
	ds_bpermute_b32 v9, v13, v9
	s_and_b32 s7, exec_lo, vcc_lo
	s_or_b32 s13, s7, s13
	s_and_saveexec_b32 s7, s6
	s_cbranch_execz .LBB201_36
; %bb.44:                               ;   in Loop: Header=BB201_37 Depth=2
	v_and_b32_e32 v12, s6, v41
	v_bcnt_u32_b32 v12, v12, 0
	v_lshlrev_b32_e32 v12, 2, v12
	s_waitcnt lgkmcnt(0)
	v_lshl_add_u32 v9, v9, 2, v12
	ds_write_b32 v9, v6
	s_branch .LBB201_36
.LBB201_45:                             ;   in Loop: Header=BB201_31 Depth=1
	s_mov_b32 s9, -1
	s_mov_b32 s6, 0
.LBB201_46:                             ;   in Loop: Header=BB201_31 Depth=1
	s_and_b32 vcc_lo, exec_lo, s9
	s_cbranch_vccz .LBB201_56
.LBB201_47:                             ;   in Loop: Header=BB201_31 Depth=1
	s_and_saveexec_b32 s7, s1
	s_cbranch_execz .LBB201_53
; %bb.48:                               ;   in Loop: Header=BB201_31 Depth=1
	global_load_ushort v2, v13, s[62:63]
	global_load_dword v8, v[10:11], off
	s_mov_b32 s9, exec_lo
	s_waitcnt vmcnt(1)
	v_add_nc_u32_sdwa v12, v2, v0 dst_sel:DWORD dst_unused:UNUSED_PAD src0_sel:WORD_0 src1_sel:DWORD
	v_readfirstlane_b32 s6, v2
	v_mov_b32_e32 v2, v0
	v_cmpx_gt_u64_e64 s[28:29], v[12:13]
	s_cbranch_execz .LBB201_52
; %bb.49:                               ;   in Loop: Header=BB201_31 Depth=1
	v_readlane_b32 s10, v49, 7
	v_readlane_b32 s11, v49, 8
	v_mov_b32_e32 v7, v1
	v_mov_b32_e32 v6, v0
	s_mov_b32 s12, 0
	v_mad_u64_u32 v[2:3], null, s66, v12, s[10:11]
	s_and_b32 s10, s6, 0xffff
	s_mul_i32 s6, s67, s10
	s_mul_hi_u32 s11, s66, s10
	s_mul_i32 s13, s66, s10
	s_add_i32 s11, s11, s6
	v_mad_u64_u32 v[3:4], null, s67, v12, v[3:4]
	v_mov_b32_e32 v4, v12
	v_mov_b32_e32 v5, v13
	.p2align	6
.LBB201_50:                             ;   Parent Loop BB201_31 Depth=1
                                        ; =>  This Inner Loop Header: Depth=2
	global_load_dword v9, v[2:3], off
	v_mov_b32_e32 v32, v5
	v_mov_b32_e32 v31, v4
	v_lshlrev_b32_e32 v6, 2, v6
	v_add_co_u32 v4, vcc_lo, v31, s10
	v_add_co_ci_u32_e64 v5, null, 0, v32, vcc_lo
	v_add_co_u32 v2, vcc_lo, v2, s13
	v_add_co_ci_u32_e64 v3, null, s11, v3, vcc_lo
	v_cmp_le_u64_e64 s6, s[28:29], v[4:5]
	s_waitcnt vmcnt(1)
	ds_write_b32 v6, v8
	v_mov_b32_e32 v6, v31
	v_mov_b32_e32 v7, v32
	s_or_b32 s12, s6, s12
	s_waitcnt vmcnt(0)
	v_mov_b32_e32 v8, v9
	s_andn2_b32 exec_lo, exec_lo, s12
	s_cbranch_execnz .LBB201_50
; %bb.51:                               ;   in Loop: Header=BB201_31 Depth=1
	s_or_b32 exec_lo, exec_lo, s12
	v_subrev_nc_u32_e32 v2, s10, v4
	v_mov_b32_e32 v8, v9
.LBB201_52:                             ;   in Loop: Header=BB201_31 Depth=1
	s_or_b32 exec_lo, exec_lo, s9
	v_lshlrev_b32_e32 v2, 2, v2
	s_waitcnt vmcnt(0)
	ds_write_b32 v2, v8
.LBB201_53:                             ;   in Loop: Header=BB201_31 Depth=1
	s_or_b32 exec_lo, exec_lo, s7
	s_waitcnt lgkmcnt(0)
	s_barrier
	buffer_gl0_inv
	s_and_saveexec_b32 s6, s3
; %bb.54:                               ;   in Loop: Header=BB201_31 Depth=1
	v_mov_b32_e32 v2, s28
	v_mov_b32_e32 v3, s29
	ds_write_b64 v13, v[2:3] offset:5120
; %bb.55:                               ;   in Loop: Header=BB201_31 Depth=1
	s_or_b32 exec_lo, exec_lo, s6
	s_waitcnt lgkmcnt(0)
	s_mov_b32 s6, -1
	s_barrier
.LBB201_56:                             ;   in Loop: Header=BB201_31 Depth=1
	s_and_b32 vcc_lo, exec_lo, s6
	s_mov_b64 s[70:71], 0
	s_cbranch_vccz .LBB201_58
; %bb.57:                               ;   in Loop: Header=BB201_31 Depth=1
	buffer_gl0_inv
	ds_read_b64 v[2:3], v13 offset:5120
	s_waitcnt lgkmcnt(0)
	v_readfirstlane_b32 s70, v2
.LBB201_58:                             ;   in Loop: Header=BB201_31 Depth=1
	s_cmp_lt_i32 s70, 1
	s_mov_b32 s6, -1
                                        ; implicit-def: $vgpr2_vgpr3
                                        ; implicit-def: $vgpr6_vgpr7
	s_cbranch_scc1 .LBB201_68
; %bb.59:                               ;   in Loop: Header=BB201_31 Depth=1
	s_and_b32 vcc_lo, exec_lo, s6
	s_cbranch_vccnz .LBB201_82
.LBB201_60:                             ;   in Loop: Header=BB201_31 Depth=1
	s_lshl_b32 s6, s104, 7
	s_and_saveexec_b32 s7, s0
	s_cbranch_execz .LBB201_62
.LBB201_61:                             ;   in Loop: Header=BB201_31 Depth=1
	v_lshl_add_u32 v12, s6, 3, v45
	ds_write_b128 v12, v[2:5]
	ds_write_b128 v12, v[6:9] offset:16
.LBB201_62:                             ;   in Loop: Header=BB201_31 Depth=1
	s_or_b32 exec_lo, exec_lo, s7
	s_waitcnt lgkmcnt(0)
	s_barrier
	buffer_gl0_inv
	s_and_saveexec_b32 s7, s87
	s_cbranch_execz .LBB201_96
; %bb.63:                               ;   in Loop: Header=BB201_31 Depth=1
	v_mov_b32_e32 v2, 0
	v_mov_b32_e32 v3, 0
	s_andn2_b32 vcc_lo, exec_lo, s90
	s_cbranch_vccnz .LBB201_95
; %bb.64:                               ;   in Loop: Header=BB201_31 Depth=1
	v_mov_b32_e32 v2, 0
	v_mov_b32_e32 v3, 0
	s_andn2_b32 vcc_lo, exec_lo, s95
	s_cbranch_vccnz .LBB201_92
; %bb.65:                               ;   in Loop: Header=BB201_31 Depth=1
	v_lshl_add_u32 v4, s104, 10, v47
	s_mov_b32 s9, 0
	s_inst_prefetch 0x1
	.p2align	6
.LBB201_66:                             ;   Parent Loop BB201_31 Depth=1
                                        ; =>  This Inner Loop Header: Depth=2
	ds_read2_b64 v[5:8], v4 offset1:4
	ds_read2_b64 v[31:34], v4 offset0:8 offset1:12
	ds_read2_b64 v[35:38], v4 offset0:16 offset1:20
	s_add_i32 s9, s9, 8
	s_cmp_eq_u32 s89, s9
	s_waitcnt lgkmcnt(2)
	v_add_co_u32 v2, vcc_lo, v5, v2
	v_add_co_ci_u32_e64 v3, null, v6, v3, vcc_lo
	v_add_co_u32 v2, vcc_lo, v7, v2
	v_add_co_ci_u32_e64 v3, null, v8, v3, vcc_lo
	ds_read2_b64 v[5:8], v4 offset0:24 offset1:28
	s_waitcnt lgkmcnt(2)
	v_add_co_u32 v2, vcc_lo, v31, v2
	v_add_co_ci_u32_e64 v3, null, v32, v3, vcc_lo
	v_add_nc_u32_e32 v4, 0x100, v4
	v_add_co_u32 v2, vcc_lo, v33, v2
	v_add_co_ci_u32_e64 v3, null, v34, v3, vcc_lo
	s_waitcnt lgkmcnt(1)
	v_add_co_u32 v2, vcc_lo, v35, v2
	v_add_co_ci_u32_e64 v3, null, v36, v3, vcc_lo
	v_add_co_u32 v2, vcc_lo, v37, v2
	v_add_co_ci_u32_e64 v3, null, v38, v3, vcc_lo
	s_waitcnt lgkmcnt(0)
	v_add_co_u32 v2, vcc_lo, v5, v2
	v_add_co_ci_u32_e64 v3, null, v6, v3, vcc_lo
	v_add_co_u32 v2, vcc_lo, v7, v2
	v_add_co_ci_u32_e64 v3, null, v8, v3, vcc_lo
	s_cbranch_scc0 .LBB201_66
; %bb.67:                               ;   in Loop: Header=BB201_31 Depth=1
	s_inst_prefetch 0x2
	s_mov_b32 s9, s89
	s_andn2_b32 vcc_lo, exec_lo, s96
	s_cbranch_vccz .LBB201_93
	s_branch .LBB201_95
.LBB201_68:                             ;   in Loop: Header=BB201_31 Depth=1
	global_load_ushort v2, v13, s[62:63]
	s_mov_b32 s7, s29
	s_waitcnt vmcnt(0)
	v_readfirstlane_b32 s6, v2
	s_and_b32 s60, s6, 0xffff
	s_mov_b32 s6, s59
	s_lshl_b32 s64, s60, 2
	s_cmp_lg_u64 s[6:7], 0
	s_cbranch_scc0 .LBB201_91
; %bb.69:                               ;   in Loop: Header=BB201_31 Depth=1
	v_cvt_f32_u32_e32 v2, s64
	s_sub_u32 s9, 0, s64
	s_subb_u32 s10, 0, 0
	v_fmac_f32_e64 v2, 0x4f800000, 0
	v_rcp_f32_e32 v2, v2
	v_mul_f32_e32 v2, 0x5f7ffffc, v2
	v_mul_f32_e32 v3, 0x2f800000, v2
	v_trunc_f32_e32 v3, v3
	v_fmac_f32_e32 v2, 0xcf800000, v3
	v_cvt_u32_f32_e32 v3, v3
	v_cvt_u32_f32_e32 v2, v2
	v_readfirstlane_b32 s6, v3
	v_readfirstlane_b32 s7, v2
	s_mul_i32 s11, s9, s6
	s_mul_hi_u32 s13, s9, s7
	s_mul_i32 s12, s10, s7
	s_add_i32 s11, s13, s11
	s_mul_i32 s14, s9, s7
	s_add_i32 s11, s11, s12
	s_mul_hi_u32 s13, s7, s14
	s_mul_i32 s16, s7, s11
	s_mul_hi_u32 s15, s6, s14
	s_mul_i32 s12, s6, s14
	s_mul_hi_u32 s14, s7, s11
	s_add_u32 s13, s13, s16
	s_addc_u32 s14, 0, s14
	s_mul_hi_u32 s17, s6, s11
	s_add_u32 s12, s13, s12
	s_mul_i32 s11, s6, s11
	s_addc_u32 s12, s14, s15
	s_addc_u32 s13, s17, 0
	s_add_u32 s11, s12, s11
	s_addc_u32 s12, 0, s13
	s_add_u32 s7, s7, s11
	s_cselect_b32 s11, -1, 0
	s_mul_hi_u32 s13, s9, s7
	s_cmp_lg_u32 s11, 0
	s_mul_i32 s11, s9, s7
	s_addc_u32 s6, s6, s12
	s_mul_i32 s10, s10, s7
	s_mul_i32 s9, s9, s6
	s_mul_hi_u32 s12, s7, s11
	s_add_i32 s9, s13, s9
	s_mul_hi_u32 s13, s6, s11
	s_add_i32 s9, s9, s10
	s_mul_i32 s10, s6, s11
	s_mul_i32 s15, s7, s9
	s_mul_hi_u32 s14, s7, s9
	s_add_u32 s12, s12, s15
	s_addc_u32 s14, 0, s14
	s_mul_hi_u32 s11, s6, s9
	s_add_u32 s10, s12, s10
	s_mul_i32 s9, s6, s9
	s_addc_u32 s10, s14, s13
	s_addc_u32 s11, s11, 0
	s_add_u32 s9, s10, s9
	s_addc_u32 s10, 0, s11
	s_add_u32 s7, s7, s9
	s_cselect_b32 s9, -1, 0
	s_mul_hi_u32 s11, s28, s7
	s_cmp_lg_u32 s9, 0
	s_mul_hi_u32 s9, s29, s7
	s_addc_u32 s6, s6, s10
	s_mul_i32 s7, s29, s7
	s_mul_i32 s12, s28, s6
	s_mul_hi_u32 s10, s28, s6
	s_add_u32 s11, s11, s12
	s_addc_u32 s10, 0, s10
	s_mul_hi_u32 s13, s29, s6
	s_add_u32 s7, s11, s7
	s_mul_i32 s6, s29, s6
	s_addc_u32 s7, s10, s9
	s_addc_u32 s9, s13, 0
	s_add_u32 s6, s7, s6
	s_addc_u32 s7, 0, s9
	s_mul_hi_u32 s9, s64, s6
	s_mul_i32 s7, s64, s7
	s_mul_i32 s6, s64, s6
	s_add_i32 s9, s9, s7
	s_sub_u32 s6, s28, s6
	s_cselect_b32 s7, -1, 0
	s_cmp_lg_u32 s7, 0
	s_subb_u32 s7, s29, s9
	s_sub_u32 s9, s6, s64
	s_cselect_b32 s10, -1, 0
	s_cmp_lg_u32 s10, 0
	s_subb_u32 s10, s7, 0
	;; [unrolled: 4-line block ×3, first 2 shown]
	s_cmp_ge_u32 s9, s64
	s_cselect_b32 s13, -1, 0
	s_cmp_eq_u32 s10, 0
	s_cselect_b32 s13, s13, -1
	s_cmp_lg_u32 s13, 0
	s_cselect_b32 s10, s12, s10
	s_cselect_b32 s9, s11, s9
	s_cmp_ge_u32 s6, s64
	s_cselect_b32 s11, -1, 0
	s_cmp_eq_u32 s7, 0
	s_cselect_b32 s11, s11, -1
	s_cmp_lg_u32 s11, 0
	s_cselect_b32 s7, s10, s7
	s_cselect_b32 s6, s9, s6
	s_cbranch_execnz .LBB201_71
.LBB201_70:                             ;   in Loop: Header=BB201_31 Depth=1
	v_cvt_f32_u32_e32 v2, s64
	s_sub_i32 s7, 0, s64
	v_rcp_iflag_f32_e32 v2, v2
	v_mul_f32_e32 v2, 0x4f7ffffe, v2
	v_cvt_u32_f32_e32 v2, v2
	v_readfirstlane_b32 s6, v2
	s_mul_i32 s7, s7, s6
	s_mul_hi_u32 s7, s6, s7
	s_add_i32 s6, s6, s7
	s_mul_hi_u32 s6, s28, s6
	s_mul_i32 s6, s6, s64
	s_sub_i32 s6, s28, s6
	s_sub_i32 s7, s6, s64
	s_cmp_ge_u32 s6, s64
	s_cselect_b32 s6, s7, s6
	s_sub_i32 s7, s6, s64
	s_cmp_ge_u32 s6, s64
	s_cselect_b32 s58, s7, s6
	s_mov_b64 s[6:7], s[58:59]
.LBB201_71:                             ;   in Loop: Header=BB201_31 Depth=1
	v_mov_b32_e32 v2, 0
	v_mov_b32_e32 v4, 0
	;; [unrolled: 1-line block ×8, first 2 shown]
	s_sub_u32 s72, s28, s6
	s_subb_u32 s73, s29, s7
	s_mov_b32 s58, exec_lo
	v_cmpx_gt_u64_e64 s[72:73], v[14:15]
	s_cbranch_execz .LBB201_75
; %bb.72:                               ;   in Loop: Header=BB201_31 Depth=1
	v_mov_b32_e32 v32, v23
	v_mov_b32_e32 v34, v21
	;; [unrolled: 1-line block ×10, first 2 shown]
	s_mul_i32 s6, s69, s60
	s_mul_hi_u32 s7, s68, s60
	s_mul_i32 s71, s68, s60
	s_add_i32 s65, s7, s6
	s_mov_b64 s[74:75], 0
	s_mov_b32 s82, 0
	s_mov_b64 s[76:77], 0
	s_mov_b64 s[78:79], 0
	;; [unrolled: 1-line block ×3, first 2 shown]
.LBB201_73:                             ;   Parent Loop BB201_31 Depth=1
                                        ; =>  This Inner Loop Header: Depth=2
	v_add_co_u32 v2, vcc_lo, v31, s48
	v_add_co_ci_u32_e64 v3, null, s49, v32, vcc_lo
	global_load_dword v4, v[2:3], off
	v_add_co_u32 v2, vcc_lo, v33, s48
	v_add_co_ci_u32_e64 v3, null, s49, v34, vcc_lo
	global_load_dword v5, v[2:3], off
	;; [unrolled: 3-line block ×4, first 2 shown]
	s_waitcnt vmcnt(3)
	v_cmp_lt_i32_e32 vcc_lo, -1, v4
	v_cmp_o_f32_e64 s6, v4, v4
	v_cndmask_b32_e64 v3, -1, 0x80000000, vcc_lo
	s_waitcnt vmcnt(2)
	v_cmp_lt_i32_e32 vcc_lo, -1, v5
	v_cmp_o_f32_e64 s7, v5, v5
	v_xor_b32_e32 v3, v3, v4
	v_cndmask_b32_e64 v4, -1, 0x80000000, vcc_lo
	v_cndmask_b32_e64 v3, -1, v3, s6
	s_waitcnt vmcnt(1)
	v_cmp_lt_i32_e32 vcc_lo, -1, v6
	v_cmp_o_f32_e64 s9, v6, v6
	v_xor_b32_e32 v4, v4, v5
	v_cndmask_b32_e64 v5, -1, 0x80000000, vcc_lo
	v_cndmask_b32_e64 v4, -1, v4, s7
	;; [unrolled: 6-line block ×3, first 2 shown]
	v_xor_b32_e32 v2, v6, v2
	v_and_b32_e32 v6, v3, v48
	v_bfe_u32 v3, v3, s56, 2
	v_cndmask_b32_e64 v2, -1, v2, s10
	v_cmp_eq_u32_e32 vcc_lo, v6, v46
	v_and_b32_e32 v6, v4, v48
	v_cmp_eq_u32_e64 s10, 0, v3
	v_cmp_eq_u32_e64 s11, 1, v3
	;; [unrolled: 1-line block ×5, first 2 shown]
	v_and_b32_e32 v6, v5, v48
	v_bfe_u32 v3, v4, s56, 2
	s_and_b32 s10, vcc_lo, s10
	v_cmp_eq_u32_e64 s7, v6, v46
	v_and_b32_e32 v6, v2, v48
	v_bfe_u32 v2, v2, s56, 2
	v_cmp_eq_u32_e64 s14, 0, v3
	v_cmp_eq_u32_e64 s15, 1, v3
	v_cmp_eq_u32_e64 s16, 2, v3
	v_cmp_eq_u32_e64 s17, 3, v3
	v_bfe_u32 v3, v5, s56, 2
	v_cmp_eq_u32_e64 s22, 0, v2
	v_cmp_eq_u32_e64 s23, 1, v2
	;; [unrolled: 1-line block ×4, first 2 shown]
	v_cndmask_b32_e64 v2, 0, 1, s10
	v_cmp_eq_u32_e64 s18, 0, v3
	s_and_b32 s14, s6, s14
	v_cmp_eq_u32_e64 s9, v6, v46
	v_cmp_eq_u32_e64 s19, 1, v3
	v_cmp_ne_u32_e64 s10, 0, v2
	v_cndmask_b32_e64 v2, 0, 1, s14
	s_and_b32 s18, s7, s18
	s_and_b32 s22, s9, s22
	v_cmp_eq_u32_e64 s20, 2, v3
	s_bcnt1_i32_b32 s10, s10
	v_cmp_ne_u32_e64 s14, 0, v2
	v_cndmask_b32_e64 v2, 0, 1, s18
	v_cmp_eq_u32_e64 s21, 3, v3
	s_bcnt1_i32_b32 s14, s14
	v_cmp_ne_u32_e64 s18, 0, v2
	v_cndmask_b32_e64 v2, 0, 1, s22
	s_add_i32 s10, s14, s10
	s_bcnt1_i32_b32 s18, s18
	v_cmp_ne_u32_e64 s22, 0, v2
	s_add_i32 s10, s10, s18
	s_bcnt1_i32_b32 s22, s22
	s_add_i32 s10, s10, s22
	s_add_u32 s80, s80, s10
	s_addc_u32 s81, s81, 0
	s_and_b32 s10, vcc_lo, s11
	s_and_b32 s11, s6, s15
	v_cndmask_b32_e64 v2, 0, 1, s10
	s_and_b32 s14, s7, s19
	s_and_b32 s15, s9, s23
	v_cmp_ne_u32_e64 s10, 0, v2
	v_cndmask_b32_e64 v2, 0, 1, s11
	s_bcnt1_i32_b32 s10, s10
	v_cmp_ne_u32_e64 s11, 0, v2
	v_cndmask_b32_e64 v2, 0, 1, s14
	s_bcnt1_i32_b32 s11, s11
	v_cmp_ne_u32_e64 s14, 0, v2
	v_cndmask_b32_e64 v2, 0, 1, s15
	s_add_i32 s10, s11, s10
	s_bcnt1_i32_b32 s14, s14
	v_cmp_ne_u32_e64 s15, 0, v2
	s_add_i32 s10, s10, s14
	s_bcnt1_i32_b32 s15, s15
	s_add_i32 s10, s10, s15
	s_add_u32 s78, s78, s10
	s_addc_u32 s79, s79, 0
	s_and_b32 s10, vcc_lo, s12
	s_and_b32 s11, s6, s16
	v_cndmask_b32_e64 v2, 0, 1, s10
	s_and_b32 s12, s7, s20
	s_and_b32 s14, s9, s24
	v_mov_b32_e32 v4, s78
	v_mov_b32_e32 v5, s79
	v_cmp_ne_u32_e64 s10, 0, v2
	v_cndmask_b32_e64 v2, 0, 1, s11
	s_bcnt1_i32_b32 s10, s10
	v_cmp_ne_u32_e64 s11, 0, v2
	v_cndmask_b32_e64 v2, 0, 1, s12
	s_bcnt1_i32_b32 s11, s11
	v_cmp_ne_u32_e64 s12, 0, v2
	v_cndmask_b32_e64 v2, 0, 1, s14
	s_add_i32 s10, s11, s10
	v_add_co_u32 v37, s11, v37, s71
	s_bcnt1_i32_b32 s12, s12
	v_cmp_ne_u32_e64 s14, 0, v2
	s_add_i32 s10, s10, s12
	v_add_co_ci_u32_e64 v38, null, s65, v38, s11
	v_add_co_u32 v35, s12, v35, s71
	s_bcnt1_i32_b32 s14, s14
	v_add_co_ci_u32_e64 v36, null, s65, v36, s12
	s_add_i32 s10, s10, s14
	v_add_co_u32 v31, s14, v31, s71
	s_add_u32 s76, s76, s10
	s_addc_u32 s77, s77, 0
	s_and_b32 s10, vcc_lo, s13
	s_and_b32 s6, s6, s17
	v_cndmask_b32_e64 v2, 0, 1, s10
	s_and_b32 s7, s7, s21
	s_and_b32 s9, s9, s25
	v_add_co_u32 v39, s10, v39, s64
	v_cmp_ne_u32_e32 vcc_lo, 0, v2
	v_cndmask_b32_e64 v2, 0, 1, s6
	v_add_co_ci_u32_e64 v40, null, 0, v40, s10
	v_add_co_u32 v33, s13, v33, s71
	v_cmp_ne_u32_e64 s6, 0, v2
	v_cndmask_b32_e64 v2, 0, 1, s7
	s_bcnt1_i32_b32 s11, vcc_lo
	v_cmp_le_u64_e64 s10, s[72:73], v[39:40]
	v_mov_b32_e32 v6, s76
	s_bcnt1_i32_b32 s6, s6
	v_cmp_ne_u32_e64 s7, 0, v2
	v_cndmask_b32_e64 v2, 0, 1, s9
	s_add_i32 s6, s6, s11
	v_add_co_ci_u32_e64 v34, null, s65, v34, s13
	s_bcnt1_i32_b32 s7, s7
	v_cmp_ne_u32_e64 s9, 0, v2
	s_add_i32 s6, s6, s7
	v_mov_b32_e32 v2, s80
	v_add_co_ci_u32_e64 v32, null, s65, v32, s14
	s_bcnt1_i32_b32 s9, s9
	v_mov_b32_e32 v3, s81
	s_add_i32 s6, s6, s9
	v_mov_b32_e32 v7, s77
	s_add_u32 s74, s74, s6
	s_addc_u32 s75, s75, 0
	v_mov_b32_e32 v8, s74
	v_mov_b32_e32 v9, s75
	s_or_b32 s82, s10, s82
	s_andn2_b32 exec_lo, exec_lo, s82
	s_cbranch_execnz .LBB201_73
; %bb.74:                               ;   in Loop: Header=BB201_31 Depth=1
	s_or_b32 exec_lo, exec_lo, s82
.LBB201_75:                             ;   in Loop: Header=BB201_31 Depth=1
	s_or_b32 exec_lo, exec_lo, s58
	v_add_co_u32 v31, s6, s72, v0
	v_add_co_ci_u32_e64 v32, null, s73, 0, s6
	s_mov_b32 s11, exec_lo
	v_cmpx_gt_u64_e64 s[28:29], v[31:32]
	s_cbranch_execz .LBB201_81
; %bb.76:                               ;   in Loop: Header=BB201_31 Depth=1
	v_mul_lo_u32 v12, v32, s26
	v_mul_lo_u32 v27, v31, s27
	v_mad_u64_u32 v[33:34], null, v31, s26, 0
	s_mov_b32 s12, 0
	v_add3_u32 v34, v34, v27, v12
	v_lshlrev_b64 v[33:34], 2, v[33:34]
	v_add_co_u32 v33, vcc_lo, s84, v33
	v_add_co_ci_u32_e64 v34, null, s85, v34, vcc_lo
	global_load_dword v27, v[33:34], off
	s_branch .LBB201_78
.LBB201_77:                             ;   in Loop: Header=BB201_78 Depth=2
	s_or_b32 exec_lo, exec_lo, s7
	s_waitcnt vmcnt(0)
	v_cmp_lt_i32_e64 s6, -1, v27
	s_and_b32 s7, exec_lo, vcc_lo
	s_or_b32 s12, s7, s12
	v_cndmask_b32_e64 v33, -1, 0x80000000, s6
	v_cmp_o_f32_e64 s6, v27, v27
	v_xor_b32_e32 v33, v33, v27
	v_cndmask_b32_e64 v27, -1, v33, s6
	v_and_b32_e32 v33, v27, v48
	v_bfe_u32 v27, v27, s56, 2
	v_cmp_eq_u32_e32 vcc_lo, v33, v46
	v_cmp_eq_u32_e64 s6, 0, v27
	v_cmp_eq_u32_e64 s7, 1, v27
	;; [unrolled: 1-line block ×4, first 2 shown]
	s_and_b32 s6, vcc_lo, s6
	v_cndmask_b32_e64 v27, 0, 1, s6
	s_and_b32 s6, vcc_lo, s7
	v_cndmask_b32_e64 v33, 0, 1, s6
	;; [unrolled: 2-line block ×3, first 2 shown]
	s_and_b32 s6, vcc_lo, s10
	v_cmp_ne_u32_e32 vcc_lo, 0, v27
	v_cndmask_b32_e64 v35, 0, 1, s6
	v_cmp_ne_u32_e64 s6, 0, v33
	v_cmp_ne_u32_e64 s7, 0, v34
	v_mov_b32_e32 v27, v12
	s_bcnt1_i32_b32 s10, vcc_lo
	v_cmp_ne_u32_e64 s9, 0, v35
	s_bcnt1_i32_b32 s6, s6
	v_add_co_u32 v2, vcc_lo, v2, s10
	s_bcnt1_i32_b32 s7, s7
	v_add_co_ci_u32_e64 v3, null, 0, v3, vcc_lo
	v_add_co_u32 v4, vcc_lo, v4, s6
	v_add_co_ci_u32_e64 v5, null, 0, v5, vcc_lo
	v_add_co_u32 v6, vcc_lo, v6, s7
	s_bcnt1_i32_b32 s6, s9
	v_add_co_ci_u32_e64 v7, null, 0, v7, vcc_lo
	v_add_co_u32 v8, vcc_lo, v8, s6
	v_add_co_ci_u32_e64 v9, null, 0, v9, vcc_lo
	s_andn2_b32 exec_lo, exec_lo, s12
	s_cbranch_execz .LBB201_80
.LBB201_78:                             ;   Parent Loop BB201_31 Depth=1
                                        ; =>  This Inner Loop Header: Depth=2
	v_add_co_u32 v31, vcc_lo, v31, s60
	v_add_co_ci_u32_e64 v32, null, 0, v32, vcc_lo
	v_mov_b32_e32 v12, 0
	s_mov_b32 s7, exec_lo
	v_cmp_le_u64_e32 vcc_lo, s[28:29], v[31:32]
	v_cmpx_gt_u64_e64 s[28:29], v[31:32]
	s_cbranch_execz .LBB201_77
; %bb.79:                               ;   in Loop: Header=BB201_78 Depth=2
	v_mul_lo_u32 v12, v32, s26
	v_mul_lo_u32 v35, v31, s27
	v_mad_u64_u32 v[33:34], null, v31, s26, 0
	v_add3_u32 v34, v34, v35, v12
	v_lshlrev_b64 v[33:34], 2, v[33:34]
	v_add_co_u32 v33, s6, s84, v33
	v_add_co_ci_u32_e64 v34, null, s85, v34, s6
	global_load_dword v12, v[33:34], off
	s_branch .LBB201_77
.LBB201_80:                             ;   in Loop: Header=BB201_31 Depth=1
	s_or_b32 exec_lo, exec_lo, s12
.LBB201_81:                             ;   in Loop: Header=BB201_31 Depth=1
	s_or_b32 exec_lo, exec_lo, s11
	s_branch .LBB201_60
.LBB201_82:                             ;   in Loop: Header=BB201_31 Depth=1
	global_load_ushort v12, v13, s[62:63]
	v_mov_b32_e32 v4, 0
	v_mov_b32_e32 v6, 0
	v_mov_b32_e32 v8, 0
	v_mov_b32_e32 v5, 0
	v_mov_b32_e32 v7, 0
	v_mov_b32_e32 v9, 0
	s_mov_b32 s58, exec_lo
	s_waitcnt vmcnt(0)
	v_readfirstlane_b32 s6, v12
	s_and_b32 s6, 0xffff, s6
	s_lshl_b32 s60, s6, 2
	v_cvt_f32_u32_e32 v2, s60
	s_sub_i32 s9, 0, s60
	v_rcp_iflag_f32_e32 v2, v2
	v_mul_f32_e32 v2, 0x4f7ffffe, v2
	v_cvt_u32_f32_e32 v2, v2
	v_readfirstlane_b32 s7, v2
	v_mov_b32_e32 v2, 0
	v_mov_b32_e32 v3, 0
	s_mul_i32 s9, s9, s7
	s_mul_hi_u32 s9, s7, s9
	s_add_i32 s7, s7, s9
	s_mul_hi_u32 s7, s70, s7
	s_mul_i32 s9, s7, s60
	s_add_i32 s10, s7, 1
	s_sub_i32 s9, s70, s9
	s_sub_i32 s11, s9, s60
	s_cmp_ge_u32 s9, s60
	s_cselect_b32 s7, s10, s7
	s_cselect_b32 s9, s11, s9
	s_add_i32 s10, s7, 1
	s_cmp_ge_u32 s9, s60
	s_cselect_b32 s7, s10, s7
	s_mul_hi_u32 s73, s6, s7
	s_mul_i32 s72, s6, s7
	s_lshl_b64 s[74:75], s[72:73], 2
	v_cmpx_gt_u64_e64 s[74:75], v[14:15]
	s_cbranch_execz .LBB201_86
; %bb.83:                               ;   in Loop: Header=BB201_31 Depth=1
	v_mov_b32_e32 v32, v15
	v_mov_b32_e32 v27, v44
	;; [unrolled: 1-line block ×3, first 2 shown]
	s_lshl_b32 s64, s6, 4
	s_mov_b64 s[76:77], 0
	s_mov_b32 s65, 0
	s_mov_b64 s[78:79], 0
	s_mov_b64 s[80:81], 0
	;; [unrolled: 1-line block ×3, first 2 shown]
.LBB201_84:                             ;   Parent Loop BB201_31 Depth=1
                                        ; =>  This Inner Loop Header: Depth=2
	ds_read_b128 v[2:5], v27
	v_add_nc_u32_e32 v27, s64, v27
	s_waitcnt lgkmcnt(0)
	v_cmp_lt_i32_e32 vcc_lo, -1, v2
	v_cmp_lt_i32_e64 s6, -1, v3
	v_cmp_lt_i32_e64 s7, -1, v4
	v_cmp_o_f32_e64 s13, v2, v2
	v_cmp_lt_i32_e64 s9, -1, v5
	v_cndmask_b32_e64 v6, -1, 0x80000000, vcc_lo
	v_cmp_o_f32_e64 s10, v3, v3
	v_cmp_o_f32_e64 s11, v4, v4
	;; [unrolled: 1-line block ×3, first 2 shown]
	v_xor_b32_e32 v2, v6, v2
	v_cndmask_b32_e64 v6, -1, 0x80000000, s6
	v_cndmask_b32_e64 v2, -1, v2, s13
	v_xor_b32_e32 v3, v6, v3
	v_cndmask_b32_e64 v6, -1, 0x80000000, s7
	v_cndmask_b32_e64 v3, -1, v3, s10
	;; [unrolled: 3-line block ×3, first 2 shown]
	v_xor_b32_e32 v5, v6, v5
	v_and_b32_e32 v6, v2, v48
	v_bfe_u32 v2, v2, s56, 2
	v_cndmask_b32_e64 v5, -1, v5, s12
	v_cmp_eq_u32_e32 vcc_lo, v6, v46
	v_cmp_eq_u32_e64 s10, 0, v2
	v_cmp_eq_u32_e64 s11, 1, v2
	v_cmp_eq_u32_e64 s12, 2, v2
	v_cmp_eq_u32_e64 s13, 3, v2
	v_bfe_u32 v2, v3, s56, 2
	v_and_b32_e32 v6, v3, v48
	s_and_b32 s10, vcc_lo, s10
	v_cmp_eq_u32_e64 s14, 0, v2
	v_cmp_eq_u32_e64 s15, 1, v2
	;; [unrolled: 1-line block ×4, first 2 shown]
	v_bfe_u32 v2, v4, s56, 2
	v_cmp_eq_u32_e64 s6, v6, v46
	v_and_b32_e32 v6, v4, v48
	v_cmp_eq_u32_e64 s18, 0, v2
	v_cmp_eq_u32_e64 s19, 1, v2
	;; [unrolled: 1-line block ×4, first 2 shown]
	v_bfe_u32 v2, v5, s56, 2
	v_cmp_eq_u32_e64 s7, v6, v46
	v_and_b32_e32 v6, v5, v48
	s_and_b32 s14, s6, s14
	v_cmp_eq_u32_e64 s22, 0, v2
	v_cmp_eq_u32_e64 s23, 1, v2
	;; [unrolled: 1-line block ×4, first 2 shown]
	v_cndmask_b32_e64 v2, 0, 1, s10
	v_cmp_eq_u32_e64 s9, v6, v46
	s_and_b32 s18, s7, s18
	v_cmp_ne_u32_e64 s10, 0, v2
	v_cndmask_b32_e64 v2, 0, 1, s14
	s_and_b32 s22, s9, s22
	s_bcnt1_i32_b32 s10, s10
	v_cmp_ne_u32_e64 s14, 0, v2
	v_cndmask_b32_e64 v2, 0, 1, s18
	s_bcnt1_i32_b32 s14, s14
	v_cmp_ne_u32_e64 s18, 0, v2
	v_cndmask_b32_e64 v2, 0, 1, s22
	s_add_i32 s10, s14, s10
	s_bcnt1_i32_b32 s18, s18
	v_cmp_ne_u32_e64 s22, 0, v2
	s_add_i32 s10, s10, s18
	s_bcnt1_i32_b32 s22, s22
	s_add_i32 s10, s10, s22
	s_add_u32 s82, s82, s10
	s_addc_u32 s83, s83, 0
	s_and_b32 s10, vcc_lo, s11
	s_and_b32 s11, s6, s15
	v_cndmask_b32_e64 v2, 0, 1, s10
	s_and_b32 s14, s7, s19
	s_and_b32 s15, s9, s23
	v_cmp_ne_u32_e64 s10, 0, v2
	v_cndmask_b32_e64 v2, 0, 1, s11
	s_bcnt1_i32_b32 s10, s10
	v_cmp_ne_u32_e64 s11, 0, v2
	v_cndmask_b32_e64 v2, 0, 1, s14
	s_bcnt1_i32_b32 s11, s11
	v_cmp_ne_u32_e64 s14, 0, v2
	v_cndmask_b32_e64 v2, 0, 1, s15
	s_add_i32 s10, s11, s10
	s_bcnt1_i32_b32 s14, s14
	v_cmp_ne_u32_e64 s15, 0, v2
	s_add_i32 s10, s10, s14
	s_bcnt1_i32_b32 s15, s15
	s_add_i32 s10, s10, s15
	s_add_u32 s80, s80, s10
	s_addc_u32 s81, s81, 0
	s_and_b32 s10, vcc_lo, s12
	s_and_b32 s11, s6, s16
	v_cndmask_b32_e64 v2, 0, 1, s10
	s_and_b32 s12, s7, s20
	s_and_b32 s14, s9, s24
	v_mov_b32_e32 v4, s80
	v_mov_b32_e32 v5, s81
	v_cmp_ne_u32_e64 s10, 0, v2
	v_cndmask_b32_e64 v2, 0, 1, s11
	s_bcnt1_i32_b32 s10, s10
	v_cmp_ne_u32_e64 s11, 0, v2
	v_cndmask_b32_e64 v2, 0, 1, s12
	s_bcnt1_i32_b32 s11, s11
	v_cmp_ne_u32_e64 s12, 0, v2
	v_cndmask_b32_e64 v2, 0, 1, s14
	s_add_i32 s10, s11, s10
	s_bcnt1_i32_b32 s12, s12
	v_cmp_ne_u32_e64 s14, 0, v2
	s_add_i32 s10, s10, s12
	s_bcnt1_i32_b32 s14, s14
	s_add_i32 s10, s10, s14
	s_add_u32 s78, s78, s10
	s_addc_u32 s79, s79, 0
	s_and_b32 s10, vcc_lo, s13
	s_and_b32 s6, s6, s17
	v_cndmask_b32_e64 v2, 0, 1, s10
	s_and_b32 s7, s7, s21
	s_and_b32 s9, s9, s25
	v_add_co_u32 v31, s10, v31, s60
	v_cmp_ne_u32_e32 vcc_lo, 0, v2
	v_cndmask_b32_e64 v2, 0, 1, s6
	v_add_co_ci_u32_e64 v32, null, 0, v32, s10
	v_mov_b32_e32 v6, s78
	s_bcnt1_i32_b32 s11, vcc_lo
	v_cmp_ne_u32_e64 s6, 0, v2
	v_cndmask_b32_e64 v2, 0, 1, s7
	v_cmp_le_u64_e64 s10, s[74:75], v[31:32]
	v_mov_b32_e32 v7, s79
	s_bcnt1_i32_b32 s6, s6
	v_cmp_ne_u32_e64 s7, 0, v2
	v_cndmask_b32_e64 v2, 0, 1, s9
	s_add_i32 s6, s6, s11
	s_bcnt1_i32_b32 s7, s7
	v_cmp_ne_u32_e64 s9, 0, v2
	s_add_i32 s6, s6, s7
	v_mov_b32_e32 v2, s82
	v_mov_b32_e32 v3, s83
	s_bcnt1_i32_b32 s9, s9
	s_add_i32 s6, s6, s9
	s_add_u32 s76, s76, s6
	s_addc_u32 s77, s77, 0
	v_mov_b32_e32 v8, s76
	v_mov_b32_e32 v9, s77
	s_or_b32 s65, s10, s65
	s_andn2_b32 exec_lo, exec_lo, s65
	s_cbranch_execnz .LBB201_84
; %bb.85:                               ;   in Loop: Header=BB201_31 Depth=1
	s_or_b32 exec_lo, exec_lo, s65
.LBB201_86:                             ;   in Loop: Header=BB201_31 Depth=1
	s_or_b32 exec_lo, exec_lo, s58
	v_add_co_u32 v31, s6, s74, v0
	v_and_b32_e32 v12, 0xffff, v12
	v_add_co_ci_u32_e64 v32, null, s75, 0, s6
	s_and_b32 s58, s70, 0x7fffffff
	s_mov_b32 s12, exec_lo
	v_cmpx_gt_u64_e64 s[58:59], v[31:32]
	s_cbranch_execz .LBB201_90
; %bb.87:                               ;   in Loop: Header=BB201_31 Depth=1
	v_lshl_add_u32 v27, s72, 4, v14
	s_mov_b32 s13, 0
.LBB201_88:                             ;   Parent Loop BB201_31 Depth=1
                                        ; =>  This Inner Loop Header: Depth=2
	ds_read_b32 v33, v27
	v_add_co_u32 v31, vcc_lo, v31, v12
	v_add_co_ci_u32_e64 v32, null, 0, v32, vcc_lo
	v_add_nc_u32_e32 v27, s60, v27
	v_cmp_le_u64_e32 vcc_lo, s[58:59], v[31:32]
	s_waitcnt lgkmcnt(0)
	v_cmp_lt_i32_e64 s6, -1, v33
	v_cndmask_b32_e64 v34, -1, 0x80000000, s6
	v_cmp_o_f32_e64 s6, v33, v33
	v_xor_b32_e32 v34, v34, v33
	v_cndmask_b32_e64 v33, -1, v34, s6
	v_and_b32_e32 v34, v33, v48
	v_bfe_u32 v33, v33, s56, 2
	v_cmp_eq_u32_e64 s6, v34, v46
	v_cmp_eq_u32_e64 s7, 0, v33
	;; [unrolled: 1-line block ×5, first 2 shown]
	s_and_b32 s7, s6, s7
	v_cndmask_b32_e64 v33, 0, 1, s7
	s_and_b32 s7, s6, s9
	v_cndmask_b32_e64 v34, 0, 1, s7
	s_and_b32 s7, s6, s10
	s_and_b32 s6, s6, s11
	v_cndmask_b32_e64 v35, 0, 1, s7
	v_cndmask_b32_e64 v36, 0, 1, s6
	v_cmp_ne_u32_e64 s6, 0, v33
	v_cmp_ne_u32_e64 s7, 0, v34
	;; [unrolled: 1-line block ×4, first 2 shown]
	s_bcnt1_i32_b32 s6, s6
	s_bcnt1_i32_b32 s7, s7
	v_add_co_u32 v2, s6, v2, s6
	s_bcnt1_i32_b32 s9, s9
	v_add_co_ci_u32_e64 v3, null, 0, v3, s6
	v_add_co_u32 v4, s6, v4, s7
	s_bcnt1_i32_b32 s10, s10
	v_add_co_ci_u32_e64 v5, null, 0, v5, s6
	v_add_co_u32 v6, s6, v6, s9
	v_add_co_ci_u32_e64 v7, null, 0, v7, s6
	v_add_co_u32 v8, s6, v8, s10
	v_add_co_ci_u32_e64 v9, null, 0, v9, s6
	s_or_b32 s13, vcc_lo, s13
	s_andn2_b32 exec_lo, exec_lo, s13
	s_cbranch_execnz .LBB201_88
; %bb.89:                               ;   in Loop: Header=BB201_31 Depth=1
	s_or_b32 exec_lo, exec_lo, s13
.LBB201_90:                             ;   in Loop: Header=BB201_31 Depth=1
	s_or_b32 exec_lo, exec_lo, s12
	s_lshl_b32 s6, s104, 7
	s_and_saveexec_b32 s7, s0
	s_cbranch_execnz .LBB201_61
	s_branch .LBB201_62
.LBB201_91:                             ;   in Loop: Header=BB201_31 Depth=1
                                        ; implicit-def: $sgpr6_sgpr7
	s_branch .LBB201_70
.LBB201_92:                             ;   in Loop: Header=BB201_31 Depth=1
	s_mov_b32 s9, 0
	s_andn2_b32 vcc_lo, exec_lo, s96
	s_cbranch_vccnz .LBB201_95
.LBB201_93:                             ;   in Loop: Header=BB201_31 Depth=1
	s_lshl_b32 s10, s104, 10
	s_lshl_b32 s9, s9, 5
	v_add3_u32 v4, s10, s9, v47
	v_readlane_b32 s9, v49, 6
.LBB201_94:                             ;   Parent Loop BB201_31 Depth=1
                                        ; =>  This Inner Loop Header: Depth=2
	ds_read_b64 v[5:6], v4
	v_add_nc_u32_e32 v4, 32, v4
	s_add_i32 s9, s9, -1
	s_cmp_lg_u32 s9, 0
	s_waitcnt lgkmcnt(0)
	v_add_co_u32 v2, vcc_lo, v5, v2
	v_add_co_ci_u32_e64 v3, null, v6, v3, vcc_lo
	s_cbranch_scc1 .LBB201_94
.LBB201_95:                             ;   in Loop: Header=BB201_31 Depth=1
	v_add_lshl_u32 v4, s6, v42, 3
	ds_write_b64 v4, v[2:3] offset:3072
.LBB201_96:                             ;   in Loop: Header=BB201_31 Depth=1
	s_or_b32 exec_lo, exec_lo, s7
	s_lshl_b32 s6, s6, 3
	s_waitcnt lgkmcnt(0)
	v_mov_b32_e32 v6, s6
	s_barrier
	buffer_gl0_inv
	v_cmp_eq_u64_e64 s7, 1, v[29:30]
	s_lshl_b32 s9, 3, s56
	ds_read_b128 v[2:5], v6 offset:3072
	ds_read_b128 v[6:9], v6 offset:3088
	s_mov_b32 s72, -1
	s_not_b32 s24, s9
	s_mov_b32 s25, 0
	s_andn2_b32 vcc_lo, exec_lo, s86
	s_mov_b32 s23, 0
	s_mov_b32 s22, 0
                                        ; implicit-def: $sgpr70
                                        ; implicit-def: $sgpr71
                                        ; implicit-def: $vgpr12
                                        ; implicit-def: $vgpr31
                                        ; implicit-def: $vgpr32
	s_waitcnt lgkmcnt(1)
	v_readfirstlane_b32 s11, v3
	v_readfirstlane_b32 s10, v2
	;; [unrolled: 1-line block ×4, first 2 shown]
	s_waitcnt lgkmcnt(0)
	v_readfirstlane_b32 s15, v7
	v_readfirstlane_b32 s14, v6
	;; [unrolled: 1-line block ×4, first 2 shown]
                                        ; implicit-def: $vgpr2_vgpr3
                                        ; implicit-def: $vgpr5
	s_cbranch_vccnz .LBB201_299
; %bb.97:                               ;   in Loop: Header=BB201_31 Depth=1
	s_cmp_eq_u64 s[10:11], 1
	v_mov_b32_e32 v31, v46
	v_mov_b32_e32 v32, v48
	;; [unrolled: 1-line block ×3, first 2 shown]
	s_cselect_b32 s6, -1, 0
                                        ; implicit-def: $sgpr71
                                        ; implicit-def: $sgpr70
	s_and_b32 s74, s6, s7
	s_mov_b32 s6, -1
	s_and_saveexec_b32 s64, s74
	s_cbranch_execz .LBB201_134
; %bb.98:                               ;   in Loop: Header=BB201_31 Depth=1
	ds_read_b64 v[2:3], v13 offset:5120
	s_waitcnt lgkmcnt(0)
	s_barrier
	buffer_gl0_inv
	v_readfirstlane_b32 s18, v2
	v_readfirstlane_b32 s19, v3
	s_and_saveexec_b32 s6, s8
; %bb.99:                               ;   in Loop: Header=BB201_31 Depth=1
	ds_write_b32 v43, v13
; %bb.100:                              ;   in Loop: Header=BB201_31 Depth=1
	s_or_b32 exec_lo, exec_lo, s6
	v_and_b32_e32 v31, s24, v46
	v_or_b32_e32 v32, s9, v48
	s_mov_b32 s70, -1
	s_mov_b32 s71, 0
	s_cmp_eq_u64 s[18:19], 0
	s_mov_b32 s6, -1
	s_waitcnt lgkmcnt(0)
	s_barrier
	buffer_gl0_inv
                                        ; implicit-def: $vgpr5
	s_cbranch_scc1 .LBB201_118
; %bb.101:                              ;   in Loop: Header=BB201_31 Depth=1
	s_add_u32 s6, s18, s91
	s_addc_u32 s21, s19, s92
	s_mov_b32 s20, s59
	s_cmp_lg_u64 s[20:21], 0
	s_cbranch_scc0 .LBB201_161
; %bb.102:                              ;   in Loop: Header=BB201_31 Depth=1
	v_cvt_f32_u32_e32 v2, s33
	s_sub_u32 s23, 0, s33
	s_subb_u32 s40, 0, 0
	v_fmac_f32_e64 v2, 0x4f800000, 0
	v_rcp_f32_e32 v2, v2
	v_mul_f32_e32 v2, 0x5f7ffffc, v2
	v_mul_f32_e32 v3, 0x2f800000, v2
	v_trunc_f32_e32 v3, v3
	v_fmac_f32_e32 v2, 0xcf800000, v3
	v_cvt_u32_f32_e32 v3, v3
	v_cvt_u32_f32_e32 v2, v2
	v_readfirstlane_b32 s20, v3
	v_readfirstlane_b32 s22, v2
	s_mul_i32 s41, s23, s20
	s_mul_hi_u32 s47, s23, s22
	s_mul_i32 s46, s40, s22
	s_add_i32 s41, s47, s41
	s_mul_i32 s58, s23, s22
	s_add_i32 s41, s41, s46
	s_mul_hi_u32 s47, s22, s58
	s_mul_i32 s65, s22, s41
	s_mul_hi_u32 s60, s20, s58
	s_mul_i32 s46, s20, s58
	s_mul_hi_u32 s58, s22, s41
	s_add_u32 s47, s47, s65
	s_addc_u32 s58, 0, s58
	s_mul_hi_u32 s72, s20, s41
	s_add_u32 s46, s47, s46
	s_mul_i32 s41, s20, s41
	s_addc_u32 s46, s58, s60
	s_addc_u32 s47, s72, 0
	s_add_u32 s41, s46, s41
	s_addc_u32 s46, 0, s47
	s_add_u32 s22, s22, s41
	s_cselect_b32 s41, -1, 0
	s_mul_hi_u32 s47, s23, s22
	s_cmp_lg_u32 s41, 0
	s_mul_i32 s41, s23, s22
	s_addc_u32 s20, s20, s46
	s_mul_i32 s40, s40, s22
	s_mul_i32 s23, s23, s20
	s_mul_hi_u32 s46, s22, s41
	s_add_i32 s23, s47, s23
	s_mul_hi_u32 s47, s20, s41
	s_add_i32 s23, s23, s40
	s_mul_i32 s40, s20, s41
	s_mul_i32 s60, s22, s23
	s_mul_hi_u32 s58, s22, s23
	s_add_u32 s46, s46, s60
	s_addc_u32 s58, 0, s58
	s_mul_hi_u32 s41, s20, s23
	s_add_u32 s40, s46, s40
	s_mul_i32 s23, s20, s23
	s_addc_u32 s40, s58, s47
	s_addc_u32 s41, s41, 0
	s_add_u32 s23, s40, s23
	s_addc_u32 s40, 0, s41
	s_add_u32 s22, s22, s23
	s_cselect_b32 s23, -1, 0
	s_mul_hi_u32 s41, s6, s22
	s_cmp_lg_u32 s23, 0
	s_mul_hi_u32 s23, s21, s22
	s_addc_u32 s20, s20, s40
	s_mul_i32 s22, s21, s22
	s_mul_i32 s46, s6, s20
	s_mul_hi_u32 s40, s6, s20
	s_add_u32 s41, s41, s46
	s_addc_u32 s40, 0, s40
	s_mul_hi_u32 s47, s21, s20
	s_add_u32 s22, s41, s22
	s_mul_i32 s20, s21, s20
	s_addc_u32 s22, s40, s23
	s_addc_u32 s23, s47, 0
	s_add_u32 s20, s22, s20
	s_addc_u32 s22, 0, s23
	s_mul_hi_u32 s23, s33, s20
	s_mul_i32 s22, s33, s22
	s_mul_i32 s20, s33, s20
	s_add_i32 s23, s23, s22
	s_sub_u32 s20, s6, s20
	s_cselect_b32 s22, -1, 0
	s_cmp_lg_u32 s22, 0
	s_subb_u32 s22, s21, s23
	s_sub_u32 s23, s20, s33
	s_cselect_b32 s40, -1, 0
	s_cmp_lg_u32 s40, 0
	s_subb_u32 s40, s22, 0
	;; [unrolled: 4-line block ×3, first 2 shown]
	s_cmp_ge_u32 s23, s33
	s_cselect_b32 s47, -1, 0
	s_cmp_eq_u32 s40, 0
	s_cselect_b32 s47, s47, -1
	s_cmp_lg_u32 s47, 0
	s_cselect_b32 s40, s46, s40
	s_cselect_b32 s41, s41, s23
	s_cmp_ge_u32 s20, s33
	s_cselect_b32 s23, -1, 0
	s_cmp_eq_u32 s22, 0
	s_cselect_b32 s23, s23, -1
	s_cmp_lg_u32 s23, 0
	s_cselect_b32 s23, s40, s22
	s_cselect_b32 s22, s41, s20
	s_cbranch_execnz .LBB201_104
.LBB201_103:                            ;   in Loop: Header=BB201_31 Depth=1
	v_cvt_f32_u32_e32 v2, s33
	s_sub_i32 s22, 0, s33
	v_rcp_iflag_f32_e32 v2, v2
	v_mul_f32_e32 v2, 0x4f7ffffe, v2
	v_cvt_u32_f32_e32 v2, v2
	v_readfirstlane_b32 s20, v2
	s_mul_i32 s22, s22, s20
	s_mul_hi_u32 s22, s20, s22
	s_add_i32 s20, s20, s22
	s_mul_hi_u32 s20, s6, s20
	s_mul_i32 s20, s20, s33
	s_sub_i32 s20, s6, s20
	s_sub_i32 s22, s20, s33
	s_cmp_ge_u32 s20, s33
	s_cselect_b32 s20, s22, s20
	s_sub_i32 s22, s20, s33
	s_cmp_ge_u32 s20, s33
	s_cselect_b32 s58, s22, s20
	s_mov_b64 s[22:23], s[58:59]
.LBB201_104:                            ;   in Loop: Header=BB201_31 Depth=1
	s_sub_u32 s20, s6, s22
	s_subb_u32 s21, s21, s23
	s_mov_b32 s6, 0
	s_mov_b32 s22, 0
	s_mov_b32 s23, exec_lo
                                        ; implicit-def: $vgpr5
	v_cmpx_gt_u64_e64 s[20:21], v[0:1]
	s_cbranch_execz .LBB201_117
; %bb.105:                              ;   in Loop: Header=BB201_31 Depth=1
	v_mov_b32_e32 v3, v1
	v_mov_b32_e32 v6, v14
	;; [unrolled: 1-line block ×3, first 2 shown]
                                        ; implicit-def: $sgpr58
	s_inst_prefetch 0x1
	s_branch .LBB201_109
	.p2align	6
.LBB201_106:                            ;   in Loop: Header=BB201_109 Depth=2
	s_or_b32 exec_lo, exec_lo, s40
	s_waitcnt lgkmcnt(0)
	s_barrier
	buffer_gl0_inv
	ds_read_b64 v[4:5], v13 offset:3072
	s_waitcnt lgkmcnt(0)
	s_barrier
	buffer_gl0_inv
	v_cmp_neq_f32_e32 vcc_lo, 0, v4
	s_cbranch_vccnz .LBB201_112
; %bb.107:                              ;   in Loop: Header=BB201_109 Depth=2
	v_add_co_u32 v2, vcc_lo, v2, s33
	v_add_co_ci_u32_e64 v3, null, 0, v3, vcc_lo
	v_add_nc_u32_e32 v6, s97, v6
	s_mov_b32 s40, 0
	v_cmp_le_u64_e32 vcc_lo, s[20:21], v[2:3]
	s_orn2_b32 s41, vcc_lo, exec_lo
.LBB201_108:                            ;   in Loop: Header=BB201_109 Depth=2
	s_and_b32 s41, exec_lo, s41
	s_or_b32 s22, s41, s22
	s_andn2_b32 s41, s58, exec_lo
	s_and_b32 s40, s40, exec_lo
	s_or_b32 s58, s41, s40
	s_andn2_b32 exec_lo, exec_lo, s22
	s_cbranch_execz .LBB201_116
.LBB201_109:                            ;   Parent Loop BB201_31 Depth=1
                                        ; =>  This Inner Loop Header: Depth=2
	s_mov_b32 s40, exec_lo
	v_cmpx_gt_u64_e64 s[18:19], v[2:3]
	s_cbranch_execz .LBB201_106
; %bb.110:                              ;   in Loop: Header=BB201_109 Depth=2
	ds_read_b32 v27, v6
	s_waitcnt lgkmcnt(0)
	v_cmp_lt_i32_e32 vcc_lo, -1, v27
	v_cndmask_b32_e64 v4, -1, 0x80000000, vcc_lo
	v_cmp_o_f32_e32 vcc_lo, v27, v27
	v_xor_b32_e32 v4, v4, v27
	v_cndmask_b32_e32 v4, -1, v4, vcc_lo
	v_and_b32_e32 v4, v4, v32
	v_cmp_eq_u32_e32 vcc_lo, v4, v31
	s_and_b32 exec_lo, exec_lo, vcc_lo
	s_cbranch_execz .LBB201_106
; %bb.111:                              ;   in Loop: Header=BB201_109 Depth=2
	ds_write_b64 v13, v[26:27] offset:3072
	s_branch .LBB201_106
.LBB201_112:                            ;   in Loop: Header=BB201_109 Depth=2
	s_mov_b32 s41, -1
	s_mov_b32 s40, -1
                                        ; implicit-def: $vgpr2_vgpr3
                                        ; implicit-def: $vgpr6
	s_branch .LBB201_108
.LBB201_113:                            ;   in Loop: Header=BB201_31 Depth=1
	s_or_b32 exec_lo, exec_lo, s10
	s_waitcnt lgkmcnt(0)
	s_barrier
	buffer_gl0_inv
	s_and_saveexec_b32 s6, s3
	s_cbranch_execz .LBB201_115
; %bb.114:                              ;   in Loop: Header=BB201_31 Depth=1
	ds_read_b32 v2, v13 offset:5144
	s_waitcnt lgkmcnt(0)
	v_ashrrev_i32_e32 v3, 31, v2
	ds_write_b64 v13, v[2:3] offset:5120
.LBB201_115:                            ;   in Loop: Header=BB201_31 Depth=1
	s_or_b32 exec_lo, exec_lo, s6
	s_waitcnt lgkmcnt(0)
	s_mov_b32 s6, -1
	s_barrier
	s_and_b32 vcc_lo, exec_lo, s9
	s_cbranch_vccnz .LBB201_47
	s_branch .LBB201_56
.LBB201_116:                            ;   in Loop: Header=BB201_31 Depth=1
	s_inst_prefetch 0x2
	s_or_b32 exec_lo, exec_lo, s22
	s_and_b32 s22, s58, exec_lo
.LBB201_117:                            ;   in Loop: Header=BB201_31 Depth=1
	s_or_b32 exec_lo, exec_lo, s23
.LBB201_118:                            ;   in Loop: Header=BB201_31 Depth=1
	s_and_b32 vcc_lo, exec_lo, s6
	s_cbranch_vccz .LBB201_133
; %bb.119:                              ;   in Loop: Header=BB201_31 Depth=1
	s_mov_b32 s60, s59
	s_cmp_lg_u64 s[60:61], 0
	s_cbranch_scc0 .LBB201_162
; %bb.120:                              ;   in Loop: Header=BB201_31 Depth=1
	v_cvt_f32_u32_e32 v2, s33
	s_sub_u32 s19, 0, s33
	s_subb_u32 s20, 0, 0
	v_fmac_f32_e64 v2, 0x4f800000, 0
	v_rcp_f32_e32 v2, v2
	v_mul_f32_e32 v2, 0x5f7ffffc, v2
	v_mul_f32_e32 v3, 0x2f800000, v2
	v_trunc_f32_e32 v3, v3
	v_fmac_f32_e32 v2, 0xcf800000, v3
	v_cvt_u32_f32_e32 v3, v3
	v_cvt_u32_f32_e32 v2, v2
	v_readfirstlane_b32 s6, v3
	v_readfirstlane_b32 s18, v2
	s_mul_i32 s21, s19, s6
	s_mul_hi_u32 s40, s19, s18
	s_mul_i32 s23, s20, s18
	s_add_i32 s21, s40, s21
	s_mul_i32 s41, s19, s18
	s_add_i32 s21, s21, s23
	s_mul_hi_u32 s40, s18, s41
	s_mul_i32 s47, s18, s21
	s_mul_hi_u32 s46, s6, s41
	s_mul_i32 s23, s6, s41
	s_mul_hi_u32 s41, s18, s21
	s_add_u32 s40, s40, s47
	s_addc_u32 s41, 0, s41
	s_mul_hi_u32 s58, s6, s21
	s_add_u32 s23, s40, s23
	s_mul_i32 s21, s6, s21
	s_addc_u32 s23, s41, s46
	s_addc_u32 s40, s58, 0
	s_add_u32 s21, s23, s21
	s_addc_u32 s23, 0, s40
	s_add_u32 s18, s18, s21
	s_cselect_b32 s21, -1, 0
	s_mul_hi_u32 s40, s19, s18
	s_cmp_lg_u32 s21, 0
	s_mul_i32 s21, s19, s18
	s_addc_u32 s6, s6, s23
	s_mul_i32 s20, s20, s18
	s_mul_i32 s19, s19, s6
	s_mul_hi_u32 s23, s18, s21
	s_add_i32 s19, s40, s19
	s_mul_hi_u32 s40, s6, s21
	s_add_i32 s19, s19, s20
	s_mul_i32 s20, s6, s21
	s_mul_i32 s46, s18, s19
	s_mul_hi_u32 s41, s18, s19
	s_add_u32 s23, s23, s46
	s_addc_u32 s41, 0, s41
	s_mul_hi_u32 s21, s6, s19
	s_add_u32 s20, s23, s20
	s_mul_i32 s19, s6, s19
	s_addc_u32 s20, s41, s40
	s_addc_u32 s21, s21, 0
	s_add_u32 s19, s20, s19
	s_addc_u32 s20, 0, s21
	s_add_u32 s18, s18, s19
	s_cselect_b32 s19, -1, 0
	s_mul_hi_u32 s21, s93, s18
	s_cmp_lg_u32 s19, 0
	s_mul_hi_u32 s19, s61, s18
	s_addc_u32 s6, s6, s20
	s_mul_i32 s18, s61, s18
	s_mul_i32 s23, s93, s6
	s_mul_hi_u32 s20, s93, s6
	s_add_u32 s21, s21, s23
	s_addc_u32 s20, 0, s20
	s_mul_hi_u32 s40, s61, s6
	s_add_u32 s18, s21, s18
	s_mul_i32 s6, s61, s6
	s_addc_u32 s18, s20, s19
	s_addc_u32 s19, s40, 0
	s_add_u32 s6, s18, s6
	s_addc_u32 s18, 0, s19
	s_mul_hi_u32 s19, s33, s6
	s_mul_i32 s18, s33, s18
	s_mul_i32 s6, s33, s6
	s_add_i32 s19, s19, s18
	s_sub_u32 s6, s93, s6
	s_cselect_b32 s18, -1, 0
	s_cmp_lg_u32 s18, 0
	s_subb_u32 s18, s61, s19
	s_sub_u32 s19, s6, s33
	s_cselect_b32 s20, -1, 0
	s_cmp_lg_u32 s20, 0
	s_subb_u32 s20, s18, 0
	;; [unrolled: 4-line block ×3, first 2 shown]
	s_cmp_ge_u32 s19, s33
	s_cselect_b32 s40, -1, 0
	s_cmp_eq_u32 s20, 0
	s_cselect_b32 s40, s40, -1
	s_cmp_lg_u32 s40, 0
	s_cselect_b32 s20, s23, s20
	s_cselect_b32 s21, s21, s19
	s_cmp_ge_u32 s6, s33
	s_cselect_b32 s19, -1, 0
	s_cmp_eq_u32 s18, 0
	s_cselect_b32 s19, s19, -1
	s_cmp_lg_u32 s19, 0
	s_cselect_b32 s19, s20, s18
	s_cselect_b32 s18, s21, s6
	s_cbranch_execnz .LBB201_122
.LBB201_121:                            ;   in Loop: Header=BB201_31 Depth=1
	v_cvt_f32_u32_e32 v2, s33
	s_sub_i32 s18, 0, s33
	v_rcp_iflag_f32_e32 v2, v2
	v_mul_f32_e32 v2, 0x4f7ffffe, v2
	v_cvt_u32_f32_e32 v2, v2
	v_readfirstlane_b32 s6, v2
	s_mul_i32 s18, s18, s6
	s_mul_hi_u32 s18, s6, s18
	s_add_i32 s6, s6, s18
	s_mul_hi_u32 s6, s93, s6
	s_mul_i32 s6, s6, s33
	s_sub_i32 s6, s93, s6
	s_sub_i32 s18, s6, s33
	s_cmp_ge_u32 s6, s33
	s_cselect_b32 s6, s18, s6
	s_sub_i32 s18, s6, s33
	s_cmp_ge_u32 s6, s33
	s_cselect_b32 s58, s18, s6
	s_mov_b64 s[18:19], s[58:59]
.LBB201_122:                            ;   in Loop: Header=BB201_31 Depth=1
	s_sub_u32 s18, s93, s18
	s_subb_u32 s19, s61, s19
	s_mov_b32 s20, exec_lo
                                        ; implicit-def: $vgpr5
	v_cmpx_gt_u64_e64 s[18:19], v[0:1]
	s_cbranch_execz .LBB201_132
; %bb.123:                              ;   in Loop: Header=BB201_31 Depth=1
	v_mov_b32_e32 v2, v24
	v_mov_b32_e32 v7, v1
	;; [unrolled: 1-line block ×4, first 2 shown]
	s_mov_b32 s21, 0
                                        ; implicit-def: $sgpr23
	s_branch .LBB201_127
.LBB201_124:                            ;   in Loop: Header=BB201_127 Depth=2
	s_or_b32 exec_lo, exec_lo, s6
	s_waitcnt lgkmcnt(0)
	s_barrier
	buffer_gl0_inv
	ds_read_b64 v[4:5], v13 offset:3072
	s_waitcnt lgkmcnt(0)
	s_barrier
	buffer_gl0_inv
	v_cmp_neq_f32_e32 vcc_lo, 0, v4
	s_cbranch_vccnz .LBB201_130
; %bb.125:                              ;   in Loop: Header=BB201_127 Depth=2
	v_add_co_u32 v6, vcc_lo, v6, s33
	v_add_co_ci_u32_e64 v7, null, 0, v7, vcc_lo
	v_add_co_u32 v2, s6, v2, s38
	v_add_co_ci_u32_e64 v3, null, s39, v3, s6
	v_cmp_le_u64_e32 vcc_lo, s[18:19], v[6:7]
	s_mov_b32 s6, 0
	s_orn2_b32 s40, vcc_lo, exec_lo
.LBB201_126:                            ;   in Loop: Header=BB201_127 Depth=2
	s_and_b32 s40, exec_lo, s40
	s_or_b32 s21, s40, s21
	s_andn2_b32 s23, s23, exec_lo
	s_and_b32 s6, s6, exec_lo
	s_or_b32 s23, s23, s6
	s_andn2_b32 exec_lo, exec_lo, s21
	s_cbranch_execz .LBB201_131
.LBB201_127:                            ;   Parent Loop BB201_31 Depth=1
                                        ; =>  This Inner Loop Header: Depth=2
	s_mov_b32 s6, exec_lo
	v_cmpx_gt_u64_e64 s[28:29], v[6:7]
	s_cbranch_execz .LBB201_124
; %bb.128:                              ;   in Loop: Header=BB201_127 Depth=2
	global_load_dword v27, v[2:3], off
	s_waitcnt vmcnt(0)
	v_cmp_lt_i32_e32 vcc_lo, -1, v27
	v_cndmask_b32_e64 v4, -1, 0x80000000, vcc_lo
	v_cmp_o_f32_e32 vcc_lo, v27, v27
	v_xor_b32_e32 v4, v4, v27
	v_cndmask_b32_e32 v4, -1, v4, vcc_lo
	v_and_b32_e32 v4, v4, v32
	v_cmp_eq_u32_e32 vcc_lo, v4, v31
	s_and_b32 exec_lo, exec_lo, vcc_lo
	s_cbranch_execz .LBB201_124
; %bb.129:                              ;   in Loop: Header=BB201_127 Depth=2
	ds_write_b64 v13, v[26:27] offset:3072
	s_branch .LBB201_124
.LBB201_130:                            ;   in Loop: Header=BB201_127 Depth=2
	s_mov_b32 s40, -1
	s_mov_b32 s6, -1
                                        ; implicit-def: $vgpr6_vgpr7
                                        ; implicit-def: $vgpr2_vgpr3
	s_branch .LBB201_126
.LBB201_131:                            ;   in Loop: Header=BB201_31 Depth=1
	s_or_b32 exec_lo, exec_lo, s21
	s_andn2_b32 s6, s22, exec_lo
	s_and_b32 s18, s23, exec_lo
	s_or_b32 s22, s6, s18
.LBB201_132:                            ;   in Loop: Header=BB201_31 Depth=1
	s_or_b32 exec_lo, exec_lo, s20
	s_mov_b32 s70, 0
	s_mov_b32 s71, -1
.LBB201_133:                            ;   in Loop: Header=BB201_31 Depth=1
	s_orn2_b32 s6, s22, exec_lo
.LBB201_134:                            ;   in Loop: Header=BB201_31 Depth=1
	s_or_b32 exec_lo, exec_lo, s64
	s_mov_b32 s72, 0
	s_mov_b32 s23, 0
	;; [unrolled: 1-line block ×3, first 2 shown]
                                        ; implicit-def: $vgpr2_vgpr3
                                        ; implicit-def: $vgpr12
	s_and_saveexec_b32 s73, s6
	s_cbranch_execz .LBB201_298
; %bb.135:                              ;   in Loop: Header=BB201_31 Depth=1
	v_mov_b32_e32 v2, 1
	v_mov_b32_e32 v3, 0
	;; [unrolled: 1-line block ×3, first 2 shown]
	s_xor_b32 s19, s74, -1
	s_mov_b32 s18, 0
	s_and_saveexec_b32 s6, s19
	s_cbranch_execz .LBB201_144
; %bb.136:                              ;   in Loop: Header=BB201_31 Depth=1
	s_mov_b32 s18, exec_lo
	v_cmpx_ge_u64_e64 s[10:11], v[29:30]
	s_xor_b32 s18, exec_lo, s18
	s_cbranch_execz .LBB201_141
; %bb.137:                              ;   in Loop: Header=BB201_31 Depth=1
	ds_read_b64 v[2:3], v13 offset:5120
	v_and_b32_e32 v31, s24, v31
	v_or_b32_e32 v32, s9, v32
	s_waitcnt lgkmcnt(0)
	v_cmp_ne_u64_e32 vcc_lo, 0, v[2:3]
	s_cbranch_vccnz .LBB201_141
; %bb.138:                              ;   in Loop: Header=BB201_31 Depth=1
	s_and_saveexec_b32 s19, s3
; %bb.139:                              ;   in Loop: Header=BB201_31 Depth=1
	v_mov_b32_e32 v2, s10
	v_mov_b32_e32 v3, s11
	ds_write_b64 v13, v[2:3] offset:5128
; %bb.140:                              ;   in Loop: Header=BB201_31 Depth=1
	s_or_b32 exec_lo, exec_lo, s19
	s_waitcnt lgkmcnt(0)
	s_barrier
	buffer_gl0_inv
.LBB201_141:                            ;   in Loop: Header=BB201_31 Depth=1
	s_or_saveexec_b32 s18, s18
	v_mov_b32_e32 v2, v29
	v_mov_b32_e32 v12, 8
	;; [unrolled: 1-line block ×3, first 2 shown]
	s_mov_b32 s19, 0
	s_xor_b32 exec_lo, exec_lo, s18
; %bb.142:                              ;   in Loop: Header=BB201_31 Depth=1
	v_sub_co_u32 v2, vcc_lo, v29, s10
	v_subrev_co_ci_u32_e64 v3, null, s11, v30, vcc_lo
	v_mov_b32_e32 v12, 0
	s_mov_b32 s19, exec_lo
; %bb.143:                              ;   in Loop: Header=BB201_31 Depth=1
	s_or_b32 exec_lo, exec_lo, s18
	s_and_b32 s18, s19, exec_lo
.LBB201_144:                            ;   in Loop: Header=BB201_31 Depth=1
	s_or_b32 exec_lo, exec_lo, s6
	s_mov_b32 s6, -1
                                        ; implicit-def: $sgpr75
                                        ; implicit-def: $sgpr76
	s_and_saveexec_b32 s19, s18
	s_xor_b32 s74, exec_lo, s19
	s_cbranch_execz .LBB201_295
; %bb.145:                              ;   in Loop: Header=BB201_31 Depth=1
	v_cmp_eq_u64_e32 vcc_lo, 1, v[2:3]
	s_cmp_eq_u64 s[12:13], 1
                                        ; implicit-def: $sgpr76
                                        ; implicit-def: $sgpr75
	s_cselect_b32 s6, -1, 0
	s_and_b32 s78, s6, vcc_lo
	s_mov_b32 s6, -1
	s_and_saveexec_b32 s64, s78
	s_cbranch_execz .LBB201_181
; %bb.146:                              ;   in Loop: Header=BB201_31 Depth=1
	ds_read_b64 v[4:5], v13 offset:5120
	s_waitcnt lgkmcnt(0)
	s_barrier
	buffer_gl0_inv
	v_readfirstlane_b32 s18, v4
	v_readfirstlane_b32 s19, v5
	s_and_saveexec_b32 s6, s8
; %bb.147:                              ;   in Loop: Header=BB201_31 Depth=1
	ds_write_b32 v43, v13
; %bb.148:                              ;   in Loop: Header=BB201_31 Depth=1
	s_or_b32 exec_lo, exec_lo, s6
	s_lshl_b32 s6, 1, s56
	v_or_b32_e32 v32, s9, v32
	v_and_or_b32 v31, v31, s24, s6
	s_mov_b32 s75, -1
	s_mov_b32 s76, 0
	s_cmp_eq_u64 s[18:19], 0
	s_mov_b32 s6, -1
	s_waitcnt lgkmcnt(0)
	s_barrier
	buffer_gl0_inv
                                        ; implicit-def: $vgpr5
	s_cbranch_scc1 .LBB201_165
; %bb.149:                              ;   in Loop: Header=BB201_31 Depth=1
	s_add_u32 s6, s18, s91
	s_addc_u32 s21, s19, s92
	s_mov_b32 s20, s59
	s_cmp_lg_u64 s[20:21], 0
	s_cbranch_scc0 .LBB201_208
; %bb.150:                              ;   in Loop: Header=BB201_31 Depth=1
	v_cvt_f32_u32_e32 v4, s33
	s_sub_u32 s23, 0, s33
	s_subb_u32 s40, 0, 0
	v_fmac_f32_e64 v4, 0x4f800000, 0
	v_rcp_f32_e32 v4, v4
	v_mul_f32_e32 v4, 0x5f7ffffc, v4
	v_mul_f32_e32 v5, 0x2f800000, v4
	v_trunc_f32_e32 v5, v5
	v_fmac_f32_e32 v4, 0xcf800000, v5
	v_cvt_u32_f32_e32 v5, v5
	v_cvt_u32_f32_e32 v4, v4
	v_readfirstlane_b32 s20, v5
	v_readfirstlane_b32 s22, v4
	s_mul_i32 s41, s23, s20
	s_mul_hi_u32 s60, s23, s22
	s_mul_i32 s58, s40, s22
	s_add_i32 s41, s60, s41
	s_mul_i32 s65, s23, s22
	s_add_i32 s41, s41, s58
	s_mul_hi_u32 s60, s22, s65
	s_mul_i32 s79, s22, s41
	s_mul_hi_u32 s77, s20, s65
	s_mul_i32 s58, s20, s65
	s_mul_hi_u32 s65, s22, s41
	s_add_u32 s60, s60, s79
	s_addc_u32 s65, 0, s65
	s_mul_hi_u32 s80, s20, s41
	s_add_u32 s58, s60, s58
	s_mul_i32 s41, s20, s41
	s_addc_u32 s58, s65, s77
	s_addc_u32 s60, s80, 0
	s_add_u32 s41, s58, s41
	s_addc_u32 s58, 0, s60
	s_add_u32 s22, s22, s41
	s_cselect_b32 s41, -1, 0
	s_mul_hi_u32 s60, s23, s22
	s_cmp_lg_u32 s41, 0
	s_mul_i32 s41, s23, s22
	s_addc_u32 s20, s20, s58
	s_mul_i32 s40, s40, s22
	s_mul_i32 s23, s23, s20
	s_mul_hi_u32 s58, s22, s41
	s_add_i32 s23, s60, s23
	s_mul_hi_u32 s60, s20, s41
	s_add_i32 s23, s23, s40
	s_mul_i32 s40, s20, s41
	s_mul_i32 s77, s22, s23
	s_mul_hi_u32 s65, s22, s23
	s_add_u32 s58, s58, s77
	s_addc_u32 s65, 0, s65
	s_mul_hi_u32 s41, s20, s23
	s_add_u32 s40, s58, s40
	s_mul_i32 s23, s20, s23
	s_addc_u32 s40, s65, s60
	s_addc_u32 s41, s41, 0
	s_add_u32 s23, s40, s23
	s_addc_u32 s40, 0, s41
	s_add_u32 s22, s22, s23
	s_cselect_b32 s23, -1, 0
	s_mul_hi_u32 s41, s6, s22
	s_cmp_lg_u32 s23, 0
	s_mul_hi_u32 s23, s21, s22
	s_addc_u32 s20, s20, s40
	s_mul_i32 s22, s21, s22
	s_mul_i32 s58, s6, s20
	s_mul_hi_u32 s40, s6, s20
	s_add_u32 s41, s41, s58
	s_addc_u32 s40, 0, s40
	s_mul_hi_u32 s60, s21, s20
	s_add_u32 s22, s41, s22
	s_mul_i32 s20, s21, s20
	s_addc_u32 s22, s40, s23
	s_addc_u32 s23, s60, 0
	s_add_u32 s20, s22, s20
	s_addc_u32 s22, 0, s23
	s_mul_hi_u32 s23, s33, s20
	s_mul_i32 s22, s33, s22
	s_mul_i32 s20, s33, s20
	s_add_i32 s23, s23, s22
	s_sub_u32 s20, s6, s20
	s_cselect_b32 s22, -1, 0
	s_cmp_lg_u32 s22, 0
	s_subb_u32 s22, s21, s23
	s_sub_u32 s23, s20, s33
	s_cselect_b32 s40, -1, 0
	s_cmp_lg_u32 s40, 0
	s_subb_u32 s40, s22, 0
	;; [unrolled: 4-line block ×3, first 2 shown]
	s_cmp_ge_u32 s23, s33
	s_cselect_b32 s60, -1, 0
	s_cmp_eq_u32 s40, 0
	s_cselect_b32 s60, s60, -1
	s_cmp_lg_u32 s60, 0
	s_cselect_b32 s40, s58, s40
	s_cselect_b32 s41, s41, s23
	s_cmp_ge_u32 s20, s33
	s_cselect_b32 s23, -1, 0
	s_cmp_eq_u32 s22, 0
	s_cselect_b32 s23, s23, -1
	s_cmp_lg_u32 s23, 0
	s_cselect_b32 s23, s40, s22
	s_cselect_b32 s22, s41, s20
	s_cbranch_execnz .LBB201_152
.LBB201_151:                            ;   in Loop: Header=BB201_31 Depth=1
	v_cvt_f32_u32_e32 v4, s33
	s_sub_i32 s22, 0, s33
	v_rcp_iflag_f32_e32 v4, v4
	v_mul_f32_e32 v4, 0x4f7ffffe, v4
	v_cvt_u32_f32_e32 v4, v4
	v_readfirstlane_b32 s20, v4
	s_mul_i32 s22, s22, s20
	s_mul_hi_u32 s22, s20, s22
	s_add_i32 s20, s20, s22
	s_mul_hi_u32 s20, s6, s20
	s_mul_i32 s20, s20, s33
	s_sub_i32 s20, s6, s20
	s_sub_i32 s22, s20, s33
	s_cmp_ge_u32 s20, s33
	s_cselect_b32 s20, s22, s20
	s_sub_i32 s22, s20, s33
	s_cmp_ge_u32 s20, s33
	s_cselect_b32 s58, s22, s20
	s_mov_b64 s[22:23], s[58:59]
.LBB201_152:                            ;   in Loop: Header=BB201_31 Depth=1
	s_sub_u32 s20, s6, s22
	s_subb_u32 s21, s21, s23
	s_mov_b32 s6, 0
	s_mov_b32 s22, 0
	s_mov_b32 s23, exec_lo
                                        ; implicit-def: $vgpr5
	v_cmpx_gt_u64_e64 s[20:21], v[0:1]
	s_cbranch_execz .LBB201_164
; %bb.153:                              ;   in Loop: Header=BB201_31 Depth=1
	v_mov_b32_e32 v7, v1
	v_mov_b32_e32 v8, v14
	v_mov_b32_e32 v6, v0
                                        ; implicit-def: $sgpr58
	s_inst_prefetch 0x1
	s_branch .LBB201_157
	.p2align	6
.LBB201_154:                            ;   in Loop: Header=BB201_157 Depth=2
	s_or_b32 exec_lo, exec_lo, s60
	s_waitcnt lgkmcnt(0)
	s_barrier
	buffer_gl0_inv
	ds_read_b64 v[4:5], v13 offset:3072
	s_waitcnt lgkmcnt(0)
	s_barrier
	buffer_gl0_inv
	v_cmp_neq_f32_e32 vcc_lo, 0, v4
	s_cbranch_vccnz .LBB201_160
; %bb.155:                              ;   in Loop: Header=BB201_157 Depth=2
	v_add_co_u32 v6, vcc_lo, v6, s33
	v_add_co_ci_u32_e64 v7, null, 0, v7, vcc_lo
	v_add_nc_u32_e32 v8, s97, v8
	s_mov_b32 s40, 0
	v_cmp_le_u64_e32 vcc_lo, s[20:21], v[6:7]
	s_orn2_b32 s41, vcc_lo, exec_lo
.LBB201_156:                            ;   in Loop: Header=BB201_157 Depth=2
	s_and_b32 s41, exec_lo, s41
	s_or_b32 s22, s41, s22
	s_andn2_b32 s41, s58, exec_lo
	s_and_b32 s40, s40, exec_lo
	s_or_b32 s58, s41, s40
	s_andn2_b32 exec_lo, exec_lo, s22
	s_cbranch_execz .LBB201_163
.LBB201_157:                            ;   Parent Loop BB201_31 Depth=1
                                        ; =>  This Inner Loop Header: Depth=2
	s_mov_b32 s60, exec_lo
	v_cmpx_gt_u64_e64 s[18:19], v[6:7]
	s_cbranch_execz .LBB201_154
; %bb.158:                              ;   in Loop: Header=BB201_157 Depth=2
	ds_read_b32 v27, v8
	s_waitcnt lgkmcnt(0)
	v_cmp_lt_i32_e32 vcc_lo, -1, v27
	v_cndmask_b32_e64 v4, -1, 0x80000000, vcc_lo
	v_cmp_o_f32_e32 vcc_lo, v27, v27
	v_xor_b32_e32 v4, v4, v27
	v_cndmask_b32_e32 v4, -1, v4, vcc_lo
	v_and_b32_e32 v4, v4, v32
	v_cmp_eq_u32_e32 vcc_lo, v4, v31
	s_and_b32 exec_lo, exec_lo, vcc_lo
	s_cbranch_execz .LBB201_154
; %bb.159:                              ;   in Loop: Header=BB201_157 Depth=2
	ds_write_b64 v13, v[26:27] offset:3072
	s_branch .LBB201_154
.LBB201_160:                            ;   in Loop: Header=BB201_157 Depth=2
	s_mov_b32 s41, -1
	s_mov_b32 s40, -1
                                        ; implicit-def: $vgpr6_vgpr7
                                        ; implicit-def: $vgpr8
	s_branch .LBB201_156
.LBB201_161:                            ;   in Loop: Header=BB201_31 Depth=1
                                        ; implicit-def: $sgpr22_sgpr23
	s_branch .LBB201_103
.LBB201_162:                            ;   in Loop: Header=BB201_31 Depth=1
                                        ; implicit-def: $sgpr18_sgpr19
	s_branch .LBB201_121
.LBB201_163:                            ;   in Loop: Header=BB201_31 Depth=1
	s_inst_prefetch 0x2
	s_or_b32 exec_lo, exec_lo, s22
	s_and_b32 s22, s58, exec_lo
.LBB201_164:                            ;   in Loop: Header=BB201_31 Depth=1
	s_or_b32 exec_lo, exec_lo, s23
.LBB201_165:                            ;   in Loop: Header=BB201_31 Depth=1
	s_and_b32 vcc_lo, exec_lo, s6
	s_cbranch_vccz .LBB201_180
; %bb.166:                              ;   in Loop: Header=BB201_31 Depth=1
	s_mov_b32 s60, s59
	s_cmp_lg_u64 s[60:61], 0
	s_cbranch_scc0 .LBB201_209
; %bb.167:                              ;   in Loop: Header=BB201_31 Depth=1
	v_cvt_f32_u32_e32 v4, s33
	s_sub_u32 s19, 0, s33
	s_subb_u32 s20, 0, 0
	v_fmac_f32_e64 v4, 0x4f800000, 0
	v_rcp_f32_e32 v4, v4
	v_mul_f32_e32 v4, 0x5f7ffffc, v4
	v_mul_f32_e32 v5, 0x2f800000, v4
	v_trunc_f32_e32 v5, v5
	v_fmac_f32_e32 v4, 0xcf800000, v5
	v_cvt_u32_f32_e32 v5, v5
	v_cvt_u32_f32_e32 v4, v4
	v_readfirstlane_b32 s6, v5
	v_readfirstlane_b32 s18, v4
	s_mul_i32 s21, s19, s6
	s_mul_hi_u32 s40, s19, s18
	s_mul_i32 s23, s20, s18
	s_add_i32 s21, s40, s21
	s_mul_i32 s41, s19, s18
	s_add_i32 s21, s21, s23
	s_mul_hi_u32 s40, s18, s41
	s_mul_i32 s60, s18, s21
	s_mul_hi_u32 s58, s6, s41
	s_mul_i32 s23, s6, s41
	s_mul_hi_u32 s41, s18, s21
	s_add_u32 s40, s40, s60
	s_addc_u32 s41, 0, s41
	s_mul_hi_u32 s65, s6, s21
	s_add_u32 s23, s40, s23
	s_mul_i32 s21, s6, s21
	s_addc_u32 s23, s41, s58
	s_addc_u32 s40, s65, 0
	s_add_u32 s21, s23, s21
	s_addc_u32 s23, 0, s40
	s_add_u32 s18, s18, s21
	s_cselect_b32 s21, -1, 0
	s_mul_hi_u32 s40, s19, s18
	s_cmp_lg_u32 s21, 0
	s_mul_i32 s21, s19, s18
	s_addc_u32 s6, s6, s23
	s_mul_i32 s20, s20, s18
	s_mul_i32 s19, s19, s6
	s_mul_hi_u32 s23, s18, s21
	s_add_i32 s19, s40, s19
	s_mul_hi_u32 s40, s6, s21
	s_add_i32 s19, s19, s20
	s_mul_i32 s20, s6, s21
	s_mul_i32 s58, s18, s19
	s_mul_hi_u32 s41, s18, s19
	s_add_u32 s23, s23, s58
	s_addc_u32 s41, 0, s41
	s_mul_hi_u32 s21, s6, s19
	s_add_u32 s20, s23, s20
	s_mul_i32 s19, s6, s19
	s_addc_u32 s20, s41, s40
	s_addc_u32 s21, s21, 0
	s_add_u32 s19, s20, s19
	s_addc_u32 s20, 0, s21
	s_add_u32 s18, s18, s19
	s_cselect_b32 s19, -1, 0
	s_mul_hi_u32 s21, s93, s18
	s_cmp_lg_u32 s19, 0
	s_mul_hi_u32 s19, s61, s18
	s_addc_u32 s6, s6, s20
	s_mul_i32 s18, s61, s18
	s_mul_i32 s23, s93, s6
	s_mul_hi_u32 s20, s93, s6
	s_add_u32 s21, s21, s23
	s_addc_u32 s20, 0, s20
	s_mul_hi_u32 s40, s61, s6
	s_add_u32 s18, s21, s18
	s_mul_i32 s6, s61, s6
	s_addc_u32 s18, s20, s19
	s_addc_u32 s19, s40, 0
	s_add_u32 s6, s18, s6
	s_addc_u32 s18, 0, s19
	s_mul_hi_u32 s19, s33, s6
	s_mul_i32 s18, s33, s18
	s_mul_i32 s6, s33, s6
	s_add_i32 s19, s19, s18
	s_sub_u32 s6, s93, s6
	s_cselect_b32 s18, -1, 0
	s_cmp_lg_u32 s18, 0
	s_subb_u32 s18, s61, s19
	s_sub_u32 s19, s6, s33
	s_cselect_b32 s20, -1, 0
	s_cmp_lg_u32 s20, 0
	s_subb_u32 s20, s18, 0
	;; [unrolled: 4-line block ×3, first 2 shown]
	s_cmp_ge_u32 s19, s33
	s_cselect_b32 s40, -1, 0
	s_cmp_eq_u32 s20, 0
	s_cselect_b32 s40, s40, -1
	s_cmp_lg_u32 s40, 0
	s_cselect_b32 s20, s23, s20
	s_cselect_b32 s21, s21, s19
	s_cmp_ge_u32 s6, s33
	s_cselect_b32 s19, -1, 0
	s_cmp_eq_u32 s18, 0
	s_cselect_b32 s19, s19, -1
	s_cmp_lg_u32 s19, 0
	s_cselect_b32 s19, s20, s18
	s_cselect_b32 s18, s21, s6
	s_cbranch_execnz .LBB201_169
.LBB201_168:                            ;   in Loop: Header=BB201_31 Depth=1
	v_cvt_f32_u32_e32 v4, s33
	s_sub_i32 s18, 0, s33
	v_rcp_iflag_f32_e32 v4, v4
	v_mul_f32_e32 v4, 0x4f7ffffe, v4
	v_cvt_u32_f32_e32 v4, v4
	v_readfirstlane_b32 s6, v4
	s_mul_i32 s18, s18, s6
	s_mul_hi_u32 s18, s6, s18
	s_add_i32 s6, s6, s18
	s_mul_hi_u32 s6, s93, s6
	s_mul_i32 s6, s6, s33
	s_sub_i32 s6, s93, s6
	s_sub_i32 s18, s6, s33
	s_cmp_ge_u32 s6, s33
	s_cselect_b32 s6, s18, s6
	s_sub_i32 s18, s6, s33
	s_cmp_ge_u32 s6, s33
	s_cselect_b32 s58, s18, s6
	s_mov_b64 s[18:19], s[58:59]
.LBB201_169:                            ;   in Loop: Header=BB201_31 Depth=1
	s_sub_u32 s18, s93, s18
	s_subb_u32 s19, s61, s19
	s_mov_b32 s20, exec_lo
                                        ; implicit-def: $vgpr5
	v_cmpx_gt_u64_e64 s[18:19], v[0:1]
	s_cbranch_execz .LBB201_179
; %bb.170:                              ;   in Loop: Header=BB201_31 Depth=1
	v_mov_b32_e32 v6, v24
	v_mov_b32_e32 v9, v1
	;; [unrolled: 1-line block ×4, first 2 shown]
	s_mov_b32 s21, 0
                                        ; implicit-def: $sgpr23
	s_branch .LBB201_174
.LBB201_171:                            ;   in Loop: Header=BB201_174 Depth=2
	s_or_b32 exec_lo, exec_lo, s6
	s_waitcnt lgkmcnt(0)
	s_barrier
	buffer_gl0_inv
	ds_read_b64 v[4:5], v13 offset:3072
	s_waitcnt lgkmcnt(0)
	s_barrier
	buffer_gl0_inv
	v_cmp_eq_f32_e32 vcc_lo, 0, v4
	s_cbranch_vccz .LBB201_177
; %bb.172:                              ;   in Loop: Header=BB201_174 Depth=2
	v_add_co_u32 v8, vcc_lo, v8, s33
	v_add_co_ci_u32_e64 v9, null, 0, v9, vcc_lo
	v_add_co_u32 v6, s6, v6, s38
	v_add_co_ci_u32_e64 v7, null, s39, v7, s6
	v_cmp_le_u64_e32 vcc_lo, s[18:19], v[8:9]
	s_mov_b32 s6, 0
	s_orn2_b32 s40, vcc_lo, exec_lo
.LBB201_173:                            ;   in Loop: Header=BB201_174 Depth=2
	s_and_b32 s40, exec_lo, s40
	s_or_b32 s21, s40, s21
	s_andn2_b32 s23, s23, exec_lo
	s_and_b32 s6, s6, exec_lo
	s_or_b32 s23, s23, s6
	s_andn2_b32 exec_lo, exec_lo, s21
	s_cbranch_execz .LBB201_178
.LBB201_174:                            ;   Parent Loop BB201_31 Depth=1
                                        ; =>  This Inner Loop Header: Depth=2
	s_mov_b32 s6, exec_lo
	v_cmpx_gt_u64_e64 s[28:29], v[8:9]
	s_cbranch_execz .LBB201_171
; %bb.175:                              ;   in Loop: Header=BB201_174 Depth=2
	global_load_dword v27, v[6:7], off
	s_waitcnt vmcnt(0)
	v_cmp_lt_i32_e32 vcc_lo, -1, v27
	v_cndmask_b32_e64 v4, -1, 0x80000000, vcc_lo
	v_cmp_o_f32_e32 vcc_lo, v27, v27
	v_xor_b32_e32 v4, v4, v27
	v_cndmask_b32_e32 v4, -1, v4, vcc_lo
	v_and_b32_e32 v4, v4, v32
	v_cmp_eq_u32_e32 vcc_lo, v4, v31
	s_and_b32 exec_lo, exec_lo, vcc_lo
	s_cbranch_execz .LBB201_171
; %bb.176:                              ;   in Loop: Header=BB201_174 Depth=2
	ds_write_b64 v13, v[26:27] offset:3072
	s_branch .LBB201_171
.LBB201_177:                            ;   in Loop: Header=BB201_174 Depth=2
	s_mov_b32 s40, -1
	s_mov_b32 s6, -1
                                        ; implicit-def: $vgpr8_vgpr9
                                        ; implicit-def: $vgpr6_vgpr7
	s_branch .LBB201_173
.LBB201_178:                            ;   in Loop: Header=BB201_31 Depth=1
	s_or_b32 exec_lo, exec_lo, s21
	s_andn2_b32 s6, s22, exec_lo
	s_and_b32 s18, s23, exec_lo
	s_or_b32 s22, s6, s18
.LBB201_179:                            ;   in Loop: Header=BB201_31 Depth=1
	s_or_b32 exec_lo, exec_lo, s20
	s_mov_b32 s75, 0
	s_mov_b32 s76, -1
.LBB201_180:                            ;   in Loop: Header=BB201_31 Depth=1
	s_orn2_b32 s6, s22, exec_lo
.LBB201_181:                            ;   in Loop: Header=BB201_31 Depth=1
	s_or_b32 exec_lo, exec_lo, s64
	s_mov_b32 s18, 0
	s_and_saveexec_b32 s77, s6
	s_cbranch_execz .LBB201_294
; %bb.182:                              ;   in Loop: Header=BB201_31 Depth=1
	v_mov_b32_e32 v6, 1
	v_mov_b32_e32 v7, 0
	;; [unrolled: 1-line block ×3, first 2 shown]
	s_xor_b32 s19, s78, -1
	s_and_saveexec_b32 s6, s19
	s_cbranch_execz .LBB201_191
; %bb.183:                              ;   in Loop: Header=BB201_31 Depth=1
	s_mov_b32 s18, exec_lo
	v_cmpx_ge_u64_e64 s[12:13], v[2:3]
	s_xor_b32 s18, exec_lo, s18
	s_cbranch_execz .LBB201_188
; %bb.184:                              ;   in Loop: Header=BB201_31 Depth=1
	ds_read_b64 v[6:7], v13 offset:5120
	s_lshl_b32 s19, 1, s56
	v_or_b32_e32 v32, s9, v32
	v_and_or_b32 v31, v31, s24, s19
	s_waitcnt lgkmcnt(0)
	v_cmp_ne_u64_e32 vcc_lo, 0, v[6:7]
	s_cbranch_vccnz .LBB201_188
; %bb.185:                              ;   in Loop: Header=BB201_31 Depth=1
	s_and_saveexec_b32 s19, s3
; %bb.186:                              ;   in Loop: Header=BB201_31 Depth=1
	v_mov_b32_e32 v6, s12
	v_mov_b32_e32 v7, s13
	ds_write_b64 v13, v[6:7] offset:5128
; %bb.187:                              ;   in Loop: Header=BB201_31 Depth=1
	s_or_b32 exec_lo, exec_lo, s19
	s_waitcnt lgkmcnt(0)
	s_barrier
	buffer_gl0_inv
.LBB201_188:                            ;   in Loop: Header=BB201_31 Depth=1
	s_or_saveexec_b32 s18, s18
	v_mov_b32_e32 v12, 8
	s_mov_b32 s19, 0
	s_xor_b32 exec_lo, exec_lo, s18
; %bb.189:                              ;   in Loop: Header=BB201_31 Depth=1
	v_sub_co_u32 v2, vcc_lo, v2, s12
	v_subrev_co_ci_u32_e64 v3, null, s13, v3, vcc_lo
	v_mov_b32_e32 v12, 0
	s_mov_b32 s19, exec_lo
; %bb.190:                              ;   in Loop: Header=BB201_31 Depth=1
	s_or_b32 exec_lo, exec_lo, s18
	v_mov_b32_e32 v7, v3
	v_mov_b32_e32 v6, v2
	s_and_b32 s18, s19, exec_lo
.LBB201_191:                            ;   in Loop: Header=BB201_31 Depth=1
	s_or_b32 exec_lo, exec_lo, s6
	s_mov_b32 s6, -1
                                        ; implicit-def: $sgpr79
                                        ; implicit-def: $sgpr80
	s_and_saveexec_b32 s78, s18
	s_cbranch_execz .LBB201_293
; %bb.192:                              ;   in Loop: Header=BB201_31 Depth=1
	v_cmp_eq_u64_e32 vcc_lo, 1, v[6:7]
	s_cmp_eq_u64 s[14:15], 1
                                        ; implicit-def: $sgpr80
                                        ; implicit-def: $sgpr79
	s_cselect_b32 s6, -1, 0
	s_and_b32 s82, s6, vcc_lo
	s_mov_b32 s6, -1
	s_and_saveexec_b32 s81, s82
	s_cbranch_execz .LBB201_228
; %bb.193:                              ;   in Loop: Header=BB201_31 Depth=1
	ds_read_b64 v[2:3], v13 offset:5120
	s_waitcnt lgkmcnt(0)
	s_barrier
	buffer_gl0_inv
	v_readfirstlane_b32 s18, v2
	v_readfirstlane_b32 s19, v3
	s_and_saveexec_b32 s6, s8
; %bb.194:                              ;   in Loop: Header=BB201_31 Depth=1
	ds_write_b32 v43, v13
; %bb.195:                              ;   in Loop: Header=BB201_31 Depth=1
	s_or_b32 exec_lo, exec_lo, s6
	s_lshl_b32 s6, 2, s56
	v_or_b32_e32 v32, s9, v32
	v_and_or_b32 v31, v31, s24, s6
	s_mov_b32 s79, -1
	s_mov_b32 s80, 0
	s_cmp_eq_u64 s[18:19], 0
	s_mov_b32 s22, 0
	s_mov_b32 s6, -1
	s_waitcnt lgkmcnt(0)
	s_barrier
	buffer_gl0_inv
                                        ; implicit-def: $vgpr5
	s_cbranch_scc1 .LBB201_212
; %bb.196:                              ;   in Loop: Header=BB201_31 Depth=1
	s_add_u32 s6, s18, s91
	s_addc_u32 s21, s19, s92
	s_mov_b32 s20, s59
	s_cmp_lg_u64 s[20:21], 0
	s_cbranch_scc0 .LBB201_245
; %bb.197:                              ;   in Loop: Header=BB201_31 Depth=1
	v_cvt_f32_u32_e32 v2, s33
	s_sub_u32 s23, 0, s33
	s_subb_u32 s40, 0, 0
	v_fmac_f32_e64 v2, 0x4f800000, 0
	v_rcp_f32_e32 v2, v2
	v_mul_f32_e32 v2, 0x5f7ffffc, v2
	v_mul_f32_e32 v3, 0x2f800000, v2
	v_trunc_f32_e32 v3, v3
	v_fmac_f32_e32 v2, 0xcf800000, v3
	v_cvt_u32_f32_e32 v3, v3
	v_cvt_u32_f32_e32 v2, v2
	v_readfirstlane_b32 s20, v3
	v_readfirstlane_b32 s22, v2
	s_mul_i32 s41, s23, s20
	s_mul_hi_u32 s60, s23, s22
	s_mul_i32 s58, s40, s22
	s_add_i32 s41, s60, s41
	s_mul_i32 s64, s23, s22
	s_add_i32 s41, s41, s58
	s_mul_hi_u32 s60, s22, s64
	s_mul_i32 s83, s22, s41
	s_mul_hi_u32 s65, s20, s64
	s_mul_i32 s58, s20, s64
	s_mul_hi_u32 s64, s22, s41
	s_add_u32 s60, s60, s83
	s_addc_u32 s64, 0, s64
	s_mul_hi_u32 vcc_lo, s20, s41
	s_add_u32 s58, s60, s58
	s_mul_i32 s41, s20, s41
	s_addc_u32 s58, s64, s65
	s_addc_u32 s60, vcc_lo, 0
	s_add_u32 s41, s58, s41
	s_addc_u32 s58, 0, s60
	s_add_u32 s22, s22, s41
	s_cselect_b32 s41, -1, 0
	s_mul_hi_u32 s60, s23, s22
	s_cmp_lg_u32 s41, 0
	s_mul_i32 s41, s23, s22
	s_addc_u32 s20, s20, s58
	s_mul_i32 s40, s40, s22
	s_mul_i32 s23, s23, s20
	s_mul_hi_u32 s58, s22, s41
	s_add_i32 s23, s60, s23
	s_mul_hi_u32 s60, s20, s41
	s_add_i32 s23, s23, s40
	s_mul_i32 s40, s20, s41
	s_mul_i32 s65, s22, s23
	s_mul_hi_u32 s64, s22, s23
	s_add_u32 s58, s58, s65
	s_addc_u32 s64, 0, s64
	s_mul_hi_u32 s41, s20, s23
	s_add_u32 s40, s58, s40
	s_mul_i32 s23, s20, s23
	s_addc_u32 s40, s64, s60
	s_addc_u32 s41, s41, 0
	s_add_u32 s23, s40, s23
	s_addc_u32 s40, 0, s41
	s_add_u32 s22, s22, s23
	s_cselect_b32 s23, -1, 0
	s_mul_hi_u32 s41, s6, s22
	s_cmp_lg_u32 s23, 0
	s_mul_hi_u32 s23, s21, s22
	s_addc_u32 s20, s20, s40
	s_mul_i32 s22, s21, s22
	s_mul_i32 s58, s6, s20
	s_mul_hi_u32 s40, s6, s20
	s_add_u32 s41, s41, s58
	s_addc_u32 s40, 0, s40
	s_mul_hi_u32 s60, s21, s20
	s_add_u32 s22, s41, s22
	s_mul_i32 s20, s21, s20
	s_addc_u32 s22, s40, s23
	s_addc_u32 s23, s60, 0
	s_add_u32 s20, s22, s20
	s_addc_u32 s22, 0, s23
	s_mul_hi_u32 s23, s33, s20
	s_mul_i32 s22, s33, s22
	s_mul_i32 s20, s33, s20
	s_add_i32 s23, s23, s22
	s_sub_u32 s20, s6, s20
	s_cselect_b32 s22, -1, 0
	s_cmp_lg_u32 s22, 0
	s_subb_u32 s22, s21, s23
	s_sub_u32 s23, s20, s33
	s_cselect_b32 s40, -1, 0
	s_cmp_lg_u32 s40, 0
	s_subb_u32 s40, s22, 0
	;; [unrolled: 4-line block ×3, first 2 shown]
	s_cmp_ge_u32 s23, s33
	s_cselect_b32 s60, -1, 0
	s_cmp_eq_u32 s40, 0
	s_cselect_b32 s60, s60, -1
	s_cmp_lg_u32 s60, 0
	s_cselect_b32 s40, s58, s40
	s_cselect_b32 s41, s41, s23
	s_cmp_ge_u32 s20, s33
	s_cselect_b32 s23, -1, 0
	s_cmp_eq_u32 s22, 0
	s_cselect_b32 s23, s23, -1
	s_cmp_lg_u32 s23, 0
	s_cselect_b32 s23, s40, s22
	s_cselect_b32 s22, s41, s20
	s_cbranch_execnz .LBB201_199
.LBB201_198:                            ;   in Loop: Header=BB201_31 Depth=1
	v_cvt_f32_u32_e32 v2, s33
	s_sub_i32 s22, 0, s33
	v_rcp_iflag_f32_e32 v2, v2
	v_mul_f32_e32 v2, 0x4f7ffffe, v2
	v_cvt_u32_f32_e32 v2, v2
	v_readfirstlane_b32 s20, v2
	s_mul_i32 s22, s22, s20
	s_mul_hi_u32 s22, s20, s22
	s_add_i32 s20, s20, s22
	s_mul_hi_u32 s20, s6, s20
	s_mul_i32 s20, s20, s33
	s_sub_i32 s20, s6, s20
	s_sub_i32 s22, s20, s33
	s_cmp_ge_u32 s20, s33
	s_cselect_b32 s20, s22, s20
	s_sub_i32 s22, s20, s33
	s_cmp_ge_u32 s20, s33
	s_cselect_b32 s58, s22, s20
	s_mov_b64 s[22:23], s[58:59]
.LBB201_199:                            ;   in Loop: Header=BB201_31 Depth=1
	s_sub_u32 s20, s6, s22
	s_subb_u32 s21, s21, s23
	s_mov_b32 s6, 0
	s_mov_b32 s22, 0
	s_mov_b32 s23, exec_lo
                                        ; implicit-def: $vgpr5
	v_cmpx_gt_u64_e64 s[20:21], v[0:1]
	s_cbranch_execz .LBB201_211
; %bb.200:                              ;   in Loop: Header=BB201_31 Depth=1
	v_mov_b32_e32 v3, v1
	v_mov_b32_e32 v8, v14
	;; [unrolled: 1-line block ×3, first 2 shown]
                                        ; implicit-def: $sgpr58
	s_inst_prefetch 0x1
	s_branch .LBB201_204
	.p2align	6
.LBB201_201:                            ;   in Loop: Header=BB201_204 Depth=2
	s_or_b32 exec_lo, exec_lo, s60
	s_waitcnt lgkmcnt(0)
	s_barrier
	buffer_gl0_inv
	ds_read_b64 v[4:5], v13 offset:3072
	s_waitcnt lgkmcnt(0)
	s_barrier
	buffer_gl0_inv
	v_cmp_neq_f32_e32 vcc_lo, 0, v4
	s_cbranch_vccnz .LBB201_207
; %bb.202:                              ;   in Loop: Header=BB201_204 Depth=2
	v_add_co_u32 v2, vcc_lo, v2, s33
	v_add_co_ci_u32_e64 v3, null, 0, v3, vcc_lo
	v_add_nc_u32_e32 v8, s97, v8
	s_mov_b32 s40, 0
	v_cmp_le_u64_e32 vcc_lo, s[20:21], v[2:3]
	s_orn2_b32 s41, vcc_lo, exec_lo
.LBB201_203:                            ;   in Loop: Header=BB201_204 Depth=2
	s_and_b32 s41, exec_lo, s41
	s_or_b32 s22, s41, s22
	s_andn2_b32 s41, s58, exec_lo
	s_and_b32 s40, s40, exec_lo
	s_or_b32 s58, s41, s40
	s_andn2_b32 exec_lo, exec_lo, s22
	s_cbranch_execz .LBB201_210
.LBB201_204:                            ;   Parent Loop BB201_31 Depth=1
                                        ; =>  This Inner Loop Header: Depth=2
	s_mov_b32 s60, exec_lo
	v_cmpx_gt_u64_e64 s[18:19], v[2:3]
	s_cbranch_execz .LBB201_201
; %bb.205:                              ;   in Loop: Header=BB201_204 Depth=2
	ds_read_b32 v27, v8
	s_waitcnt lgkmcnt(0)
	v_cmp_lt_i32_e32 vcc_lo, -1, v27
	v_cndmask_b32_e64 v4, -1, 0x80000000, vcc_lo
	v_cmp_o_f32_e32 vcc_lo, v27, v27
	v_xor_b32_e32 v4, v4, v27
	v_cndmask_b32_e32 v4, -1, v4, vcc_lo
	v_and_b32_e32 v4, v4, v32
	v_cmp_eq_u32_e32 vcc_lo, v4, v31
	s_and_b32 exec_lo, exec_lo, vcc_lo
	s_cbranch_execz .LBB201_201
; %bb.206:                              ;   in Loop: Header=BB201_204 Depth=2
	ds_write_b64 v13, v[26:27] offset:3072
	s_branch .LBB201_201
.LBB201_207:                            ;   in Loop: Header=BB201_204 Depth=2
	s_mov_b32 s41, -1
	s_mov_b32 s40, -1
                                        ; implicit-def: $vgpr2_vgpr3
                                        ; implicit-def: $vgpr8
	s_branch .LBB201_203
.LBB201_208:                            ;   in Loop: Header=BB201_31 Depth=1
                                        ; implicit-def: $sgpr22_sgpr23
	s_branch .LBB201_151
.LBB201_209:                            ;   in Loop: Header=BB201_31 Depth=1
                                        ; implicit-def: $sgpr18_sgpr19
	s_branch .LBB201_168
.LBB201_210:                            ;   in Loop: Header=BB201_31 Depth=1
	s_inst_prefetch 0x2
	s_or_b32 exec_lo, exec_lo, s22
	s_and_b32 s22, s58, exec_lo
.LBB201_211:                            ;   in Loop: Header=BB201_31 Depth=1
	s_or_b32 exec_lo, exec_lo, s23
.LBB201_212:                            ;   in Loop: Header=BB201_31 Depth=1
	s_and_b32 vcc_lo, exec_lo, s6
	s_cbranch_vccz .LBB201_227
; %bb.213:                              ;   in Loop: Header=BB201_31 Depth=1
	s_mov_b32 s60, s59
	s_cmp_lg_u64 s[60:61], 0
	s_cbranch_scc0 .LBB201_246
; %bb.214:                              ;   in Loop: Header=BB201_31 Depth=1
	v_cvt_f32_u32_e32 v2, s33
	s_sub_u32 s19, 0, s33
	s_subb_u32 s20, 0, 0
	v_fmac_f32_e64 v2, 0x4f800000, 0
	v_rcp_f32_e32 v2, v2
	v_mul_f32_e32 v2, 0x5f7ffffc, v2
	v_mul_f32_e32 v3, 0x2f800000, v2
	v_trunc_f32_e32 v3, v3
	v_fmac_f32_e32 v2, 0xcf800000, v3
	v_cvt_u32_f32_e32 v3, v3
	v_cvt_u32_f32_e32 v2, v2
	v_readfirstlane_b32 s6, v3
	v_readfirstlane_b32 s18, v2
	s_mul_i32 s21, s19, s6
	s_mul_hi_u32 s40, s19, s18
	s_mul_i32 s23, s20, s18
	s_add_i32 s21, s40, s21
	s_mul_i32 s41, s19, s18
	s_add_i32 s21, s21, s23
	s_mul_hi_u32 s40, s18, s41
	s_mul_i32 s60, s18, s21
	s_mul_hi_u32 s58, s6, s41
	s_mul_i32 s23, s6, s41
	s_mul_hi_u32 s41, s18, s21
	s_add_u32 s40, s40, s60
	s_addc_u32 s41, 0, s41
	s_mul_hi_u32 s64, s6, s21
	s_add_u32 s23, s40, s23
	s_mul_i32 s21, s6, s21
	s_addc_u32 s23, s41, s58
	s_addc_u32 s40, s64, 0
	s_add_u32 s21, s23, s21
	s_addc_u32 s23, 0, s40
	s_add_u32 s18, s18, s21
	s_cselect_b32 s21, -1, 0
	s_mul_hi_u32 s40, s19, s18
	s_cmp_lg_u32 s21, 0
	s_mul_i32 s21, s19, s18
	s_addc_u32 s6, s6, s23
	s_mul_i32 s20, s20, s18
	s_mul_i32 s19, s19, s6
	s_mul_hi_u32 s23, s18, s21
	s_add_i32 s19, s40, s19
	s_mul_hi_u32 s40, s6, s21
	s_add_i32 s19, s19, s20
	s_mul_i32 s20, s6, s21
	s_mul_i32 s58, s18, s19
	s_mul_hi_u32 s41, s18, s19
	s_add_u32 s23, s23, s58
	s_addc_u32 s41, 0, s41
	s_mul_hi_u32 s21, s6, s19
	s_add_u32 s20, s23, s20
	s_mul_i32 s19, s6, s19
	s_addc_u32 s20, s41, s40
	s_addc_u32 s21, s21, 0
	s_add_u32 s19, s20, s19
	s_addc_u32 s20, 0, s21
	s_add_u32 s18, s18, s19
	s_cselect_b32 s19, -1, 0
	s_mul_hi_u32 s21, s93, s18
	s_cmp_lg_u32 s19, 0
	s_mul_hi_u32 s19, s61, s18
	s_addc_u32 s6, s6, s20
	s_mul_i32 s18, s61, s18
	s_mul_i32 s23, s93, s6
	s_mul_hi_u32 s20, s93, s6
	s_add_u32 s21, s21, s23
	s_addc_u32 s20, 0, s20
	s_mul_hi_u32 s40, s61, s6
	s_add_u32 s18, s21, s18
	s_mul_i32 s6, s61, s6
	s_addc_u32 s18, s20, s19
	s_addc_u32 s19, s40, 0
	s_add_u32 s6, s18, s6
	s_addc_u32 s18, 0, s19
	s_mul_hi_u32 s19, s33, s6
	s_mul_i32 s18, s33, s18
	s_mul_i32 s6, s33, s6
	s_add_i32 s19, s19, s18
	s_sub_u32 s6, s93, s6
	s_cselect_b32 s18, -1, 0
	s_cmp_lg_u32 s18, 0
	s_subb_u32 s18, s61, s19
	s_sub_u32 s19, s6, s33
	s_cselect_b32 s20, -1, 0
	s_cmp_lg_u32 s20, 0
	s_subb_u32 s20, s18, 0
	;; [unrolled: 4-line block ×3, first 2 shown]
	s_cmp_ge_u32 s19, s33
	s_cselect_b32 s40, -1, 0
	s_cmp_eq_u32 s20, 0
	s_cselect_b32 s40, s40, -1
	s_cmp_lg_u32 s40, 0
	s_cselect_b32 s20, s23, s20
	s_cselect_b32 s21, s21, s19
	s_cmp_ge_u32 s6, s33
	s_cselect_b32 s19, -1, 0
	s_cmp_eq_u32 s18, 0
	s_cselect_b32 s19, s19, -1
	s_cmp_lg_u32 s19, 0
	s_cselect_b32 s19, s20, s18
	s_cselect_b32 s18, s21, s6
	s_cbranch_execnz .LBB201_216
.LBB201_215:                            ;   in Loop: Header=BB201_31 Depth=1
	v_cvt_f32_u32_e32 v2, s33
	s_sub_i32 s18, 0, s33
	v_rcp_iflag_f32_e32 v2, v2
	v_mul_f32_e32 v2, 0x4f7ffffe, v2
	v_cvt_u32_f32_e32 v2, v2
	v_readfirstlane_b32 s6, v2
	s_mul_i32 s18, s18, s6
	s_mul_hi_u32 s18, s6, s18
	s_add_i32 s6, s6, s18
	s_mul_hi_u32 s6, s93, s6
	s_mul_i32 s6, s6, s33
	s_sub_i32 s6, s93, s6
	s_sub_i32 s18, s6, s33
	s_cmp_ge_u32 s6, s33
	s_cselect_b32 s6, s18, s6
	s_sub_i32 s18, s6, s33
	s_cmp_ge_u32 s6, s33
	s_cselect_b32 s58, s18, s6
	s_mov_b64 s[18:19], s[58:59]
.LBB201_216:                            ;   in Loop: Header=BB201_31 Depth=1
	s_sub_u32 s18, s93, s18
	s_subb_u32 s19, s61, s19
	s_mov_b32 s20, exec_lo
                                        ; implicit-def: $vgpr5
	v_cmpx_gt_u64_e64 s[18:19], v[0:1]
	s_cbranch_execz .LBB201_226
; %bb.217:                              ;   in Loop: Header=BB201_31 Depth=1
	v_mov_b32_e32 v2, v24
	v_mov_b32_e32 v9, v1
	;; [unrolled: 1-line block ×4, first 2 shown]
	s_mov_b32 s21, 0
                                        ; implicit-def: $sgpr23
	s_branch .LBB201_221
.LBB201_218:                            ;   in Loop: Header=BB201_221 Depth=2
	s_or_b32 exec_lo, exec_lo, s6
	s_waitcnt lgkmcnt(0)
	s_barrier
	buffer_gl0_inv
	ds_read_b64 v[4:5], v13 offset:3072
	s_waitcnt lgkmcnt(0)
	s_barrier
	buffer_gl0_inv
	v_cmp_eq_f32_e32 vcc_lo, 0, v4
	s_cbranch_vccz .LBB201_224
; %bb.219:                              ;   in Loop: Header=BB201_221 Depth=2
	v_add_co_u32 v8, vcc_lo, v8, s33
	v_add_co_ci_u32_e64 v9, null, 0, v9, vcc_lo
	v_add_co_u32 v2, s6, v2, s38
	v_add_co_ci_u32_e64 v3, null, s39, v3, s6
	v_cmp_le_u64_e32 vcc_lo, s[18:19], v[8:9]
	s_mov_b32 s6, 0
	s_orn2_b32 s40, vcc_lo, exec_lo
.LBB201_220:                            ;   in Loop: Header=BB201_221 Depth=2
	s_and_b32 s40, exec_lo, s40
	s_or_b32 s21, s40, s21
	s_andn2_b32 s23, s23, exec_lo
	s_and_b32 s6, s6, exec_lo
	s_or_b32 s23, s23, s6
	s_andn2_b32 exec_lo, exec_lo, s21
	s_cbranch_execz .LBB201_225
.LBB201_221:                            ;   Parent Loop BB201_31 Depth=1
                                        ; =>  This Inner Loop Header: Depth=2
	s_mov_b32 s6, exec_lo
	v_cmpx_gt_u64_e64 s[28:29], v[8:9]
	s_cbranch_execz .LBB201_218
; %bb.222:                              ;   in Loop: Header=BB201_221 Depth=2
	global_load_dword v27, v[2:3], off
	s_waitcnt vmcnt(0)
	v_cmp_lt_i32_e32 vcc_lo, -1, v27
	v_cndmask_b32_e64 v4, -1, 0x80000000, vcc_lo
	v_cmp_o_f32_e32 vcc_lo, v27, v27
	v_xor_b32_e32 v4, v4, v27
	v_cndmask_b32_e32 v4, -1, v4, vcc_lo
	v_and_b32_e32 v4, v4, v32
	v_cmp_eq_u32_e32 vcc_lo, v4, v31
	s_and_b32 exec_lo, exec_lo, vcc_lo
	s_cbranch_execz .LBB201_218
; %bb.223:                              ;   in Loop: Header=BB201_221 Depth=2
	ds_write_b64 v13, v[26:27] offset:3072
	s_branch .LBB201_218
.LBB201_224:                            ;   in Loop: Header=BB201_221 Depth=2
	s_mov_b32 s40, -1
	s_mov_b32 s6, -1
                                        ; implicit-def: $vgpr8_vgpr9
                                        ; implicit-def: $vgpr2_vgpr3
	s_branch .LBB201_220
.LBB201_225:                            ;   in Loop: Header=BB201_31 Depth=1
	s_or_b32 exec_lo, exec_lo, s21
	s_andn2_b32 s6, s22, exec_lo
	s_and_b32 s18, s23, exec_lo
	s_or_b32 s22, s6, s18
.LBB201_226:                            ;   in Loop: Header=BB201_31 Depth=1
	s_or_b32 exec_lo, exec_lo, s20
	s_mov_b32 s79, 0
	s_mov_b32 s80, -1
.LBB201_227:                            ;   in Loop: Header=BB201_31 Depth=1
	s_orn2_b32 s6, s22, exec_lo
.LBB201_228:                            ;   in Loop: Header=BB201_31 Depth=1
	s_or_b32 exec_lo, exec_lo, s81
	s_mov_b32 s18, 0
	s_and_saveexec_b32 s81, s6
	s_cbranch_execz .LBB201_292
; %bb.229:                              ;   in Loop: Header=BB201_31 Depth=1
	v_mov_b32_e32 v2, 1
	v_mov_b32_e32 v3, 0
	;; [unrolled: 1-line block ×3, first 2 shown]
	s_xor_b32 s18, s82, -1
	s_mov_b32 s19, 0
	s_and_saveexec_b32 s6, s18
	s_cbranch_execz .LBB201_238
; %bb.230:                              ;   in Loop: Header=BB201_31 Depth=1
	s_mov_b32 s18, exec_lo
	v_cmpx_ge_u64_e64 s[14:15], v[6:7]
	s_xor_b32 s18, exec_lo, s18
	s_cbranch_execz .LBB201_235
; %bb.231:                              ;   in Loop: Header=BB201_31 Depth=1
	ds_read_b64 v[2:3], v13 offset:5120
	s_lshl_b32 s19, 2, s56
	v_or_b32_e32 v32, s9, v32
	v_and_or_b32 v31, v31, s24, s19
	s_waitcnt lgkmcnt(0)
	v_cmp_ne_u64_e32 vcc_lo, 0, v[2:3]
	s_cbranch_vccnz .LBB201_235
; %bb.232:                              ;   in Loop: Header=BB201_31 Depth=1
	s_and_saveexec_b32 s19, s3
; %bb.233:                              ;   in Loop: Header=BB201_31 Depth=1
	v_mov_b32_e32 v2, s14
	v_mov_b32_e32 v3, s15
	ds_write_b64 v13, v[2:3] offset:5128
; %bb.234:                              ;   in Loop: Header=BB201_31 Depth=1
	s_or_b32 exec_lo, exec_lo, s19
	s_waitcnt lgkmcnt(0)
	s_barrier
	buffer_gl0_inv
.LBB201_235:                            ;   in Loop: Header=BB201_31 Depth=1
	s_or_saveexec_b32 s18, s18
	v_mov_b32_e32 v12, 8
	s_mov_b32 s19, 0
	s_xor_b32 exec_lo, exec_lo, s18
; %bb.236:                              ;   in Loop: Header=BB201_31 Depth=1
	v_sub_co_u32 v6, vcc_lo, v6, s14
	v_subrev_co_ci_u32_e64 v7, null, s15, v7, vcc_lo
	v_mov_b32_e32 v12, 0
	s_mov_b32 s19, exec_lo
; %bb.237:                              ;   in Loop: Header=BB201_31 Depth=1
	s_or_b32 exec_lo, exec_lo, s18
	v_mov_b32_e32 v2, v6
	v_mov_b32_e32 v3, v7
	s_and_b32 s19, s19, exec_lo
.LBB201_238:                            ;   in Loop: Header=BB201_31 Depth=1
	s_or_b32 exec_lo, exec_lo, s6
	s_mov_b32 s18, -1
                                        ; implicit-def: $sgpr60
                                        ; implicit-def: $sgpr6
	s_and_saveexec_b32 s82, s19
	s_cbranch_execz .LBB201_291
; %bb.239:                              ;   in Loop: Header=BB201_31 Depth=1
	v_cmp_eq_u64_e32 vcc_lo, 1, v[2:3]
	s_cmp_eq_u64 s[16:17], 1
	s_mov_b32 s19, -1
	s_cselect_b32 s6, -1, 0
                                        ; implicit-def: $sgpr60
	s_and_b32 s83, s6, vcc_lo
                                        ; implicit-def: $sgpr6
	s_and_saveexec_b32 s64, s83
	s_cbranch_execz .LBB201_279
; %bb.240:                              ;   in Loop: Header=BB201_31 Depth=1
	ds_read_b64 v[4:5], v13 offset:5120
	s_waitcnt lgkmcnt(0)
	s_barrier
	buffer_gl0_inv
	v_readfirstlane_b32 s18, v4
	v_readfirstlane_b32 s19, v5
	s_and_saveexec_b32 s6, s8
; %bb.241:                              ;   in Loop: Header=BB201_31 Depth=1
	ds_write_b32 v43, v13
; %bb.242:                              ;   in Loop: Header=BB201_31 Depth=1
	s_or_b32 exec_lo, exec_lo, s6
	v_or_b32_e32 v31, s9, v31
	v_or_b32_e32 v32, s9, v32
	s_mov_b32 s6, -1
	s_mov_b32 s60, 0
	s_cmp_eq_u64 s[18:19], 0
	s_mov_b32 s22, 0
	s_mov_b32 s23, -1
	s_waitcnt lgkmcnt(0)
	s_barrier
	buffer_gl0_inv
                                        ; implicit-def: $vgpr5
	s_cbranch_scc1 .LBB201_261
; %bb.243:                              ;   in Loop: Header=BB201_31 Depth=1
	v_writelane_b32 v49, s83, 11
	s_add_u32 s65, s18, s91
	s_addc_u32 s21, s19, s92
	s_mov_b32 s20, s59
	s_cmp_lg_u64 s[20:21], 0
	v_writelane_b32 v49, s94, 12
	s_cbranch_scc0 .LBB201_247
; %bb.244:                              ;   in Loop: Header=BB201_31 Depth=1
	v_cvt_f32_u32_e32 v4, s33
	s_sub_u32 s23, 0, s33
	s_subb_u32 s40, 0, 0
	v_fmac_f32_e64 v4, 0x4f800000, 0
	v_rcp_f32_e32 v4, v4
	v_mul_f32_e32 v4, 0x5f7ffffc, v4
	v_mul_f32_e32 v5, 0x2f800000, v4
	v_trunc_f32_e32 v5, v5
	v_fmac_f32_e32 v4, 0xcf800000, v5
	v_cvt_u32_f32_e32 v5, v5
	v_cvt_u32_f32_e32 v4, v4
	v_readfirstlane_b32 s20, v5
	v_readfirstlane_b32 s22, v4
	s_mul_i32 s41, s23, s20
	s_mul_hi_u32 vcc_lo, s23, s22
	s_mul_i32 s58, s40, s22
	s_add_i32 s41, vcc_lo, s41
	s_mul_i32 s46, s23, s22
	s_add_i32 s41, s41, s58
	s_mul_hi_u32 s47, s22, s46
	s_mul_i32 s94, s22, s41
	s_mul_hi_u32 s58, s22, s41
	s_mul_hi_u32 vcc_lo, s20, s46
	s_mul_i32 s46, s20, s46
	s_add_u32 s47, s47, s94
	s_addc_u32 s58, 0, s58
	s_mul_hi_u32 s83, s20, s41
	s_add_u32 s46, s47, s46
	s_mul_i32 s41, s20, s41
	s_addc_u32 s46, s58, vcc_lo
	s_addc_u32 s47, s83, 0
	s_add_u32 s41, s46, s41
	s_addc_u32 s46, 0, s47
	s_add_u32 s22, s22, s41
	s_cselect_b32 s41, -1, 0
	s_mul_hi_u32 s47, s23, s22
	s_cmp_lg_u32 s41, 0
	s_mul_i32 s41, s23, s22
	s_addc_u32 s20, s20, s46
	s_mul_i32 s40, s40, s22
	s_mul_i32 s23, s23, s20
	s_mul_hi_u32 s46, s22, s41
	s_add_i32 s23, s47, s23
	s_mul_hi_u32 s47, s20, s41
	s_add_i32 s23, s23, s40
	s_mul_i32 s40, s20, s41
	s_mul_i32 s83, s22, s23
	s_mul_hi_u32 s58, s22, s23
	s_add_u32 s46, s46, s83
	s_addc_u32 s58, 0, s58
	s_mul_hi_u32 s41, s20, s23
	s_add_u32 s40, s46, s40
	s_mul_i32 s23, s20, s23
	s_addc_u32 s40, s58, s47
	s_addc_u32 s41, s41, 0
	s_add_u32 s23, s40, s23
	s_addc_u32 s40, 0, s41
	s_add_u32 s22, s22, s23
	s_cselect_b32 s23, -1, 0
	s_mul_hi_u32 s41, s65, s22
	s_cmp_lg_u32 s23, 0
	s_mul_hi_u32 s23, s21, s22
	s_addc_u32 s20, s20, s40
	s_mul_i32 s22, s21, s22
	s_mul_i32 s46, s65, s20
	s_mul_hi_u32 s40, s65, s20
	s_add_u32 s41, s41, s46
	s_addc_u32 s40, 0, s40
	s_mul_hi_u32 s47, s21, s20
	s_add_u32 s22, s41, s22
	s_mul_i32 s20, s21, s20
	s_addc_u32 s22, s40, s23
	s_addc_u32 s23, s47, 0
	s_add_u32 s20, s22, s20
	s_addc_u32 s22, 0, s23
	s_mul_hi_u32 s23, s33, s20
	s_mul_i32 s22, s33, s22
	s_mul_i32 s20, s33, s20
	s_add_i32 s23, s23, s22
	s_sub_u32 s20, s65, s20
	s_cselect_b32 s22, -1, 0
	s_cmp_lg_u32 s22, 0
	s_subb_u32 s22, s21, s23
	s_sub_u32 s23, s20, s33
	s_cselect_b32 s40, -1, 0
	s_cmp_lg_u32 s40, 0
	s_subb_u32 s40, s22, 0
	;; [unrolled: 4-line block ×3, first 2 shown]
	s_cmp_ge_u32 s23, s33
	s_cselect_b32 s47, -1, 0
	s_cmp_eq_u32 s40, 0
	s_cselect_b32 s47, s47, -1
	s_cmp_lg_u32 s47, 0
	s_cselect_b32 s40, s46, s40
	s_cselect_b32 s41, s41, s23
	s_cmp_ge_u32 s20, s33
	s_cselect_b32 s23, -1, 0
	s_cmp_eq_u32 s22, 0
	s_cselect_b32 s23, s23, -1
	s_cmp_lg_u32 s23, 0
	s_cselect_b32 s23, s40, s22
	s_cselect_b32 s22, s41, s20
	s_mov_b32 s20, 0
	s_branch .LBB201_248
.LBB201_245:                            ;   in Loop: Header=BB201_31 Depth=1
                                        ; implicit-def: $sgpr22_sgpr23
	s_branch .LBB201_198
.LBB201_246:                            ;   in Loop: Header=BB201_31 Depth=1
                                        ; implicit-def: $sgpr18_sgpr19
	s_branch .LBB201_215
.LBB201_247:                            ;   in Loop: Header=BB201_31 Depth=1
	s_mov_b32 s20, -1
                                        ; implicit-def: $sgpr22_sgpr23
.LBB201_248:                            ;   in Loop: Header=BB201_31 Depth=1
	s_andn2_b32 vcc_lo, exec_lo, s20
	s_cbranch_vccnz .LBB201_250
; %bb.249:                              ;   in Loop: Header=BB201_31 Depth=1
	v_cvt_f32_u32_e32 v4, s33
	s_sub_i32 s22, 0, s33
	v_rcp_iflag_f32_e32 v4, v4
	v_mul_f32_e32 v4, 0x4f7ffffe, v4
	v_cvt_u32_f32_e32 v4, v4
	v_readfirstlane_b32 s20, v4
	s_mul_i32 s22, s22, s20
	s_mul_hi_u32 s22, s20, s22
	s_add_i32 s20, s20, s22
	s_mul_hi_u32 s20, s65, s20
	s_mul_i32 s20, s20, s33
	s_sub_i32 s20, s65, s20
	s_sub_i32 s22, s20, s33
	s_cmp_ge_u32 s20, s33
	s_cselect_b32 s20, s22, s20
	s_sub_i32 s22, s20, s33
	s_cmp_ge_u32 s20, s33
	s_cselect_b32 s58, s22, s20
	s_mov_b64 s[22:23], s[58:59]
.LBB201_250:                            ;   in Loop: Header=BB201_31 Depth=1
	s_sub_u32 s20, s65, s22
	s_subb_u32 s21, s21, s23
	s_mov_b32 s23, 0
	s_mov_b32 s22, 0
	s_mov_b32 s58, exec_lo
                                        ; implicit-def: $vgpr5
	v_cmpx_gt_u64_e64 s[20:21], v[0:1]
	v_readlane_b32 s94, v49, 12
	v_readlane_b32 s83, v49, 11
	s_cbranch_execz .LBB201_260
; %bb.251:                              ;   in Loop: Header=BB201_31 Depth=1
	v_mov_b32_e32 v7, v1
	v_mov_b32_e32 v8, v14
	;; [unrolled: 1-line block ×3, first 2 shown]
                                        ; implicit-def: $sgpr65
	s_inst_prefetch 0x1
	s_branch .LBB201_255
	.p2align	6
.LBB201_252:                            ;   in Loop: Header=BB201_255 Depth=2
	s_or_b32 exec_lo, exec_lo, s40
	s_waitcnt lgkmcnt(0)
	s_barrier
	buffer_gl0_inv
	ds_read_b64 v[4:5], v13 offset:3072
	s_waitcnt lgkmcnt(0)
	s_barrier
	buffer_gl0_inv
	v_cmp_neq_f32_e32 vcc_lo, 0, v4
	s_cbranch_vccnz .LBB201_258
; %bb.253:                              ;   in Loop: Header=BB201_255 Depth=2
	v_add_co_u32 v6, vcc_lo, v6, s33
	v_add_co_ci_u32_e64 v7, null, 0, v7, vcc_lo
	v_add_nc_u32_e32 v8, s97, v8
	s_mov_b32 s40, 0
	v_cmp_le_u64_e32 vcc_lo, s[20:21], v[6:7]
	s_orn2_b32 s41, vcc_lo, exec_lo
.LBB201_254:                            ;   in Loop: Header=BB201_255 Depth=2
	s_and_b32 s41, exec_lo, s41
	s_or_b32 s22, s41, s22
	s_andn2_b32 s41, s65, exec_lo
	s_and_b32 s40, s40, exec_lo
	s_or_b32 s65, s41, s40
	s_andn2_b32 exec_lo, exec_lo, s22
	s_cbranch_execz .LBB201_259
.LBB201_255:                            ;   Parent Loop BB201_31 Depth=1
                                        ; =>  This Inner Loop Header: Depth=2
	s_mov_b32 s40, exec_lo
	v_cmpx_gt_u64_e64 s[18:19], v[6:7]
	s_cbranch_execz .LBB201_252
; %bb.256:                              ;   in Loop: Header=BB201_255 Depth=2
	ds_read_b32 v27, v8
	s_waitcnt lgkmcnt(0)
	v_cmp_lt_i32_e32 vcc_lo, -1, v27
	v_cndmask_b32_e64 v4, -1, 0x80000000, vcc_lo
	v_cmp_o_f32_e32 vcc_lo, v27, v27
	v_xor_b32_e32 v4, v4, v27
	v_cndmask_b32_e32 v4, -1, v4, vcc_lo
	v_and_b32_e32 v4, v4, v32
	v_cmp_eq_u32_e32 vcc_lo, v4, v31
	s_and_b32 exec_lo, exec_lo, vcc_lo
	s_cbranch_execz .LBB201_252
; %bb.257:                              ;   in Loop: Header=BB201_255 Depth=2
	ds_write_b64 v13, v[26:27] offset:3072
	s_branch .LBB201_252
.LBB201_258:                            ;   in Loop: Header=BB201_255 Depth=2
	s_mov_b32 s41, -1
	s_mov_b32 s40, -1
                                        ; implicit-def: $vgpr6_vgpr7
                                        ; implicit-def: $vgpr8
	s_branch .LBB201_254
.LBB201_259:                            ;   in Loop: Header=BB201_31 Depth=1
	s_inst_prefetch 0x2
	s_or_b32 exec_lo, exec_lo, s22
	s_and_b32 s22, s65, exec_lo
.LBB201_260:                            ;   in Loop: Header=BB201_31 Depth=1
	s_or_b32 exec_lo, exec_lo, s58
.LBB201_261:                            ;   in Loop: Header=BB201_31 Depth=1
	s_and_b32 vcc_lo, exec_lo, s23
	s_cbranch_vccz .LBB201_278
; %bb.262:                              ;   in Loop: Header=BB201_31 Depth=1
	s_mov_b32 s60, s59
	s_cmp_lg_u64 s[60:61], 0
	s_cbranch_scc0 .LBB201_264
; %bb.263:                              ;   in Loop: Header=BB201_31 Depth=1
	v_cvt_f32_u32_e32 v4, s33
	s_sub_u32 s19, 0, s33
	s_subb_u32 s20, 0, 0
	v_fmac_f32_e64 v4, 0x4f800000, 0
	v_rcp_f32_e32 v4, v4
	v_mul_f32_e32 v4, 0x5f7ffffc, v4
	v_mul_f32_e32 v5, 0x2f800000, v4
	v_trunc_f32_e32 v5, v5
	v_fmac_f32_e32 v4, 0xcf800000, v5
	v_cvt_u32_f32_e32 v5, v5
	v_cvt_u32_f32_e32 v4, v4
	v_readfirstlane_b32 s6, v5
	v_readfirstlane_b32 s18, v4
	s_mul_i32 s21, s19, s6
	s_mul_hi_u32 s40, s19, s18
	s_mul_i32 s23, s20, s18
	s_add_i32 s21, s40, s21
	s_mul_i32 s41, s19, s18
	s_add_i32 s21, s21, s23
	s_mul_hi_u32 s40, s18, s41
	s_mul_i32 s47, s18, s21
	s_mul_hi_u32 s46, s6, s41
	s_mul_i32 s23, s6, s41
	s_mul_hi_u32 s41, s18, s21
	s_add_u32 s40, s40, s47
	s_addc_u32 s41, 0, s41
	s_mul_hi_u32 s58, s6, s21
	s_add_u32 s23, s40, s23
	s_mul_i32 s21, s6, s21
	s_addc_u32 s23, s41, s46
	s_addc_u32 s40, s58, 0
	s_add_u32 s21, s23, s21
	s_addc_u32 s23, 0, s40
	s_add_u32 s18, s18, s21
	s_cselect_b32 s21, -1, 0
	s_mul_hi_u32 s40, s19, s18
	s_cmp_lg_u32 s21, 0
	s_mul_i32 s21, s19, s18
	s_addc_u32 s6, s6, s23
	s_mul_i32 s20, s20, s18
	s_mul_i32 s19, s19, s6
	s_mul_hi_u32 s23, s18, s21
	s_add_i32 s19, s40, s19
	s_mul_hi_u32 s40, s6, s21
	s_add_i32 s19, s19, s20
	s_mul_i32 s20, s6, s21
	s_mul_i32 s46, s18, s19
	s_mul_hi_u32 s41, s18, s19
	s_add_u32 s23, s23, s46
	s_addc_u32 s41, 0, s41
	s_mul_hi_u32 s21, s6, s19
	s_add_u32 s20, s23, s20
	s_mul_i32 s19, s6, s19
	s_addc_u32 s20, s41, s40
	s_addc_u32 s21, s21, 0
	s_add_u32 s19, s20, s19
	s_addc_u32 s20, 0, s21
	s_add_u32 s18, s18, s19
	s_cselect_b32 s19, -1, 0
	s_mul_hi_u32 s21, s93, s18
	s_cmp_lg_u32 s19, 0
	s_mul_hi_u32 s19, s61, s18
	s_addc_u32 s6, s6, s20
	s_mul_i32 s18, s61, s18
	s_mul_i32 s23, s93, s6
	s_mul_hi_u32 s20, s93, s6
	s_add_u32 s21, s21, s23
	s_addc_u32 s20, 0, s20
	s_mul_hi_u32 s40, s61, s6
	s_add_u32 s18, s21, s18
	s_mul_i32 s6, s61, s6
	s_addc_u32 s18, s20, s19
	s_addc_u32 s19, s40, 0
	s_add_u32 s6, s18, s6
	s_addc_u32 s18, 0, s19
	s_mul_hi_u32 s19, s33, s6
	s_mul_i32 s18, s33, s18
	s_mul_i32 s6, s33, s6
	s_add_i32 s19, s19, s18
	s_sub_u32 s6, s93, s6
	s_cselect_b32 s18, -1, 0
	s_cmp_lg_u32 s18, 0
	s_subb_u32 s18, s61, s19
	s_sub_u32 s19, s6, s33
	s_cselect_b32 s20, -1, 0
	s_cmp_lg_u32 s20, 0
	s_subb_u32 s20, s18, 0
	;; [unrolled: 4-line block ×3, first 2 shown]
	s_cmp_ge_u32 s19, s33
	s_cselect_b32 s40, -1, 0
	s_cmp_eq_u32 s20, 0
	s_cselect_b32 s40, s40, -1
	s_cmp_lg_u32 s40, 0
	s_cselect_b32 s20, s23, s20
	s_cselect_b32 s21, s21, s19
	s_cmp_ge_u32 s6, s33
	s_cselect_b32 s19, -1, 0
	s_cmp_eq_u32 s18, 0
	s_cselect_b32 s19, s19, -1
	s_cmp_lg_u32 s19, 0
	s_cselect_b32 s19, s20, s18
	s_cselect_b32 s18, s21, s6
	s_mov_b32 s6, 0
	s_branch .LBB201_265
.LBB201_264:                            ;   in Loop: Header=BB201_31 Depth=1
	s_mov_b32 s6, -1
                                        ; implicit-def: $sgpr18_sgpr19
.LBB201_265:                            ;   in Loop: Header=BB201_31 Depth=1
	s_andn2_b32 vcc_lo, exec_lo, s6
	s_cbranch_vccnz .LBB201_267
; %bb.266:                              ;   in Loop: Header=BB201_31 Depth=1
	v_cvt_f32_u32_e32 v4, s33
	s_sub_i32 s18, 0, s33
	v_rcp_iflag_f32_e32 v4, v4
	v_mul_f32_e32 v4, 0x4f7ffffe, v4
	v_cvt_u32_f32_e32 v4, v4
	v_readfirstlane_b32 s6, v4
	s_mul_i32 s18, s18, s6
	s_mul_hi_u32 s18, s6, s18
	s_add_i32 s6, s6, s18
	s_mul_hi_u32 s6, s93, s6
	s_mul_i32 s6, s6, s33
	s_sub_i32 s6, s93, s6
	s_sub_i32 s18, s6, s33
	s_cmp_ge_u32 s6, s33
	s_cselect_b32 s6, s18, s6
	s_sub_i32 s18, s6, s33
	s_cmp_ge_u32 s6, s33
	s_cselect_b32 s58, s18, s6
	s_mov_b64 s[18:19], s[58:59]
.LBB201_267:                            ;   in Loop: Header=BB201_31 Depth=1
	s_sub_u32 s18, s93, s18
	s_subb_u32 s19, s61, s19
	s_mov_b32 s20, exec_lo
                                        ; implicit-def: $vgpr5
	v_cmpx_gt_u64_e64 s[18:19], v[0:1]
	s_cbranch_execz .LBB201_277
; %bb.268:                              ;   in Loop: Header=BB201_31 Depth=1
	v_mov_b32_e32 v6, v24
	v_mov_b32_e32 v9, v1
	;; [unrolled: 1-line block ×4, first 2 shown]
	s_mov_b32 s21, 0
                                        ; implicit-def: $sgpr23
	s_branch .LBB201_272
.LBB201_269:                            ;   in Loop: Header=BB201_272 Depth=2
	s_or_b32 exec_lo, exec_lo, s6
	s_waitcnt lgkmcnt(0)
	s_barrier
	buffer_gl0_inv
	ds_read_b64 v[4:5], v13 offset:3072
	s_waitcnt lgkmcnt(0)
	s_barrier
	buffer_gl0_inv
	v_cmp_eq_f32_e32 vcc_lo, 0, v4
	s_cbranch_vccz .LBB201_275
; %bb.270:                              ;   in Loop: Header=BB201_272 Depth=2
	v_add_co_u32 v8, vcc_lo, v8, s33
	v_add_co_ci_u32_e64 v9, null, 0, v9, vcc_lo
	v_add_co_u32 v6, s6, v6, s38
	v_add_co_ci_u32_e64 v7, null, s39, v7, s6
	v_cmp_le_u64_e32 vcc_lo, s[18:19], v[8:9]
	s_mov_b32 s6, 0
	s_orn2_b32 s40, vcc_lo, exec_lo
.LBB201_271:                            ;   in Loop: Header=BB201_272 Depth=2
	s_and_b32 s40, exec_lo, s40
	s_or_b32 s21, s40, s21
	s_andn2_b32 s23, s23, exec_lo
	s_and_b32 s6, s6, exec_lo
	s_or_b32 s23, s23, s6
	s_andn2_b32 exec_lo, exec_lo, s21
	s_cbranch_execz .LBB201_276
.LBB201_272:                            ;   Parent Loop BB201_31 Depth=1
                                        ; =>  This Inner Loop Header: Depth=2
	s_mov_b32 s6, exec_lo
	v_cmpx_gt_u64_e64 s[28:29], v[8:9]
	s_cbranch_execz .LBB201_269
; %bb.273:                              ;   in Loop: Header=BB201_272 Depth=2
	global_load_dword v27, v[6:7], off
	s_waitcnt vmcnt(0)
	v_cmp_lt_i32_e32 vcc_lo, -1, v27
	v_cndmask_b32_e64 v4, -1, 0x80000000, vcc_lo
	v_cmp_o_f32_e32 vcc_lo, v27, v27
	v_xor_b32_e32 v4, v4, v27
	v_cndmask_b32_e32 v4, -1, v4, vcc_lo
	v_and_b32_e32 v4, v4, v32
	v_cmp_eq_u32_e32 vcc_lo, v4, v31
	s_and_b32 exec_lo, exec_lo, vcc_lo
	s_cbranch_execz .LBB201_269
; %bb.274:                              ;   in Loop: Header=BB201_272 Depth=2
	ds_write_b64 v13, v[26:27] offset:3072
	s_branch .LBB201_269
.LBB201_275:                            ;   in Loop: Header=BB201_272 Depth=2
	s_mov_b32 s40, -1
	s_mov_b32 s6, -1
                                        ; implicit-def: $vgpr8_vgpr9
                                        ; implicit-def: $vgpr6_vgpr7
	s_branch .LBB201_271
.LBB201_276:                            ;   in Loop: Header=BB201_31 Depth=1
	s_or_b32 exec_lo, exec_lo, s21
	s_andn2_b32 s6, s22, exec_lo
	s_and_b32 s18, s23, exec_lo
	s_or_b32 s22, s6, s18
.LBB201_277:                            ;   in Loop: Header=BB201_31 Depth=1
	s_or_b32 exec_lo, exec_lo, s20
	s_mov_b32 s6, 0
	s_mov_b32 s60, -1
.LBB201_278:                            ;   in Loop: Header=BB201_31 Depth=1
	s_orn2_b32 s19, s22, exec_lo
.LBB201_279:                            ;   in Loop: Header=BB201_31 Depth=1
	s_or_b32 exec_lo, exec_lo, s64
	s_mov_b32 s20, 0
	s_and_saveexec_b32 s18, s19
	s_cbranch_execz .LBB201_290
; %bb.280:                              ;   in Loop: Header=BB201_31 Depth=1
	v_mov_b32_e32 v6, 1
	v_mov_b32_e32 v7, 0
	;; [unrolled: 1-line block ×3, first 2 shown]
	s_xor_b32 s20, s83, -1
	s_and_saveexec_b32 s19, s20
	s_cbranch_execz .LBB201_289
; %bb.281:                              ;   in Loop: Header=BB201_31 Depth=1
	s_mov_b32 s20, exec_lo
	v_cmpx_ge_u64_e64 s[16:17], v[2:3]
	s_xor_b32 s20, exec_lo, s20
	s_cbranch_execz .LBB201_286
; %bb.282:                              ;   in Loop: Header=BB201_31 Depth=1
	ds_read_b64 v[6:7], v13 offset:5120
	v_or_b32_e32 v31, s9, v31
	v_or_b32_e32 v32, s9, v32
	s_waitcnt lgkmcnt(0)
	v_cmp_ne_u64_e32 vcc_lo, 0, v[6:7]
	s_cbranch_vccnz .LBB201_286
; %bb.283:                              ;   in Loop: Header=BB201_31 Depth=1
	s_and_saveexec_b32 s21, s3
; %bb.284:                              ;   in Loop: Header=BB201_31 Depth=1
	v_mov_b32_e32 v6, s16
	v_mov_b32_e32 v7, s17
	ds_write_b64 v13, v[6:7] offset:5128
; %bb.285:                              ;   in Loop: Header=BB201_31 Depth=1
	s_or_b32 exec_lo, exec_lo, s21
	s_waitcnt lgkmcnt(0)
	s_barrier
	buffer_gl0_inv
.LBB201_286:                            ;   in Loop: Header=BB201_31 Depth=1
	s_andn2_saveexec_b32 s20, s20
; %bb.287:                              ;   in Loop: Header=BB201_31 Depth=1
	v_sub_co_u32 v2, vcc_lo, v2, s16
	v_subrev_co_ci_u32_e64 v3, null, s17, v3, vcc_lo
; %bb.288:                              ;   in Loop: Header=BB201_31 Depth=1
	s_or_b32 exec_lo, exec_lo, s20
	v_mov_b32_e32 v7, v3
	v_mov_b32_e32 v12, 8
	v_mov_b32_e32 v6, v2
.LBB201_289:                            ;   in Loop: Header=BB201_31 Depth=1
	s_or_b32 exec_lo, exec_lo, s19
	v_mov_b32_e32 v2, v6
	v_mov_b32_e32 v3, v7
	s_mov_b32 s20, exec_lo
.LBB201_290:                            ;   in Loop: Header=BB201_31 Depth=1
	s_or_b32 exec_lo, exec_lo, s18
	s_orn2_b32 s18, s20, exec_lo
.LBB201_291:                            ;   in Loop: Header=BB201_31 Depth=1
	s_or_b32 exec_lo, exec_lo, s82
	v_mov_b32_e32 v7, v3
	v_mov_b32_e32 v6, v2
	s_andn2_b32 s19, s80, exec_lo
	s_and_b32 s20, s60, exec_lo
	s_andn2_b32 s21, s79, exec_lo
	s_and_b32 s6, s6, exec_lo
	s_or_b32 s80, s19, s20
	s_or_b32 s79, s21, s6
	s_and_b32 s18, s18, exec_lo
.LBB201_292:                            ;   in Loop: Header=BB201_31 Depth=1
	s_or_b32 exec_lo, exec_lo, s81
	s_orn2_b32 s6, s18, exec_lo
.LBB201_293:                            ;   in Loop: Header=BB201_31 Depth=1
	s_or_b32 exec_lo, exec_lo, s78
	v_mov_b32_e32 v2, v6
	v_mov_b32_e32 v3, v7
	s_andn2_b32 s18, s76, exec_lo
	s_and_b32 s19, s80, exec_lo
	s_andn2_b32 s20, s75, exec_lo
	s_and_b32 s21, s79, exec_lo
	s_or_b32 s76, s18, s19
	s_or_b32 s75, s20, s21
	s_and_b32 s18, s6, exec_lo
.LBB201_294:                            ;   in Loop: Header=BB201_31 Depth=1
	s_or_b32 exec_lo, exec_lo, s77
	s_orn2_b32 s6, s18, exec_lo
.LBB201_295:                            ;   in Loop: Header=BB201_31 Depth=1
	s_or_b32 exec_lo, exec_lo, s74
	s_mov_b32 s18, 0
	s_mov_b32 s19, 0
	s_and_saveexec_b32 s20, s6
	s_xor_b32 s20, exec_lo, s20
; %bb.296:                              ;   in Loop: Header=BB201_31 Depth=1
	v_cmp_ne_u32_e32 vcc_lo, 8, v12
	v_cmp_eq_u32_e64 s6, 8, v12
	s_and_b32 s19, vcc_lo, exec_lo
	s_and_b32 s18, s6, exec_lo
; %bb.297:                              ;   in Loop: Header=BB201_31 Depth=1
	s_or_b32 exec_lo, exec_lo, s20
	s_andn2_b32 s6, s71, exec_lo
	s_and_b32 s20, s76, exec_lo
	s_andn2_b32 s21, s70, exec_lo
	s_and_b32 s22, s75, exec_lo
	s_or_b32 s71, s6, s20
	s_or_b32 s70, s21, s22
	s_and_b32 s22, s19, exec_lo
	s_and_b32 s23, s18, exec_lo
.LBB201_298:                            ;   in Loop: Header=BB201_31 Depth=1
	s_or_b32 exec_lo, exec_lo, s73
.LBB201_299:                            ;   in Loop: Header=BB201_31 Depth=1
	s_and_b32 vcc_lo, exec_lo, s72
	s_cbranch_vccz .LBB201_316
; %bb.300:                              ;   in Loop: Header=BB201_31 Depth=1
	s_cmp_eq_u64 s[16:17], 1
                                        ; implicit-def: $sgpr72
                                        ; implicit-def: $sgpr25
	s_cselect_b32 s6, -1, 0
	s_and_b32 s70, s6, s7
	s_mov_b32 s6, -1
	s_and_saveexec_b32 s64, s70
	s_cbranch_execz .LBB201_335
; %bb.301:                              ;   in Loop: Header=BB201_31 Depth=1
	ds_read_b64 v[2:3], v13 offset:5120
	s_waitcnt lgkmcnt(0)
	s_barrier
	buffer_gl0_inv
	v_readfirstlane_b32 s6, v2
	v_readfirstlane_b32 s7, v3
	s_and_saveexec_b32 s18, s8
; %bb.302:                              ;   in Loop: Header=BB201_31 Depth=1
	ds_write_b32 v43, v13
; %bb.303:                              ;   in Loop: Header=BB201_31 Depth=1
	s_or_b32 exec_lo, exec_lo, s18
	v_or_b32_e32 v46, s9, v46
	v_or_b32_e32 v48, s9, v48
	s_mov_b32 s25, -1
	s_mov_b32 s72, 0
	s_cmp_eq_u64 s[6:7], 0
	s_mov_b32 s20, 0
	s_mov_b32 s21, -1
	s_waitcnt lgkmcnt(0)
	s_barrier
	buffer_gl0_inv
                                        ; implicit-def: $vgpr28
	s_cbranch_scc1 .LBB201_319
; %bb.304:                              ;   in Loop: Header=BB201_31 Depth=1
	s_add_u32 s60, s6, s91
	s_addc_u32 s19, s7, s92
	s_mov_b32 s18, s59
	s_cmp_lg_u64 s[18:19], 0
	s_cbranch_scc0 .LBB201_362
; %bb.305:                              ;   in Loop: Header=BB201_31 Depth=1
	v_cvt_f32_u32_e32 v2, s33
	s_sub_u32 s21, 0, s33
	s_subb_u32 s40, 0, 0
	v_fmac_f32_e64 v2, 0x4f800000, 0
	v_rcp_f32_e32 v2, v2
	v_mul_f32_e32 v2, 0x5f7ffffc, v2
	v_mul_f32_e32 v3, 0x2f800000, v2
	v_trunc_f32_e32 v3, v3
	v_fmac_f32_e32 v2, 0xcf800000, v3
	v_cvt_u32_f32_e32 v3, v3
	v_cvt_u32_f32_e32 v2, v2
	v_readfirstlane_b32 s18, v3
	v_readfirstlane_b32 s20, v2
	s_mul_i32 s41, s21, s18
	s_mul_hi_u32 s65, s21, s20
	s_mul_i32 s58, s40, s20
	s_add_i32 s41, s65, s41
	s_mul_i32 s71, s21, s20
	s_add_i32 s41, s41, s58
	s_mul_hi_u32 s65, s20, s71
	s_mul_i32 s74, s20, s41
	s_mul_hi_u32 s73, s18, s71
	s_mul_i32 s58, s18, s71
	s_mul_hi_u32 s71, s20, s41
	s_add_u32 s65, s65, s74
	s_addc_u32 s71, 0, s71
	s_mul_hi_u32 s75, s18, s41
	s_add_u32 s58, s65, s58
	s_mul_i32 s41, s18, s41
	s_addc_u32 s58, s71, s73
	s_addc_u32 s65, s75, 0
	s_add_u32 s41, s58, s41
	s_addc_u32 s58, 0, s65
	s_add_u32 s20, s20, s41
	s_cselect_b32 s41, -1, 0
	s_mul_hi_u32 s65, s21, s20
	s_cmp_lg_u32 s41, 0
	s_mul_i32 s41, s21, s20
	s_addc_u32 s18, s18, s58
	s_mul_i32 s40, s40, s20
	s_mul_i32 s21, s21, s18
	s_mul_hi_u32 s58, s20, s41
	s_add_i32 s21, s65, s21
	s_mul_hi_u32 s65, s18, s41
	s_add_i32 s21, s21, s40
	s_mul_i32 s40, s18, s41
	s_mul_i32 s73, s20, s21
	s_mul_hi_u32 s71, s20, s21
	s_add_u32 s58, s58, s73
	s_addc_u32 s71, 0, s71
	s_mul_hi_u32 s41, s18, s21
	s_add_u32 s40, s58, s40
	s_mul_i32 s21, s18, s21
	s_addc_u32 s40, s71, s65
	s_addc_u32 s41, s41, 0
	s_add_u32 s21, s40, s21
	s_addc_u32 s40, 0, s41
	s_add_u32 s20, s20, s21
	s_cselect_b32 s21, -1, 0
	s_mul_hi_u32 s41, s60, s20
	s_cmp_lg_u32 s21, 0
	s_mul_hi_u32 s21, s19, s20
	s_addc_u32 s18, s18, s40
	s_mul_i32 s20, s19, s20
	s_mul_i32 s58, s60, s18
	s_mul_hi_u32 s40, s60, s18
	s_add_u32 s41, s41, s58
	s_addc_u32 s40, 0, s40
	s_mul_hi_u32 s65, s19, s18
	s_add_u32 s20, s41, s20
	s_mul_i32 s18, s19, s18
	s_addc_u32 s20, s40, s21
	s_addc_u32 s21, s65, 0
	s_add_u32 s18, s20, s18
	s_addc_u32 s20, 0, s21
	s_mul_hi_u32 s21, s33, s18
	s_mul_i32 s20, s33, s20
	s_mul_i32 s18, s33, s18
	s_add_i32 s21, s21, s20
	s_sub_u32 s18, s60, s18
	s_cselect_b32 s20, -1, 0
	s_cmp_lg_u32 s20, 0
	s_subb_u32 s20, s19, s21
	s_sub_u32 s21, s18, s33
	s_cselect_b32 s40, -1, 0
	s_cmp_lg_u32 s40, 0
	s_subb_u32 s40, s20, 0
	;; [unrolled: 4-line block ×3, first 2 shown]
	s_cmp_ge_u32 s21, s33
	s_cselect_b32 s65, -1, 0
	s_cmp_eq_u32 s40, 0
	s_cselect_b32 s65, s65, -1
	s_cmp_lg_u32 s65, 0
	s_cselect_b32 s40, s58, s40
	s_cselect_b32 s41, s41, s21
	s_cmp_ge_u32 s18, s33
	s_cselect_b32 s21, -1, 0
	s_cmp_eq_u32 s20, 0
	s_cselect_b32 s21, s21, -1
	s_cmp_lg_u32 s21, 0
	s_cselect_b32 s21, s40, s20
	s_cselect_b32 s20, s41, s18
	s_cbranch_execnz .LBB201_307
.LBB201_306:                            ;   in Loop: Header=BB201_31 Depth=1
	v_cvt_f32_u32_e32 v2, s33
	s_sub_i32 s20, 0, s33
	v_rcp_iflag_f32_e32 v2, v2
	v_mul_f32_e32 v2, 0x4f7ffffe, v2
	v_cvt_u32_f32_e32 v2, v2
	v_readfirstlane_b32 s18, v2
	s_mul_i32 s20, s20, s18
	s_mul_hi_u32 s20, s18, s20
	s_add_i32 s18, s18, s20
	s_mul_hi_u32 s18, s60, s18
	s_mul_i32 s18, s18, s33
	s_sub_i32 s18, s60, s18
	s_sub_i32 s20, s18, s33
	s_cmp_ge_u32 s18, s33
	s_cselect_b32 s18, s20, s18
	s_sub_i32 s20, s18, s33
	s_cmp_ge_u32 s18, s33
	s_cselect_b32 s58, s20, s18
	s_mov_b64 s[20:21], s[58:59]
.LBB201_307:                            ;   in Loop: Header=BB201_31 Depth=1
	s_sub_u32 s18, s60, s20
	s_subb_u32 s19, s19, s21
	s_mov_b32 s21, 0
	s_mov_b32 s20, 0
	s_mov_b32 s58, exec_lo
                                        ; implicit-def: $vgpr28
	v_cmpx_gt_u64_e64 s[18:19], v[0:1]
	s_cbranch_execz .LBB201_318
; %bb.308:                              ;   in Loop: Header=BB201_31 Depth=1
	v_mov_b32_e32 v3, v1
	v_mov_b32_e32 v4, v14
	;; [unrolled: 1-line block ×3, first 2 shown]
                                        ; implicit-def: $sgpr60
	s_inst_prefetch 0x1
	s_branch .LBB201_312
	.p2align	6
.LBB201_309:                            ;   in Loop: Header=BB201_312 Depth=2
	s_or_b32 exec_lo, exec_lo, s65
	s_waitcnt lgkmcnt(0)
	s_barrier
	buffer_gl0_inv
	ds_read_b64 v[27:28], v13 offset:3072
	s_waitcnt lgkmcnt(0)
	s_barrier
	buffer_gl0_inv
	v_cmp_neq_f32_e32 vcc_lo, 0, v27
	s_cbranch_vccnz .LBB201_315
; %bb.310:                              ;   in Loop: Header=BB201_312 Depth=2
	v_add_co_u32 v2, vcc_lo, v2, s33
	v_add_co_ci_u32_e64 v3, null, 0, v3, vcc_lo
	v_add_nc_u32_e32 v4, s97, v4
	s_mov_b32 s40, 0
	v_cmp_le_u64_e32 vcc_lo, s[18:19], v[2:3]
	s_orn2_b32 s41, vcc_lo, exec_lo
.LBB201_311:                            ;   in Loop: Header=BB201_312 Depth=2
	s_and_b32 s41, exec_lo, s41
	s_or_b32 s20, s41, s20
	s_andn2_b32 s41, s60, exec_lo
	s_and_b32 s40, s40, exec_lo
	s_or_b32 s60, s41, s40
	s_andn2_b32 exec_lo, exec_lo, s20
	s_cbranch_execz .LBB201_317
.LBB201_312:                            ;   Parent Loop BB201_31 Depth=1
                                        ; =>  This Inner Loop Header: Depth=2
	s_mov_b32 s65, exec_lo
	v_cmpx_gt_u64_e64 s[6:7], v[2:3]
	s_cbranch_execz .LBB201_309
; %bb.313:                              ;   in Loop: Header=BB201_312 Depth=2
	ds_read_b32 v27, v4
	s_waitcnt lgkmcnt(0)
	v_cmp_lt_i32_e32 vcc_lo, -1, v27
	v_cndmask_b32_e64 v5, -1, 0x80000000, vcc_lo
	v_cmp_o_f32_e32 vcc_lo, v27, v27
	v_xor_b32_e32 v5, v5, v27
	v_cndmask_b32_e32 v5, -1, v5, vcc_lo
	v_and_b32_e32 v5, v5, v48
	v_cmp_eq_u32_e32 vcc_lo, v5, v46
	s_and_b32 exec_lo, exec_lo, vcc_lo
	s_cbranch_execz .LBB201_309
; %bb.314:                              ;   in Loop: Header=BB201_312 Depth=2
	ds_write_b64 v13, v[26:27] offset:3072
	s_branch .LBB201_309
.LBB201_315:                            ;   in Loop: Header=BB201_312 Depth=2
	s_mov_b32 s41, -1
	s_mov_b32 s40, -1
                                        ; implicit-def: $vgpr2_vgpr3
                                        ; implicit-def: $vgpr4
	s_branch .LBB201_311
.LBB201_316:                            ;   in Loop: Header=BB201_31 Depth=1
	v_mov_b32_e32 v46, v31
	v_mov_b32_e32 v48, v32
	;; [unrolled: 1-line block ×3, first 2 shown]
	s_mov_b32 s72, 0
	s_and_saveexec_b32 s6, s23
	s_cbranch_execnz .LBB201_500
	s_branch .LBB201_501
.LBB201_317:                            ;   in Loop: Header=BB201_31 Depth=1
	s_inst_prefetch 0x2
	s_or_b32 exec_lo, exec_lo, s20
	s_and_b32 s20, s60, exec_lo
.LBB201_318:                            ;   in Loop: Header=BB201_31 Depth=1
	s_or_b32 exec_lo, exec_lo, s58
.LBB201_319:                            ;   in Loop: Header=BB201_31 Depth=1
	s_and_b32 vcc_lo, exec_lo, s21
	s_cbranch_vccz .LBB201_334
; %bb.320:                              ;   in Loop: Header=BB201_31 Depth=1
	s_mov_b32 s60, s59
	s_cmp_lg_u64 s[60:61], 0
	s_cbranch_scc0 .LBB201_363
; %bb.321:                              ;   in Loop: Header=BB201_31 Depth=1
	v_cvt_f32_u32_e32 v2, s33
	s_sub_u32 s18, 0, s33
	s_subb_u32 s19, 0, 0
	v_fmac_f32_e64 v2, 0x4f800000, 0
	v_rcp_f32_e32 v2, v2
	v_mul_f32_e32 v2, 0x5f7ffffc, v2
	v_mul_f32_e32 v3, 0x2f800000, v2
	v_trunc_f32_e32 v3, v3
	v_fmac_f32_e32 v2, 0xcf800000, v3
	v_cvt_u32_f32_e32 v3, v3
	v_cvt_u32_f32_e32 v2, v2
	v_readfirstlane_b32 s6, v3
	v_readfirstlane_b32 s7, v2
	s_mul_i32 s21, s18, s6
	s_mul_hi_u32 s40, s18, s7
	s_mul_i32 s25, s19, s7
	s_add_i32 s21, s40, s21
	s_mul_i32 s41, s18, s7
	s_add_i32 s21, s21, s25
	s_mul_hi_u32 s40, s7, s41
	s_mul_i32 s60, s7, s21
	s_mul_hi_u32 s58, s6, s41
	s_mul_i32 s25, s6, s41
	s_mul_hi_u32 s41, s7, s21
	s_add_u32 s40, s40, s60
	s_addc_u32 s41, 0, s41
	s_mul_hi_u32 s65, s6, s21
	s_add_u32 s25, s40, s25
	s_mul_i32 s21, s6, s21
	s_addc_u32 s25, s41, s58
	s_addc_u32 s40, s65, 0
	s_add_u32 s21, s25, s21
	s_addc_u32 s25, 0, s40
	s_add_u32 s7, s7, s21
	s_cselect_b32 s21, -1, 0
	s_mul_hi_u32 s40, s18, s7
	s_cmp_lg_u32 s21, 0
	s_mul_i32 s21, s18, s7
	s_addc_u32 s6, s6, s25
	s_mul_i32 s19, s19, s7
	s_mul_i32 s18, s18, s6
	s_mul_hi_u32 s25, s7, s21
	s_add_i32 s18, s40, s18
	s_mul_hi_u32 s40, s6, s21
	s_add_i32 s18, s18, s19
	s_mul_i32 s19, s6, s21
	s_mul_i32 s58, s7, s18
	s_mul_hi_u32 s41, s7, s18
	s_add_u32 s25, s25, s58
	s_addc_u32 s41, 0, s41
	s_mul_hi_u32 s21, s6, s18
	s_add_u32 s19, s25, s19
	s_mul_i32 s18, s6, s18
	s_addc_u32 s19, s41, s40
	s_addc_u32 s21, s21, 0
	s_add_u32 s18, s19, s18
	s_addc_u32 s19, 0, s21
	s_add_u32 s7, s7, s18
	s_cselect_b32 s18, -1, 0
	s_mul_hi_u32 s21, s93, s7
	s_cmp_lg_u32 s18, 0
	s_mul_hi_u32 s18, s61, s7
	s_addc_u32 s6, s6, s19
	s_mul_i32 s7, s61, s7
	s_mul_i32 s25, s93, s6
	s_mul_hi_u32 s19, s93, s6
	s_add_u32 s21, s21, s25
	s_addc_u32 s19, 0, s19
	s_mul_hi_u32 s40, s61, s6
	s_add_u32 s7, s21, s7
	s_mul_i32 s6, s61, s6
	s_addc_u32 s7, s19, s18
	s_addc_u32 s18, s40, 0
	s_add_u32 s6, s7, s6
	s_addc_u32 s7, 0, s18
	s_mul_hi_u32 s18, s33, s6
	s_mul_i32 s7, s33, s7
	s_mul_i32 s6, s33, s6
	s_add_i32 s18, s18, s7
	s_sub_u32 s6, s93, s6
	s_cselect_b32 s7, -1, 0
	s_cmp_lg_u32 s7, 0
	s_subb_u32 s7, s61, s18
	s_sub_u32 s18, s6, s33
	s_cselect_b32 s19, -1, 0
	s_cmp_lg_u32 s19, 0
	s_subb_u32 s19, s7, 0
	;; [unrolled: 4-line block ×3, first 2 shown]
	s_cmp_ge_u32 s18, s33
	s_cselect_b32 s40, -1, 0
	s_cmp_eq_u32 s19, 0
	s_cselect_b32 s40, s40, -1
	s_cmp_lg_u32 s40, 0
	s_cselect_b32 s19, s25, s19
	s_cselect_b32 s18, s21, s18
	s_cmp_ge_u32 s6, s33
	s_cselect_b32 s21, -1, 0
	s_cmp_eq_u32 s7, 0
	s_cselect_b32 s21, s21, -1
	s_cmp_lg_u32 s21, 0
	s_cselect_b32 s7, s19, s7
	s_cselect_b32 s6, s18, s6
	s_cbranch_execnz .LBB201_323
.LBB201_322:                            ;   in Loop: Header=BB201_31 Depth=1
	v_cvt_f32_u32_e32 v2, s33
	s_sub_i32 s7, 0, s33
	v_rcp_iflag_f32_e32 v2, v2
	v_mul_f32_e32 v2, 0x4f7ffffe, v2
	v_cvt_u32_f32_e32 v2, v2
	v_readfirstlane_b32 s6, v2
	s_mul_i32 s7, s7, s6
	s_mul_hi_u32 s7, s6, s7
	s_add_i32 s6, s6, s7
	s_mul_hi_u32 s6, s93, s6
	s_mul_i32 s6, s6, s33
	s_sub_i32 s6, s93, s6
	s_sub_i32 s7, s6, s33
	s_cmp_ge_u32 s6, s33
	s_cselect_b32 s6, s7, s6
	s_sub_i32 s7, s6, s33
	s_cmp_ge_u32 s6, s33
	s_cselect_b32 s58, s7, s6
	s_mov_b64 s[6:7], s[58:59]
.LBB201_323:                            ;   in Loop: Header=BB201_31 Depth=1
	s_sub_u32 s18, s93, s6
	s_subb_u32 s19, s61, s7
	s_mov_b32 s7, exec_lo
                                        ; implicit-def: $vgpr28
	v_cmpx_gt_u64_e64 s[18:19], v[0:1]
	s_cbranch_execz .LBB201_333
; %bb.324:                              ;   in Loop: Header=BB201_31 Depth=1
	v_mov_b32_e32 v2, v24
	v_mov_b32_e32 v5, v1
	;; [unrolled: 1-line block ×4, first 2 shown]
	s_mov_b32 s21, 0
                                        ; implicit-def: $sgpr25
	s_branch .LBB201_328
.LBB201_325:                            ;   in Loop: Header=BB201_328 Depth=2
	s_or_b32 exec_lo, exec_lo, s6
	s_waitcnt lgkmcnt(0)
	s_barrier
	buffer_gl0_inv
	ds_read_b64 v[27:28], v13 offset:3072
	s_waitcnt lgkmcnt(0)
	s_barrier
	buffer_gl0_inv
	v_cmp_neq_f32_e32 vcc_lo, 0, v27
	s_cbranch_vccnz .LBB201_331
; %bb.326:                              ;   in Loop: Header=BB201_328 Depth=2
	v_add_co_u32 v4, vcc_lo, v4, s33
	v_add_co_ci_u32_e64 v5, null, 0, v5, vcc_lo
	v_add_co_u32 v2, s6, v2, s38
	v_add_co_ci_u32_e64 v3, null, s39, v3, s6
	v_cmp_le_u64_e32 vcc_lo, s[18:19], v[4:5]
	s_mov_b32 s6, 0
	s_orn2_b32 s40, vcc_lo, exec_lo
.LBB201_327:                            ;   in Loop: Header=BB201_328 Depth=2
	s_and_b32 s40, exec_lo, s40
	s_or_b32 s21, s40, s21
	s_andn2_b32 s25, s25, exec_lo
	s_and_b32 s6, s6, exec_lo
	s_or_b32 s25, s25, s6
	s_andn2_b32 exec_lo, exec_lo, s21
	s_cbranch_execz .LBB201_332
.LBB201_328:                            ;   Parent Loop BB201_31 Depth=1
                                        ; =>  This Inner Loop Header: Depth=2
	s_mov_b32 s6, exec_lo
	v_cmpx_gt_u64_e64 s[28:29], v[4:5]
	s_cbranch_execz .LBB201_325
; %bb.329:                              ;   in Loop: Header=BB201_328 Depth=2
	global_load_dword v27, v[2:3], off
	s_waitcnt vmcnt(0)
	v_cmp_lt_i32_e32 vcc_lo, -1, v27
	v_cndmask_b32_e64 v6, -1, 0x80000000, vcc_lo
	v_cmp_o_f32_e32 vcc_lo, v27, v27
	v_xor_b32_e32 v6, v6, v27
	v_cndmask_b32_e32 v6, -1, v6, vcc_lo
	v_and_b32_e32 v6, v6, v48
	v_cmp_eq_u32_e32 vcc_lo, v6, v46
	s_and_b32 exec_lo, exec_lo, vcc_lo
	s_cbranch_execz .LBB201_325
; %bb.330:                              ;   in Loop: Header=BB201_328 Depth=2
	ds_write_b64 v13, v[26:27] offset:3072
	s_branch .LBB201_325
.LBB201_331:                            ;   in Loop: Header=BB201_328 Depth=2
	s_mov_b32 s40, -1
	s_mov_b32 s6, -1
                                        ; implicit-def: $vgpr4_vgpr5
                                        ; implicit-def: $vgpr2_vgpr3
	s_branch .LBB201_327
.LBB201_332:                            ;   in Loop: Header=BB201_31 Depth=1
	s_or_b32 exec_lo, exec_lo, s21
	s_andn2_b32 s6, s20, exec_lo
	s_and_b32 s18, s25, exec_lo
	s_or_b32 s20, s6, s18
.LBB201_333:                            ;   in Loop: Header=BB201_31 Depth=1
	s_or_b32 exec_lo, exec_lo, s7
	s_mov_b32 s25, 0
	s_mov_b32 s72, -1
.LBB201_334:                            ;   in Loop: Header=BB201_31 Depth=1
	s_orn2_b32 s6, s20, exec_lo
.LBB201_335:                            ;   in Loop: Header=BB201_31 Depth=1
	s_or_b32 exec_lo, exec_lo, s64
                                        ; implicit-def: $vgpr2_vgpr3
                                        ; implicit-def: $vgpr12
	s_and_saveexec_b32 s20, s6
	s_cbranch_execz .LBB201_499
; %bb.336:                              ;   in Loop: Header=BB201_31 Depth=1
	v_mov_b32_e32 v2, 1
	v_mov_b32_e32 v3, 0
	;; [unrolled: 1-line block ×3, first 2 shown]
	s_xor_b32 s18, s70, -1
	s_mov_b32 s7, 0
	s_and_saveexec_b32 s6, s18
	s_cbranch_execz .LBB201_345
; %bb.337:                              ;   in Loop: Header=BB201_31 Depth=1
	s_mov_b32 s7, exec_lo
	v_cmpx_ge_u64_e64 s[16:17], v[29:30]
	s_xor_b32 s7, exec_lo, s7
	s_cbranch_execz .LBB201_342
; %bb.338:                              ;   in Loop: Header=BB201_31 Depth=1
	ds_read_b64 v[2:3], v13 offset:5120
	v_or_b32_e32 v46, s9, v46
	v_or_b32_e32 v48, s9, v48
	s_waitcnt lgkmcnt(0)
	v_cmp_ne_u64_e32 vcc_lo, 0, v[2:3]
	s_cbranch_vccnz .LBB201_342
; %bb.339:                              ;   in Loop: Header=BB201_31 Depth=1
	s_and_saveexec_b32 s18, s3
; %bb.340:                              ;   in Loop: Header=BB201_31 Depth=1
	v_mov_b32_e32 v2, s16
	v_mov_b32_e32 v3, s17
	ds_write_b64 v13, v[2:3] offset:5128
; %bb.341:                              ;   in Loop: Header=BB201_31 Depth=1
	s_or_b32 exec_lo, exec_lo, s18
	s_waitcnt lgkmcnt(0)
	s_barrier
	buffer_gl0_inv
.LBB201_342:                            ;   in Loop: Header=BB201_31 Depth=1
	s_or_saveexec_b32 s7, s7
	v_mov_b32_e32 v12, 5
	s_mov_b32 s18, 0
	s_xor_b32 exec_lo, exec_lo, s7
; %bb.343:                              ;   in Loop: Header=BB201_31 Depth=1
	v_sub_co_u32 v29, vcc_lo, v29, s16
	v_subrev_co_ci_u32_e64 v30, null, s17, v30, vcc_lo
	v_mov_b32_e32 v12, 0
	s_mov_b32 s18, exec_lo
; %bb.344:                              ;   in Loop: Header=BB201_31 Depth=1
	s_or_b32 exec_lo, exec_lo, s7
	v_mov_b32_e32 v2, v29
	v_mov_b32_e32 v3, v30
	s_and_b32 s7, s18, exec_lo
.LBB201_345:                            ;   in Loop: Header=BB201_31 Depth=1
	s_or_b32 exec_lo, exec_lo, s6
	s_mov_b32 s6, -1
                                        ; implicit-def: $sgpr70
                                        ; implicit-def: $sgpr71
	s_and_saveexec_b32 s16, s7
	s_xor_b32 s21, exec_lo, s16
	s_cbranch_execz .LBB201_496
; %bb.346:                              ;   in Loop: Header=BB201_31 Depth=1
	v_cmp_eq_u64_e32 vcc_lo, 1, v[2:3]
	s_cmp_eq_u64 s[14:15], 1
                                        ; implicit-def: $sgpr71
                                        ; implicit-def: $sgpr70
	s_cselect_b32 s6, -1, 0
	s_and_b32 s73, s6, vcc_lo
	s_mov_b32 s6, -1
	s_and_saveexec_b32 s64, s73
	s_cbranch_execz .LBB201_382
; %bb.347:                              ;   in Loop: Header=BB201_31 Depth=1
	ds_read_b64 v[4:5], v13 offset:5120
	s_waitcnt lgkmcnt(0)
	s_barrier
	buffer_gl0_inv
	v_readfirstlane_b32 s6, v4
	v_readfirstlane_b32 s7, v5
	s_and_saveexec_b32 s16, s8
; %bb.348:                              ;   in Loop: Header=BB201_31 Depth=1
	ds_write_b32 v43, v13
; %bb.349:                              ;   in Loop: Header=BB201_31 Depth=1
	s_or_b32 exec_lo, exec_lo, s16
	s_lshl_b32 s16, 2, s56
	v_or_b32_e32 v48, s9, v48
	v_and_or_b32 v46, v46, s24, s16
	s_mov_b32 s70, -1
	s_mov_b32 s71, 0
	s_cmp_eq_u64 s[6:7], 0
	s_mov_b32 s18, 0
	s_mov_b32 s19, -1
	s_waitcnt lgkmcnt(0)
	s_barrier
	buffer_gl0_inv
                                        ; implicit-def: $vgpr28
	s_cbranch_scc1 .LBB201_366
; %bb.350:                              ;   in Loop: Header=BB201_31 Depth=1
	s_add_u32 s60, s6, s91
	s_addc_u32 s17, s7, s92
	s_mov_b32 s16, s59
	s_cmp_lg_u64 s[16:17], 0
	s_cbranch_scc0 .LBB201_409
; %bb.351:                              ;   in Loop: Header=BB201_31 Depth=1
	v_cvt_f32_u32_e32 v4, s33
	s_sub_u32 s19, 0, s33
	s_subb_u32 s40, 0, 0
	v_fmac_f32_e64 v4, 0x4f800000, 0
	v_rcp_f32_e32 v4, v4
	v_mul_f32_e32 v4, 0x5f7ffffc, v4
	v_mul_f32_e32 v5, 0x2f800000, v4
	v_trunc_f32_e32 v5, v5
	v_fmac_f32_e32 v4, 0xcf800000, v5
	v_cvt_u32_f32_e32 v5, v5
	v_cvt_u32_f32_e32 v4, v4
	v_readfirstlane_b32 s16, v5
	v_readfirstlane_b32 s18, v4
	s_mul_i32 s41, s19, s16
	s_mul_hi_u32 s65, s19, s18
	s_mul_i32 s58, s40, s18
	s_add_i32 s41, s65, s41
	s_mul_i32 s74, s19, s18
	s_add_i32 s41, s41, s58
	s_mul_hi_u32 s65, s18, s74
	s_mul_i32 s76, s18, s41
	s_mul_hi_u32 s75, s16, s74
	s_mul_i32 s58, s16, s74
	s_mul_hi_u32 s74, s18, s41
	s_add_u32 s65, s65, s76
	s_addc_u32 s74, 0, s74
	s_mul_hi_u32 s77, s16, s41
	s_add_u32 s58, s65, s58
	s_mul_i32 s41, s16, s41
	s_addc_u32 s58, s74, s75
	s_addc_u32 s65, s77, 0
	s_add_u32 s41, s58, s41
	s_addc_u32 s58, 0, s65
	s_add_u32 s18, s18, s41
	s_cselect_b32 s41, -1, 0
	s_mul_hi_u32 s65, s19, s18
	s_cmp_lg_u32 s41, 0
	s_mul_i32 s41, s19, s18
	s_addc_u32 s16, s16, s58
	s_mul_i32 s40, s40, s18
	s_mul_i32 s19, s19, s16
	s_mul_hi_u32 s58, s18, s41
	s_add_i32 s19, s65, s19
	s_mul_hi_u32 s65, s16, s41
	s_add_i32 s19, s19, s40
	s_mul_i32 s40, s16, s41
	s_mul_i32 s75, s18, s19
	s_mul_hi_u32 s74, s18, s19
	s_add_u32 s58, s58, s75
	s_addc_u32 s74, 0, s74
	s_mul_hi_u32 s41, s16, s19
	s_add_u32 s40, s58, s40
	s_mul_i32 s19, s16, s19
	s_addc_u32 s40, s74, s65
	s_addc_u32 s41, s41, 0
	s_add_u32 s19, s40, s19
	s_addc_u32 s40, 0, s41
	s_add_u32 s18, s18, s19
	s_cselect_b32 s19, -1, 0
	s_mul_hi_u32 s41, s60, s18
	s_cmp_lg_u32 s19, 0
	s_mul_hi_u32 s19, s17, s18
	s_addc_u32 s16, s16, s40
	s_mul_i32 s18, s17, s18
	s_mul_i32 s58, s60, s16
	s_mul_hi_u32 s40, s60, s16
	s_add_u32 s41, s41, s58
	s_addc_u32 s40, 0, s40
	s_mul_hi_u32 s65, s17, s16
	s_add_u32 s18, s41, s18
	s_mul_i32 s16, s17, s16
	s_addc_u32 s18, s40, s19
	s_addc_u32 s19, s65, 0
	s_add_u32 s16, s18, s16
	s_addc_u32 s18, 0, s19
	s_mul_hi_u32 s19, s33, s16
	s_mul_i32 s18, s33, s18
	s_mul_i32 s16, s33, s16
	s_add_i32 s19, s19, s18
	s_sub_u32 s16, s60, s16
	s_cselect_b32 s18, -1, 0
	s_cmp_lg_u32 s18, 0
	s_subb_u32 s18, s17, s19
	s_sub_u32 s19, s16, s33
	s_cselect_b32 s40, -1, 0
	s_cmp_lg_u32 s40, 0
	s_subb_u32 s40, s18, 0
	;; [unrolled: 4-line block ×3, first 2 shown]
	s_cmp_ge_u32 s19, s33
	s_cselect_b32 s65, -1, 0
	s_cmp_eq_u32 s40, 0
	s_cselect_b32 s65, s65, -1
	s_cmp_lg_u32 s65, 0
	s_cselect_b32 s40, s58, s40
	s_cselect_b32 s41, s41, s19
	s_cmp_ge_u32 s16, s33
	s_cselect_b32 s19, -1, 0
	s_cmp_eq_u32 s18, 0
	s_cselect_b32 s19, s19, -1
	s_cmp_lg_u32 s19, 0
	s_cselect_b32 s19, s40, s18
	s_cselect_b32 s18, s41, s16
	s_cbranch_execnz .LBB201_353
.LBB201_352:                            ;   in Loop: Header=BB201_31 Depth=1
	v_cvt_f32_u32_e32 v4, s33
	s_sub_i32 s18, 0, s33
	v_rcp_iflag_f32_e32 v4, v4
	v_mul_f32_e32 v4, 0x4f7ffffe, v4
	v_cvt_u32_f32_e32 v4, v4
	v_readfirstlane_b32 s16, v4
	s_mul_i32 s18, s18, s16
	s_mul_hi_u32 s18, s16, s18
	s_add_i32 s16, s16, s18
	s_mul_hi_u32 s16, s60, s16
	s_mul_i32 s16, s16, s33
	s_sub_i32 s16, s60, s16
	s_sub_i32 s18, s16, s33
	s_cmp_ge_u32 s16, s33
	s_cselect_b32 s16, s18, s16
	s_sub_i32 s18, s16, s33
	s_cmp_ge_u32 s16, s33
	s_cselect_b32 s58, s18, s16
	s_mov_b64 s[18:19], s[58:59]
.LBB201_353:                            ;   in Loop: Header=BB201_31 Depth=1
	s_sub_u32 s16, s60, s18
	s_subb_u32 s17, s17, s19
	s_mov_b32 s19, 0
	s_mov_b32 s18, 0
	s_mov_b32 s58, exec_lo
                                        ; implicit-def: $vgpr28
	v_cmpx_gt_u64_e64 s[16:17], v[0:1]
	s_cbranch_execz .LBB201_365
; %bb.354:                              ;   in Loop: Header=BB201_31 Depth=1
	v_mov_b32_e32 v5, v1
	v_mov_b32_e32 v6, v14
	;; [unrolled: 1-line block ×3, first 2 shown]
                                        ; implicit-def: $sgpr60
	s_inst_prefetch 0x1
	s_branch .LBB201_358
	.p2align	6
.LBB201_355:                            ;   in Loop: Header=BB201_358 Depth=2
	s_or_b32 exec_lo, exec_lo, s65
	s_waitcnt lgkmcnt(0)
	s_barrier
	buffer_gl0_inv
	ds_read_b64 v[27:28], v13 offset:3072
	s_waitcnt lgkmcnt(0)
	s_barrier
	buffer_gl0_inv
	v_cmp_neq_f32_e32 vcc_lo, 0, v27
	s_cbranch_vccnz .LBB201_361
; %bb.356:                              ;   in Loop: Header=BB201_358 Depth=2
	v_add_co_u32 v4, vcc_lo, v4, s33
	v_add_co_ci_u32_e64 v5, null, 0, v5, vcc_lo
	v_add_nc_u32_e32 v6, s97, v6
	s_mov_b32 s40, 0
	v_cmp_le_u64_e32 vcc_lo, s[16:17], v[4:5]
	s_orn2_b32 s41, vcc_lo, exec_lo
.LBB201_357:                            ;   in Loop: Header=BB201_358 Depth=2
	s_and_b32 s41, exec_lo, s41
	s_or_b32 s18, s41, s18
	s_andn2_b32 s41, s60, exec_lo
	s_and_b32 s40, s40, exec_lo
	s_or_b32 s60, s41, s40
	s_andn2_b32 exec_lo, exec_lo, s18
	s_cbranch_execz .LBB201_364
.LBB201_358:                            ;   Parent Loop BB201_31 Depth=1
                                        ; =>  This Inner Loop Header: Depth=2
	s_mov_b32 s65, exec_lo
	v_cmpx_gt_u64_e64 s[6:7], v[4:5]
	s_cbranch_execz .LBB201_355
; %bb.359:                              ;   in Loop: Header=BB201_358 Depth=2
	ds_read_b32 v27, v6
	s_waitcnt lgkmcnt(0)
	v_cmp_lt_i32_e32 vcc_lo, -1, v27
	v_cndmask_b32_e64 v7, -1, 0x80000000, vcc_lo
	v_cmp_o_f32_e32 vcc_lo, v27, v27
	v_xor_b32_e32 v7, v7, v27
	v_cndmask_b32_e32 v7, -1, v7, vcc_lo
	v_and_b32_e32 v7, v7, v48
	v_cmp_eq_u32_e32 vcc_lo, v7, v46
	s_and_b32 exec_lo, exec_lo, vcc_lo
	s_cbranch_execz .LBB201_355
; %bb.360:                              ;   in Loop: Header=BB201_358 Depth=2
	ds_write_b64 v13, v[26:27] offset:3072
	s_branch .LBB201_355
.LBB201_361:                            ;   in Loop: Header=BB201_358 Depth=2
	s_mov_b32 s41, -1
	s_mov_b32 s40, -1
                                        ; implicit-def: $vgpr4_vgpr5
                                        ; implicit-def: $vgpr6
	s_branch .LBB201_357
.LBB201_362:                            ;   in Loop: Header=BB201_31 Depth=1
                                        ; implicit-def: $sgpr20_sgpr21
	s_branch .LBB201_306
.LBB201_363:                            ;   in Loop: Header=BB201_31 Depth=1
                                        ; implicit-def: $sgpr6_sgpr7
	s_branch .LBB201_322
.LBB201_364:                            ;   in Loop: Header=BB201_31 Depth=1
	s_inst_prefetch 0x2
	s_or_b32 exec_lo, exec_lo, s18
	s_and_b32 s18, s60, exec_lo
.LBB201_365:                            ;   in Loop: Header=BB201_31 Depth=1
	s_or_b32 exec_lo, exec_lo, s58
.LBB201_366:                            ;   in Loop: Header=BB201_31 Depth=1
	s_and_b32 vcc_lo, exec_lo, s19
	s_cbranch_vccz .LBB201_381
; %bb.367:                              ;   in Loop: Header=BB201_31 Depth=1
	s_mov_b32 s60, s59
	s_cmp_lg_u64 s[60:61], 0
	s_cbranch_scc0 .LBB201_410
; %bb.368:                              ;   in Loop: Header=BB201_31 Depth=1
	v_cvt_f32_u32_e32 v4, s33
	s_sub_u32 s16, 0, s33
	s_subb_u32 s17, 0, 0
	v_fmac_f32_e64 v4, 0x4f800000, 0
	v_rcp_f32_e32 v4, v4
	v_mul_f32_e32 v4, 0x5f7ffffc, v4
	v_mul_f32_e32 v5, 0x2f800000, v4
	v_trunc_f32_e32 v5, v5
	v_fmac_f32_e32 v4, 0xcf800000, v5
	v_cvt_u32_f32_e32 v5, v5
	v_cvt_u32_f32_e32 v4, v4
	v_readfirstlane_b32 s6, v5
	v_readfirstlane_b32 s7, v4
	s_mul_i32 s19, s16, s6
	s_mul_hi_u32 s41, s16, s7
	s_mul_i32 s40, s17, s7
	s_add_i32 s19, s41, s19
	s_mul_i32 s58, s16, s7
	s_add_i32 s19, s19, s40
	s_mul_hi_u32 s41, s7, s58
	s_mul_i32 s65, s7, s19
	s_mul_hi_u32 s60, s6, s58
	s_mul_i32 s40, s6, s58
	s_mul_hi_u32 s58, s7, s19
	s_add_u32 s41, s41, s65
	s_addc_u32 s58, 0, s58
	s_mul_hi_u32 s70, s6, s19
	s_add_u32 s40, s41, s40
	s_mul_i32 s19, s6, s19
	s_addc_u32 s40, s58, s60
	s_addc_u32 s41, s70, 0
	s_add_u32 s19, s40, s19
	s_addc_u32 s40, 0, s41
	s_add_u32 s7, s7, s19
	s_cselect_b32 s19, -1, 0
	s_mul_hi_u32 s41, s16, s7
	s_cmp_lg_u32 s19, 0
	s_mul_i32 s19, s16, s7
	s_addc_u32 s6, s6, s40
	s_mul_i32 s17, s17, s7
	s_mul_i32 s16, s16, s6
	s_mul_hi_u32 s40, s7, s19
	s_add_i32 s16, s41, s16
	s_mul_hi_u32 s41, s6, s19
	s_add_i32 s16, s16, s17
	s_mul_i32 s17, s6, s19
	s_mul_i32 s60, s7, s16
	s_mul_hi_u32 s58, s7, s16
	s_add_u32 s40, s40, s60
	s_addc_u32 s58, 0, s58
	s_mul_hi_u32 s19, s6, s16
	s_add_u32 s17, s40, s17
	s_mul_i32 s16, s6, s16
	s_addc_u32 s17, s58, s41
	s_addc_u32 s19, s19, 0
	s_add_u32 s16, s17, s16
	s_addc_u32 s17, 0, s19
	s_add_u32 s7, s7, s16
	s_cselect_b32 s16, -1, 0
	s_mul_hi_u32 s19, s93, s7
	s_cmp_lg_u32 s16, 0
	s_mul_hi_u32 s16, s61, s7
	s_addc_u32 s6, s6, s17
	s_mul_i32 s7, s61, s7
	s_mul_i32 s40, s93, s6
	s_mul_hi_u32 s17, s93, s6
	s_add_u32 s19, s19, s40
	s_addc_u32 s17, 0, s17
	s_mul_hi_u32 s41, s61, s6
	s_add_u32 s7, s19, s7
	s_mul_i32 s6, s61, s6
	s_addc_u32 s7, s17, s16
	s_addc_u32 s16, s41, 0
	s_add_u32 s6, s7, s6
	s_addc_u32 s7, 0, s16
	s_mul_hi_u32 s16, s33, s6
	s_mul_i32 s7, s33, s7
	s_mul_i32 s6, s33, s6
	s_add_i32 s16, s16, s7
	s_sub_u32 s6, s93, s6
	s_cselect_b32 s7, -1, 0
	s_cmp_lg_u32 s7, 0
	s_subb_u32 s7, s61, s16
	s_sub_u32 s16, s6, s33
	s_cselect_b32 s17, -1, 0
	s_cmp_lg_u32 s17, 0
	s_subb_u32 s17, s7, 0
	;; [unrolled: 4-line block ×3, first 2 shown]
	s_cmp_ge_u32 s16, s33
	s_cselect_b32 s41, -1, 0
	s_cmp_eq_u32 s17, 0
	s_cselect_b32 s41, s41, -1
	s_cmp_lg_u32 s41, 0
	s_cselect_b32 s17, s40, s17
	s_cselect_b32 s16, s19, s16
	s_cmp_ge_u32 s6, s33
	s_cselect_b32 s19, -1, 0
	s_cmp_eq_u32 s7, 0
	s_cselect_b32 s19, s19, -1
	s_cmp_lg_u32 s19, 0
	s_cselect_b32 s7, s17, s7
	s_cselect_b32 s6, s16, s6
	s_cbranch_execnz .LBB201_370
.LBB201_369:                            ;   in Loop: Header=BB201_31 Depth=1
	v_cvt_f32_u32_e32 v4, s33
	s_sub_i32 s7, 0, s33
	v_rcp_iflag_f32_e32 v4, v4
	v_mul_f32_e32 v4, 0x4f7ffffe, v4
	v_cvt_u32_f32_e32 v4, v4
	v_readfirstlane_b32 s6, v4
	s_mul_i32 s7, s7, s6
	s_mul_hi_u32 s7, s6, s7
	s_add_i32 s6, s6, s7
	s_mul_hi_u32 s6, s93, s6
	s_mul_i32 s6, s6, s33
	s_sub_i32 s6, s93, s6
	s_sub_i32 s7, s6, s33
	s_cmp_ge_u32 s6, s33
	s_cselect_b32 s6, s7, s6
	s_sub_i32 s7, s6, s33
	s_cmp_ge_u32 s6, s33
	s_cselect_b32 s58, s7, s6
	s_mov_b64 s[6:7], s[58:59]
.LBB201_370:                            ;   in Loop: Header=BB201_31 Depth=1
	s_sub_u32 s16, s93, s6
	s_subb_u32 s17, s61, s7
	s_mov_b32 s7, exec_lo
                                        ; implicit-def: $vgpr28
	v_cmpx_gt_u64_e64 s[16:17], v[0:1]
	s_cbranch_execz .LBB201_380
; %bb.371:                              ;   in Loop: Header=BB201_31 Depth=1
	v_mov_b32_e32 v4, v24
	v_mov_b32_e32 v7, v1
	;; [unrolled: 1-line block ×4, first 2 shown]
	s_mov_b32 s19, 0
                                        ; implicit-def: $sgpr58
	s_branch .LBB201_375
.LBB201_372:                            ;   in Loop: Header=BB201_375 Depth=2
	s_or_b32 exec_lo, exec_lo, s6
	s_waitcnt lgkmcnt(0)
	s_barrier
	buffer_gl0_inv
	ds_read_b64 v[27:28], v13 offset:3072
	s_waitcnt lgkmcnt(0)
	s_barrier
	buffer_gl0_inv
	v_cmp_eq_f32_e32 vcc_lo, 0, v27
	s_cbranch_vccz .LBB201_378
; %bb.373:                              ;   in Loop: Header=BB201_375 Depth=2
	v_add_co_u32 v6, vcc_lo, v6, s33
	v_add_co_ci_u32_e64 v7, null, 0, v7, vcc_lo
	v_add_co_u32 v4, s6, v4, s38
	v_add_co_ci_u32_e64 v5, null, s39, v5, s6
	v_cmp_le_u64_e32 vcc_lo, s[16:17], v[6:7]
	s_mov_b32 s6, 0
	s_orn2_b32 s40, vcc_lo, exec_lo
.LBB201_374:                            ;   in Loop: Header=BB201_375 Depth=2
	s_and_b32 s40, exec_lo, s40
	s_or_b32 s19, s40, s19
	s_andn2_b32 s40, s58, exec_lo
	s_and_b32 s6, s6, exec_lo
	s_or_b32 s58, s40, s6
	s_andn2_b32 exec_lo, exec_lo, s19
	s_cbranch_execz .LBB201_379
.LBB201_375:                            ;   Parent Loop BB201_31 Depth=1
                                        ; =>  This Inner Loop Header: Depth=2
	s_mov_b32 s6, exec_lo
	v_cmpx_gt_u64_e64 s[28:29], v[6:7]
	s_cbranch_execz .LBB201_372
; %bb.376:                              ;   in Loop: Header=BB201_375 Depth=2
	global_load_dword v27, v[4:5], off
	s_waitcnt vmcnt(0)
	v_cmp_lt_i32_e32 vcc_lo, -1, v27
	v_cndmask_b32_e64 v8, -1, 0x80000000, vcc_lo
	v_cmp_o_f32_e32 vcc_lo, v27, v27
	v_xor_b32_e32 v8, v8, v27
	v_cndmask_b32_e32 v8, -1, v8, vcc_lo
	v_and_b32_e32 v8, v8, v48
	v_cmp_eq_u32_e32 vcc_lo, v8, v46
	s_and_b32 exec_lo, exec_lo, vcc_lo
	s_cbranch_execz .LBB201_372
; %bb.377:                              ;   in Loop: Header=BB201_375 Depth=2
	ds_write_b64 v13, v[26:27] offset:3072
	s_branch .LBB201_372
.LBB201_378:                            ;   in Loop: Header=BB201_375 Depth=2
	s_mov_b32 s40, -1
	s_mov_b32 s6, -1
                                        ; implicit-def: $vgpr6_vgpr7
                                        ; implicit-def: $vgpr4_vgpr5
	s_branch .LBB201_374
.LBB201_379:                            ;   in Loop: Header=BB201_31 Depth=1
	s_or_b32 exec_lo, exec_lo, s19
	s_andn2_b32 s6, s18, exec_lo
	s_and_b32 s16, s58, exec_lo
	s_or_b32 s18, s6, s16
.LBB201_380:                            ;   in Loop: Header=BB201_31 Depth=1
	s_or_b32 exec_lo, exec_lo, s7
	s_mov_b32 s70, 0
	s_mov_b32 s71, -1
.LBB201_381:                            ;   in Loop: Header=BB201_31 Depth=1
	s_orn2_b32 s6, s18, exec_lo
.LBB201_382:                            ;   in Loop: Header=BB201_31 Depth=1
	s_or_b32 exec_lo, exec_lo, s64
	s_mov_b32 s7, 0
	s_and_saveexec_b32 s18, s6
	s_cbranch_execz .LBB201_495
; %bb.383:                              ;   in Loop: Header=BB201_31 Depth=1
	v_mov_b32_e32 v4, 1
	v_mov_b32_e32 v5, 0
	;; [unrolled: 1-line block ×3, first 2 shown]
	s_xor_b32 s16, s73, -1
	s_and_saveexec_b32 s6, s16
	s_cbranch_execz .LBB201_392
; %bb.384:                              ;   in Loop: Header=BB201_31 Depth=1
	s_mov_b32 s7, exec_lo
	v_cmpx_ge_u64_e64 s[14:15], v[2:3]
	s_xor_b32 s7, exec_lo, s7
	s_cbranch_execz .LBB201_389
; %bb.385:                              ;   in Loop: Header=BB201_31 Depth=1
	ds_read_b64 v[4:5], v13 offset:5120
	s_lshl_b32 s16, 2, s56
	v_or_b32_e32 v48, s9, v48
	v_and_or_b32 v46, v46, s24, s16
	s_waitcnt lgkmcnt(0)
	v_cmp_ne_u64_e32 vcc_lo, 0, v[4:5]
	s_cbranch_vccnz .LBB201_389
; %bb.386:                              ;   in Loop: Header=BB201_31 Depth=1
	s_and_saveexec_b32 s16, s3
; %bb.387:                              ;   in Loop: Header=BB201_31 Depth=1
	v_mov_b32_e32 v4, s14
	v_mov_b32_e32 v5, s15
	ds_write_b64 v13, v[4:5] offset:5128
; %bb.388:                              ;   in Loop: Header=BB201_31 Depth=1
	s_or_b32 exec_lo, exec_lo, s16
	s_waitcnt lgkmcnt(0)
	s_barrier
	buffer_gl0_inv
.LBB201_389:                            ;   in Loop: Header=BB201_31 Depth=1
	s_or_saveexec_b32 s7, s7
	v_mov_b32_e32 v12, 5
	s_mov_b32 s16, 0
	s_xor_b32 exec_lo, exec_lo, s7
; %bb.390:                              ;   in Loop: Header=BB201_31 Depth=1
	v_sub_co_u32 v2, vcc_lo, v2, s14
	v_subrev_co_ci_u32_e64 v3, null, s15, v3, vcc_lo
	v_mov_b32_e32 v12, 0
	s_mov_b32 s16, exec_lo
; %bb.391:                              ;   in Loop: Header=BB201_31 Depth=1
	s_or_b32 exec_lo, exec_lo, s7
	v_mov_b32_e32 v5, v3
	v_mov_b32_e32 v4, v2
	s_and_b32 s7, s16, exec_lo
.LBB201_392:                            ;   in Loop: Header=BB201_31 Depth=1
	s_or_b32 exec_lo, exec_lo, s6
	s_mov_b32 s6, -1
                                        ; implicit-def: $sgpr73
                                        ; implicit-def: $sgpr74
	s_and_saveexec_b32 s19, s7
	s_cbranch_execz .LBB201_494
; %bb.393:                              ;   in Loop: Header=BB201_31 Depth=1
	v_cmp_eq_u64_e32 vcc_lo, 1, v[4:5]
	s_cmp_eq_u64 s[12:13], 1
                                        ; implicit-def: $sgpr74
                                        ; implicit-def: $sgpr73
	s_cselect_b32 s6, -1, 0
	s_and_b32 s75, s6, vcc_lo
	s_mov_b32 s6, -1
	s_and_saveexec_b32 s64, s75
	s_cbranch_execz .LBB201_429
; %bb.394:                              ;   in Loop: Header=BB201_31 Depth=1
	ds_read_b64 v[2:3], v13 offset:5120
	s_waitcnt lgkmcnt(0)
	s_barrier
	buffer_gl0_inv
	v_readfirstlane_b32 s6, v2
	v_readfirstlane_b32 s7, v3
	s_and_saveexec_b32 s14, s8
; %bb.395:                              ;   in Loop: Header=BB201_31 Depth=1
	ds_write_b32 v43, v13
; %bb.396:                              ;   in Loop: Header=BB201_31 Depth=1
	s_or_b32 exec_lo, exec_lo, s14
	s_lshl_b32 s14, 1, s56
	v_or_b32_e32 v48, s9, v48
	v_and_or_b32 v46, v46, s24, s14
	s_mov_b32 s73, -1
	s_mov_b32 s74, 0
	s_cmp_eq_u64 s[6:7], 0
	s_mov_b32 s16, 0
	s_mov_b32 s17, -1
	s_waitcnt lgkmcnt(0)
	s_barrier
	buffer_gl0_inv
                                        ; implicit-def: $vgpr28
	s_cbranch_scc1 .LBB201_413
; %bb.397:                              ;   in Loop: Header=BB201_31 Depth=1
	s_add_u32 s60, s6, s91
	s_addc_u32 s15, s7, s92
	s_mov_b32 s14, s59
	s_cmp_lg_u64 s[14:15], 0
	s_cbranch_scc0 .LBB201_446
; %bb.398:                              ;   in Loop: Header=BB201_31 Depth=1
	v_cvt_f32_u32_e32 v2, s33
	s_sub_u32 s17, 0, s33
	s_subb_u32 s40, 0, 0
	v_fmac_f32_e64 v2, 0x4f800000, 0
	v_rcp_f32_e32 v2, v2
	v_mul_f32_e32 v2, 0x5f7ffffc, v2
	v_mul_f32_e32 v3, 0x2f800000, v2
	v_trunc_f32_e32 v3, v3
	v_fmac_f32_e32 v2, 0xcf800000, v3
	v_cvt_u32_f32_e32 v3, v3
	v_cvt_u32_f32_e32 v2, v2
	v_readfirstlane_b32 s14, v3
	v_readfirstlane_b32 s16, v2
	s_mul_i32 s41, s17, s14
	s_mul_hi_u32 s65, s17, s16
	s_mul_i32 s58, s40, s16
	s_add_i32 s41, s65, s41
	s_mul_i32 s76, s17, s16
	s_add_i32 s41, s41, s58
	s_mul_hi_u32 s65, s16, s76
	s_mul_i32 s78, s16, s41
	s_mul_hi_u32 s77, s14, s76
	s_mul_i32 s58, s14, s76
	s_mul_hi_u32 s76, s16, s41
	s_add_u32 s65, s65, s78
	s_addc_u32 s76, 0, s76
	s_mul_hi_u32 s79, s14, s41
	s_add_u32 s58, s65, s58
	s_mul_i32 s41, s14, s41
	s_addc_u32 s58, s76, s77
	s_addc_u32 s65, s79, 0
	s_add_u32 s41, s58, s41
	s_addc_u32 s58, 0, s65
	s_add_u32 s16, s16, s41
	s_cselect_b32 s41, -1, 0
	s_mul_hi_u32 s65, s17, s16
	s_cmp_lg_u32 s41, 0
	s_mul_i32 s41, s17, s16
	s_addc_u32 s14, s14, s58
	s_mul_i32 s40, s40, s16
	s_mul_i32 s17, s17, s14
	s_mul_hi_u32 s58, s16, s41
	s_add_i32 s17, s65, s17
	s_mul_hi_u32 s65, s14, s41
	s_add_i32 s17, s17, s40
	s_mul_i32 s40, s14, s41
	s_mul_i32 s77, s16, s17
	s_mul_hi_u32 s76, s16, s17
	s_add_u32 s58, s58, s77
	s_addc_u32 s76, 0, s76
	s_mul_hi_u32 s41, s14, s17
	s_add_u32 s40, s58, s40
	s_mul_i32 s17, s14, s17
	s_addc_u32 s40, s76, s65
	s_addc_u32 s41, s41, 0
	s_add_u32 s17, s40, s17
	s_addc_u32 s40, 0, s41
	s_add_u32 s16, s16, s17
	s_cselect_b32 s17, -1, 0
	s_mul_hi_u32 s41, s60, s16
	s_cmp_lg_u32 s17, 0
	s_mul_hi_u32 s17, s15, s16
	s_addc_u32 s14, s14, s40
	s_mul_i32 s16, s15, s16
	s_mul_i32 s58, s60, s14
	s_mul_hi_u32 s40, s60, s14
	s_add_u32 s41, s41, s58
	s_addc_u32 s40, 0, s40
	s_mul_hi_u32 s65, s15, s14
	s_add_u32 s16, s41, s16
	s_mul_i32 s14, s15, s14
	s_addc_u32 s16, s40, s17
	s_addc_u32 s17, s65, 0
	s_add_u32 s14, s16, s14
	s_addc_u32 s16, 0, s17
	s_mul_hi_u32 s17, s33, s14
	s_mul_i32 s16, s33, s16
	s_mul_i32 s14, s33, s14
	s_add_i32 s17, s17, s16
	s_sub_u32 s14, s60, s14
	s_cselect_b32 s16, -1, 0
	s_cmp_lg_u32 s16, 0
	s_subb_u32 s16, s15, s17
	s_sub_u32 s17, s14, s33
	s_cselect_b32 s40, -1, 0
	s_cmp_lg_u32 s40, 0
	s_subb_u32 s40, s16, 0
	s_sub_u32 s41, s17, s33
	s_cselect_b32 s58, -1, 0
	s_cmp_lg_u32 s58, 0
	s_subb_u32 s58, s40, 0
	s_cmp_ge_u32 s17, s33
	s_cselect_b32 s65, -1, 0
	s_cmp_eq_u32 s40, 0
	s_cselect_b32 s65, s65, -1
	s_cmp_lg_u32 s65, 0
	s_cselect_b32 s40, s58, s40
	s_cselect_b32 s41, s41, s17
	s_cmp_ge_u32 s14, s33
	s_cselect_b32 s17, -1, 0
	s_cmp_eq_u32 s16, 0
	s_cselect_b32 s17, s17, -1
	s_cmp_lg_u32 s17, 0
	s_cselect_b32 s17, s40, s16
	s_cselect_b32 s16, s41, s14
	s_cbranch_execnz .LBB201_400
.LBB201_399:                            ;   in Loop: Header=BB201_31 Depth=1
	v_cvt_f32_u32_e32 v2, s33
	s_sub_i32 s16, 0, s33
	v_rcp_iflag_f32_e32 v2, v2
	v_mul_f32_e32 v2, 0x4f7ffffe, v2
	v_cvt_u32_f32_e32 v2, v2
	v_readfirstlane_b32 s14, v2
	s_mul_i32 s16, s16, s14
	s_mul_hi_u32 s16, s14, s16
	s_add_i32 s14, s14, s16
	s_mul_hi_u32 s14, s60, s14
	s_mul_i32 s14, s14, s33
	s_sub_i32 s14, s60, s14
	s_sub_i32 s16, s14, s33
	s_cmp_ge_u32 s14, s33
	s_cselect_b32 s14, s16, s14
	s_sub_i32 s16, s14, s33
	s_cmp_ge_u32 s14, s33
	s_cselect_b32 s58, s16, s14
	s_mov_b64 s[16:17], s[58:59]
.LBB201_400:                            ;   in Loop: Header=BB201_31 Depth=1
	s_sub_u32 s14, s60, s16
	s_subb_u32 s15, s15, s17
	s_mov_b32 s17, 0
	s_mov_b32 s16, 0
	s_mov_b32 s58, exec_lo
                                        ; implicit-def: $vgpr28
	v_cmpx_gt_u64_e64 s[14:15], v[0:1]
	s_cbranch_execz .LBB201_412
; %bb.401:                              ;   in Loop: Header=BB201_31 Depth=1
	v_mov_b32_e32 v3, v1
	v_mov_b32_e32 v6, v14
	;; [unrolled: 1-line block ×3, first 2 shown]
                                        ; implicit-def: $sgpr60
	s_inst_prefetch 0x1
	s_branch .LBB201_405
	.p2align	6
.LBB201_402:                            ;   in Loop: Header=BB201_405 Depth=2
	s_or_b32 exec_lo, exec_lo, s65
	s_waitcnt lgkmcnt(0)
	s_barrier
	buffer_gl0_inv
	ds_read_b64 v[27:28], v13 offset:3072
	s_waitcnt lgkmcnt(0)
	s_barrier
	buffer_gl0_inv
	v_cmp_neq_f32_e32 vcc_lo, 0, v27
	s_cbranch_vccnz .LBB201_408
; %bb.403:                              ;   in Loop: Header=BB201_405 Depth=2
	v_add_co_u32 v2, vcc_lo, v2, s33
	v_add_co_ci_u32_e64 v3, null, 0, v3, vcc_lo
	v_add_nc_u32_e32 v6, s97, v6
	s_mov_b32 s40, 0
	v_cmp_le_u64_e32 vcc_lo, s[14:15], v[2:3]
	s_orn2_b32 s41, vcc_lo, exec_lo
.LBB201_404:                            ;   in Loop: Header=BB201_405 Depth=2
	s_and_b32 s41, exec_lo, s41
	s_or_b32 s16, s41, s16
	s_andn2_b32 s41, s60, exec_lo
	s_and_b32 s40, s40, exec_lo
	s_or_b32 s60, s41, s40
	s_andn2_b32 exec_lo, exec_lo, s16
	s_cbranch_execz .LBB201_411
.LBB201_405:                            ;   Parent Loop BB201_31 Depth=1
                                        ; =>  This Inner Loop Header: Depth=2
	s_mov_b32 s65, exec_lo
	v_cmpx_gt_u64_e64 s[6:7], v[2:3]
	s_cbranch_execz .LBB201_402
; %bb.406:                              ;   in Loop: Header=BB201_405 Depth=2
	ds_read_b32 v27, v6
	s_waitcnt lgkmcnt(0)
	v_cmp_lt_i32_e32 vcc_lo, -1, v27
	v_cndmask_b32_e64 v7, -1, 0x80000000, vcc_lo
	v_cmp_o_f32_e32 vcc_lo, v27, v27
	v_xor_b32_e32 v7, v7, v27
	v_cndmask_b32_e32 v7, -1, v7, vcc_lo
	v_and_b32_e32 v7, v7, v48
	v_cmp_eq_u32_e32 vcc_lo, v7, v46
	s_and_b32 exec_lo, exec_lo, vcc_lo
	s_cbranch_execz .LBB201_402
; %bb.407:                              ;   in Loop: Header=BB201_405 Depth=2
	ds_write_b64 v13, v[26:27] offset:3072
	s_branch .LBB201_402
.LBB201_408:                            ;   in Loop: Header=BB201_405 Depth=2
	s_mov_b32 s41, -1
	s_mov_b32 s40, -1
                                        ; implicit-def: $vgpr2_vgpr3
                                        ; implicit-def: $vgpr6
	s_branch .LBB201_404
.LBB201_409:                            ;   in Loop: Header=BB201_31 Depth=1
                                        ; implicit-def: $sgpr18_sgpr19
	s_branch .LBB201_352
.LBB201_410:                            ;   in Loop: Header=BB201_31 Depth=1
                                        ; implicit-def: $sgpr6_sgpr7
	s_branch .LBB201_369
.LBB201_411:                            ;   in Loop: Header=BB201_31 Depth=1
	s_inst_prefetch 0x2
	s_or_b32 exec_lo, exec_lo, s16
	s_and_b32 s16, s60, exec_lo
.LBB201_412:                            ;   in Loop: Header=BB201_31 Depth=1
	s_or_b32 exec_lo, exec_lo, s58
.LBB201_413:                            ;   in Loop: Header=BB201_31 Depth=1
	s_and_b32 vcc_lo, exec_lo, s17
	s_cbranch_vccz .LBB201_428
; %bb.414:                              ;   in Loop: Header=BB201_31 Depth=1
	s_mov_b32 s60, s59
	s_cmp_lg_u64 s[60:61], 0
	s_cbranch_scc0 .LBB201_447
; %bb.415:                              ;   in Loop: Header=BB201_31 Depth=1
	v_cvt_f32_u32_e32 v2, s33
	s_sub_u32 s14, 0, s33
	s_subb_u32 s15, 0, 0
	v_fmac_f32_e64 v2, 0x4f800000, 0
	v_rcp_f32_e32 v2, v2
	v_mul_f32_e32 v2, 0x5f7ffffc, v2
	v_mul_f32_e32 v3, 0x2f800000, v2
	v_trunc_f32_e32 v3, v3
	v_fmac_f32_e32 v2, 0xcf800000, v3
	v_cvt_u32_f32_e32 v3, v3
	v_cvt_u32_f32_e32 v2, v2
	v_readfirstlane_b32 s6, v3
	v_readfirstlane_b32 s7, v2
	s_mul_i32 s17, s14, s6
	s_mul_hi_u32 s41, s14, s7
	s_mul_i32 s40, s15, s7
	s_add_i32 s17, s41, s17
	s_mul_i32 s58, s14, s7
	s_add_i32 s17, s17, s40
	s_mul_hi_u32 s41, s7, s58
	s_mul_i32 s65, s7, s17
	s_mul_hi_u32 s60, s6, s58
	s_mul_i32 s40, s6, s58
	s_mul_hi_u32 s58, s7, s17
	s_add_u32 s41, s41, s65
	s_addc_u32 s58, 0, s58
	s_mul_hi_u32 s73, s6, s17
	s_add_u32 s40, s41, s40
	s_mul_i32 s17, s6, s17
	s_addc_u32 s40, s58, s60
	s_addc_u32 s41, s73, 0
	s_add_u32 s17, s40, s17
	s_addc_u32 s40, 0, s41
	s_add_u32 s7, s7, s17
	s_cselect_b32 s17, -1, 0
	s_mul_hi_u32 s41, s14, s7
	s_cmp_lg_u32 s17, 0
	s_mul_i32 s17, s14, s7
	s_addc_u32 s6, s6, s40
	s_mul_i32 s15, s15, s7
	s_mul_i32 s14, s14, s6
	s_mul_hi_u32 s40, s7, s17
	s_add_i32 s14, s41, s14
	s_mul_hi_u32 s41, s6, s17
	s_add_i32 s14, s14, s15
	s_mul_i32 s15, s6, s17
	s_mul_i32 s60, s7, s14
	s_mul_hi_u32 s58, s7, s14
	s_add_u32 s40, s40, s60
	s_addc_u32 s58, 0, s58
	s_mul_hi_u32 s17, s6, s14
	s_add_u32 s15, s40, s15
	s_mul_i32 s14, s6, s14
	s_addc_u32 s15, s58, s41
	s_addc_u32 s17, s17, 0
	s_add_u32 s14, s15, s14
	s_addc_u32 s15, 0, s17
	s_add_u32 s7, s7, s14
	s_cselect_b32 s14, -1, 0
	s_mul_hi_u32 s17, s93, s7
	s_cmp_lg_u32 s14, 0
	s_mul_hi_u32 s14, s61, s7
	s_addc_u32 s6, s6, s15
	s_mul_i32 s7, s61, s7
	s_mul_i32 s40, s93, s6
	s_mul_hi_u32 s15, s93, s6
	s_add_u32 s17, s17, s40
	s_addc_u32 s15, 0, s15
	s_mul_hi_u32 s41, s61, s6
	s_add_u32 s7, s17, s7
	s_mul_i32 s6, s61, s6
	s_addc_u32 s7, s15, s14
	s_addc_u32 s14, s41, 0
	s_add_u32 s6, s7, s6
	s_addc_u32 s7, 0, s14
	s_mul_hi_u32 s14, s33, s6
	s_mul_i32 s7, s33, s7
	s_mul_i32 s6, s33, s6
	s_add_i32 s14, s14, s7
	s_sub_u32 s6, s93, s6
	s_cselect_b32 s7, -1, 0
	s_cmp_lg_u32 s7, 0
	s_subb_u32 s7, s61, s14
	s_sub_u32 s14, s6, s33
	s_cselect_b32 s15, -1, 0
	s_cmp_lg_u32 s15, 0
	s_subb_u32 s15, s7, 0
	;; [unrolled: 4-line block ×3, first 2 shown]
	s_cmp_ge_u32 s14, s33
	s_cselect_b32 s41, -1, 0
	s_cmp_eq_u32 s15, 0
	s_cselect_b32 s41, s41, -1
	s_cmp_lg_u32 s41, 0
	s_cselect_b32 s15, s40, s15
	s_cselect_b32 s14, s17, s14
	s_cmp_ge_u32 s6, s33
	s_cselect_b32 s17, -1, 0
	s_cmp_eq_u32 s7, 0
	s_cselect_b32 s17, s17, -1
	s_cmp_lg_u32 s17, 0
	s_cselect_b32 s7, s15, s7
	s_cselect_b32 s6, s14, s6
	s_cbranch_execnz .LBB201_417
.LBB201_416:                            ;   in Loop: Header=BB201_31 Depth=1
	v_cvt_f32_u32_e32 v2, s33
	s_sub_i32 s7, 0, s33
	v_rcp_iflag_f32_e32 v2, v2
	v_mul_f32_e32 v2, 0x4f7ffffe, v2
	v_cvt_u32_f32_e32 v2, v2
	v_readfirstlane_b32 s6, v2
	s_mul_i32 s7, s7, s6
	s_mul_hi_u32 s7, s6, s7
	s_add_i32 s6, s6, s7
	s_mul_hi_u32 s6, s93, s6
	s_mul_i32 s6, s6, s33
	s_sub_i32 s6, s93, s6
	s_sub_i32 s7, s6, s33
	s_cmp_ge_u32 s6, s33
	s_cselect_b32 s6, s7, s6
	s_sub_i32 s7, s6, s33
	s_cmp_ge_u32 s6, s33
	s_cselect_b32 s58, s7, s6
	s_mov_b64 s[6:7], s[58:59]
.LBB201_417:                            ;   in Loop: Header=BB201_31 Depth=1
	s_sub_u32 s14, s93, s6
	s_subb_u32 s15, s61, s7
	s_mov_b32 s7, exec_lo
                                        ; implicit-def: $vgpr28
	v_cmpx_gt_u64_e64 s[14:15], v[0:1]
	s_cbranch_execz .LBB201_427
; %bb.418:                              ;   in Loop: Header=BB201_31 Depth=1
	v_mov_b32_e32 v2, v24
	v_mov_b32_e32 v7, v1
	;; [unrolled: 1-line block ×4, first 2 shown]
	s_mov_b32 s17, 0
                                        ; implicit-def: $sgpr58
	s_branch .LBB201_422
.LBB201_419:                            ;   in Loop: Header=BB201_422 Depth=2
	s_or_b32 exec_lo, exec_lo, s6
	s_waitcnt lgkmcnt(0)
	s_barrier
	buffer_gl0_inv
	ds_read_b64 v[27:28], v13 offset:3072
	s_waitcnt lgkmcnt(0)
	s_barrier
	buffer_gl0_inv
	v_cmp_eq_f32_e32 vcc_lo, 0, v27
	s_cbranch_vccz .LBB201_425
; %bb.420:                              ;   in Loop: Header=BB201_422 Depth=2
	v_add_co_u32 v6, vcc_lo, v6, s33
	v_add_co_ci_u32_e64 v7, null, 0, v7, vcc_lo
	v_add_co_u32 v2, s6, v2, s38
	v_add_co_ci_u32_e64 v3, null, s39, v3, s6
	v_cmp_le_u64_e32 vcc_lo, s[14:15], v[6:7]
	s_mov_b32 s6, 0
	s_orn2_b32 s40, vcc_lo, exec_lo
.LBB201_421:                            ;   in Loop: Header=BB201_422 Depth=2
	s_and_b32 s40, exec_lo, s40
	s_or_b32 s17, s40, s17
	s_andn2_b32 s40, s58, exec_lo
	s_and_b32 s6, s6, exec_lo
	s_or_b32 s58, s40, s6
	s_andn2_b32 exec_lo, exec_lo, s17
	s_cbranch_execz .LBB201_426
.LBB201_422:                            ;   Parent Loop BB201_31 Depth=1
                                        ; =>  This Inner Loop Header: Depth=2
	s_mov_b32 s6, exec_lo
	v_cmpx_gt_u64_e64 s[28:29], v[6:7]
	s_cbranch_execz .LBB201_419
; %bb.423:                              ;   in Loop: Header=BB201_422 Depth=2
	global_load_dword v27, v[2:3], off
	s_waitcnt vmcnt(0)
	v_cmp_lt_i32_e32 vcc_lo, -1, v27
	v_cndmask_b32_e64 v8, -1, 0x80000000, vcc_lo
	v_cmp_o_f32_e32 vcc_lo, v27, v27
	v_xor_b32_e32 v8, v8, v27
	v_cndmask_b32_e32 v8, -1, v8, vcc_lo
	v_and_b32_e32 v8, v8, v48
	v_cmp_eq_u32_e32 vcc_lo, v8, v46
	s_and_b32 exec_lo, exec_lo, vcc_lo
	s_cbranch_execz .LBB201_419
; %bb.424:                              ;   in Loop: Header=BB201_422 Depth=2
	ds_write_b64 v13, v[26:27] offset:3072
	s_branch .LBB201_419
.LBB201_425:                            ;   in Loop: Header=BB201_422 Depth=2
	s_mov_b32 s40, -1
	s_mov_b32 s6, -1
                                        ; implicit-def: $vgpr6_vgpr7
                                        ; implicit-def: $vgpr2_vgpr3
	s_branch .LBB201_421
.LBB201_426:                            ;   in Loop: Header=BB201_31 Depth=1
	s_or_b32 exec_lo, exec_lo, s17
	s_andn2_b32 s6, s16, exec_lo
	s_and_b32 s14, s58, exec_lo
	s_or_b32 s16, s6, s14
.LBB201_427:                            ;   in Loop: Header=BB201_31 Depth=1
	s_or_b32 exec_lo, exec_lo, s7
	s_mov_b32 s73, 0
	s_mov_b32 s74, -1
.LBB201_428:                            ;   in Loop: Header=BB201_31 Depth=1
	s_orn2_b32 s6, s16, exec_lo
.LBB201_429:                            ;   in Loop: Header=BB201_31 Depth=1
	s_or_b32 exec_lo, exec_lo, s64
	s_mov_b32 s7, 0
	s_and_saveexec_b32 s16, s6
	s_cbranch_execz .LBB201_493
; %bb.430:                              ;   in Loop: Header=BB201_31 Depth=1
	v_mov_b32_e32 v2, 1
	v_mov_b32_e32 v3, 0
	;; [unrolled: 1-line block ×3, first 2 shown]
	s_xor_b32 s14, s75, -1
	s_and_saveexec_b32 s6, s14
	s_cbranch_execz .LBB201_439
; %bb.431:                              ;   in Loop: Header=BB201_31 Depth=1
	s_mov_b32 s7, exec_lo
	v_cmpx_ge_u64_e64 s[12:13], v[4:5]
	s_xor_b32 s7, exec_lo, s7
	s_cbranch_execz .LBB201_436
; %bb.432:                              ;   in Loop: Header=BB201_31 Depth=1
	ds_read_b64 v[2:3], v13 offset:5120
	s_lshl_b32 s14, 1, s56
	v_or_b32_e32 v48, s9, v48
	v_and_or_b32 v46, v46, s24, s14
	s_waitcnt lgkmcnt(0)
	v_cmp_ne_u64_e32 vcc_lo, 0, v[2:3]
	s_cbranch_vccnz .LBB201_436
; %bb.433:                              ;   in Loop: Header=BB201_31 Depth=1
	s_and_saveexec_b32 s14, s3
; %bb.434:                              ;   in Loop: Header=BB201_31 Depth=1
	v_mov_b32_e32 v2, s12
	v_mov_b32_e32 v3, s13
	ds_write_b64 v13, v[2:3] offset:5128
; %bb.435:                              ;   in Loop: Header=BB201_31 Depth=1
	s_or_b32 exec_lo, exec_lo, s14
	s_waitcnt lgkmcnt(0)
	s_barrier
	buffer_gl0_inv
.LBB201_436:                            ;   in Loop: Header=BB201_31 Depth=1
	s_or_saveexec_b32 s7, s7
	v_mov_b32_e32 v12, 5
	s_mov_b32 s14, 0
	s_xor_b32 exec_lo, exec_lo, s7
; %bb.437:                              ;   in Loop: Header=BB201_31 Depth=1
	v_sub_co_u32 v4, vcc_lo, v4, s12
	v_subrev_co_ci_u32_e64 v5, null, s13, v5, vcc_lo
	v_mov_b32_e32 v12, 0
	s_mov_b32 s14, exec_lo
; %bb.438:                              ;   in Loop: Header=BB201_31 Depth=1
	s_or_b32 exec_lo, exec_lo, s7
	v_mov_b32_e32 v2, v4
	v_mov_b32_e32 v3, v5
	s_and_b32 s7, s14, exec_lo
.LBB201_439:                            ;   in Loop: Header=BB201_31 Depth=1
	s_or_b32 exec_lo, exec_lo, s6
	s_mov_b32 s6, -1
                                        ; implicit-def: $sgpr65
                                        ; implicit-def: $sgpr60
	s_and_saveexec_b32 s17, s7
	s_cbranch_execz .LBB201_492
; %bb.440:                              ;   in Loop: Header=BB201_31 Depth=1
	v_cmp_eq_u64_e32 vcc_lo, 1, v[2:3]
	s_cmp_eq_u64 s[10:11], 1
	s_mov_b32 s7, -1
	s_cselect_b32 s6, -1, 0
                                        ; implicit-def: $sgpr65
                                        ; implicit-def: $sgpr60
	s_and_b32 s75, s6, vcc_lo
	s_and_saveexec_b32 s64, s75
	s_cbranch_execz .LBB201_480
; %bb.441:                              ;   in Loop: Header=BB201_31 Depth=1
	ds_read_b64 v[4:5], v13 offset:5120
	s_waitcnt lgkmcnt(0)
	s_barrier
	buffer_gl0_inv
	v_readfirstlane_b32 s6, v4
	v_readfirstlane_b32 s7, v5
	s_and_saveexec_b32 s12, s8
; %bb.442:                              ;   in Loop: Header=BB201_31 Depth=1
	ds_write_b32 v43, v13
; %bb.443:                              ;   in Loop: Header=BB201_31 Depth=1
	s_or_b32 exec_lo, exec_lo, s12
	v_and_b32_e32 v46, s24, v46
	v_or_b32_e32 v48, s9, v48
	s_mov_b32 s60, -1
	s_mov_b32 s65, 0
	s_cmp_eq_u64 s[6:7], 0
	s_mov_b32 s14, 0
	s_mov_b32 s15, -1
	s_waitcnt lgkmcnt(0)
	s_barrier
	buffer_gl0_inv
                                        ; implicit-def: $vgpr28
	s_cbranch_scc1 .LBB201_462
; %bb.444:                              ;   in Loop: Header=BB201_31 Depth=1
	s_add_u32 s76, s6, s91
	s_addc_u32 s13, s7, s92
	s_mov_b32 s12, s59
	s_cmp_lg_u64 s[12:13], 0
	s_cbranch_scc0 .LBB201_448
; %bb.445:                              ;   in Loop: Header=BB201_31 Depth=1
	v_cvt_f32_u32_e32 v4, s33
	s_sub_u32 s15, 0, s33
	s_subb_u32 s40, 0, 0
	v_fmac_f32_e64 v4, 0x4f800000, 0
	v_rcp_f32_e32 v4, v4
	v_mul_f32_e32 v4, 0x5f7ffffc, v4
	v_mul_f32_e32 v5, 0x2f800000, v4
	v_trunc_f32_e32 v5, v5
	v_fmac_f32_e32 v4, 0xcf800000, v5
	v_cvt_u32_f32_e32 v5, v5
	v_cvt_u32_f32_e32 v4, v4
	v_readfirstlane_b32 s12, v5
	v_readfirstlane_b32 s14, v4
	s_mul_i32 s41, s15, s12
	s_mul_hi_u32 s77, s15, s14
	s_mul_i32 s58, s40, s14
	s_add_i32 s41, s77, s41
	s_mul_i32 s78, s15, s14
	s_add_i32 s41, s41, s58
	s_mul_hi_u32 s77, s14, s78
	s_mul_i32 s80, s14, s41
	s_mul_hi_u32 s79, s12, s78
	s_mul_i32 s58, s12, s78
	s_mul_hi_u32 s78, s14, s41
	s_add_u32 s77, s77, s80
	s_addc_u32 s78, 0, s78
	s_mul_hi_u32 s81, s12, s41
	s_add_u32 s58, s77, s58
	s_mul_i32 s41, s12, s41
	s_addc_u32 s58, s78, s79
	s_addc_u32 s77, s81, 0
	s_add_u32 s41, s58, s41
	s_addc_u32 s58, 0, s77
	s_add_u32 s14, s14, s41
	s_cselect_b32 s41, -1, 0
	s_mul_hi_u32 s77, s15, s14
	s_cmp_lg_u32 s41, 0
	s_mul_i32 s41, s15, s14
	s_addc_u32 s12, s12, s58
	s_mul_i32 s40, s40, s14
	s_mul_i32 s15, s15, s12
	s_mul_hi_u32 s58, s14, s41
	s_add_i32 s15, s77, s15
	s_mul_hi_u32 s77, s12, s41
	s_add_i32 s15, s15, s40
	s_mul_i32 s40, s12, s41
	s_mul_i32 s79, s14, s15
	s_mul_hi_u32 s78, s14, s15
	s_add_u32 s58, s58, s79
	s_addc_u32 s78, 0, s78
	s_mul_hi_u32 s41, s12, s15
	s_add_u32 s40, s58, s40
	s_mul_i32 s15, s12, s15
	s_addc_u32 s40, s78, s77
	s_addc_u32 s41, s41, 0
	s_add_u32 s15, s40, s15
	s_addc_u32 s40, 0, s41
	s_add_u32 s14, s14, s15
	s_cselect_b32 s15, -1, 0
	s_mul_hi_u32 s41, s76, s14
	s_cmp_lg_u32 s15, 0
	s_mul_hi_u32 s15, s13, s14
	s_addc_u32 s12, s12, s40
	s_mul_i32 s14, s13, s14
	s_mul_i32 s58, s76, s12
	s_mul_hi_u32 s40, s76, s12
	s_add_u32 s41, s41, s58
	s_addc_u32 s40, 0, s40
	s_mul_hi_u32 s77, s13, s12
	s_add_u32 s14, s41, s14
	s_mul_i32 s12, s13, s12
	s_addc_u32 s14, s40, s15
	s_addc_u32 s15, s77, 0
	s_add_u32 s12, s14, s12
	s_addc_u32 s14, 0, s15
	s_mul_hi_u32 s15, s33, s12
	s_mul_i32 s14, s33, s14
	s_mul_i32 s12, s33, s12
	s_add_i32 s15, s15, s14
	s_sub_u32 s12, s76, s12
	s_cselect_b32 s14, -1, 0
	s_cmp_lg_u32 s14, 0
	s_subb_u32 s14, s13, s15
	s_sub_u32 s15, s12, s33
	s_cselect_b32 s40, -1, 0
	s_cmp_lg_u32 s40, 0
	s_subb_u32 s40, s14, 0
	s_sub_u32 s41, s15, s33
	s_cselect_b32 s58, -1, 0
	s_cmp_lg_u32 s58, 0
	s_subb_u32 s58, s40, 0
	s_cmp_ge_u32 s15, s33
	s_cselect_b32 s77, -1, 0
	s_cmp_eq_u32 s40, 0
	s_cselect_b32 s77, s77, -1
	s_cmp_lg_u32 s77, 0
	s_cselect_b32 s40, s58, s40
	s_cselect_b32 s41, s41, s15
	s_cmp_ge_u32 s12, s33
	s_cselect_b32 s15, -1, 0
	s_cmp_eq_u32 s14, 0
	s_cselect_b32 s15, s15, -1
	s_cmp_lg_u32 s15, 0
	s_cselect_b32 s15, s40, s14
	s_cselect_b32 s14, s41, s12
	s_mov_b32 s12, 0
	s_branch .LBB201_449
.LBB201_446:                            ;   in Loop: Header=BB201_31 Depth=1
                                        ; implicit-def: $sgpr16_sgpr17
	s_branch .LBB201_399
.LBB201_447:                            ;   in Loop: Header=BB201_31 Depth=1
                                        ; implicit-def: $sgpr6_sgpr7
	s_branch .LBB201_416
.LBB201_448:                            ;   in Loop: Header=BB201_31 Depth=1
	s_mov_b32 s12, -1
                                        ; implicit-def: $sgpr14_sgpr15
.LBB201_449:                            ;   in Loop: Header=BB201_31 Depth=1
	s_andn2_b32 vcc_lo, exec_lo, s12
	s_cbranch_vccnz .LBB201_451
; %bb.450:                              ;   in Loop: Header=BB201_31 Depth=1
	v_cvt_f32_u32_e32 v4, s33
	s_sub_i32 s14, 0, s33
	v_rcp_iflag_f32_e32 v4, v4
	v_mul_f32_e32 v4, 0x4f7ffffe, v4
	v_cvt_u32_f32_e32 v4, v4
	v_readfirstlane_b32 s12, v4
	s_mul_i32 s14, s14, s12
	s_mul_hi_u32 s14, s12, s14
	s_add_i32 s12, s12, s14
	s_mul_hi_u32 s12, s76, s12
	s_mul_i32 s12, s12, s33
	s_sub_i32 s12, s76, s12
	s_sub_i32 s14, s12, s33
	s_cmp_ge_u32 s12, s33
	s_cselect_b32 s12, s14, s12
	s_sub_i32 s14, s12, s33
	s_cmp_ge_u32 s12, s33
	s_cselect_b32 s58, s14, s12
	s_mov_b64 s[14:15], s[58:59]
.LBB201_451:                            ;   in Loop: Header=BB201_31 Depth=1
	s_sub_u32 s12, s76, s14
	s_subb_u32 s13, s13, s15
	s_mov_b32 s15, 0
	s_mov_b32 s14, 0
	s_mov_b32 s58, exec_lo
                                        ; implicit-def: $vgpr28
	v_cmpx_gt_u64_e64 s[12:13], v[0:1]
	s_cbranch_execz .LBB201_461
; %bb.452:                              ;   in Loop: Header=BB201_31 Depth=1
	v_mov_b32_e32 v5, v1
	v_mov_b32_e32 v6, v14
	;; [unrolled: 1-line block ×3, first 2 shown]
                                        ; implicit-def: $sgpr76
	s_inst_prefetch 0x1
	s_branch .LBB201_456
	.p2align	6
.LBB201_453:                            ;   in Loop: Header=BB201_456 Depth=2
	s_or_b32 exec_lo, exec_lo, s77
	s_waitcnt lgkmcnt(0)
	s_barrier
	buffer_gl0_inv
	ds_read_b64 v[27:28], v13 offset:3072
	s_waitcnt lgkmcnt(0)
	s_barrier
	buffer_gl0_inv
	v_cmp_neq_f32_e32 vcc_lo, 0, v27
	s_cbranch_vccnz .LBB201_459
; %bb.454:                              ;   in Loop: Header=BB201_456 Depth=2
	v_add_co_u32 v4, vcc_lo, v4, s33
	v_add_co_ci_u32_e64 v5, null, 0, v5, vcc_lo
	v_add_nc_u32_e32 v6, s97, v6
	s_mov_b32 s40, 0
	v_cmp_le_u64_e32 vcc_lo, s[12:13], v[4:5]
	s_orn2_b32 s41, vcc_lo, exec_lo
.LBB201_455:                            ;   in Loop: Header=BB201_456 Depth=2
	s_and_b32 s41, exec_lo, s41
	s_or_b32 s14, s41, s14
	s_andn2_b32 s41, s76, exec_lo
	s_and_b32 s40, s40, exec_lo
	s_or_b32 s76, s41, s40
	s_andn2_b32 exec_lo, exec_lo, s14
	s_cbranch_execz .LBB201_460
.LBB201_456:                            ;   Parent Loop BB201_31 Depth=1
                                        ; =>  This Inner Loop Header: Depth=2
	s_mov_b32 s77, exec_lo
	v_cmpx_gt_u64_e64 s[6:7], v[4:5]
	s_cbranch_execz .LBB201_453
; %bb.457:                              ;   in Loop: Header=BB201_456 Depth=2
	ds_read_b32 v27, v6
	s_waitcnt lgkmcnt(0)
	v_cmp_lt_i32_e32 vcc_lo, -1, v27
	v_cndmask_b32_e64 v7, -1, 0x80000000, vcc_lo
	v_cmp_o_f32_e32 vcc_lo, v27, v27
	v_xor_b32_e32 v7, v7, v27
	v_cndmask_b32_e32 v7, -1, v7, vcc_lo
	v_and_b32_e32 v7, v7, v48
	v_cmp_eq_u32_e32 vcc_lo, v7, v46
	s_and_b32 exec_lo, exec_lo, vcc_lo
	s_cbranch_execz .LBB201_453
; %bb.458:                              ;   in Loop: Header=BB201_456 Depth=2
	ds_write_b64 v13, v[26:27] offset:3072
	s_branch .LBB201_453
.LBB201_459:                            ;   in Loop: Header=BB201_456 Depth=2
	s_mov_b32 s41, -1
	s_mov_b32 s40, -1
                                        ; implicit-def: $vgpr4_vgpr5
                                        ; implicit-def: $vgpr6
	s_branch .LBB201_455
.LBB201_460:                            ;   in Loop: Header=BB201_31 Depth=1
	s_inst_prefetch 0x2
	s_or_b32 exec_lo, exec_lo, s14
	s_and_b32 s14, s76, exec_lo
.LBB201_461:                            ;   in Loop: Header=BB201_31 Depth=1
	s_or_b32 exec_lo, exec_lo, s58
.LBB201_462:                            ;   in Loop: Header=BB201_31 Depth=1
	s_and_b32 vcc_lo, exec_lo, s15
	s_cbranch_vccz .LBB201_479
; %bb.463:                              ;   in Loop: Header=BB201_31 Depth=1
	s_mov_b32 s60, s59
	s_cmp_lg_u64 s[60:61], 0
	s_cbranch_scc0 .LBB201_465
; %bb.464:                              ;   in Loop: Header=BB201_31 Depth=1
	v_cvt_f32_u32_e32 v4, s33
	s_sub_u32 s12, 0, s33
	s_subb_u32 s13, 0, 0
	v_fmac_f32_e64 v4, 0x4f800000, 0
	v_rcp_f32_e32 v4, v4
	v_mul_f32_e32 v4, 0x5f7ffffc, v4
	v_mul_f32_e32 v5, 0x2f800000, v4
	v_trunc_f32_e32 v5, v5
	v_fmac_f32_e32 v4, 0xcf800000, v5
	v_cvt_u32_f32_e32 v5, v5
	v_cvt_u32_f32_e32 v4, v4
	v_readfirstlane_b32 s6, v5
	v_readfirstlane_b32 s7, v4
	s_mul_i32 s15, s12, s6
	s_mul_hi_u32 s41, s12, s7
	s_mul_i32 s40, s13, s7
	s_add_i32 s15, s41, s15
	s_mul_i32 s58, s12, s7
	s_add_i32 s15, s15, s40
	s_mul_hi_u32 s41, s7, s58
	s_mul_i32 s65, s7, s15
	s_mul_hi_u32 s60, s6, s58
	s_mul_i32 s40, s6, s58
	s_mul_hi_u32 s58, s7, s15
	s_add_u32 s41, s41, s65
	s_addc_u32 s58, 0, s58
	s_mul_hi_u32 s76, s6, s15
	s_add_u32 s40, s41, s40
	s_mul_i32 s15, s6, s15
	s_addc_u32 s40, s58, s60
	s_addc_u32 s41, s76, 0
	s_add_u32 s15, s40, s15
	s_addc_u32 s40, 0, s41
	s_add_u32 s7, s7, s15
	s_cselect_b32 s15, -1, 0
	s_mul_hi_u32 s41, s12, s7
	s_cmp_lg_u32 s15, 0
	s_mul_i32 s15, s12, s7
	s_addc_u32 s6, s6, s40
	s_mul_i32 s13, s13, s7
	s_mul_i32 s12, s12, s6
	s_mul_hi_u32 s40, s7, s15
	s_add_i32 s12, s41, s12
	s_mul_hi_u32 s41, s6, s15
	s_add_i32 s12, s12, s13
	s_mul_i32 s13, s6, s15
	s_mul_i32 s60, s7, s12
	s_mul_hi_u32 s58, s7, s12
	s_add_u32 s40, s40, s60
	s_addc_u32 s58, 0, s58
	s_mul_hi_u32 s15, s6, s12
	s_add_u32 s13, s40, s13
	s_mul_i32 s12, s6, s12
	s_addc_u32 s13, s58, s41
	s_addc_u32 s15, s15, 0
	s_add_u32 s12, s13, s12
	s_addc_u32 s13, 0, s15
	s_add_u32 s7, s7, s12
	s_cselect_b32 s12, -1, 0
	s_mul_hi_u32 s15, s93, s7
	s_cmp_lg_u32 s12, 0
	s_mul_hi_u32 s12, s61, s7
	s_addc_u32 s6, s6, s13
	s_mul_i32 s7, s61, s7
	s_mul_i32 s40, s93, s6
	s_mul_hi_u32 s13, s93, s6
	s_add_u32 s15, s15, s40
	s_addc_u32 s13, 0, s13
	s_mul_hi_u32 s41, s61, s6
	s_add_u32 s7, s15, s7
	s_mul_i32 s6, s61, s6
	s_addc_u32 s7, s13, s12
	s_addc_u32 s12, s41, 0
	s_add_u32 s6, s7, s6
	s_addc_u32 s7, 0, s12
	s_mul_hi_u32 s12, s33, s6
	s_mul_i32 s7, s33, s7
	s_mul_i32 s6, s33, s6
	s_add_i32 s12, s12, s7
	s_sub_u32 s6, s93, s6
	s_cselect_b32 s7, -1, 0
	s_cmp_lg_u32 s7, 0
	s_subb_u32 s7, s61, s12
	s_sub_u32 s12, s6, s33
	s_cselect_b32 s13, -1, 0
	s_cmp_lg_u32 s13, 0
	s_subb_u32 s13, s7, 0
	;; [unrolled: 4-line block ×3, first 2 shown]
	s_cmp_ge_u32 s12, s33
	s_cselect_b32 s41, -1, 0
	s_cmp_eq_u32 s13, 0
	s_cselect_b32 s41, s41, -1
	s_cmp_lg_u32 s41, 0
	s_cselect_b32 s13, s40, s13
	s_cselect_b32 s12, s15, s12
	s_cmp_ge_u32 s6, s33
	s_cselect_b32 s15, -1, 0
	s_cmp_eq_u32 s7, 0
	s_cselect_b32 s15, s15, -1
	s_cmp_lg_u32 s15, 0
	s_cselect_b32 s7, s13, s7
	s_cselect_b32 s6, s12, s6
	s_mov_b32 s12, 0
	s_branch .LBB201_466
.LBB201_465:                            ;   in Loop: Header=BB201_31 Depth=1
	s_mov_b32 s12, -1
                                        ; implicit-def: $sgpr6_sgpr7
.LBB201_466:                            ;   in Loop: Header=BB201_31 Depth=1
	s_andn2_b32 vcc_lo, exec_lo, s12
	s_cbranch_vccnz .LBB201_468
; %bb.467:                              ;   in Loop: Header=BB201_31 Depth=1
	v_cvt_f32_u32_e32 v4, s33
	s_sub_i32 s7, 0, s33
	v_rcp_iflag_f32_e32 v4, v4
	v_mul_f32_e32 v4, 0x4f7ffffe, v4
	v_cvt_u32_f32_e32 v4, v4
	v_readfirstlane_b32 s6, v4
	s_mul_i32 s7, s7, s6
	s_mul_hi_u32 s7, s6, s7
	s_add_i32 s6, s6, s7
	s_mul_hi_u32 s6, s93, s6
	s_mul_i32 s6, s6, s33
	s_sub_i32 s6, s93, s6
	s_sub_i32 s7, s6, s33
	s_cmp_ge_u32 s6, s33
	s_cselect_b32 s6, s7, s6
	s_sub_i32 s7, s6, s33
	s_cmp_ge_u32 s6, s33
	s_cselect_b32 s58, s7, s6
	s_mov_b64 s[6:7], s[58:59]
.LBB201_468:                            ;   in Loop: Header=BB201_31 Depth=1
	s_sub_u32 s12, s93, s6
	s_subb_u32 s13, s61, s7
	s_mov_b32 s7, exec_lo
                                        ; implicit-def: $vgpr28
	v_cmpx_gt_u64_e64 s[12:13], v[0:1]
	s_cbranch_execz .LBB201_478
; %bb.469:                              ;   in Loop: Header=BB201_31 Depth=1
	v_mov_b32_e32 v4, v24
	v_mov_b32_e32 v7, v1
	;; [unrolled: 1-line block ×4, first 2 shown]
	s_mov_b32 s15, 0
                                        ; implicit-def: $sgpr58
	s_branch .LBB201_473
.LBB201_470:                            ;   in Loop: Header=BB201_473 Depth=2
	s_or_b32 exec_lo, exec_lo, s6
	s_waitcnt lgkmcnt(0)
	s_barrier
	buffer_gl0_inv
	ds_read_b64 v[27:28], v13 offset:3072
	s_waitcnt lgkmcnt(0)
	s_barrier
	buffer_gl0_inv
	v_cmp_eq_f32_e32 vcc_lo, 0, v27
	s_cbranch_vccz .LBB201_476
; %bb.471:                              ;   in Loop: Header=BB201_473 Depth=2
	v_add_co_u32 v6, vcc_lo, v6, s33
	v_add_co_ci_u32_e64 v7, null, 0, v7, vcc_lo
	v_add_co_u32 v4, s6, v4, s38
	v_add_co_ci_u32_e64 v5, null, s39, v5, s6
	v_cmp_le_u64_e32 vcc_lo, s[12:13], v[6:7]
	s_mov_b32 s6, 0
	s_orn2_b32 s40, vcc_lo, exec_lo
.LBB201_472:                            ;   in Loop: Header=BB201_473 Depth=2
	s_and_b32 s40, exec_lo, s40
	s_or_b32 s15, s40, s15
	s_andn2_b32 s40, s58, exec_lo
	s_and_b32 s6, s6, exec_lo
	s_or_b32 s58, s40, s6
	s_andn2_b32 exec_lo, exec_lo, s15
	s_cbranch_execz .LBB201_477
.LBB201_473:                            ;   Parent Loop BB201_31 Depth=1
                                        ; =>  This Inner Loop Header: Depth=2
	s_mov_b32 s6, exec_lo
	v_cmpx_gt_u64_e64 s[28:29], v[6:7]
	s_cbranch_execz .LBB201_470
; %bb.474:                              ;   in Loop: Header=BB201_473 Depth=2
	global_load_dword v27, v[4:5], off
	s_waitcnt vmcnt(0)
	v_cmp_lt_i32_e32 vcc_lo, -1, v27
	v_cndmask_b32_e64 v8, -1, 0x80000000, vcc_lo
	v_cmp_o_f32_e32 vcc_lo, v27, v27
	v_xor_b32_e32 v8, v8, v27
	v_cndmask_b32_e32 v8, -1, v8, vcc_lo
	v_and_b32_e32 v8, v8, v48
	v_cmp_eq_u32_e32 vcc_lo, v8, v46
	s_and_b32 exec_lo, exec_lo, vcc_lo
	s_cbranch_execz .LBB201_470
; %bb.475:                              ;   in Loop: Header=BB201_473 Depth=2
	ds_write_b64 v13, v[26:27] offset:3072
	s_branch .LBB201_470
.LBB201_476:                            ;   in Loop: Header=BB201_473 Depth=2
	s_mov_b32 s40, -1
	s_mov_b32 s6, -1
                                        ; implicit-def: $vgpr6_vgpr7
                                        ; implicit-def: $vgpr4_vgpr5
	s_branch .LBB201_472
.LBB201_477:                            ;   in Loop: Header=BB201_31 Depth=1
	s_or_b32 exec_lo, exec_lo, s15
	s_andn2_b32 s6, s14, exec_lo
	s_and_b32 s12, s58, exec_lo
	s_or_b32 s14, s6, s12
.LBB201_478:                            ;   in Loop: Header=BB201_31 Depth=1
	s_or_b32 exec_lo, exec_lo, s7
	s_mov_b32 s60, 0
	s_mov_b32 s65, -1
.LBB201_479:                            ;   in Loop: Header=BB201_31 Depth=1
	s_orn2_b32 s7, s14, exec_lo
.LBB201_480:                            ;   in Loop: Header=BB201_31 Depth=1
	s_or_b32 exec_lo, exec_lo, s64
	s_mov_b32 s12, 0
	s_and_saveexec_b32 s6, s7
	s_cbranch_execz .LBB201_491
; %bb.481:                              ;   in Loop: Header=BB201_31 Depth=1
	v_mov_b32_e32 v4, 1
	v_mov_b32_e32 v5, 0
	;; [unrolled: 1-line block ×3, first 2 shown]
	s_xor_b32 s12, s75, -1
	s_and_saveexec_b32 s7, s12
	s_cbranch_execz .LBB201_490
; %bb.482:                              ;   in Loop: Header=BB201_31 Depth=1
	s_mov_b32 s12, exec_lo
	v_cmpx_ge_u64_e64 s[10:11], v[2:3]
	s_xor_b32 s12, exec_lo, s12
	s_cbranch_execz .LBB201_487
; %bb.483:                              ;   in Loop: Header=BB201_31 Depth=1
	ds_read_b64 v[4:5], v13 offset:5120
	v_and_b32_e32 v46, s24, v46
	v_or_b32_e32 v48, s9, v48
	s_waitcnt lgkmcnt(0)
	v_cmp_ne_u64_e32 vcc_lo, 0, v[4:5]
	s_cbranch_vccnz .LBB201_487
; %bb.484:                              ;   in Loop: Header=BB201_31 Depth=1
	s_and_saveexec_b32 s9, s3
; %bb.485:                              ;   in Loop: Header=BB201_31 Depth=1
	v_mov_b32_e32 v4, s10
	v_mov_b32_e32 v5, s11
	ds_write_b64 v13, v[4:5] offset:5128
; %bb.486:                              ;   in Loop: Header=BB201_31 Depth=1
	s_or_b32 exec_lo, exec_lo, s9
	s_waitcnt lgkmcnt(0)
	s_barrier
	buffer_gl0_inv
.LBB201_487:                            ;   in Loop: Header=BB201_31 Depth=1
	s_andn2_saveexec_b32 s9, s12
; %bb.488:                              ;   in Loop: Header=BB201_31 Depth=1
	v_sub_co_u32 v2, vcc_lo, v2, s10
	v_subrev_co_ci_u32_e64 v3, null, s11, v3, vcc_lo
; %bb.489:                              ;   in Loop: Header=BB201_31 Depth=1
	s_or_b32 exec_lo, exec_lo, s9
	v_mov_b32_e32 v5, v3
	v_mov_b32_e32 v12, 5
	;; [unrolled: 1-line block ×3, first 2 shown]
.LBB201_490:                            ;   in Loop: Header=BB201_31 Depth=1
	s_or_b32 exec_lo, exec_lo, s7
	v_mov_b32_e32 v2, v4
	v_mov_b32_e32 v3, v5
	s_mov_b32 s12, exec_lo
.LBB201_491:                            ;   in Loop: Header=BB201_31 Depth=1
	s_or_b32 exec_lo, exec_lo, s6
	s_orn2_b32 s6, s12, exec_lo
.LBB201_492:                            ;   in Loop: Header=BB201_31 Depth=1
	s_or_b32 exec_lo, exec_lo, s17
	s_andn2_b32 s7, s74, exec_lo
	s_and_b32 s9, s65, exec_lo
	s_andn2_b32 s10, s73, exec_lo
	s_and_b32 s11, s60, exec_lo
	v_mov_b32_e32 v5, v3
	v_mov_b32_e32 v4, v2
	s_or_b32 s74, s7, s9
	s_or_b32 s73, s10, s11
	s_and_b32 s7, s6, exec_lo
.LBB201_493:                            ;   in Loop: Header=BB201_31 Depth=1
	s_or_b32 exec_lo, exec_lo, s16
	s_orn2_b32 s6, s7, exec_lo
.LBB201_494:                            ;   in Loop: Header=BB201_31 Depth=1
	s_or_b32 exec_lo, exec_lo, s19
	s_andn2_b32 s7, s71, exec_lo
	s_and_b32 s9, s74, exec_lo
	s_andn2_b32 s10, s70, exec_lo
	s_and_b32 s11, s73, exec_lo
	v_mov_b32_e32 v2, v4
	v_mov_b32_e32 v3, v5
	s_or_b32 s71, s7, s9
	s_or_b32 s70, s10, s11
	s_and_b32 s7, s6, exec_lo
.LBB201_495:                            ;   in Loop: Header=BB201_31 Depth=1
	s_or_b32 exec_lo, exec_lo, s18
	s_orn2_b32 s6, s7, exec_lo
.LBB201_496:                            ;   in Loop: Header=BB201_31 Depth=1
	s_or_b32 exec_lo, exec_lo, s21
	s_mov_b32 s7, s23
	s_mov_b32 s9, s22
	s_and_saveexec_b32 s10, s6
; %bb.497:                              ;   in Loop: Header=BB201_31 Depth=1
	v_cmp_ne_u32_e32 vcc_lo, 5, v12
	v_cmp_eq_u32_e64 s6, 5, v12
	s_andn2_b32 s7, s22, exec_lo
	s_andn2_b32 s11, s23, exec_lo
	s_and_b32 s9, vcc_lo, exec_lo
	s_and_b32 s6, s6, exec_lo
	s_or_b32 s9, s7, s9
	s_or_b32 s7, s11, s6
; %bb.498:                              ;   in Loop: Header=BB201_31 Depth=1
	s_or_b32 exec_lo, exec_lo, s10
	s_andn2_b32 s6, s72, exec_lo
	s_and_b32 s10, s71, exec_lo
	s_andn2_b32 s11, s25, exec_lo
	s_and_b32 s12, s70, exec_lo
	s_or_b32 s72, s6, s10
	s_andn2_b32 s6, s22, exec_lo
	s_and_b32 s9, s9, exec_lo
	s_andn2_b32 s10, s23, exec_lo
	s_and_b32 s7, s7, exec_lo
	s_or_b32 s25, s11, s12
	s_or_b32 s22, s6, s9
	;; [unrolled: 1-line block ×3, first 2 shown]
.LBB201_499:                            ;   in Loop: Header=BB201_31 Depth=1
	s_or_b32 exec_lo, exec_lo, s20
	s_mov_b32 s70, 0
	s_mov_b32 s71, 0
	s_and_saveexec_b32 s6, s23
.LBB201_500:                            ;   in Loop: Header=BB201_31 Depth=1
	v_mov_b32_e32 v12, 0
	s_or_b32 s22, s22, exec_lo
.LBB201_501:                            ;   in Loop: Header=BB201_31 Depth=1
	s_or_b32 exec_lo, exec_lo, s6
	s_andn2_b32 s6, s54, exec_lo
	s_and_b32 s9, s72, exec_lo
	s_andn2_b32 s10, s44, exec_lo
	s_and_b32 s11, s25, exec_lo
	v_mov_b32_e32 v30, v3
	v_mov_b32_e32 v29, v2
	s_or_b32 s54, s6, s9
	s_or_b32 s44, s10, s11
	s_andn2_b32 s2, s2, exec_lo
	s_and_b32 s6, s71, exec_lo
	s_andn2_b32 s9, s55, exec_lo
	s_and_b32 s10, s70, exec_lo
	s_mov_b32 s7, -1
	s_andn2_b32 s45, s45, exec_lo
	s_or_b32 s2, s2, s6
	s_or_b32 s55, s9, s10
	s_and_saveexec_b32 s6, s22
	s_xor_b32 s6, exec_lo, s6
	s_cbranch_execz .LBB201_30
; %bb.502:                              ;   in Loop: Header=BB201_31 Depth=1
	s_mov_b32 s9, -1
	s_mov_b32 s10, exec_lo
	v_cmpx_eq_u32_e32 0, v12
	s_cbranch_execz .LBB201_29
; %bb.503:                              ;   in Loop: Header=BB201_31 Depth=1
	s_xor_b32 s104, s104, 1
	s_add_i32 s11, s56, -2
	s_cmp_eq_u32 s56, 0
	s_mov_b32 s56, s11
	s_cselect_b32 s7, -1, 0
	s_xor_b32 s9, exec_lo, -1
	s_orn2_b32 s7, s7, exec_lo
	s_branch .LBB201_29
.LBB201_504:
	s_or_b32 exec_lo, exec_lo, s98
	s_xor_b32 s7, s57, -1
	s_xor_b32 s9, s52, -1
	;; [unrolled: 1-line block ×4, first 2 shown]
	s_xor_b32 s6, vcc_hi, -1
	s_mov_b32 s8, 0
	s_and_saveexec_b32 s11, s2
	s_xor_b32 s2, exec_lo, s11
	s_cbranch_execnz .LBB201_509
; %bb.505:
	s_andn2_saveexec_b32 s0, s2
	s_cbranch_execnz .LBB201_528
.LBB201_506:
	s_or_b32 exec_lo, exec_lo, s0
	s_and_saveexec_b32 s0, s8
.LBB201_507:
	; divergent unreachable
.LBB201_508:
	s_endpgm
.LBB201_509:
	s_and_saveexec_b32 s11, s10
	s_xor_b32 s12, exec_lo, s11
	s_cbranch_execz .LBB201_526
; %bb.510:
	s_and_saveexec_b32 s10, s9
	s_xor_b32 s13, exec_lo, s10
	s_cbranch_execz .LBB201_524
; %bb.511:
	s_and_saveexec_b32 s9, s7
	s_xor_b32 s14, exec_lo, s9
	s_cbranch_execz .LBB201_522
; %bb.512:
	s_and_saveexec_b32 s7, s6
	s_xor_b32 s6, exec_lo, s7
; %bb.513:
	v_cmp_lt_i32_e32 vcc_lo, -1, v46
	v_cndmask_b32_e64 v2, 0x80000000, -1, vcc_lo
	v_xor_b32_e32 v28, v2, v46
; %bb.514:
	s_or_b32 exec_lo, exec_lo, s6
	s_and_saveexec_b32 s6, s3
	s_load_dwordx2 s[40:41], s[4:5], 0x0
; %bb.515:
	v_mov_b32_e32 v2, 0
	v_mov_b32_e32 v3, v2
	ds_write_b64 v2, v[2:3] offset:5136
; %bb.516:
	s_or_b32 exec_lo, exec_lo, s6
	v_mov_b32_e32 v17, 0
	s_waitcnt lgkmcnt(0)
	s_barrier
	buffer_gl0_inv
	s_and_saveexec_b32 s3, s1
	s_cbranch_execz .LBB201_518
; %bb.517:
	global_load_dword v17, v[10:11], off
.LBB201_518:
	s_or_b32 exec_lo, exec_lo, s3
	s_load_dwordx2 s[18:19], s[4:5], 0x440
	v_readlane_b32 s16, v49, 0
	v_readlane_b32 s17, v49, 1
	s_add_u32 s3, s28, 31
	s_addc_u32 s7, s29, 0
	s_and_b32 s6, s3, 0xffffffe0
	s_mul_i32 s3, s16, s37
	s_mul_hi_u32 s8, s16, s36
	v_cmp_lt_i32_e32 vcc_lo, -1, v28
	s_add_i32 s3, s8, s3
	s_mul_i32 s8, s17, s36
	s_mov_b32 s20, -1
	s_add_i32 s9, s3, s8
	s_mul_i32 s8, s16, s36
	v_cndmask_b32_e64 v2, -1, 0x80000000, vcc_lo
	s_lshl_b64 s[16:17], s[8:9], 2
	v_cmp_o_f32_e32 vcc_lo, v28, v28
	v_xor_b32_e32 v2, v2, v28
	s_waitcnt lgkmcnt(0)
	s_mul_i32 s3, s18, s51
	s_mul_hi_u32 s10, s18, s50
	s_mul_i32 s15, s19, s50
	s_add_i32 s3, s10, s3
	s_clause 0x1
	s_load_dwordx2 s[8:9], s[4:5], 0x368
	s_load_dwordx2 s[10:11], s[4:5], 0x510
	v_readlane_b32 s4, v49, 2
	v_readlane_b32 s5, v49, 3
	s_add_i32 s19, s3, s15
	s_mul_i32 s18, s18, s50
	v_cndmask_b32_e32 v16, -1, v2, vcc_lo
	s_add_u32 s3, s4, s16
	s_addc_u32 s4, s5, s17
	s_lshl_b64 s[16:17], s[34:35], 2
	v_cmp_gt_u64_e32 vcc_lo, s[6:7], v[0:1]
	s_add_u32 s5, s3, s16
	s_addc_u32 s15, s4, s17
	s_lshl_b64 s[16:17], s[18:19], 3
	v_readlane_b32 s18, v49, 4
	v_readlane_b32 s19, v49, 5
	s_add_u32 s3, s18, s16
	s_addc_u32 s4, s19, s17
	s_lshl_b64 s[16:17], s[42:43], 3
	s_mov_b32 s18, 0
	s_add_u32 s16, s3, s16
	s_addc_u32 s17, s4, s17
	s_mov_b32 s3, 0
	s_and_saveexec_b32 s19, vcc_lo
	s_cbranch_execnz .LBB201_529
; %bb.519:
	s_or_b32 exec_lo, exec_lo, s19
	s_and_saveexec_b32 s4, s20
	s_cbranch_execnz .LBB201_546
.LBB201_520:
	s_or_b32 exec_lo, exec_lo, s4
	s_and_saveexec_b32 s0, s3
	s_xor_b32 s0, exec_lo, s0
	s_cbranch_execnz .LBB201_569
.LBB201_521:
	s_or_b32 exec_lo, exec_lo, s0
	s_waitcnt lgkmcnt(0)
	s_and_b32 s8, s18, exec_lo
.LBB201_522:
	s_andn2_saveexec_b32 s0, s14
	s_cbranch_execnz .LBB201_571
.LBB201_523:
	s_or_b32 exec_lo, exec_lo, s0
	s_and_b32 s8, s8, exec_lo
.LBB201_524:
	s_andn2_saveexec_b32 s0, s13
	s_cbranch_execnz .LBB201_570
.LBB201_525:
	s_or_b32 exec_lo, exec_lo, s0
	s_and_b32 s8, s8, exec_lo
.LBB201_526:
	s_andn2_saveexec_b32 s0, s12
	s_cbranch_execnz .LBB201_565
.LBB201_527:
	s_or_b32 exec_lo, exec_lo, s0
	s_and_b32 s8, s8, exec_lo
	s_andn2_saveexec_b32 s0, s2
	s_cbranch_execz .LBB201_506
.LBB201_528:
	s_or_b32 s8, s8, exec_lo
	s_trap 2
	s_or_b32 exec_lo, exec_lo, s0
	s_and_saveexec_b32 s0, s8
	s_cbranch_execnz .LBB201_507
	s_branch .LBB201_508
.LBB201_529:
	v_add_nc_u32_e32 v4, s33, v0
	v_readlane_b32 s20, v49, 9
	v_readlane_b32 s21, v49, 10
	s_add_u32 s3, s40, s48
	s_addc_u32 s4, s41, s49
	v_mad_u64_u32 v[2:3], null, s26, v4, 0
	s_add_u32 s3, s3, s20
	s_addc_u32 s4, s4, s21
	v_mov_b32_e32 v13, v1
	v_mov_b32_e32 v12, v0
	s_mov_b32 s20, 0
                                        ; implicit-def: $sgpr21
                                        ; implicit-def: $vgpr8_vgpr9
	v_mad_u64_u32 v[3:4], null, s27, v4, v[3:4]
	v_lshlrev_b64 v[4:5], 2, v[2:3]
	v_mov_b32_e32 v3, 0
	v_add_co_u32 v4, s3, s3, v4
	v_add_co_ci_u32_e64 v5, null, s4, v5, s3
	s_branch .LBB201_531
.LBB201_530:                            ;   in Loop: Header=BB201_531 Depth=1
	s_or_b32 exec_lo, exec_lo, s22
	s_xor_b32 s3, s23, -1
	s_and_b32 s4, exec_lo, s4
	v_mov_b32_e32 v13, v7
	s_waitcnt vmcnt(0)
	v_mov_b32_e32 v17, v18
	s_or_b32 s20, s4, s20
	v_mov_b32_e32 v12, v6
	s_andn2_b32 s4, s21, exec_lo
	s_and_b32 s3, s3, exec_lo
	s_or_b32 s21, s4, s3
	s_andn2_b32 exec_lo, exec_lo, s20
	s_cbranch_execz .LBB201_545
.LBB201_531:                            ; =>This Inner Loop Header: Depth=1
	v_add_co_u32 v6, s3, v12, s33
	v_add_co_ci_u32_e64 v7, null, 0, v13, s3
	v_mov_b32_e32 v18, 0
	s_mov_b32 s4, exec_lo
	v_cmpx_gt_u64_e64 s[28:29], v[6:7]
	s_cbranch_execz .LBB201_533
; %bb.532:                              ;   in Loop: Header=BB201_531 Depth=1
	global_load_dword v18, v[4:5], off
.LBB201_533:                            ;   in Loop: Header=BB201_531 Depth=1
	s_or_b32 exec_lo, exec_lo, s4
	s_mov_b32 s22, 0
	s_mov_b32 s4, exec_lo
	v_cmpx_gt_u64_e64 s[28:29], v[12:13]
	s_cbranch_execz .LBB201_535
; %bb.534:                              ;   in Loop: Header=BB201_531 Depth=1
	s_waitcnt vmcnt(0)
	v_cmp_lt_i32_e64 s3, -1, v17
	v_cndmask_b32_e64 v2, -1, 0x80000000, s3
	v_cmp_o_f32_e64 s3, v17, v17
	v_xor_b32_e32 v2, v2, v17
	v_cndmask_b32_e64 v2, -1, v2, s3
	v_cmp_gt_u32_e64 s3, v2, v16
	v_cndmask_b32_e64 v14, 0, 1, s3
	v_cmp_lt_u32_e64 s3, v2, v16
	v_cndmask_b32_e64 v2, 0, 1, s3
	v_cndmask_b32_e64 v2, v2, v14, s94
	v_and_b32_e32 v2, 1, v2
	v_cmp_eq_u32_e64 s3, 1, v2
	s_and_b32 s22, s3, exec_lo
.LBB201_535:                            ;   in Loop: Header=BB201_531 Depth=1
	s_or_b32 exec_lo, exec_lo, s4
	v_cndmask_b32_e64 v2, 0, 1, s22
	v_cmp_ne_u32_e64 s3, 0, v2
	s_cmp_lg_u32 s3, 0
	s_cselect_b32 s4, -1, 0
	s_and_b32 s4, s0, s4
	s_and_saveexec_b32 s23, s4
	s_cbranch_execz .LBB201_539
; %bb.536:                              ;   in Loop: Header=BB201_531 Depth=1
	s_mov_b32 s34, exec_lo
	s_bcnt1_i32_b32 s24, s3
	v_mbcnt_lo_u32_b32 v14, s34, 0
	s_mov_b32 s25, exec_lo
                                        ; implicit-def: $vgpr8_vgpr9
	v_cmpx_eq_u32_e32 0, v14
	s_cbranch_execz .LBB201_538
; %bb.537:                              ;   in Loop: Header=BB201_531 Depth=1
	s_bcnt1_i32_b32 s4, s34
	s_mul_i32 s4, s24, s4
	v_mov_b32_e32 v2, s4
	s_waitcnt lgkmcnt(0)
	ds_add_rtn_u64 v[8:9], v3, v[2:3] offset:5136
.LBB201_538:                            ;   in Loop: Header=BB201_531 Depth=1
	s_or_b32 exec_lo, exec_lo, s25
	s_waitcnt lgkmcnt(0)
	v_readfirstlane_b32 s35, v9
	v_readfirstlane_b32 s34, v8
	v_mad_u64_u32 v[8:9], null, s24, v14, s[34:35]
.LBB201_539:                            ;   in Loop: Header=BB201_531 Depth=1
	s_or_b32 exec_lo, exec_lo, s23
	s_waitcnt lgkmcnt(0)
	ds_bpermute_b32 v8, v3, v8
	ds_bpermute_b32 v9, v3, v9
	s_mov_b32 s4, -1
	s_mov_b32 s24, -1
	s_and_saveexec_b32 s23, s22
	s_cbranch_execz .LBB201_543
; %bb.540:                              ;   in Loop: Header=BB201_531 Depth=1
	v_and_b32_e32 v2, s3, v41
	s_mov_b32 s22, 0
	s_mov_b32 s24, exec_lo
	v_bcnt_u32_b32 v2, v2, 0
	s_waitcnt lgkmcnt(0)
	v_add_co_u32 v14, s3, v8, v2
	v_add_co_ci_u32_e64 v15, null, 0, v9, s3
	v_cmpx_gt_u64_e64 s[30:31], v[14:15]
	s_cbranch_execz .LBB201_542
; %bb.541:                              ;   in Loop: Header=BB201_531 Depth=1
	v_mul_lo_u32 v2, v15, s8
	v_mul_lo_u32 v21, v14, s9
	v_mad_u64_u32 v[19:20], null, v14, s8, 0
	v_mul_lo_u32 v22, v15, s10
	v_mul_lo_u32 v23, v14, s11
	v_mad_u64_u32 v[14:15], null, v14, s10, 0
	s_mov_b32 s22, exec_lo
	v_add3_u32 v20, v20, v21, v2
	v_add3_u32 v15, v15, v23, v22
	v_lshlrev_b64 v[19:20], 2, v[19:20]
	v_lshlrev_b64 v[14:15], 3, v[14:15]
	v_add_co_u32 v19, s3, s5, v19
	v_add_co_ci_u32_e64 v20, null, s15, v20, s3
	v_add_co_u32 v14, s3, s16, v14
	v_add_co_ci_u32_e64 v15, null, s17, v15, s3
	s_waitcnt vmcnt(0)
	global_store_dword v[19:20], v17, off
	global_store_dwordx2 v[14:15], v[12:13], off
.LBB201_542:                            ;   in Loop: Header=BB201_531 Depth=1
	s_or_b32 exec_lo, exec_lo, s24
	s_orn2_b32 s24, s22, exec_lo
.LBB201_543:                            ;   in Loop: Header=BB201_531 Depth=1
	s_or_b32 exec_lo, exec_lo, s23
	s_mov_b32 s23, -1
	s_and_saveexec_b32 s22, s24
	s_cbranch_execz .LBB201_530
; %bb.544:                              ;   in Loop: Header=BB201_531 Depth=1
	v_cmp_le_u64_e64 s3, s[6:7], v[6:7]
	v_add_co_u32 v4, s4, v4, s38
	v_add_co_ci_u32_e64 v5, null, s39, v5, s4
	s_xor_b32 s23, exec_lo, -1
	s_orn2_b32 s4, s3, exec_lo
	s_branch .LBB201_530
.LBB201_545:
	s_or_b32 exec_lo, exec_lo, s20
	s_mov_b32 s3, exec_lo
	s_orn2_b32 s20, s21, exec_lo
	s_or_b32 exec_lo, exec_lo, s19
	s_and_saveexec_b32 s4, s20
	s_cbranch_execz .LBB201_520
.LBB201_546:
	v_mov_b32_e32 v12, 0
	s_waitcnt vmcnt(0) lgkmcnt(0)
	s_waitcnt_vscnt null, 0x0
	s_barrier
	buffer_gl0_inv
	s_and_saveexec_b32 s18, s1
	s_cbranch_execz .LBB201_548
; %bb.547:
	global_load_dword v12, v[10:11], off
.LBB201_548:
	s_or_b32 exec_lo, exec_lo, s18
	s_mov_b32 s1, 0
	s_and_saveexec_b32 s18, vcc_lo
	s_cbranch_execz .LBB201_568
; %bb.549:
	v_add_nc_u32_e32 v4, s33, v0
	v_readlane_b32 s20, v49, 9
	v_readlane_b32 s21, v49, 10
	s_add_u32 s1, s40, s48
	s_addc_u32 s19, s41, s49
	v_mad_u64_u32 v[2:3], null, s26, v4, 0
	s_add_u32 s1, s1, s20
	s_addc_u32 s19, s19, s21
	v_mov_b32_e32 v5, 0
                                        ; implicit-def: $sgpr20
                                        ; implicit-def: $vgpr8_vgpr9
	v_mad_u64_u32 v[3:4], null, s27, v4, v[3:4]
	v_lshlrev_b64 v[2:3], 2, v[2:3]
	v_add_co_u32 v2, vcc_lo, s1, v2
	v_add_co_ci_u32_e64 v3, null, s19, v3, vcc_lo
	s_mov_b32 s19, 0
	s_branch .LBB201_552
.LBB201_550:                            ;   in Loop: Header=BB201_552 Depth=1
	s_or_b32 exec_lo, exec_lo, s22
	s_orn2_b32 s24, s23, exec_lo
	s_orn2_b32 s23, s1, exec_lo
.LBB201_551:                            ;   in Loop: Header=BB201_552 Depth=1
	s_or_b32 exec_lo, exec_lo, s21
	s_xor_b32 s1, s24, -1
	s_and_b32 s21, exec_lo, s23
	v_mov_b32_e32 v0, v6
	v_mov_b32_e32 v1, v7
	s_or_b32 s19, s21, s19
	v_mov_b32_e32 v12, v13
	s_andn2_b32 s20, s20, exec_lo
	s_and_b32 s1, s1, exec_lo
	s_or_b32 s20, s20, s1
	s_andn2_b32 exec_lo, exec_lo, s19
	s_cbranch_execz .LBB201_566
.LBB201_552:                            ; =>This Inner Loop Header: Depth=1
	v_add_co_u32 v6, vcc_lo, v0, s33
	v_add_co_ci_u32_e64 v7, null, 0, v1, vcc_lo
	v_mov_b32_e32 v13, 0
	s_mov_b32 s1, exec_lo
	v_cmpx_gt_u64_e64 s[28:29], v[6:7]
	s_cbranch_execz .LBB201_554
; %bb.553:                              ;   in Loop: Header=BB201_552 Depth=1
	global_load_dword v13, v[2:3], off
.LBB201_554:                            ;   in Loop: Header=BB201_552 Depth=1
	s_or_b32 exec_lo, exec_lo, s1
	s_waitcnt vmcnt(0)
	v_cmp_lt_i32_e32 vcc_lo, -1, v12
	v_cndmask_b32_e64 v4, -1, 0x80000000, vcc_lo
	v_cmp_o_f32_e32 vcc_lo, v12, v12
	v_xor_b32_e32 v4, v4, v12
	v_cndmask_b32_e32 v4, -1, v4, vcc_lo
	v_cmp_gt_u64_e32 vcc_lo, s[28:29], v[0:1]
	v_cmp_eq_u32_e64 s1, v4, v16
	s_and_b32 s22, vcc_lo, s1
	v_cndmask_b32_e64 v4, 0, 1, s22
	v_cmp_ne_u32_e32 vcc_lo, 0, v4
	s_cmp_lg_u32 vcc_lo, 0
	s_cselect_b32 s1, -1, 0
	s_and_b32 s1, s0, s1
	s_and_saveexec_b32 s21, s1
	s_cbranch_execz .LBB201_558
; %bb.555:                              ;   in Loop: Header=BB201_552 Depth=1
	s_mov_b32 s25, exec_lo
	s_bcnt1_i32_b32 s23, vcc_lo
	v_mbcnt_lo_u32_b32 v10, s25, 0
	s_mov_b32 s24, exec_lo
                                        ; implicit-def: $vgpr8_vgpr9
	v_cmpx_eq_u32_e32 0, v10
; %bb.556:                              ;   in Loop: Header=BB201_552 Depth=1
	s_bcnt1_i32_b32 s1, s25
	s_mul_i32 s1, s23, s1
	v_mov_b32_e32 v4, s1
	ds_add_rtn_u64 v[8:9], v5, v[4:5] offset:5136
; %bb.557:                              ;   in Loop: Header=BB201_552 Depth=1
	s_or_b32 exec_lo, exec_lo, s24
	s_waitcnt lgkmcnt(0)
	v_readfirstlane_b32 s25, v9
	v_readfirstlane_b32 s24, v8
	v_mad_u64_u32 v[8:9], null, s23, v10, s[24:25]
.LBB201_558:                            ;   in Loop: Header=BB201_552 Depth=1
	s_or_b32 exec_lo, exec_lo, s21
	ds_bpermute_b32 v8, v5, v8
	ds_bpermute_b32 v9, v5, v9
	s_cmp_eq_u32 vcc_lo, 0
	s_mov_b32 s23, -1
	s_cselect_b32 s21, -1, 0
	s_mov_b32 s24, -1
	s_waitcnt lgkmcnt(0)
	v_cmp_gt_u64_e64 s1, s[30:31], v[8:9]
	s_or_b32 s1, s21, s1
	s_and_saveexec_b32 s21, s1
	s_cbranch_execz .LBB201_551
; %bb.559:                              ;   in Loop: Header=BB201_552 Depth=1
	v_and_b32_e32 v4, vcc_lo, v41
	v_sub_co_u32 v10, vcc_lo, s30, v8
	v_sub_co_ci_u32_e64 v11, null, s31, v9, vcc_lo
	v_bcnt_u32_b32 v4, v4, 0
	s_mov_b32 s1, -1
	v_bcnt_u32_b32 v4, 0, v4
	v_cmp_gt_u64_e32 vcc_lo, v[10:11], v[4:5]
	s_and_b32 s25, s22, vcc_lo
	s_and_saveexec_b32 s22, s25
	s_cbranch_execz .LBB201_563
; %bb.560:                              ;   in Loop: Header=BB201_552 Depth=1
	v_add_co_u32 v10, vcc_lo, v8, v4
	v_add_co_ci_u32_e64 v11, null, 0, v9, vcc_lo
	s_mov_b32 s24, 0
	s_mov_b32 s23, exec_lo
	v_cmpx_gt_u64_e64 s[30:31], v[10:11]
; %bb.561:                              ;   in Loop: Header=BB201_552 Depth=1
	v_mul_lo_u32 v4, v11, s8
	v_mul_lo_u32 v17, v10, s9
	v_mad_u64_u32 v[14:15], null, v10, s8, 0
	v_mul_lo_u32 v18, v11, s10
	v_mul_lo_u32 v19, v10, s11
	v_mad_u64_u32 v[10:11], null, v10, s10, 0
	s_mov_b32 s24, exec_lo
	v_add3_u32 v15, v15, v17, v4
	v_add3_u32 v11, v11, v19, v18
	v_lshlrev_b64 v[14:15], 2, v[14:15]
	v_lshlrev_b64 v[10:11], 3, v[10:11]
	v_add_co_u32 v14, vcc_lo, s5, v14
	v_add_co_ci_u32_e64 v15, null, s15, v15, vcc_lo
	v_add_co_u32 v10, vcc_lo, s16, v10
	v_add_co_ci_u32_e64 v11, null, s17, v11, vcc_lo
	global_store_dword v[14:15], v12, off
	global_store_dwordx2 v[10:11], v[0:1], off
; %bb.562:                              ;   in Loop: Header=BB201_552 Depth=1
	s_or_b32 exec_lo, exec_lo, s23
	s_xor_b32 s23, exec_lo, -1
	s_orn2_b32 s24, s24, exec_lo
.LBB201_563:                            ;   in Loop: Header=BB201_552 Depth=1
	s_or_b32 exec_lo, exec_lo, s22
	s_and_saveexec_b32 s22, s24
	s_cbranch_execz .LBB201_550
; %bb.564:                              ;   in Loop: Header=BB201_552 Depth=1
	v_cmp_le_u64_e32 vcc_lo, s[6:7], v[6:7]
	v_add_co_u32 v2, s1, v2, s38
	v_add_co_ci_u32_e64 v3, null, s39, v3, s1
	s_or_b32 s23, s23, exec_lo
	s_orn2_b32 s1, vcc_lo, exec_lo
	s_branch .LBB201_550
.LBB201_565:
	s_or_b32 s8, s8, exec_lo
	s_trap 2
	s_branch .LBB201_527
.LBB201_566:
	s_or_b32 exec_lo, exec_lo, s19
	s_mov_b32 s0, 0
	s_and_saveexec_b32 s1, s20
	s_xor_b32 s1, exec_lo, s1
	s_cbranch_execnz .LBB201_572
.LBB201_567:
	s_or_b32 exec_lo, exec_lo, s1
	s_and_b32 s1, s0, exec_lo
.LBB201_568:
	s_or_b32 exec_lo, exec_lo, s18
	s_and_b32 s18, s1, exec_lo
	s_andn2_b32 s3, s3, exec_lo
	s_or_b32 exec_lo, exec_lo, s4
	s_and_saveexec_b32 s0, s3
	s_xor_b32 s0, exec_lo, s0
	s_cbranch_execz .LBB201_521
.LBB201_569:
	s_or_b32 s18, s18, exec_lo
	s_trap 2
	s_branch .LBB201_521
.LBB201_570:
	s_or_b32 s8, s8, exec_lo
	s_trap 2
	s_branch .LBB201_525
.LBB201_571:
	s_or_b32 s8, s8, exec_lo
	s_trap 2
	s_branch .LBB201_523
.LBB201_572:
	s_mov_b32 s0, exec_lo
	s_trap 2
	s_branch .LBB201_567
	.section	.rodata,"a",@progbits
	.p2align	6, 0x0
	.amdhsa_kernel _ZN2at6native6sbtopk10gatherTopKIfmLin1ELb0EEEvNS_4cuda6detail10TensorInfoIKT_T0_EES8_S8_bS8_S8_NS5_IS6_S8_EES8_NS5_IlS8_EES8_PS6_
		.amdhsa_group_segment_fixed_size 5152
		.amdhsa_private_segment_fixed_size 0
		.amdhsa_kernarg_size 1568
		.amdhsa_user_sgpr_count 6
		.amdhsa_user_sgpr_private_segment_buffer 1
		.amdhsa_user_sgpr_dispatch_ptr 0
		.amdhsa_user_sgpr_queue_ptr 0
		.amdhsa_user_sgpr_kernarg_segment_ptr 1
		.amdhsa_user_sgpr_dispatch_id 0
		.amdhsa_user_sgpr_flat_scratch_init 0
		.amdhsa_user_sgpr_private_segment_size 0
		.amdhsa_wavefront_size32 1
		.amdhsa_uses_dynamic_stack 0
		.amdhsa_system_sgpr_private_segment_wavefront_offset 0
		.amdhsa_system_sgpr_workgroup_id_x 1
		.amdhsa_system_sgpr_workgroup_id_y 1
		.amdhsa_system_sgpr_workgroup_id_z 1
		.amdhsa_system_sgpr_workgroup_info 0
		.amdhsa_system_vgpr_workitem_id 0
		.amdhsa_next_free_vgpr 50
		.amdhsa_next_free_sgpr 105
		.amdhsa_reserve_vcc 1
		.amdhsa_reserve_flat_scratch 0
		.amdhsa_float_round_mode_32 0
		.amdhsa_float_round_mode_16_64 0
		.amdhsa_float_denorm_mode_32 3
		.amdhsa_float_denorm_mode_16_64 3
		.amdhsa_dx10_clamp 1
		.amdhsa_ieee_mode 1
		.amdhsa_fp16_overflow 0
		.amdhsa_workgroup_processor_mode 1
		.amdhsa_memory_ordered 1
		.amdhsa_forward_progress 1
		.amdhsa_shared_vgpr_count 0
		.amdhsa_exception_fp_ieee_invalid_op 0
		.amdhsa_exception_fp_denorm_src 0
		.amdhsa_exception_fp_ieee_div_zero 0
		.amdhsa_exception_fp_ieee_overflow 0
		.amdhsa_exception_fp_ieee_underflow 0
		.amdhsa_exception_fp_ieee_inexact 0
		.amdhsa_exception_int_div_zero 0
	.end_amdhsa_kernel
	.section	.text._ZN2at6native6sbtopk10gatherTopKIfmLin1ELb0EEEvNS_4cuda6detail10TensorInfoIKT_T0_EES8_S8_bS8_S8_NS5_IS6_S8_EES8_NS5_IlS8_EES8_PS6_,"axG",@progbits,_ZN2at6native6sbtopk10gatherTopKIfmLin1ELb0EEEvNS_4cuda6detail10TensorInfoIKT_T0_EES8_S8_bS8_S8_NS5_IS6_S8_EES8_NS5_IlS8_EES8_PS6_,comdat
.Lfunc_end201:
	.size	_ZN2at6native6sbtopk10gatherTopKIfmLin1ELb0EEEvNS_4cuda6detail10TensorInfoIKT_T0_EES8_S8_bS8_S8_NS5_IS6_S8_EES8_NS5_IlS8_EES8_PS6_, .Lfunc_end201-_ZN2at6native6sbtopk10gatherTopKIfmLin1ELb0EEEvNS_4cuda6detail10TensorInfoIKT_T0_EES8_S8_bS8_S8_NS5_IS6_S8_EES8_NS5_IlS8_EES8_PS6_
                                        ; -- End function
	.set _ZN2at6native6sbtopk10gatherTopKIfmLin1ELb0EEEvNS_4cuda6detail10TensorInfoIKT_T0_EES8_S8_bS8_S8_NS5_IS6_S8_EES8_NS5_IlS8_EES8_PS6_.num_vgpr, 50
	.set _ZN2at6native6sbtopk10gatherTopKIfmLin1ELb0EEEvNS_4cuda6detail10TensorInfoIKT_T0_EES8_S8_bS8_S8_NS5_IS6_S8_EES8_NS5_IlS8_EES8_PS6_.num_agpr, 0
	.set _ZN2at6native6sbtopk10gatherTopKIfmLin1ELb0EEEvNS_4cuda6detail10TensorInfoIKT_T0_EES8_S8_bS8_S8_NS5_IS6_S8_EES8_NS5_IlS8_EES8_PS6_.numbered_sgpr, 105
	.set _ZN2at6native6sbtopk10gatherTopKIfmLin1ELb0EEEvNS_4cuda6detail10TensorInfoIKT_T0_EES8_S8_bS8_S8_NS5_IS6_S8_EES8_NS5_IlS8_EES8_PS6_.num_named_barrier, 0
	.set _ZN2at6native6sbtopk10gatherTopKIfmLin1ELb0EEEvNS_4cuda6detail10TensorInfoIKT_T0_EES8_S8_bS8_S8_NS5_IS6_S8_EES8_NS5_IlS8_EES8_PS6_.private_seg_size, 0
	.set _ZN2at6native6sbtopk10gatherTopKIfmLin1ELb0EEEvNS_4cuda6detail10TensorInfoIKT_T0_EES8_S8_bS8_S8_NS5_IS6_S8_EES8_NS5_IlS8_EES8_PS6_.uses_vcc, 1
	.set _ZN2at6native6sbtopk10gatherTopKIfmLin1ELb0EEEvNS_4cuda6detail10TensorInfoIKT_T0_EES8_S8_bS8_S8_NS5_IS6_S8_EES8_NS5_IlS8_EES8_PS6_.uses_flat_scratch, 0
	.set _ZN2at6native6sbtopk10gatherTopKIfmLin1ELb0EEEvNS_4cuda6detail10TensorInfoIKT_T0_EES8_S8_bS8_S8_NS5_IS6_S8_EES8_NS5_IlS8_EES8_PS6_.has_dyn_sized_stack, 0
	.set _ZN2at6native6sbtopk10gatherTopKIfmLin1ELb0EEEvNS_4cuda6detail10TensorInfoIKT_T0_EES8_S8_bS8_S8_NS5_IS6_S8_EES8_NS5_IlS8_EES8_PS6_.has_recursion, 0
	.set _ZN2at6native6sbtopk10gatherTopKIfmLin1ELb0EEEvNS_4cuda6detail10TensorInfoIKT_T0_EES8_S8_bS8_S8_NS5_IS6_S8_EES8_NS5_IlS8_EES8_PS6_.has_indirect_call, 0
	.section	.AMDGPU.csdata,"",@progbits
; Kernel info:
; codeLenInByte = 27720
; TotalNumSgprs: 107
; NumVgprs: 50
; ScratchSize: 0
; MemoryBound: 0
; FloatMode: 240
; IeeeMode: 1
; LDSByteSize: 5152 bytes/workgroup (compile time only)
; SGPRBlocks: 0
; VGPRBlocks: 6
; NumSGPRsForWavesPerEU: 107
; NumVGPRsForWavesPerEU: 50
; Occupancy: 16
; WaveLimiterHint : 1
; COMPUTE_PGM_RSRC2:SCRATCH_EN: 0
; COMPUTE_PGM_RSRC2:USER_SGPR: 6
; COMPUTE_PGM_RSRC2:TRAP_HANDLER: 0
; COMPUTE_PGM_RSRC2:TGID_X_EN: 1
; COMPUTE_PGM_RSRC2:TGID_Y_EN: 1
; COMPUTE_PGM_RSRC2:TGID_Z_EN: 1
; COMPUTE_PGM_RSRC2:TIDIG_COMP_CNT: 0
	.section	.text._ZN2at6native6mbtopk23computeBlockDigitCountsIN3c104HalfEmjLi1EEEvNS_4cuda6detail10TensorInfoIKT_T0_EEjPjjSA_iijT1_PSD_Ps,"axG",@progbits,_ZN2at6native6mbtopk23computeBlockDigitCountsIN3c104HalfEmjLi1EEEvNS_4cuda6detail10TensorInfoIKT_T0_EEjPjjSA_iijT1_PSD_Ps,comdat
	.protected	_ZN2at6native6mbtopk23computeBlockDigitCountsIN3c104HalfEmjLi1EEEvNS_4cuda6detail10TensorInfoIKT_T0_EEjPjjSA_iijT1_PSD_Ps ; -- Begin function _ZN2at6native6mbtopk23computeBlockDigitCountsIN3c104HalfEmjLi1EEEvNS_4cuda6detail10TensorInfoIKT_T0_EEjPjjSA_iijT1_PSD_Ps
	.globl	_ZN2at6native6mbtopk23computeBlockDigitCountsIN3c104HalfEmjLi1EEEvNS_4cuda6detail10TensorInfoIKT_T0_EEjPjjSA_iijT1_PSD_Ps
	.p2align	8
	.type	_ZN2at6native6mbtopk23computeBlockDigitCountsIN3c104HalfEmjLi1EEEvNS_4cuda6detail10TensorInfoIKT_T0_EEjPjjSA_iijT1_PSD_Ps,@function
_ZN2at6native6mbtopk23computeBlockDigitCountsIN3c104HalfEmjLi1EEEvNS_4cuda6detail10TensorInfoIKT_T0_EEjPjjSA_iijT1_PSD_Ps: ; @_ZN2at6native6mbtopk23computeBlockDigitCountsIN3c104HalfEmjLi1EEEvNS_4cuda6detail10TensorInfoIKT_T0_EEjPjjSA_iijT1_PSD_Ps
; %bb.0:
	s_clause 0x2
	s_load_dwordx4 s[12:15], s[4:5], 0x1c0
	s_load_dword s3, s[4:5], 0x1b0
	s_load_dwordx2 s[0:1], s[4:5], 0x1e0
	s_mov_b32 s9, 0
	s_waitcnt lgkmcnt(0)
	v_cvt_f32_u32_e32 v1, s14
	s_mul_i32 s1, s1, s8
	s_sub_i32 s8, 0, s14
	s_add_i32 s1, s1, s7
	v_rcp_iflag_f32_e32 v1, v1
	s_mul_i32 s10, s1, s0
	s_add_i32 s10, s10, s6
	v_mul_f32_e32 v1, 0x4f7ffffe, v1
	v_cvt_u32_f32_e32 v1, v1
	v_readfirstlane_b32 s2, v1
	s_mul_i32 s8, s8, s2
	s_mul_hi_u32 s0, s2, s8
	s_add_i32 s2, s2, s0
	s_mul_hi_u32 s0, s10, s2
	s_mul_i32 s1, s0, s14
	s_add_i32 s2, s0, 1
	s_sub_i32 s1, s10, s1
	s_sub_i32 s6, s1, s14
	s_cmp_ge_u32 s1, s14
	s_cselect_b32 s0, s2, s0
	s_cselect_b32 s1, s6, s1
	s_add_i32 s2, s0, 1
	s_cmp_ge_u32 s1, s14
	s_cselect_b32 s8, s2, s0
	s_cmp_ge_u32 s8, s3
	s_cbranch_scc1 .LBB202_21
; %bb.1:
	s_load_dwordx4 s[0:3], s[4:5], 0x1d0
	s_lshl_b64 s[6:7], s[8:9], 2
	v_cmp_gt_u32_e32 vcc_lo, 0x100, v0
	v_lshlrev_b32_e32 v1, 2, v0
	s_waitcnt lgkmcnt(0)
	s_add_u32 s0, s0, s6
	s_addc_u32 s1, s1, s7
	s_and_saveexec_b32 s6, vcc_lo
; %bb.2:
	v_mov_b32_e32 v2, 0
	ds_write_b32 v1, v2
; %bb.3:
	s_or_b32 exec_lo, exec_lo, s6
	s_load_dword s9, s[4:5], 0x1a0
	s_mul_i32 s6, s8, s14
	s_waitcnt lgkmcnt(0)
	s_sub_i32 s6, s10, s6
	s_barrier
	s_mul_i32 s7, s13, s6
	s_add_i32 s11, s6, 1
	s_lshl_b32 s16, s7, 8
	buffer_gl0_inv
	s_sub_i32 s7, s9, s16
	s_add_u32 s6, s7, 0xff
	s_addc_u32 s7, 0, 0
	s_lshr_b64 s[6:7], s[6:7], 8
	s_cmp_lt_u32 s11, s14
	s_cselect_b32 s11, s13, s6
	s_mov_b32 s13, 0
	s_cmp_lt_i32 s11, 1
	s_cbranch_scc1 .LBB202_19
; %bb.4:
	s_clause 0x2
	s_load_dwordx2 s[18:19], s[4:5], 0xd0
	s_load_dwordx2 s[6:7], s[4:5], 0x1b8
	;; [unrolled: 1-line block ×3, first 2 shown]
	s_load_dword s1, s[0:1], 0x0
	v_add_nc_u32_e32 v2, s16, v0
	s_waitcnt lgkmcnt(0)
	s_mul_i32 s0, s19, s8
	s_mul_hi_u32 s5, s18, s8
	s_mul_i32 s4, s18, s8
	s_add_i32 s5, s5, s0
	s_lshl_b64 s[18:19], s[4:5], 1
	s_add_u32 s5, s20, s18
	s_addc_u32 s8, s21, s19
	s_and_b32 s4, s12, 0xff
	s_cmp_eq_u32 s11, 1
	s_cbranch_scc1 .LBB202_14
; %bb.5:
	v_mov_b32_e32 v3, 1
	v_mov_b32_e32 v4, 0x8000
	;; [unrolled: 1-line block ×3, first 2 shown]
	s_and_b32 s12, s11, 0x7ffffffe
	s_branch .LBB202_7
.LBB202_6:                              ;   in Loop: Header=BB202_7 Depth=1
	s_or_b32 exec_lo, exec_lo, s14
	v_add_nc_u32_e32 v5, 0x200, v5
	s_add_i32 s13, s13, 2
	s_cmp_eq_u32 s12, s13
	s_cbranch_scc1 .LBB202_13
.LBB202_7:                              ; =>This Inner Loop Header: Depth=1
	s_mov_b32 s14, exec_lo
	v_cmpx_gt_u32_e64 s9, v5
	s_cbranch_execz .LBB202_10
; %bb.8:                                ;   in Loop: Header=BB202_7 Depth=1
	v_mad_u64_u32 v[6:7], null, s6, v5, 0
	v_mad_u64_u32 v[7:8], null, s7, v5, v[7:8]
	v_lshlrev_b64 v[6:7], 1, v[6:7]
	v_add_co_u32 v6, s0, s5, v6
	v_add_co_ci_u32_e64 v7, null, s8, v7, s0
	global_load_ushort v6, v[6:7], off
	s_waitcnt vmcnt(0)
	v_cmp_lt_i16_e64 s0, -1, v6
	v_cndmask_b32_e64 v7, 0xffff, v4, s0
	v_cmp_o_f16_e64 s0, v6, v6
	v_xor_b32_sdwa v7, v7, v6 dst_sel:DWORD dst_unused:UNUSED_PAD src0_sel:DWORD src1_sel:WORD_0
	v_cndmask_b32_e64 v6, 0xffff, v7, s0
	v_xor_b32_e32 v7, s1, v6
	v_and_b32_e32 v7, s15, v7
	v_cmp_eq_u32_e64 s0, 0, v7
	s_and_b32 exec_lo, exec_lo, s0
; %bb.9:                                ;   in Loop: Header=BB202_7 Depth=1
	v_bfe_u32 v6, v6, s4, 8
	v_lshlrev_b32_e32 v6, 2, v6
	ds_add_u32 v6, v3
.LBB202_10:                             ;   in Loop: Header=BB202_7 Depth=1
	s_or_b32 exec_lo, exec_lo, s14
	v_add_nc_u32_e32 v6, 0x100, v5
	s_mov_b32 s14, exec_lo
	v_cmpx_gt_u32_e64 s9, v6
	s_cbranch_execz .LBB202_6
; %bb.11:                               ;   in Loop: Header=BB202_7 Depth=1
	v_mad_u64_u32 v[7:8], null, s6, v6, 0
	v_mad_u64_u32 v[8:9], null, s7, v6, v[8:9]
	v_lshlrev_b64 v[6:7], 1, v[7:8]
	v_add_co_u32 v6, s0, s5, v6
	v_add_co_ci_u32_e64 v7, null, s8, v7, s0
	global_load_ushort v6, v[6:7], off
	s_waitcnt vmcnt(0)
	v_cmp_lt_i16_e64 s0, -1, v6
	v_cndmask_b32_e64 v7, 0xffff, v4, s0
	v_cmp_o_f16_e64 s0, v6, v6
	v_xor_b32_sdwa v7, v7, v6 dst_sel:DWORD dst_unused:UNUSED_PAD src0_sel:DWORD src1_sel:WORD_0
	v_cndmask_b32_e64 v6, 0xffff, v7, s0
	v_xor_b32_e32 v7, s1, v6
	v_and_b32_e32 v7, s15, v7
	v_cmp_eq_u32_e64 s0, 0, v7
	s_and_b32 exec_lo, exec_lo, s0
	s_cbranch_execz .LBB202_6
; %bb.12:                               ;   in Loop: Header=BB202_7 Depth=1
	v_bfe_u32 v6, v6, s4, 8
	v_lshlrev_b32_e32 v6, 2, v6
	ds_add_u32 v6, v3
	s_branch .LBB202_6
.LBB202_13:
	s_lshl_b32 s13, s12, 8
.LBB202_14:
	s_bitcmp0_b32 s11, 0
	s_cbranch_scc1 .LBB202_19
; %bb.15:
	v_add_nc_u32_e32 v2, s13, v2
	v_cmp_gt_u32_e64 s0, s9, v2
	s_and_saveexec_b32 s9, s0
	s_cbranch_execz .LBB202_18
; %bb.16:
	v_mad_u64_u32 v[3:4], null, s6, v2, 0
	v_mad_u64_u32 v[4:5], null, s7, v2, v[4:5]
	v_lshlrev_b64 v[2:3], 1, v[3:4]
	v_add_co_u32 v2, s0, s5, v2
	v_add_co_ci_u32_e64 v3, null, s8, v3, s0
	global_load_ushort v2, v[2:3], off
	v_mov_b32_e32 v3, 0x8000
	s_waitcnt vmcnt(0)
	v_cmp_lt_i16_e64 s0, -1, v2
	v_cndmask_b32_e64 v3, 0xffff, v3, s0
	v_cmp_o_f16_e64 s0, v2, v2
	v_xor_b32_sdwa v3, v3, v2 dst_sel:DWORD dst_unused:UNUSED_PAD src0_sel:DWORD src1_sel:WORD_0
	v_cndmask_b32_e64 v2, 0xffff, v3, s0
	v_xor_b32_e32 v3, s1, v2
	v_and_b32_e32 v3, s15, v3
	v_cmp_eq_u32_e64 s0, 0, v3
	s_and_b32 exec_lo, exec_lo, s0
	s_cbranch_execz .LBB202_18
; %bb.17:
	v_bfe_u32 v2, v2, s4, 8
	v_mov_b32_e32 v3, 1
	v_lshlrev_b32_e32 v2, 2, v2
	ds_add_u32 v2, v3
.LBB202_18:
	s_or_b32 exec_lo, exec_lo, s9
.LBB202_19:
	s_waitcnt lgkmcnt(0)
	s_barrier
	buffer_gl0_inv
	s_and_saveexec_b32 s0, vcc_lo
	s_cbranch_execz .LBB202_21
; %bb.20:
	ds_read_b32 v2, v1
	v_lshl_or_b32 v0, s10, 8, v0
	v_mov_b32_e32 v1, 0
	v_lshlrev_b64 v[0:1], 1, v[0:1]
	v_add_co_u32 v0, vcc_lo, s2, v0
	v_add_co_ci_u32_e64 v1, null, s3, v1, vcc_lo
	s_waitcnt lgkmcnt(0)
	global_store_short v[0:1], v2, off
.LBB202_21:
	s_endpgm
	.section	.rodata,"a",@progbits
	.p2align	6, 0x0
	.amdhsa_kernel _ZN2at6native6mbtopk23computeBlockDigitCountsIN3c104HalfEmjLi1EEEvNS_4cuda6detail10TensorInfoIKT_T0_EEjPjjSA_iijT1_PSD_Ps
		.amdhsa_group_segment_fixed_size 1024
		.amdhsa_private_segment_fixed_size 0
		.amdhsa_kernarg_size 736
		.amdhsa_user_sgpr_count 6
		.amdhsa_user_sgpr_private_segment_buffer 1
		.amdhsa_user_sgpr_dispatch_ptr 0
		.amdhsa_user_sgpr_queue_ptr 0
		.amdhsa_user_sgpr_kernarg_segment_ptr 1
		.amdhsa_user_sgpr_dispatch_id 0
		.amdhsa_user_sgpr_flat_scratch_init 0
		.amdhsa_user_sgpr_private_segment_size 0
		.amdhsa_wavefront_size32 1
		.amdhsa_uses_dynamic_stack 0
		.amdhsa_system_sgpr_private_segment_wavefront_offset 0
		.amdhsa_system_sgpr_workgroup_id_x 1
		.amdhsa_system_sgpr_workgroup_id_y 1
		.amdhsa_system_sgpr_workgroup_id_z 1
		.amdhsa_system_sgpr_workgroup_info 0
		.amdhsa_system_vgpr_workitem_id 0
		.amdhsa_next_free_vgpr 10
		.amdhsa_next_free_sgpr 22
		.amdhsa_reserve_vcc 1
		.amdhsa_reserve_flat_scratch 0
		.amdhsa_float_round_mode_32 0
		.amdhsa_float_round_mode_16_64 0
		.amdhsa_float_denorm_mode_32 3
		.amdhsa_float_denorm_mode_16_64 3
		.amdhsa_dx10_clamp 1
		.amdhsa_ieee_mode 1
		.amdhsa_fp16_overflow 0
		.amdhsa_workgroup_processor_mode 1
		.amdhsa_memory_ordered 1
		.amdhsa_forward_progress 1
		.amdhsa_shared_vgpr_count 0
		.amdhsa_exception_fp_ieee_invalid_op 0
		.amdhsa_exception_fp_denorm_src 0
		.amdhsa_exception_fp_ieee_div_zero 0
		.amdhsa_exception_fp_ieee_overflow 0
		.amdhsa_exception_fp_ieee_underflow 0
		.amdhsa_exception_fp_ieee_inexact 0
		.amdhsa_exception_int_div_zero 0
	.end_amdhsa_kernel
	.section	.text._ZN2at6native6mbtopk23computeBlockDigitCountsIN3c104HalfEmjLi1EEEvNS_4cuda6detail10TensorInfoIKT_T0_EEjPjjSA_iijT1_PSD_Ps,"axG",@progbits,_ZN2at6native6mbtopk23computeBlockDigitCountsIN3c104HalfEmjLi1EEEvNS_4cuda6detail10TensorInfoIKT_T0_EEjPjjSA_iijT1_PSD_Ps,comdat
.Lfunc_end202:
	.size	_ZN2at6native6mbtopk23computeBlockDigitCountsIN3c104HalfEmjLi1EEEvNS_4cuda6detail10TensorInfoIKT_T0_EEjPjjSA_iijT1_PSD_Ps, .Lfunc_end202-_ZN2at6native6mbtopk23computeBlockDigitCountsIN3c104HalfEmjLi1EEEvNS_4cuda6detail10TensorInfoIKT_T0_EEjPjjSA_iijT1_PSD_Ps
                                        ; -- End function
	.set _ZN2at6native6mbtopk23computeBlockDigitCountsIN3c104HalfEmjLi1EEEvNS_4cuda6detail10TensorInfoIKT_T0_EEjPjjSA_iijT1_PSD_Ps.num_vgpr, 10
	.set _ZN2at6native6mbtopk23computeBlockDigitCountsIN3c104HalfEmjLi1EEEvNS_4cuda6detail10TensorInfoIKT_T0_EEjPjjSA_iijT1_PSD_Ps.num_agpr, 0
	.set _ZN2at6native6mbtopk23computeBlockDigitCountsIN3c104HalfEmjLi1EEEvNS_4cuda6detail10TensorInfoIKT_T0_EEjPjjSA_iijT1_PSD_Ps.numbered_sgpr, 22
	.set _ZN2at6native6mbtopk23computeBlockDigitCountsIN3c104HalfEmjLi1EEEvNS_4cuda6detail10TensorInfoIKT_T0_EEjPjjSA_iijT1_PSD_Ps.num_named_barrier, 0
	.set _ZN2at6native6mbtopk23computeBlockDigitCountsIN3c104HalfEmjLi1EEEvNS_4cuda6detail10TensorInfoIKT_T0_EEjPjjSA_iijT1_PSD_Ps.private_seg_size, 0
	.set _ZN2at6native6mbtopk23computeBlockDigitCountsIN3c104HalfEmjLi1EEEvNS_4cuda6detail10TensorInfoIKT_T0_EEjPjjSA_iijT1_PSD_Ps.uses_vcc, 1
	.set _ZN2at6native6mbtopk23computeBlockDigitCountsIN3c104HalfEmjLi1EEEvNS_4cuda6detail10TensorInfoIKT_T0_EEjPjjSA_iijT1_PSD_Ps.uses_flat_scratch, 0
	.set _ZN2at6native6mbtopk23computeBlockDigitCountsIN3c104HalfEmjLi1EEEvNS_4cuda6detail10TensorInfoIKT_T0_EEjPjjSA_iijT1_PSD_Ps.has_dyn_sized_stack, 0
	.set _ZN2at6native6mbtopk23computeBlockDigitCountsIN3c104HalfEmjLi1EEEvNS_4cuda6detail10TensorInfoIKT_T0_EEjPjjSA_iijT1_PSD_Ps.has_recursion, 0
	.set _ZN2at6native6mbtopk23computeBlockDigitCountsIN3c104HalfEmjLi1EEEvNS_4cuda6detail10TensorInfoIKT_T0_EEjPjjSA_iijT1_PSD_Ps.has_indirect_call, 0
	.section	.AMDGPU.csdata,"",@progbits
; Kernel info:
; codeLenInByte = 1032
; TotalNumSgprs: 24
; NumVgprs: 10
; ScratchSize: 0
; MemoryBound: 0
; FloatMode: 240
; IeeeMode: 1
; LDSByteSize: 1024 bytes/workgroup (compile time only)
; SGPRBlocks: 0
; VGPRBlocks: 1
; NumSGPRsForWavesPerEU: 24
; NumVGPRsForWavesPerEU: 10
; Occupancy: 16
; WaveLimiterHint : 1
; COMPUTE_PGM_RSRC2:SCRATCH_EN: 0
; COMPUTE_PGM_RSRC2:USER_SGPR: 6
; COMPUTE_PGM_RSRC2:TRAP_HANDLER: 0
; COMPUTE_PGM_RSRC2:TGID_X_EN: 1
; COMPUTE_PGM_RSRC2:TGID_Y_EN: 1
; COMPUTE_PGM_RSRC2:TGID_Z_EN: 1
; COMPUTE_PGM_RSRC2:TIDIG_COMP_CNT: 0
	.section	.text._ZN2at6native6mbtopk10gatherTopKIN3c104HalfEmLi1EEEvNS_4cuda6detail10TensorInfoIKT_T0_EESA_SA_bjSA_NS7_IS8_SA_EESA_NS7_IlSA_EESA_jjPS8_PjSF_j,"axG",@progbits,_ZN2at6native6mbtopk10gatherTopKIN3c104HalfEmLi1EEEvNS_4cuda6detail10TensorInfoIKT_T0_EESA_SA_bjSA_NS7_IS8_SA_EESA_NS7_IlSA_EESA_jjPS8_PjSF_j,comdat
	.protected	_ZN2at6native6mbtopk10gatherTopKIN3c104HalfEmLi1EEEvNS_4cuda6detail10TensorInfoIKT_T0_EESA_SA_bjSA_NS7_IS8_SA_EESA_NS7_IlSA_EESA_jjPS8_PjSF_j ; -- Begin function _ZN2at6native6mbtopk10gatherTopKIN3c104HalfEmLi1EEEvNS_4cuda6detail10TensorInfoIKT_T0_EESA_SA_bjSA_NS7_IS8_SA_EESA_NS7_IlSA_EESA_jjPS8_PjSF_j
	.globl	_ZN2at6native6mbtopk10gatherTopKIN3c104HalfEmLi1EEEvNS_4cuda6detail10TensorInfoIKT_T0_EESA_SA_bjSA_NS7_IS8_SA_EESA_NS7_IlSA_EESA_jjPS8_PjSF_j
	.p2align	8
	.type	_ZN2at6native6mbtopk10gatherTopKIN3c104HalfEmLi1EEEvNS_4cuda6detail10TensorInfoIKT_T0_EESA_SA_bjSA_NS7_IS8_SA_EESA_NS7_IlSA_EESA_jjPS8_PjSF_j,@function
_ZN2at6native6mbtopk10gatherTopKIN3c104HalfEmLi1EEEvNS_4cuda6detail10TensorInfoIKT_T0_EESA_SA_bjSA_NS7_IS8_SA_EESA_NS7_IlSA_EESA_jjPS8_PjSF_j: ; @_ZN2at6native6mbtopk10gatherTopKIN3c104HalfEmLi1EEEvNS_4cuda6detail10TensorInfoIKT_T0_EESA_SA_bjSA_NS7_IS8_SA_EESA_NS7_IlSA_EESA_jjPS8_PjSF_j
; %bb.0:
	s_clause 0x1
	s_load_dwordx2 s[0:1], s[4:5], 0x538
	s_load_dword s2, s[4:5], 0x530
	s_waitcnt lgkmcnt(0)
	s_mul_i32 s1, s1, s8
	s_add_i32 s1, s1, s7
	s_mul_i32 s0, s1, s0
	s_add_i32 s0, s0, s6
	s_cmp_ge_u32 s0, s2
	s_cbranch_scc1 .LBB203_42
; %bb.1:
	s_clause 0x1
	s_load_dwordx2 s[6:7], s[4:5], 0x510
	s_load_dwordx4 s[8:11], s[4:5], 0x1a0
	s_mov_b32 s21, 0
	s_waitcnt lgkmcnt(0)
	v_cvt_f32_u32_e32 v1, s7
	s_sub_i32 s2, 0, s7
	s_lshl_b32 s33, s6, 8
	v_rcp_iflag_f32_e32 v1, v1
	v_mul_f32_e32 v1, 0x4f7ffffe, v1
	v_cvt_u32_f32_e32 v1, v1
	v_readfirstlane_b32 s1, v1
	s_mul_i32 s2, s2, s1
	s_mul_hi_u32 s2, s1, s2
	s_add_i32 s1, s1, s2
	s_mul_hi_u32 s1, s0, s1
	s_mul_i32 s2, s1, s7
	s_add_i32 s3, s1, 1
	s_sub_i32 s2, s0, s2
	s_sub_i32 s12, s2, s7
	s_cmp_ge_u32 s2, s7
	s_cselect_b32 s1, s3, s1
	s_cselect_b32 s2, s12, s2
	s_add_i32 s3, s1, 1
	s_cmp_ge_u32 s2, s7
	s_cselect_b32 s20, s3, s1
	s_mul_i32 s16, s20, s7
	s_sub_i32 s36, s0, s16
	s_add_i32 s0, s36, 1
	s_cmp_lt_u32 s0, s7
	s_cbranch_scc1 .LBB203_3
; %bb.2:
	s_mul_i32 s0, s36, s33
	s_sub_u32 s0, s8, s0
	s_subb_u32 s1, s9, 0
	s_add_u32 s0, s0, 0xff
	s_addc_u32 s1, s1, 0
	s_ashr_i32 s2, s1, 31
	s_lshr_b32 s2, s2, 24
	s_add_u32 s0, s0, s2
	s_addc_u32 s1, s1, 0
	s_lshr_b64 s[0:1], s[0:1], 8
	s_mov_b32 s6, s0
.LBB203_3:
	s_load_dwordx4 s[0:3], s[4:5], 0x518
	s_lshl_b64 s[12:13], s[20:21], 1
	v_mov_b32_e32 v1, 0
	s_waitcnt lgkmcnt(0)
	s_add_u32 s0, s0, s12
	s_addc_u32 s1, s1, s13
	global_load_ushort v1, v1, s[0:1]
	s_clause 0x3
	s_load_dwordx2 s[24:25], s[4:5], 0x0
	s_load_dwordx2 s[28:29], s[4:5], 0xd0
	;; [unrolled: 1-line block ×4, first 2 shown]
	v_cmp_ne_u32_e64 s0, 0, v0
	v_cmp_eq_u32_e64 s1, 0, v0
	s_waitcnt vmcnt(0)
	v_readfirstlane_b32 s37, v1
	s_and_saveexec_b32 s21, s1
	s_cbranch_execz .LBB203_19
; %bb.4:
	s_load_dwordx2 s[18:19], s[4:5], 0x528
	s_mov_b32 s17, 0
	s_mov_b32 s38, 0
	s_lshl_b64 s[30:31], s[16:17], 2
	s_mov_b32 s16, 0
	s_add_u32 s12, s2, s30
	s_addc_u32 s13, s3, s31
	s_waitcnt lgkmcnt(0)
	s_add_u32 s14, s18, s30
	s_addc_u32 s15, s19, s31
	s_cmp_lt_u32 s7, 4
	s_cbranch_scc1 .LBB203_16
; %bb.5:
	s_mov_b32 s39, 0
.LBB203_6:                              ; =>This Inner Loop Header: Depth=1
	s_add_u32 s12, s2, s30
	s_addc_u32 s13, s3, s31
	s_add_u32 s34, s18, s30
	s_load_dwordx4 s[12:15], s[12:13], 0x0
	s_addc_u32 s35, s19, s31
	s_cmp_ge_u32 s39, s36
	s_cbranch_scc0 .LBB203_13
; %bb.7:                                ;   in Loop: Header=BB203_6 Depth=1
	s_add_i32 s40, s39, 1
	s_cmp_ge_u32 s40, s36
	s_cbranch_scc0 .LBB203_14
.LBB203_8:                              ;   in Loop: Header=BB203_6 Depth=1
	s_add_i32 s40, s40, 1
	s_cmp_ge_u32 s40, s36
	s_cbranch_scc0 .LBB203_15
.LBB203_9:                              ;   in Loop: Header=BB203_6 Depth=1
	s_add_i32 s40, s40, 1
	s_cmp_ge_u32 s40, s36
	s_cbranch_scc1 .LBB203_11
.LBB203_10:                             ;   in Loop: Header=BB203_6 Depth=1
	s_load_dword s34, s[34:35], 0xc
	s_waitcnt lgkmcnt(0)
	s_add_i32 s17, s17, s15
	s_add_i32 s16, s34, s16
.LBB203_11:                             ;   in Loop: Header=BB203_6 Depth=1
	s_waitcnt lgkmcnt(0)
	s_add_i32 s12, s12, s38
	s_add_i32 s12, s12, s13
	;; [unrolled: 1-line block ×4, first 2 shown]
	s_add_u32 s2, s2, 16
	s_addc_u32 s3, s3, 0
	s_add_u32 s18, s18, 16
	s_addc_u32 s19, s19, 0
	s_add_i32 s35, s40, 4
	s_add_u32 s14, s18, s30
	s_addc_u32 s15, s19, s31
	s_add_u32 s12, s2, s30
	s_addc_u32 s13, s3, s31
	s_add_i32 s34, s40, 1
	s_cmp_ge_u32 s35, s7
	s_cbranch_scc1 .LBB203_17
; %bb.12:                               ;   in Loop: Header=BB203_6 Depth=1
	s_mov_b32 s39, s34
	s_branch .LBB203_6
.LBB203_13:                             ;   in Loop: Header=BB203_6 Depth=1
	s_load_dword s40, s[34:35], 0x0
	s_waitcnt lgkmcnt(0)
	s_add_i32 s17, s12, s17
	s_add_i32 s16, s40, s16
	;; [unrolled: 1-line block ×3, first 2 shown]
	s_cmp_ge_u32 s40, s36
	s_cbranch_scc1 .LBB203_8
.LBB203_14:                             ;   in Loop: Header=BB203_6 Depth=1
	s_load_dword s41, s[34:35], 0x4
	s_waitcnt lgkmcnt(0)
	s_add_i32 s17, s17, s13
	s_add_i32 s16, s41, s16
	;; [unrolled: 1-line block ×3, first 2 shown]
	s_cmp_ge_u32 s40, s36
	s_cbranch_scc1 .LBB203_9
.LBB203_15:                             ;   in Loop: Header=BB203_6 Depth=1
	s_load_dword s41, s[34:35], 0x8
	s_waitcnt lgkmcnt(0)
	s_add_i32 s17, s17, s14
	s_add_i32 s16, s41, s16
	;; [unrolled: 1-line block ×3, first 2 shown]
	s_cmp_ge_u32 s40, s36
	s_cbranch_scc0 .LBB203_10
	s_branch .LBB203_11
.LBB203_16:
	s_mov_b32 s2, 0
	s_cmp_ge_u32 s2, s7
	s_cbranch_scc0 .LBB203_40
	s_branch .LBB203_18
.LBB203_17:
	s_add_i32 s2, s39, 4
	s_cmp_ge_u32 s2, s7
	s_cbranch_scc0 .LBB203_40
.LBB203_18:
	v_mov_b32_e32 v1, s16
	v_mov_b32_e32 v2, s38
	;; [unrolled: 1-line block ×4, first 2 shown]
	ds_write_b96 v4, v[1:3] offset:1056
.LBB203_19:
	s_or_b32 exec_lo, exec_lo, s21
	s_clause 0x1
	s_load_dwordx4 s[12:15], s[4:5], 0x1b8
	s_load_dwordx4 s[16:19], s[4:5], 0x360
	s_cmp_eq_u32 s6, 0
	s_waitcnt lgkmcnt(0)
	s_barrier
	buffer_gl0_inv
	s_cbranch_scc1 .LBB203_42
; %bb.20:
	s_mul_i32 s2, s29, s20
	s_mul_hi_u32 s3, s28, s20
	s_mul_i32 s7, s27, s20
	s_mul_hi_u32 s21, s26, s20
	v_mov_b32_e32 v5, 0
	s_add_i32 s3, s3, s2
	s_mul_i32 s2, s28, s20
	s_add_i32 s27, s21, s7
	s_mul_i32 s7, s23, s20
	s_mul_hi_u32 s21, s22, s20
	s_lshl_b64 s[2:3], s[2:3], 1
	s_mul_i32 s26, s26, s20
	s_add_i32 s23, s21, s7
	s_add_u32 s7, s24, s2
	ds_read_b96 v[1:3], v5 offset:1056
	s_addc_u32 s21, s25, s3
	s_lshl_b64 s[2:3], s[26:27], 1
	s_mul_i32 s22, s22, s20
	s_add_u32 s14, s14, s2
	s_addc_u32 s15, s15, s3
	s_lshl_b64 s[2:3], s[22:23], 3
	v_cmp_o_f16_e64 s20, s37, s37
	s_add_u32 s18, s18, s2
	s_sext_i32_i16 s2, s37
	s_addc_u32 s19, s19, s3
	s_and_b32 s3, 0xffff, s37
	s_cmp_gt_i32 s2, -1
	s_mov_b32 s2, 0x8000
	v_add_nc_u32_e32 v10, -1, v0
	s_cselect_b32 s2, s2, 0xffff
	v_lshrrev_b32_e32 v4, 3, v0
	s_xor_b32 s2, s2, s3
	s_and_b32 s3, s20, exec_lo
	s_clause 0x1
	s_load_dword s3, s[4:5], 0x1b0
	s_load_dwordx2 s[4:5], s[4:5], 0x508
	v_lshrrev_b32_e32 v6, 3, v10
	s_waitcnt lgkmcnt(0)
	v_add_nc_u32_e32 v1, v1, v2
	v_and_b32_e32 v4, 28, v4
	v_and_b32_e32 v2, 0xfc, v0
	v_mbcnt_lo_u32_b32 v9, -1, 0
	v_and_b32_e32 v11, 0x1ffffffc, v6
	v_mad_u64_u32 v[6:7], null, s36, s33, v[0:1]
	v_lshl_add_u32 v8, v0, 2, v4
	v_lshlrev_b32_e32 v4, 5, v0
	s_cselect_b32 s20, s2, 0xffff
	v_cmp_gt_u32_e64 s2, 32, v0
	v_lshl_add_u32 v0, v10, 2, v11
	v_and_b32_e32 v11, 15, v9
	v_add_nc_u32_e32 v10, v2, v4
	v_bfe_i32 v12, v9, 4, 1
	v_add_nc_u32_e32 v13, -1, v9
	v_mov_b32_e32 v14, 0x8000
	v_mov_b32_e32 v4, v6
	s_bitcmp1_b32 s3, 0
                                        ; implicit-def: $vgpr15
	s_cselect_b32 s3, -1, 0
	s_branch .LBB203_23
.LBB203_21:                             ;   in Loop: Header=BB203_23 Depth=1
	s_or_b32 exec_lo, exec_lo, s22
	v_add_nc_u32_e32 v1, v2, v1
.LBB203_22:                             ;   in Loop: Header=BB203_23 Depth=1
	v_add_nc_u32_e32 v3, v16, v3
	v_add_nc_u32_e32 v4, 0x100, v4
	s_add_i32 s6, s6, -1
	s_cmp_lg_u32 s6, 0
	s_cbranch_scc0 .LBB203_42
.LBB203_23:                             ; =>This Inner Loop Header: Depth=1
	v_mov_b32_e32 v2, v5
	v_mov_b32_e32 v6, v5
	s_mov_b32 s22, exec_lo
	v_cmpx_gt_u64_e64 s[8:9], v[4:5]
	s_cbranch_execz .LBB203_25
; %bb.24:                               ;   in Loop: Header=BB203_23 Depth=1
	v_mad_u64_u32 v[6:7], null, s12, v4, 0
	v_mov_b32_e32 v2, v7
	v_mad_u64_u32 v[15:16], null, s13, v4, v[2:3]
	v_mov_b32_e32 v7, v15
	v_lshlrev_b64 v[6:7], 1, v[6:7]
	v_add_co_u32 v6, vcc_lo, s7, v6
	v_add_co_ci_u32_e64 v7, null, s21, v7, vcc_lo
	global_load_ushort v15, v[6:7], off
	s_waitcnt vmcnt(0)
	v_cmp_lt_i16_e32 vcc_lo, -1, v15
	v_cndmask_b32_e32 v2, 0xffff, v14, vcc_lo
	v_cmp_o_f16_e32 vcc_lo, v15, v15
	v_xor_b32_sdwa v2, v2, v15 dst_sel:DWORD dst_unused:UNUSED_PAD src0_sel:DWORD src1_sel:WORD_0
	v_cndmask_b32_e32 v6, 0xffff, v2, vcc_lo
	v_cmp_lt_u32_e32 vcc_lo, s20, v6
	v_cndmask_b32_e64 v2, 0, 1, vcc_lo
	v_cmp_gt_u32_e32 vcc_lo, s20, v6
	v_cndmask_b32_e64 v7, 0, 1, vcc_lo
	v_cmp_eq_u32_e32 vcc_lo, s20, v6
	v_cndmask_b32_e64 v2, v7, v2, s3
	v_cndmask_b32_e64 v6, 0, 1, vcc_lo
	v_and_b32_e32 v2, 1, v2
.LBB203_25:                             ;   in Loop: Header=BB203_23 Depth=1
	s_or_b32 exec_lo, exec_lo, s22
	ds_write_b32 v8, v2
	s_waitcnt lgkmcnt(0)
	s_barrier
	buffer_gl0_inv
	s_and_saveexec_b32 s22, s2
	s_cbranch_execz .LBB203_27
; %bb.26:                               ;   in Loop: Header=BB203_23 Depth=1
	ds_read2_b32 v[16:17], v10 offset1:1
	ds_read2_b32 v[18:19], v10 offset0:2 offset1:3
	ds_read2_b32 v[20:21], v10 offset0:4 offset1:5
	;; [unrolled: 1-line block ×3, first 2 shown]
	v_cmp_ne_u32_e32 vcc_lo, 0, v11
	; wave barrier
	s_waitcnt lgkmcnt(3)
	v_add_nc_u32_e32 v7, v17, v16
	s_waitcnt lgkmcnt(2)
	v_add3_u32 v7, v7, v18, v19
	s_waitcnt lgkmcnt(1)
	v_add3_u32 v7, v7, v20, v21
	;; [unrolled: 2-line block ×3, first 2 shown]
	v_mov_b32_dpp v17, v7 row_shr:1 row_mask:0xf bank_mask:0xf
	v_cndmask_b32_e32 v17, 0, v17, vcc_lo
	v_cmp_lt_u32_e32 vcc_lo, 1, v11
	v_add_nc_u32_e32 v7, v17, v7
	v_mov_b32_dpp v17, v7 row_shr:2 row_mask:0xf bank_mask:0xf
	v_cndmask_b32_e32 v17, 0, v17, vcc_lo
	v_cmp_lt_u32_e32 vcc_lo, 3, v11
	v_add_nc_u32_e32 v7, v7, v17
	;; [unrolled: 4-line block ×3, first 2 shown]
	v_mov_b32_dpp v17, v7 row_shr:8 row_mask:0xf bank_mask:0xf
	v_cndmask_b32_e32 v17, 0, v17, vcc_lo
	v_cmp_gt_i32_e32 vcc_lo, 0, v13
	v_add_nc_u32_e32 v7, v7, v17
	v_cndmask_b32_e32 v18, v13, v9, vcc_lo
	ds_swizzle_b32 v17, v7 offset:swizzle(BROADCAST,32,15)
	v_lshlrev_b32_e32 v18, 2, v18
	s_waitcnt lgkmcnt(0)
	v_and_b32_e32 v17, v12, v17
	v_add_nc_u32_e32 v7, v7, v17
	ds_bpermute_b32 v7, v18, v7
	s_waitcnt lgkmcnt(0)
	v_add_nc_u32_e32 v7, v7, v16
	v_cndmask_b32_e64 v7, v7, v2, s1
	ds_write_b32 v10, v7
	; wave barrier
	ds_read2_b32 v[16:17], v10 offset0:1 offset1:2
	ds_read2_b32 v[18:19], v10 offset0:3 offset1:4
	;; [unrolled: 1-line block ×3, first 2 shown]
	ds_read_b32 v22, v10 offset:28
	s_waitcnt lgkmcnt(3)
	v_add_nc_u32_e32 v7, v16, v7
	v_add_nc_u32_e32 v16, v17, v7
	s_waitcnt lgkmcnt(2)
	v_add_nc_u32_e32 v17, v18, v16
	v_add_nc_u32_e32 v18, v19, v17
	;; [unrolled: 3-line block ×3, first 2 shown]
	s_waitcnt lgkmcnt(0)
	v_add_nc_u32_e32 v21, v22, v20
	ds_write2_b32 v10, v7, v16 offset0:1 offset1:2
	ds_write2_b32 v10, v17, v18 offset0:3 offset1:4
	;; [unrolled: 1-line block ×3, first 2 shown]
	ds_write_b32 v10, v21 offset:28
.LBB203_27:                             ;   in Loop: Header=BB203_23 Depth=1
	s_or_b32 exec_lo, exec_lo, s22
	v_mov_b32_e32 v7, 0
	s_waitcnt lgkmcnt(0)
	s_barrier
	buffer_gl0_inv
	s_and_saveexec_b32 s22, s0
; %bb.28:                               ;   in Loop: Header=BB203_23 Depth=1
	ds_read_b32 v7, v0
; %bb.29:                               ;   in Loop: Header=BB203_23 Depth=1
	s_or_b32 exec_lo, exec_lo, s22
	ds_read_b32 v16, v5 offset:1048
	s_mov_b32 s22, exec_lo
	s_waitcnt lgkmcnt(0)
	s_barrier
	buffer_gl0_inv
	v_cmpx_ne_u32_e32 0, v2
	s_cbranch_execz .LBB203_31
; %bb.30:                               ;   in Loop: Header=BB203_23 Depth=1
	v_add_nc_u32_e32 v22, v7, v3
	v_mad_u64_u32 v[17:18], null, s16, v22, 0
	v_mad_u64_u32 v[19:20], null, s4, v22, 0
	v_mov_b32_e32 v2, v18
	v_mov_b32_e32 v7, v20
	v_mad_u64_u32 v[20:21], null, s17, v22, v[2:3]
	v_mad_u64_u32 v[21:22], null, s5, v22, v[7:8]
	v_mov_b32_e32 v18, v20
	v_mov_b32_e32 v20, v21
	v_lshlrev_b64 v[17:18], 1, v[17:18]
	v_lshlrev_b64 v[19:20], 3, v[19:20]
	v_add_co_u32 v17, vcc_lo, s14, v17
	v_add_co_ci_u32_e64 v18, null, s15, v18, vcc_lo
	v_add_co_u32 v19, vcc_lo, s18, v19
	v_add_co_ci_u32_e64 v20, null, s19, v20, vcc_lo
	global_store_short v[17:18], v15, off
	global_store_dwordx2 v[19:20], v[4:5], off
.LBB203_31:                             ;   in Loop: Header=BB203_23 Depth=1
	s_or_b32 exec_lo, exec_lo, s22
	v_mov_b32_e32 v2, v5
	v_cmp_le_u64_e32 vcc_lo, s[10:11], v[1:2]
	s_cbranch_vccnz .LBB203_22
; %bb.32:                               ;   in Loop: Header=BB203_23 Depth=1
	ds_write_b32 v8, v6
	s_waitcnt lgkmcnt(0)
	s_waitcnt_vscnt null, 0x0
	s_barrier
	buffer_gl0_inv
	s_and_saveexec_b32 s22, s2
	s_cbranch_execz .LBB203_34
; %bb.33:                               ;   in Loop: Header=BB203_23 Depth=1
	ds_read2_b32 v[17:18], v10 offset1:1
	ds_read2_b32 v[19:20], v10 offset0:2 offset1:3
	ds_read2_b32 v[21:22], v10 offset0:4 offset1:5
	;; [unrolled: 1-line block ×3, first 2 shown]
	v_cmp_ne_u32_e32 vcc_lo, 0, v11
	; wave barrier
	s_waitcnt lgkmcnt(3)
	v_add_nc_u32_e32 v2, v18, v17
	s_waitcnt lgkmcnt(2)
	v_add3_u32 v2, v2, v19, v20
	s_waitcnt lgkmcnt(1)
	v_add3_u32 v2, v2, v21, v22
	;; [unrolled: 2-line block ×3, first 2 shown]
	v_mov_b32_dpp v7, v2 row_shr:1 row_mask:0xf bank_mask:0xf
	v_cndmask_b32_e32 v7, 0, v7, vcc_lo
	v_cmp_lt_u32_e32 vcc_lo, 1, v11
	v_add_nc_u32_e32 v2, v7, v2
	v_mov_b32_dpp v7, v2 row_shr:2 row_mask:0xf bank_mask:0xf
	v_cndmask_b32_e32 v7, 0, v7, vcc_lo
	v_cmp_lt_u32_e32 vcc_lo, 3, v11
	v_add_nc_u32_e32 v2, v2, v7
	;; [unrolled: 4-line block ×3, first 2 shown]
	v_mov_b32_dpp v7, v2 row_shr:8 row_mask:0xf bank_mask:0xf
	v_cndmask_b32_e32 v7, 0, v7, vcc_lo
	v_cmp_gt_i32_e32 vcc_lo, 0, v13
	v_add_nc_u32_e32 v2, v2, v7
	v_cndmask_b32_e32 v18, v13, v9, vcc_lo
	ds_swizzle_b32 v7, v2 offset:swizzle(BROADCAST,32,15)
	v_lshlrev_b32_e32 v18, 2, v18
	s_waitcnt lgkmcnt(0)
	v_and_b32_e32 v7, v12, v7
	v_add_nc_u32_e32 v2, v2, v7
	ds_bpermute_b32 v2, v18, v2
	s_waitcnt lgkmcnt(0)
	v_add_nc_u32_e32 v2, v2, v17
	v_cndmask_b32_e64 v2, v2, v6, s1
	ds_write_b32 v10, v2
	; wave barrier
	ds_read2_b32 v[17:18], v10 offset0:1 offset1:2
	ds_read2_b32 v[19:20], v10 offset0:3 offset1:4
	;; [unrolled: 1-line block ×3, first 2 shown]
	ds_read_b32 v7, v10 offset:28
	s_waitcnt lgkmcnt(3)
	v_add_nc_u32_e32 v2, v17, v2
	v_add_nc_u32_e32 v17, v18, v2
	s_waitcnt lgkmcnt(2)
	v_add_nc_u32_e32 v18, v19, v17
	v_add_nc_u32_e32 v19, v20, v18
	;; [unrolled: 3-line block ×3, first 2 shown]
	s_waitcnt lgkmcnt(0)
	v_add_nc_u32_e32 v7, v7, v21
	ds_write2_b32 v10, v2, v17 offset0:1 offset1:2
	ds_write2_b32 v10, v18, v19 offset0:3 offset1:4
	;; [unrolled: 1-line block ×3, first 2 shown]
	ds_write_b32 v10, v7 offset:28
.LBB203_34:                             ;   in Loop: Header=BB203_23 Depth=1
	s_or_b32 exec_lo, exec_lo, s22
	v_mov_b32_e32 v7, 0
	s_waitcnt lgkmcnt(0)
	s_barrier
	buffer_gl0_inv
	s_and_saveexec_b32 s22, s0
; %bb.35:                               ;   in Loop: Header=BB203_23 Depth=1
	ds_read_b32 v7, v0
; %bb.36:                               ;   in Loop: Header=BB203_23 Depth=1
	s_or_b32 exec_lo, exec_lo, s22
	ds_read_b32 v2, v5 offset:1048
	s_mov_b32 s22, exec_lo
	s_waitcnt lgkmcnt(0)
	s_barrier
	buffer_gl0_inv
	v_cmpx_ne_u32_e32 0, v6
	s_cbranch_execz .LBB203_21
; %bb.37:                               ;   in Loop: Header=BB203_23 Depth=1
	v_add_nc_u32_e32 v6, v7, v1
	v_mov_b32_e32 v7, v5
	v_cmp_gt_u64_e32 vcc_lo, s[10:11], v[6:7]
	s_and_b32 exec_lo, exec_lo, vcc_lo
	s_cbranch_execz .LBB203_21
; %bb.38:                               ;   in Loop: Header=BB203_23 Depth=1
	v_mad_u64_u32 v[17:18], null, s16, v6, 0
	v_mad_u64_u32 v[19:20], null, s4, v6, 0
	v_mov_b32_e32 v7, v18
	v_mov_b32_e32 v18, v20
	v_mad_u64_u32 v[20:21], null, s17, v6, v[7:8]
	v_mad_u64_u32 v[6:7], null, s5, v6, v[18:19]
	v_mov_b32_e32 v18, v20
	v_mov_b32_e32 v20, v6
	v_lshlrev_b64 v[6:7], 1, v[17:18]
	v_lshlrev_b64 v[17:18], 3, v[19:20]
	v_add_co_u32 v6, vcc_lo, s14, v6
	v_add_co_ci_u32_e64 v7, null, s15, v7, vcc_lo
	v_add_co_u32 v17, vcc_lo, s18, v17
	v_add_co_ci_u32_e64 v18, null, s19, v18, vcc_lo
	global_store_short v[6:7], v15, off
	global_store_dwordx2 v[17:18], v[4:5], off
	s_branch .LBB203_21
	.p2align	6
.LBB203_39:                             ;   in Loop: Header=BB203_40 Depth=1
	s_add_u32 s12, s12, 4
	s_addc_u32 s13, s13, 0
	s_waitcnt lgkmcnt(0)
	s_add_i32 s38, s3, s38
	s_add_u32 s14, s14, 4
	s_addc_u32 s15, s15, 0
	s_add_i32 s2, s2, 1
	s_cmp_lt_u32 s2, s7
	s_cbranch_scc0 .LBB203_18
.LBB203_40:                             ; =>This Inner Loop Header: Depth=1
	s_load_dword s3, s[12:13], 0x0
	s_cmp_ge_u32 s2, s36
	s_cbranch_scc1 .LBB203_39
; %bb.41:                               ;   in Loop: Header=BB203_40 Depth=1
	s_load_dword s18, s[14:15], 0x0
	s_waitcnt lgkmcnt(0)
	s_add_i32 s17, s3, s17
	s_add_i32 s16, s18, s16
	s_branch .LBB203_39
.LBB203_42:
	s_endpgm
	.section	.rodata,"a",@progbits
	.p2align	6, 0x0
	.amdhsa_kernel _ZN2at6native6mbtopk10gatherTopKIN3c104HalfEmLi1EEEvNS_4cuda6detail10TensorInfoIKT_T0_EESA_SA_bjSA_NS7_IS8_SA_EESA_NS7_IlSA_EESA_jjPS8_PjSF_j
		.amdhsa_group_segment_fixed_size 1068
		.amdhsa_private_segment_fixed_size 0
		.amdhsa_kernarg_size 1592
		.amdhsa_user_sgpr_count 6
		.amdhsa_user_sgpr_private_segment_buffer 1
		.amdhsa_user_sgpr_dispatch_ptr 0
		.amdhsa_user_sgpr_queue_ptr 0
		.amdhsa_user_sgpr_kernarg_segment_ptr 1
		.amdhsa_user_sgpr_dispatch_id 0
		.amdhsa_user_sgpr_flat_scratch_init 0
		.amdhsa_user_sgpr_private_segment_size 0
		.amdhsa_wavefront_size32 1
		.amdhsa_uses_dynamic_stack 0
		.amdhsa_system_sgpr_private_segment_wavefront_offset 0
		.amdhsa_system_sgpr_workgroup_id_x 1
		.amdhsa_system_sgpr_workgroup_id_y 1
		.amdhsa_system_sgpr_workgroup_id_z 1
		.amdhsa_system_sgpr_workgroup_info 0
		.amdhsa_system_vgpr_workitem_id 0
		.amdhsa_next_free_vgpr 25
		.amdhsa_next_free_sgpr 42
		.amdhsa_reserve_vcc 1
		.amdhsa_reserve_flat_scratch 0
		.amdhsa_float_round_mode_32 0
		.amdhsa_float_round_mode_16_64 0
		.amdhsa_float_denorm_mode_32 3
		.amdhsa_float_denorm_mode_16_64 3
		.amdhsa_dx10_clamp 1
		.amdhsa_ieee_mode 1
		.amdhsa_fp16_overflow 0
		.amdhsa_workgroup_processor_mode 1
		.amdhsa_memory_ordered 1
		.amdhsa_forward_progress 1
		.amdhsa_shared_vgpr_count 0
		.amdhsa_exception_fp_ieee_invalid_op 0
		.amdhsa_exception_fp_denorm_src 0
		.amdhsa_exception_fp_ieee_div_zero 0
		.amdhsa_exception_fp_ieee_overflow 0
		.amdhsa_exception_fp_ieee_underflow 0
		.amdhsa_exception_fp_ieee_inexact 0
		.amdhsa_exception_int_div_zero 0
	.end_amdhsa_kernel
	.section	.text._ZN2at6native6mbtopk10gatherTopKIN3c104HalfEmLi1EEEvNS_4cuda6detail10TensorInfoIKT_T0_EESA_SA_bjSA_NS7_IS8_SA_EESA_NS7_IlSA_EESA_jjPS8_PjSF_j,"axG",@progbits,_ZN2at6native6mbtopk10gatherTopKIN3c104HalfEmLi1EEEvNS_4cuda6detail10TensorInfoIKT_T0_EESA_SA_bjSA_NS7_IS8_SA_EESA_NS7_IlSA_EESA_jjPS8_PjSF_j,comdat
.Lfunc_end203:
	.size	_ZN2at6native6mbtopk10gatherTopKIN3c104HalfEmLi1EEEvNS_4cuda6detail10TensorInfoIKT_T0_EESA_SA_bjSA_NS7_IS8_SA_EESA_NS7_IlSA_EESA_jjPS8_PjSF_j, .Lfunc_end203-_ZN2at6native6mbtopk10gatherTopKIN3c104HalfEmLi1EEEvNS_4cuda6detail10TensorInfoIKT_T0_EESA_SA_bjSA_NS7_IS8_SA_EESA_NS7_IlSA_EESA_jjPS8_PjSF_j
                                        ; -- End function
	.set _ZN2at6native6mbtopk10gatherTopKIN3c104HalfEmLi1EEEvNS_4cuda6detail10TensorInfoIKT_T0_EESA_SA_bjSA_NS7_IS8_SA_EESA_NS7_IlSA_EESA_jjPS8_PjSF_j.num_vgpr, 25
	.set _ZN2at6native6mbtopk10gatherTopKIN3c104HalfEmLi1EEEvNS_4cuda6detail10TensorInfoIKT_T0_EESA_SA_bjSA_NS7_IS8_SA_EESA_NS7_IlSA_EESA_jjPS8_PjSF_j.num_agpr, 0
	.set _ZN2at6native6mbtopk10gatherTopKIN3c104HalfEmLi1EEEvNS_4cuda6detail10TensorInfoIKT_T0_EESA_SA_bjSA_NS7_IS8_SA_EESA_NS7_IlSA_EESA_jjPS8_PjSF_j.numbered_sgpr, 42
	.set _ZN2at6native6mbtopk10gatherTopKIN3c104HalfEmLi1EEEvNS_4cuda6detail10TensorInfoIKT_T0_EESA_SA_bjSA_NS7_IS8_SA_EESA_NS7_IlSA_EESA_jjPS8_PjSF_j.num_named_barrier, 0
	.set _ZN2at6native6mbtopk10gatherTopKIN3c104HalfEmLi1EEEvNS_4cuda6detail10TensorInfoIKT_T0_EESA_SA_bjSA_NS7_IS8_SA_EESA_NS7_IlSA_EESA_jjPS8_PjSF_j.private_seg_size, 0
	.set _ZN2at6native6mbtopk10gatherTopKIN3c104HalfEmLi1EEEvNS_4cuda6detail10TensorInfoIKT_T0_EESA_SA_bjSA_NS7_IS8_SA_EESA_NS7_IlSA_EESA_jjPS8_PjSF_j.uses_vcc, 1
	.set _ZN2at6native6mbtopk10gatherTopKIN3c104HalfEmLi1EEEvNS_4cuda6detail10TensorInfoIKT_T0_EESA_SA_bjSA_NS7_IS8_SA_EESA_NS7_IlSA_EESA_jjPS8_PjSF_j.uses_flat_scratch, 0
	.set _ZN2at6native6mbtopk10gatherTopKIN3c104HalfEmLi1EEEvNS_4cuda6detail10TensorInfoIKT_T0_EESA_SA_bjSA_NS7_IS8_SA_EESA_NS7_IlSA_EESA_jjPS8_PjSF_j.has_dyn_sized_stack, 0
	.set _ZN2at6native6mbtopk10gatherTopKIN3c104HalfEmLi1EEEvNS_4cuda6detail10TensorInfoIKT_T0_EESA_SA_bjSA_NS7_IS8_SA_EESA_NS7_IlSA_EESA_jjPS8_PjSF_j.has_recursion, 0
	.set _ZN2at6native6mbtopk10gatherTopKIN3c104HalfEmLi1EEEvNS_4cuda6detail10TensorInfoIKT_T0_EESA_SA_bjSA_NS7_IS8_SA_EESA_NS7_IlSA_EESA_jjPS8_PjSF_j.has_indirect_call, 0
	.section	.AMDGPU.csdata,"",@progbits
; Kernel info:
; codeLenInByte = 2512
; TotalNumSgprs: 44
; NumVgprs: 25
; ScratchSize: 0
; MemoryBound: 0
; FloatMode: 240
; IeeeMode: 1
; LDSByteSize: 1068 bytes/workgroup (compile time only)
; SGPRBlocks: 0
; VGPRBlocks: 3
; NumSGPRsForWavesPerEU: 44
; NumVGPRsForWavesPerEU: 25
; Occupancy: 16
; WaveLimiterHint : 1
; COMPUTE_PGM_RSRC2:SCRATCH_EN: 0
; COMPUTE_PGM_RSRC2:USER_SGPR: 6
; COMPUTE_PGM_RSRC2:TRAP_HANDLER: 0
; COMPUTE_PGM_RSRC2:TGID_X_EN: 1
; COMPUTE_PGM_RSRC2:TGID_Y_EN: 1
; COMPUTE_PGM_RSRC2:TGID_Z_EN: 1
; COMPUTE_PGM_RSRC2:TIDIG_COMP_CNT: 0
	.section	.text._ZN2at6native6sbtopk10gatherTopKIN3c104HalfEmLi1ELb0EEEvNS_4cuda6detail10TensorInfoIKT_T0_EESA_SA_bSA_SA_NS7_IS8_SA_EESA_NS7_IlSA_EESA_PS8_,"axG",@progbits,_ZN2at6native6sbtopk10gatherTopKIN3c104HalfEmLi1ELb0EEEvNS_4cuda6detail10TensorInfoIKT_T0_EESA_SA_bSA_SA_NS7_IS8_SA_EESA_NS7_IlSA_EESA_PS8_,comdat
	.protected	_ZN2at6native6sbtopk10gatherTopKIN3c104HalfEmLi1ELb0EEEvNS_4cuda6detail10TensorInfoIKT_T0_EESA_SA_bSA_SA_NS7_IS8_SA_EESA_NS7_IlSA_EESA_PS8_ ; -- Begin function _ZN2at6native6sbtopk10gatherTopKIN3c104HalfEmLi1ELb0EEEvNS_4cuda6detail10TensorInfoIKT_T0_EESA_SA_bSA_SA_NS7_IS8_SA_EESA_NS7_IlSA_EESA_PS8_
	.globl	_ZN2at6native6sbtopk10gatherTopKIN3c104HalfEmLi1ELb0EEEvNS_4cuda6detail10TensorInfoIKT_T0_EESA_SA_bSA_SA_NS7_IS8_SA_EESA_NS7_IlSA_EESA_PS8_
	.p2align	8
	.type	_ZN2at6native6sbtopk10gatherTopKIN3c104HalfEmLi1ELb0EEEvNS_4cuda6detail10TensorInfoIKT_T0_EESA_SA_bSA_SA_NS7_IS8_SA_EESA_NS7_IlSA_EESA_PS8_,@function
_ZN2at6native6sbtopk10gatherTopKIN3c104HalfEmLi1ELb0EEEvNS_4cuda6detail10TensorInfoIKT_T0_EESA_SA_bSA_SA_NS7_IS8_SA_EESA_NS7_IlSA_EESA_PS8_: ; @_ZN2at6native6sbtopk10gatherTopKIN3c104HalfEmLi1ELb0EEEvNS_4cuda6detail10TensorInfoIKT_T0_EESA_SA_bSA_SA_NS7_IS8_SA_EESA_NS7_IlSA_EESA_PS8_
; %bb.0:
	s_clause 0x1
	s_load_dwordx2 s[14:15], s[4:5], 0x520
	s_load_dwordx4 s[36:39], s[4:5], 0x1b8
	s_add_u32 s12, s4, 0x520
	s_addc_u32 s13, s5, 0
	s_mov_b32 s43, 0
	s_waitcnt lgkmcnt(0)
	s_mul_i32 s0, s15, s8
	s_add_i32 s0, s0, s7
	s_mul_i32 s0, s0, s14
	s_add_i32 s42, s0, s6
	v_cmp_le_u64_e64 s0, s[36:37], s[42:43]
	s_and_b32 vcc_lo, exec_lo, s0
	s_cbranch_vccnz .LBB204_488
; %bb.1:
	s_load_dwordx2 s[0:1], s[4:5], 0x370
                                        ; implicit-def: $vgpr51 : SGPR spill to VGPR lane
	v_cmp_eq_u32_e64 s3, 0, v0
	s_waitcnt lgkmcnt(0)
	v_writelane_b32 v51, s0, 0
	v_writelane_b32 v51, s1, 1
	s_clause 0x1
	s_load_dwordx4 s[28:31], s[4:5], 0x1a0
	s_load_dwordx2 s[0:1], s[4:5], 0x1c8
	s_waitcnt lgkmcnt(0)
	v_writelane_b32 v51, s0, 2
	v_writelane_b32 v51, s1, 3
	s_clause 0x1
	s_load_dwordx2 s[0:1], s[4:5], 0xd0
	s_load_dwordx2 s[36:37], s[4:5], 0x0
	s_and_saveexec_b32 s2, s3
	s_cbranch_execz .LBB204_3
; %bb.2:
	v_mov_b32_e32 v1, 0
	v_mov_b32_e32 v3, s28
	;; [unrolled: 1-line block ×4, first 2 shown]
	ds_write_b32 v1, v1 offset:5144
	ds_write_b128 v1, v[1:4] offset:5120
.LBB204_3:
	s_or_b32 exec_lo, exec_lo, s2
	v_mad_u64_u32 v[4:5], null, s38, v0, 0
	s_load_dword s7, s[4:5], 0x1b0
	s_waitcnt lgkmcnt(0)
	s_mul_i32 s1, s1, s42
	s_mul_hi_u32 s2, s0, s42
	v_mbcnt_lo_u32_b32 v31, -1, 0
	s_mul_i32 s0, s0, s42
	s_add_i32 s1, s2, s1
	v_mov_b32_e32 v1, v5
	s_lshl_b64 s[40:41], s[0:1], 1
	v_cmp_gt_u32_e32 vcc_lo, 32, v0
	v_cmp_gt_i32_e64 s1, 4, v31
	s_add_u32 s54, s36, s40
	v_mad_u64_u32 v[1:2], null, s39, v0, v[1:2]
	v_mov_b32_e32 v3, 0
	s_addc_u32 s55, s37, s41
	v_add_nc_u32_e32 v2, 2, v0
	s_barrier
	buffer_gl0_inv
	v_mov_b32_e32 v5, v1
	s_bitcmp1_b32 s7, 0
	s_load_dword s8, s[12:13], 0xc
	s_cselect_b32 s2, -1, 0
	s_and_b32 s78, vcc_lo, s1
	v_lshlrev_b64 v[6:7], 1, v[4:5]
	v_lshlrev_b32_e32 v35, 3, v0
	s_xor_b32 s79, s2, -1
	v_writelane_b32 v51, s2, 4
	v_mov_b32_e32 v1, v3
	v_lshlrev_b32_e32 v32, 1, v0
	v_add_co_u32 v12, vcc_lo, s54, v6
	v_add_co_ci_u32_e64 v13, null, s55, v7, vcc_lo
	v_lshlrev_b64 v[6:7], v31, -1
	v_cmp_gt_u64_e32 vcc_lo, s[28:29], v[2:3]
	v_or_b32_e32 v10, 6, v35
	v_or_b32_e32 v25, 4, v35
	;; [unrolled: 1-line block ×3, first 2 shown]
	v_cmp_lt_u64_e64 s43, 0x600, s[28:29]
	v_not_b32_e32 v30, v6
	v_cndmask_b32_e64 v2, v2, s28, vcc_lo
	v_not_b32_e32 v6, v0
	v_cndmask_b32_e64 v7, 0, s29, vcc_lo
	v_mad_u64_u32 v[19:20], null, s38, v10, 0
	s_waitcnt lgkmcnt(0)
	s_and_b32 s33, s8, 0xffff
	v_add_co_u32 v6, vcc_lo, v2, v6
	v_add_co_ci_u32_e64 v7, null, -1, v7, vcc_lo
	v_mad_u64_u32 v[21:22], null, s38, v25, 0
	v_and_b32_e32 v16, -2, v6
	v_mad_u64_u32 v[23:24], null, s38, v26, 0
	s_bfe_u32 s7, s33, 0x80008
	s_bfe_u32 s8, s8, 0xb0005
	v_add_co_u32 v18, vcc_lo, v16, v0
	v_add_co_ci_u32_e64 v2, null, 0, v7, vcc_lo
	v_mov_b32_e32 v2, v20
	s_lshl_b32 s80, s7, 3
	s_cmp_gt_u32 s33, 31
	v_mov_b32_e32 v8, v22
	s_cselect_b32 s81, -1, 0
	s_add_u32 s82, s33, -1
	v_mad_u64_u32 v[10:11], null, s39, v10, v[2:3]
	s_addc_u32 s83, 0, -1
	s_add_u32 s84, s82, s28
	v_mov_b32_e32 v9, v24
	s_addc_u32 s57, s83, s29
	s_cmp_lt_u32 s6, s14
	s_movk_i32 s6, 0x3e0
	s_cselect_b32 s7, 12, 18
	v_mad_u64_u32 v[24:25], null, s39, v25, v[8:9]
	s_add_u32 s58, s12, s7
	v_mad_u64_u32 v[8:9], null, s39, v26, v[9:10]
	s_addc_u32 s59, s13, 0
	v_cmp_lt_u64_e64 s2, 1, v[6:7]
	s_add_i32 s8, s8, -1
	v_mov_b32_e32 v17, v7
	v_and_or_b32 v34, v0, s6, 0xc00
	s_and_b32 s6, s8, 0xffff
	s_bfe_u32 s87, s33, 0x30005
	s_cmp_gt_u32 s6, 6
	v_cmp_gt_u64_e64 s1, s[28:29], v[0:1]
	v_writelane_b32 v51, s2, 5
	s_cselect_b32 s88, -1, 0
	s_cmp_lg_u32 s87, 0
	v_cmp_ne_u64_e64 s2, v[6:7], v[16:17]
	v_mov_b32_e32 v36, v24
	v_lshlrev_b64 v[24:25], 3, v[4:5]
	s_mul_i32 s6, s39, s33
	s_mul_hi_u32 s9, s38, s33
	v_mov_b32_e32 v26, s30
	v_cmp_eq_u32_e64 s0, 0, v31
	v_lshlrev_b32_e32 v14, 2, v0
	v_mov_b32_e32 v15, v3
	v_cmp_gt_u32_e64 s10, 2, v0
	v_add_nc_u32_e32 v33, 0xc00, v32
	v_mov_b32_e32 v22, v10
	v_mov_b32_e32 v37, v8
	v_lshl_or_b32 v38, v31, 3, 0xc00
	v_mov_b32_e32 v27, s31
	v_mov_b32_e32 v39, 0x8000
	v_mov_b32_e32 v40, -1
	v_mov_b32_e32 v42, 0
	v_mov_b32_e32 v20, 0
	;; [unrolled: 1-line block ×3, first 2 shown]
	s_cselect_b32 s89, -1, 0
	s_add_i32 s13, s9, s6
	s_mul_i32 s12, s38, s33
	s_mov_b32 s53, 0
	s_mov_b32 s85, s38
	;; [unrolled: 1-line block ×3, first 2 shown]
	s_lshl_b64 s[60:61], s[38:39], 1
	s_lshl_b64 s[62:63], s[38:39], 3
	s_lshl_b32 s90, s33, 1
	s_lshl_b64 s[34:35], s[12:13], 1
	s_mov_b32 s91, 14
	s_movk_i32 s93, 0x3c00
	s_mov_b32 s92, 0
	s_mov_b32 s95, 0
	v_writelane_b32 v51, s2, 6
                                        ; implicit-def: $sgpr94
                                        ; implicit-def: $sgpr98
                                        ; implicit-def: $sgpr97
                                        ; implicit-def: $sgpr99
                                        ; implicit-def: $sgpr96
                                        ; implicit-def: $sgpr45
                                        ; implicit-def: $sgpr48
                                        ; implicit-def: $sgpr104
                                        ; implicit-def: $sgpr44
                                        ; implicit-def: $vcc_hi
	s_branch .LBB204_6
.LBB204_4:                              ;   in Loop: Header=BB204_6 Depth=1
	s_or_b32 exec_lo, exec_lo, s12
	v_mov_b32_e32 v27, v5
	v_mov_b32_e32 v26, v4
	s_andn2_b32 s2, vcc_hi, exec_lo
	s_and_b32 s7, s11, exec_lo
	s_andn2_b32 s44, s44, exec_lo
	s_or_b32 vcc_hi, s2, s7
	s_andn2_b32 s104, s104, exec_lo
	s_andn2_b32 s48, s48, exec_lo
	;; [unrolled: 1-line block ×3, first 2 shown]
	s_orn2_b32 s11, s9, exec_lo
.LBB204_5:                              ;   in Loop: Header=BB204_6 Depth=1
	s_or_b32 exec_lo, exec_lo, s6
	s_and_b32 s6, exec_lo, s11
	s_or_b32 s92, s6, s92
	s_andn2_b32 s6, s96, exec_lo
	s_and_b32 s9, vcc_hi, exec_lo
	s_andn2_b32 s11, s99, exec_lo
	s_or_b32 s96, s6, s9
	s_and_b32 s6, s44, exec_lo
	s_andn2_b32 s9, s97, exec_lo
	s_and_b32 s12, s104, exec_lo
	s_or_b32 s99, s11, s6
	s_or_b32 s97, s9, s12
	s_andn2_b32 s6, s98, exec_lo
	s_and_b32 s9, s48, exec_lo
	s_andn2_b32 s11, s94, exec_lo
	s_and_b32 s12, s45, exec_lo
	s_or_b32 s98, s6, s9
	s_or_b32 s94, s11, s12
	s_andn2_b32 exec_lo, exec_lo, s92
	s_cbranch_execz .LBB204_484
.LBB204_6:                              ; =>This Loop Header: Depth=1
                                        ;     Child Loop BB204_11 Depth 2
                                        ;     Child Loop BB204_25 Depth 2
	;; [unrolled: 1-line block ×25, first 2 shown]
	ds_read_b128 v[4:7], v3 offset:5120
	s_waitcnt lgkmcnt(0)
	v_readfirstlane_b32 s65, v5
	v_readfirstlane_b32 s64, v4
	s_cmp_lg_u64 s[64:65], 0
	s_cbranch_scc1 .LBB204_38
; %bb.7:                                ;   in Loop: Header=BB204_6 Depth=1
	s_and_b32 vcc_lo, exec_lo, s43
	s_cbranch_vccz .LBB204_19
; %bb.8:                                ;   in Loop: Header=BB204_6 Depth=1
	v_cmp_gt_u64_e32 vcc_lo, 0x601, v[6:7]
	s_mov_b32 s11, 0
	s_mov_b32 s6, 0
	s_cbranch_vccz .LBB204_20
; %bb.9:                                ;   in Loop: Header=BB204_6 Depth=1
	global_load_ushort v4, v3, s[58:59]
	global_load_ushort v8, v[12:13], off
	s_mov_b32 s13, 0
	s_waitcnt vmcnt(1)
	v_and_b32_e32 v2, 0xffff, v4
	v_add_co_u32 v5, s6, v0, v2
	v_add_co_ci_u32_e64 v6, null, 0, 0, s6
	v_readfirstlane_b32 s6, v4
	v_mul_lo_u32 v7, s61, v5
	v_mad_u64_u32 v[4:5], null, s60, v5, s[54:55]
	v_mul_lo_u32 v6, s60, v6
	s_and_b32 s6, 0xffff, s6
	s_mul_i32 s9, s61, s6
	s_mul_hi_u32 s12, s60, s6
	s_mul_i32 s14, s60, s6
	s_add_i32 s12, s12, s9
	v_add3_u32 v5, v7, v5, v6
	v_mov_b32_e32 v7, v1
	v_mov_b32_e32 v6, v0
	s_branch .LBB204_11
.LBB204_10:                             ;   in Loop: Header=BB204_11 Depth=2
	s_or_b32 exec_lo, exec_lo, s9
	v_add_co_u32 v4, vcc_lo, v4, s14
	v_add_co_ci_u32_e64 v5, null, s12, v5, vcc_lo
	v_mov_b32_e32 v8, v9
	s_andn2_b32 exec_lo, exec_lo, s13
	s_cbranch_execz .LBB204_93
.LBB204_11:                             ;   Parent Loop BB204_6 Depth=1
                                        ; =>  This Inner Loop Header: Depth=2
	v_add_co_u32 v6, vcc_lo, v6, v2
	v_add_co_ci_u32_e64 v7, null, 0, v7, vcc_lo
	s_waitcnt lgkmcnt(0)
	v_mov_b32_e32 v10, 0
	v_mov_b32_e32 v9, 0
	s_mov_b32 s9, exec_lo
	v_cmp_le_u64_e32 vcc_lo, s[28:29], v[6:7]
	v_cmpx_gt_u64_e64 s[28:29], v[6:7]
	s_cbranch_execz .LBB204_13
; %bb.12:                               ;   in Loop: Header=BB204_11 Depth=2
	global_load_ushort v9, v[4:5], off
.LBB204_13:                             ;   in Loop: Header=BB204_11 Depth=2
	s_or_b32 exec_lo, exec_lo, s9
	s_waitcnt vmcnt(0)
	v_cmp_lt_i16_e64 s6, -1, v8
	v_cndmask_b32_e64 v11, 0xffff, v39, s6
	v_cmp_o_f16_e64 s6, v8, v8
	v_xor_b32_sdwa v11, v11, v8 dst_sel:DWORD dst_unused:UNUSED_PAD src0_sel:DWORD src1_sel:WORD_0
	v_cndmask_b32_e64 v11, 0xffff, v11, s6
	v_and_b32_e32 v11, v11, v41
	v_cmp_eq_u32_e64 s6, v11, v20
	s_cmp_lg_u32 s6, 0
	s_cselect_b32 s9, -1, 0
	s_and_b32 s9, s0, s9
	s_and_saveexec_b32 s15, s9
	s_cbranch_execz .LBB204_17
; %bb.14:                               ;   in Loop: Header=BB204_11 Depth=2
	s_mov_b32 s18, exec_lo
	s_bcnt1_i32_b32 s16, s6
	v_mbcnt_lo_u32_b32 v10, s18, 0
	s_mov_b32 s17, exec_lo
                                        ; implicit-def: $vgpr11
	v_cmpx_eq_u32_e32 0, v10
; %bb.15:                               ;   in Loop: Header=BB204_11 Depth=2
	s_bcnt1_i32_b32 s9, s18
	s_mul_i32 s9, s16, s9
	v_mov_b32_e32 v11, s9
	ds_add_rtn_u32 v11, v3, v11 offset:5144
; %bb.16:                               ;   in Loop: Header=BB204_11 Depth=2
	s_or_b32 exec_lo, exec_lo, s17
	s_waitcnt lgkmcnt(0)
	v_readfirstlane_b32 s9, v11
	v_mad_u32_u24 v10, s16, v10, s9
.LBB204_17:                             ;   in Loop: Header=BB204_11 Depth=2
	s_or_b32 exec_lo, exec_lo, s15
	ds_bpermute_b32 v10, v3, v10
	s_and_b32 s9, exec_lo, vcc_lo
	s_or_b32 s13, s9, s13
	s_and_saveexec_b32 s9, s6
	s_cbranch_execz .LBB204_10
; %bb.18:                               ;   in Loop: Header=BB204_11 Depth=2
	v_and_b32_e32 v11, s6, v30
	v_bcnt_u32_b32 v11, v11, 0
	v_lshlrev_b32_e32 v11, 1, v11
	s_waitcnt lgkmcnt(0)
	v_lshl_add_u32 v10, v10, 1, v11
	ds_write_b16 v10, v8
	s_branch .LBB204_10
.LBB204_19:                             ;   in Loop: Header=BB204_6 Depth=1
	s_mov_b32 s11, -1
	s_mov_b32 s6, 0
.LBB204_20:                             ;   in Loop: Header=BB204_6 Depth=1
	s_and_b32 vcc_lo, exec_lo, s11
	s_cbranch_vccz .LBB204_36
.LBB204_21:                             ;   in Loop: Header=BB204_6 Depth=1
	s_and_saveexec_b32 s9, s1
	s_cbranch_execz .LBB204_33
; %bb.22:                               ;   in Loop: Header=BB204_6 Depth=1
	global_load_ushort v4, v3, s[58:59]
	global_load_ushort v11, v[12:13], off
	v_mov_b32_e32 v8, v0
	s_mov_b32 s11, exec_lo
	s_waitcnt vmcnt(1)
	v_add_nc_u32_sdwa v2, v4, v0 dst_sel:DWORD dst_unused:UNUSED_PAD src0_sel:WORD_0 src1_sel:DWORD
	v_readfirstlane_b32 s6, v4
	v_cmpx_gt_u64_e64 s[28:29], v[2:3]
	s_cbranch_execz .LBB204_32
; %bb.23:                               ;   in Loop: Header=BB204_6 Depth=1
	s_and_b32 s12, s6, 0xffff
	v_readlane_b32 s2, v51, 5
	v_mov_b32_e32 v7, v1
	s_cmp_eq_u32 s12, 1
	v_mov_b32_e32 v5, v3
	v_mov_b32_e32 v6, v0
	;; [unrolled: 1-line block ×3, first 2 shown]
	s_cselect_b32 s6, -1, 0
                                        ; implicit-def: $vgpr8_vgpr9
	s_and_b32 s14, s2, s6
	s_mov_b32 s6, -1
	s_and_saveexec_b32 s13, s14
	s_cbranch_execz .LBB204_27
; %bb.24:                               ;   in Loop: Header=BB204_6 Depth=1
	v_add_co_u32 v4, s6, v2, 1
	v_add_co_ci_u32_e64 v5, null, 0, 0, s6
	v_mov_b32_e32 v8, v16
	s_waitcnt vmcnt(0)
	v_lshlrev_b32_e32 v28, 16, v11
	v_mov_b32_e32 v9, v17
	v_mov_b32_e32 v7, v5
	;; [unrolled: 1-line block ×6, first 2 shown]
	s_mov_b32 s14, 0
.LBB204_25:                             ;   Parent Loop BB204_6 Depth=1
                                        ; =>  This Inner Loop Header: Depth=2
	v_mul_lo_u32 v11, v5, s85
	v_mul_lo_u32 v29, v4, s86
	v_mad_u64_u32 v[43:44], null, v4, s85, 0
	v_mul_lo_u32 v47, v7, s38
	v_mul_lo_u32 v48, v6, s39
	v_mad_u64_u32 v[45:46], null, v6, s38, 0
	v_add3_u32 v44, v44, v29, v11
	v_add3_u32 v46, v46, v48, v47
	v_lshlrev_b64 v[43:44], 1, v[43:44]
	v_lshlrev_b64 v[45:46], 1, v[45:46]
	v_add_co_u32 v43, vcc_lo, s54, v43
	v_add_co_ci_u32_e64 v44, null, s55, v44, vcc_lo
	v_add_co_u32 v45, vcc_lo, s54, v45
	v_add_co_ci_u32_e64 v46, null, s55, v46, vcc_lo
	s_clause 0x1
	global_load_ushort v29, v[43:44], off
	global_load_ushort v11, v[45:46], off
	v_add_co_u32 v8, vcc_lo, v8, -2
	v_add_co_ci_u32_e64 v9, null, -1, v9, vcc_lo
	v_add_co_u32 v6, vcc_lo, v6, 2
	v_add_co_ci_u32_e64 v7, null, 0, v7, vcc_lo
	v_cmp_eq_u64_e64 s6, 0, v[8:9]
	v_add_co_u32 v4, vcc_lo, v4, 2
	v_add_co_ci_u32_e64 v5, null, 0, v5, vcc_lo
	s_or_b32 s14, s6, s14
	s_waitcnt vmcnt(1)
	v_alignbit_b32 v28, v29, v28, 16
	s_waitcnt vmcnt(0)
	v_perm_b32 v29, v11, v29, 0x5040100
	ds_write_b32 v10, v28
	v_add_nc_u32_e32 v10, 4, v10
	v_mov_b32_e32 v28, v29
	s_andn2_b32 exec_lo, exec_lo, s14
	s_cbranch_execnz .LBB204_25
; %bb.26:                               ;   in Loop: Header=BB204_6 Depth=1
	s_or_b32 exec_lo, exec_lo, s14
	v_add_co_u32 v4, vcc_lo, v2, v16
	v_readlane_b32 s2, v51, 6
	v_add_co_ci_u32_e64 v5, null, 0, v17, vcc_lo
	v_add_co_u32 v8, vcc_lo, v4, -1
	v_mov_b32_e32 v6, v18
	s_orn2_b32 s6, s2, exec_lo
	v_add_co_ci_u32_e64 v2, null, -1, v5, vcc_lo
	v_mov_b32_e32 v7, v19
.LBB204_27:                             ;   in Loop: Header=BB204_6 Depth=1
	s_or_b32 exec_lo, exec_lo, s13
	s_and_saveexec_b32 s13, s6
	s_cbranch_execz .LBB204_31
; %bb.28:                               ;   in Loop: Header=BB204_6 Depth=1
	v_mad_u64_u32 v[9:10], null, s60, v4, s[54:55]
	v_mul_lo_u32 v2, s60, v5
	v_mul_lo_u32 v7, s61, v4
	s_mul_i32 s6, s61, s12
	s_mul_hi_u32 s16, s60, s12
	s_sub_u32 s14, 0, s12
	s_subb_u32 s15, 0, 0
	s_add_i32 s16, s16, s6
	s_mul_i32 s17, s60, s12
	s_mov_b32 s18, 0
	v_add3_u32 v10, v7, v10, v2
	.p2align	6
.LBB204_29:                             ;   Parent Loop BB204_6 Depth=1
                                        ; =>  This Inner Loop Header: Depth=2
	s_waitcnt vmcnt(0)
	v_mov_b32_e32 v2, v11
	global_load_ushort v11, v[9:10], off
	v_mov_b32_e32 v29, v5
	v_mov_b32_e32 v28, v4
	v_lshlrev_b32_e32 v43, 1, v6
	v_add_co_u32 v4, vcc_lo, v28, s12
	v_add_co_ci_u32_e64 v5, null, 0, v29, vcc_lo
	v_add_co_u32 v9, vcc_lo, v9, s17
	v_add_co_ci_u32_e64 v10, null, s16, v10, vcc_lo
	v_cmp_le_u64_e32 vcc_lo, s[28:29], v[4:5]
	v_add_co_u32 v8, s6, s14, v4
	v_add_co_ci_u32_e64 v6, null, s15, v5, s6
	v_mov_b32_e32 v6, v28
	s_or_b32 s18, vcc_lo, s18
	v_mov_b32_e32 v7, v29
	ds_write_b16 v43, v2
	s_andn2_b32 exec_lo, exec_lo, s18
	s_cbranch_execnz .LBB204_29
; %bb.30:                               ;   in Loop: Header=BB204_6 Depth=1
	s_or_b32 exec_lo, exec_lo, s18
.LBB204_31:                             ;   in Loop: Header=BB204_6 Depth=1
	s_or_b32 exec_lo, exec_lo, s13
.LBB204_32:                             ;   in Loop: Header=BB204_6 Depth=1
	s_or_b32 exec_lo, exec_lo, s11
	v_lshlrev_b32_e32 v2, 1, v8
	s_waitcnt vmcnt(0)
	ds_write_b16 v2, v11
.LBB204_33:                             ;   in Loop: Header=BB204_6 Depth=1
	s_or_b32 exec_lo, exec_lo, s9
	s_waitcnt lgkmcnt(0)
	s_barrier
	buffer_gl0_inv
	s_and_saveexec_b32 s6, s3
; %bb.34:                               ;   in Loop: Header=BB204_6 Depth=1
	v_mov_b32_e32 v4, s28
	v_mov_b32_e32 v5, s29
	ds_write_b64 v3, v[4:5] offset:5120
; %bb.35:                               ;   in Loop: Header=BB204_6 Depth=1
	s_or_b32 exec_lo, exec_lo, s6
	s_mov_b32 s6, -1
	s_waitcnt lgkmcnt(0)
	s_barrier
.LBB204_36:                             ;   in Loop: Header=BB204_6 Depth=1
	s_and_b32 vcc_lo, exec_lo, s6
	s_mov_b64 s[64:65], 0
	s_cbranch_vccz .LBB204_38
; %bb.37:                               ;   in Loop: Header=BB204_6 Depth=1
	buffer_gl0_inv
	ds_read_b64 v[4:5], v3 offset:5120
	s_waitcnt lgkmcnt(0)
	v_readfirstlane_b32 s64, v4
.LBB204_38:                             ;   in Loop: Header=BB204_6 Depth=1
	s_cmp_lt_i32 s64, 1
	s_mov_b32 s6, -1
                                        ; implicit-def: $vgpr4_vgpr5
                                        ; implicit-def: $vgpr8_vgpr9
	s_cbranch_scc1 .LBB204_48
; %bb.39:                               ;   in Loop: Header=BB204_6 Depth=1
	s_and_b32 vcc_lo, exec_lo, s6
	s_cbranch_vccnz .LBB204_62
.LBB204_40:                             ;   in Loop: Header=BB204_6 Depth=1
	s_lshl_b32 s6, s95, 7
	s_and_saveexec_b32 s9, s0
	s_cbranch_execz .LBB204_42
.LBB204_41:                             ;   in Loop: Header=BB204_6 Depth=1
	v_lshl_add_u32 v2, s6, 3, v34
	ds_write_b128 v2, v[4:7]
	ds_write_b128 v2, v[8:11] offset:16
.LBB204_42:                             ;   in Loop: Header=BB204_6 Depth=1
	s_or_b32 exec_lo, exec_lo, s9
	s_waitcnt lgkmcnt(0)
	s_barrier
	buffer_gl0_inv
	s_and_saveexec_b32 s9, s78
	s_cbranch_execz .LBB204_76
; %bb.43:                               ;   in Loop: Header=BB204_6 Depth=1
	v_mov_b32_e32 v4, 0
	v_mov_b32_e32 v5, 0
	s_andn2_b32 vcc_lo, exec_lo, s81
	s_cbranch_vccnz .LBB204_75
; %bb.44:                               ;   in Loop: Header=BB204_6 Depth=1
	v_mov_b32_e32 v4, 0
	v_mov_b32_e32 v5, 0
	s_andn2_b32 vcc_lo, exec_lo, s88
	s_cbranch_vccnz .LBB204_72
; %bb.45:                               ;   in Loop: Header=BB204_6 Depth=1
	v_lshl_add_u32 v2, s95, 10, v38
	s_mov_b32 s11, 0
	s_inst_prefetch 0x1
	.p2align	6
.LBB204_46:                             ;   Parent Loop BB204_6 Depth=1
                                        ; =>  This Inner Loop Header: Depth=2
	ds_read2_b64 v[6:9], v2 offset1:4
	ds_read2_b64 v[43:46], v2 offset0:8 offset1:12
	ds_read2_b64 v[47:50], v2 offset0:16 offset1:20
	s_add_i32 s11, s11, 8
	s_cmp_eq_u32 s80, s11
	s_waitcnt lgkmcnt(2)
	v_add_co_u32 v4, vcc_lo, v6, v4
	v_add_co_ci_u32_e64 v5, null, v7, v5, vcc_lo
	v_add_co_u32 v8, vcc_lo, v8, v4
	v_add_co_ci_u32_e64 v9, null, v9, v5, vcc_lo
	ds_read2_b64 v[4:7], v2 offset0:24 offset1:28
	s_waitcnt lgkmcnt(2)
	v_add_co_u32 v8, vcc_lo, v43, v8
	v_add_co_ci_u32_e64 v9, null, v44, v9, vcc_lo
	v_add_nc_u32_e32 v2, 0x100, v2
	v_add_co_u32 v8, vcc_lo, v45, v8
	v_add_co_ci_u32_e64 v9, null, v46, v9, vcc_lo
	s_waitcnt lgkmcnt(1)
	v_add_co_u32 v8, vcc_lo, v47, v8
	v_add_co_ci_u32_e64 v9, null, v48, v9, vcc_lo
	v_add_co_u32 v8, vcc_lo, v49, v8
	v_add_co_ci_u32_e64 v9, null, v50, v9, vcc_lo
	s_waitcnt lgkmcnt(0)
	v_add_co_u32 v4, vcc_lo, v4, v8
	v_add_co_ci_u32_e64 v5, null, v5, v9, vcc_lo
	v_add_co_u32 v4, vcc_lo, v6, v4
	v_add_co_ci_u32_e64 v5, null, v7, v5, vcc_lo
	s_cbranch_scc0 .LBB204_46
; %bb.47:                               ;   in Loop: Header=BB204_6 Depth=1
	s_inst_prefetch 0x2
	s_mov_b32 s11, s80
	s_andn2_b32 vcc_lo, exec_lo, s89
	s_cbranch_vccz .LBB204_73
	s_branch .LBB204_75
.LBB204_48:                             ;   in Loop: Header=BB204_6 Depth=1
	global_load_ushort v2, v3, s[58:59]
	s_mov_b32 s12, s53
	s_mov_b32 s13, s29
	s_waitcnt vmcnt(0)
	v_readfirstlane_b32 s6, v2
	s_and_b32 s49, s6, 0xffff
	s_lshl_b32 s56, s49, 2
	s_cmp_lg_u64 s[12:13], 0
	s_cbranch_scc0 .LBB204_71
; %bb.49:                               ;   in Loop: Header=BB204_6 Depth=1
	v_cvt_f32_u32_e32 v2, s56
	s_sub_u32 s11, 0, s56
	s_subb_u32 s12, 0, 0
	v_fmac_f32_e64 v2, 0x4f800000, 0
	v_rcp_f32_e32 v2, v2
	v_mul_f32_e32 v2, 0x5f7ffffc, v2
	v_mul_f32_e32 v4, 0x2f800000, v2
	v_trunc_f32_e32 v4, v4
	v_fmac_f32_e32 v2, 0xcf800000, v4
	v_cvt_u32_f32_e32 v4, v4
	v_cvt_u32_f32_e32 v2, v2
	v_readfirstlane_b32 s6, v4
	v_readfirstlane_b32 s9, v2
	s_mul_i32 s13, s11, s6
	s_mul_hi_u32 s15, s11, s9
	s_mul_i32 s14, s12, s9
	s_add_i32 s13, s15, s13
	s_mul_i32 s16, s11, s9
	s_add_i32 s13, s13, s14
	s_mul_hi_u32 s15, s9, s16
	s_mul_i32 s18, s9, s13
	s_mul_hi_u32 s17, s6, s16
	s_mul_i32 s14, s6, s16
	s_mul_hi_u32 s16, s9, s13
	s_add_u32 s15, s15, s18
	s_addc_u32 s16, 0, s16
	s_mul_hi_u32 s19, s6, s13
	s_add_u32 s14, s15, s14
	s_mul_i32 s13, s6, s13
	s_addc_u32 s14, s16, s17
	s_addc_u32 s15, s19, 0
	s_add_u32 s13, s14, s13
	s_addc_u32 s14, 0, s15
	s_add_u32 s9, s9, s13
	s_cselect_b32 s13, -1, 0
	s_mul_hi_u32 s15, s11, s9
	s_cmp_lg_u32 s13, 0
	s_mul_i32 s13, s11, s9
	s_addc_u32 s6, s6, s14
	s_mul_i32 s12, s12, s9
	s_mul_i32 s11, s11, s6
	s_mul_hi_u32 s14, s9, s13
	s_add_i32 s11, s15, s11
	s_mul_hi_u32 s15, s6, s13
	s_add_i32 s11, s11, s12
	s_mul_i32 s12, s6, s13
	s_mul_i32 s17, s9, s11
	s_mul_hi_u32 s16, s9, s11
	s_add_u32 s14, s14, s17
	s_addc_u32 s16, 0, s16
	s_mul_hi_u32 s13, s6, s11
	s_add_u32 s12, s14, s12
	s_mul_i32 s11, s6, s11
	s_addc_u32 s12, s16, s15
	s_addc_u32 s13, s13, 0
	s_add_u32 s11, s12, s11
	s_addc_u32 s12, 0, s13
	s_add_u32 s9, s9, s11
	s_cselect_b32 s11, -1, 0
	s_mul_hi_u32 s13, s28, s9
	s_cmp_lg_u32 s11, 0
	s_mul_hi_u32 s11, s29, s9
	s_addc_u32 s6, s6, s12
	s_mul_i32 s9, s29, s9
	s_mul_i32 s14, s28, s6
	s_mul_hi_u32 s12, s28, s6
	s_add_u32 s13, s13, s14
	s_addc_u32 s12, 0, s12
	s_mul_hi_u32 s15, s29, s6
	s_add_u32 s9, s13, s9
	s_mul_i32 s6, s29, s6
	s_addc_u32 s9, s12, s11
	s_addc_u32 s11, s15, 0
	s_add_u32 s6, s9, s6
	s_addc_u32 s9, 0, s11
	s_mul_hi_u32 s11, s56, s6
	s_mul_i32 s9, s56, s9
	s_mul_i32 s6, s56, s6
	s_add_i32 s11, s11, s9
	s_sub_u32 s6, s28, s6
	s_cselect_b32 s9, -1, 0
	s_cmp_lg_u32 s9, 0
	s_subb_u32 s9, s29, s11
	s_sub_u32 s11, s6, s56
	s_cselect_b32 s12, -1, 0
	s_cmp_lg_u32 s12, 0
	s_subb_u32 s12, s9, 0
	;; [unrolled: 4-line block ×3, first 2 shown]
	s_cmp_ge_u32 s11, s56
	s_cselect_b32 s15, -1, 0
	s_cmp_eq_u32 s12, 0
	s_cselect_b32 s15, s15, -1
	s_cmp_lg_u32 s15, 0
	s_cselect_b32 s12, s14, s12
	s_cselect_b32 s11, s13, s11
	s_cmp_ge_u32 s6, s56
	s_cselect_b32 s13, -1, 0
	s_cmp_eq_u32 s9, 0
	s_cselect_b32 s13, s13, -1
	s_cmp_lg_u32 s13, 0
	s_cselect_b32 s13, s12, s9
	s_cselect_b32 s12, s11, s6
	s_cbranch_execnz .LBB204_51
.LBB204_50:                             ;   in Loop: Header=BB204_6 Depth=1
	v_cvt_f32_u32_e32 v2, s56
	s_sub_i32 s9, 0, s56
	v_rcp_iflag_f32_e32 v2, v2
	v_mul_f32_e32 v2, 0x4f7ffffe, v2
	v_cvt_u32_f32_e32 v2, v2
	v_readfirstlane_b32 s6, v2
	s_mul_i32 s9, s9, s6
	s_mul_hi_u32 s9, s6, s9
	s_add_i32 s6, s6, s9
	s_mul_hi_u32 s6, s28, s6
	s_mul_i32 s6, s6, s56
	s_sub_i32 s6, s28, s6
	s_sub_i32 s9, s6, s56
	s_cmp_ge_u32 s6, s56
	s_cselect_b32 s6, s9, s6
	s_sub_i32 s9, s6, s56
	s_cmp_ge_u32 s6, s56
	s_cselect_b32 s52, s9, s6
	s_mov_b64 s[12:13], s[52:53]
.LBB204_51:                             ;   in Loop: Header=BB204_6 Depth=1
	v_mov_b32_e32 v4, 0
	v_mov_b32_e32 v6, 0
	;; [unrolled: 1-line block ×8, first 2 shown]
	s_sub_u32 s66, s28, s12
	s_subb_u32 s67, s29, s13
	s_mov_b32 s52, exec_lo
	v_cmpx_gt_u64_e64 s[66:67], v[14:15]
	s_cbranch_execz .LBB204_55
; %bb.52:                               ;   in Loop: Header=BB204_6 Depth=1
	v_mov_b32_e32 v29, v15
	v_mov_b32_e32 v28, v14
	s_mul_i32 s6, s63, s49
	s_mul_hi_u32 s9, s62, s49
	s_mov_b64 s[68:69], 0
	s_add_i32 s65, s9, s6
	s_mov_b32 s46, 0
	s_mov_b64 s[70:71], s[54:55]
	s_mov_b64 s[72:73], 0
	;; [unrolled: 1-line block ×4, first 2 shown]
.LBB204_53:                             ;   Parent Loop BB204_6 Depth=1
                                        ; =>  This Inner Loop Header: Depth=2
	v_add_co_u32 v4, vcc_lo, s70, v24
	v_add_co_ci_u32_e64 v5, null, s71, v25, vcc_lo
	global_load_ushort v2, v[4:5], off
	v_add_co_u32 v4, vcc_lo, s70, v23
	v_add_co_ci_u32_e64 v5, null, s71, v37, vcc_lo
	global_load_ushort v6, v[4:5], off
	;; [unrolled: 3-line block ×4, first 2 shown]
	s_waitcnt vmcnt(3)
	v_cmp_lt_i16_e64 s11, -1, v2
	s_waitcnt vmcnt(2)
	v_cmp_lt_i16_e32 vcc_lo, -1, v6
	v_cndmask_b32_e32 v5, 0xffff, v39, vcc_lo
	v_cmp_o_f16_e32 vcc_lo, v6, v6
	s_waitcnt vmcnt(1)
	v_cmp_lt_i16_e64 s6, -1, v7
	v_xor_b32_sdwa v5, v5, v6 dst_sel:DWORD dst_unused:UNUSED_PAD src0_sel:DWORD src1_sel:WORD_0
	v_cndmask_b32_e64 v6, 0xffff, v39, s6
	v_cmp_o_f16_e64 s6, v7, v7
	s_waitcnt vmcnt(0)
	v_cmp_lt_i16_e64 s9, -1, v4
	v_xor_b32_sdwa v6, v6, v7 dst_sel:DWORD dst_unused:UNUSED_PAD src0_sel:DWORD src1_sel:WORD_0
	v_cndmask_b32_e64 v7, 0xffff, v39, s9
	v_cmp_o_f16_e64 s9, v4, v4
	v_xor_b32_sdwa v7, v7, v4 dst_sel:DWORD dst_unused:UNUSED_PAD src0_sel:DWORD src1_sel:WORD_0
	v_cndmask_b32_e64 v4, 0xffff, v39, s11
	v_cmp_o_f16_e64 s11, v2, v2
	v_xor_b32_sdwa v4, v4, v2 dst_sel:DWORD dst_unused:UNUSED_PAD src0_sel:DWORD src1_sel:WORD_0
	v_cndmask_b32_e64 v2, 0xffff, v4, s11
	v_and_b32_e32 v4, v2, v41
	v_bfe_u32 v2, v2, s91, 2
	v_cmp_eq_u32_e64 s11, v4, v20
	v_cndmask_b32_e32 v4, 0xffff, v5, vcc_lo
	v_cmp_eq_u32_e64 s12, 0, v2
	v_cmp_eq_u32_e64 s13, 1, v2
	;; [unrolled: 1-line block ×4, first 2 shown]
	v_and_b32_e32 v5, v4, v41
	v_bfe_u32 v2, v4, s91, 2
	s_and_b32 s12, s11, s12
	v_cmp_eq_u32_e32 vcc_lo, v5, v20
	v_cndmask_b32_e64 v5, 0xffff, v6, s6
	v_cmp_eq_u32_e64 s16, 0, v2
	v_cmp_eq_u32_e64 s17, 1, v2
	;; [unrolled: 1-line block ×4, first 2 shown]
	v_and_b32_e32 v6, v5, v41
	v_bfe_u32 v2, v5, s91, 2
	s_and_b32 s16, vcc_lo, s16
	v_cmp_eq_u32_e64 s6, v6, v20
	v_cndmask_b32_e64 v6, 0xffff, v7, s9
	v_cmp_eq_u32_e64 s20, 0, v2
	v_cmp_eq_u32_e64 s21, 1, v2
	;; [unrolled: 1-line block ×4, first 2 shown]
	v_bfe_u32 v2, v6, s91, 2
	v_and_b32_e32 v7, v6, v41
	s_and_b32 s20, s6, s20
	v_cmp_eq_u32_e64 s24, 0, v2
	v_cmp_eq_u32_e64 s25, 1, v2
	;; [unrolled: 1-line block ×4, first 2 shown]
	v_cndmask_b32_e64 v2, 0, 1, s12
	v_cmp_eq_u32_e64 s9, v7, v20
	v_cmp_ne_u32_e64 s12, 0, v2
	v_cndmask_b32_e64 v2, 0, 1, s16
	s_and_b32 s24, s9, s24
	s_bcnt1_i32_b32 s12, s12
	v_cmp_ne_u32_e64 s16, 0, v2
	v_cndmask_b32_e64 v2, 0, 1, s20
	s_bcnt1_i32_b32 s16, s16
	v_cmp_ne_u32_e64 s20, 0, v2
	v_cndmask_b32_e64 v2, 0, 1, s24
	s_add_i32 s12, s16, s12
	s_bcnt1_i32_b32 s20, s20
	v_cmp_ne_u32_e64 s24, 0, v2
	s_add_i32 s12, s12, s20
	s_bcnt1_i32_b32 s24, s24
	s_add_i32 s12, s12, s24
	s_add_u32 s76, s76, s12
	s_addc_u32 s77, s77, 0
	s_and_b32 s12, s11, s13
	s_and_b32 s13, vcc_lo, s17
	v_cndmask_b32_e64 v2, 0, 1, s12
	s_and_b32 s16, s6, s21
	s_and_b32 s17, s9, s25
	v_mov_b32_e32 v4, s76
	v_mov_b32_e32 v5, s77
	v_cmp_ne_u32_e64 s12, 0, v2
	v_cndmask_b32_e64 v2, 0, 1, s13
	s_bcnt1_i32_b32 s12, s12
	v_cmp_ne_u32_e64 s13, 0, v2
	v_cndmask_b32_e64 v2, 0, 1, s16
	s_bcnt1_i32_b32 s13, s13
	v_cmp_ne_u32_e64 s16, 0, v2
	v_cndmask_b32_e64 v2, 0, 1, s17
	s_add_i32 s12, s13, s12
	s_bcnt1_i32_b32 s16, s16
	v_cmp_ne_u32_e64 s17, 0, v2
	s_add_i32 s12, s12, s16
	s_bcnt1_i32_b32 s17, s17
	s_add_i32 s12, s12, s17
	s_add_u32 s74, s74, s12
	s_addc_u32 s75, s75, 0
	s_and_b32 s12, s11, s14
	s_and_b32 s13, vcc_lo, s18
	v_cndmask_b32_e64 v2, 0, 1, s12
	s_and_b32 s14, s6, s22
	s_and_b32 s16, s9, s26
	v_mov_b32_e32 v6, s74
	v_mov_b32_e32 v7, s75
	v_cmp_ne_u32_e64 s12, 0, v2
	v_cndmask_b32_e64 v2, 0, 1, s13
	s_bcnt1_i32_b32 s12, s12
	v_cmp_ne_u32_e64 s13, 0, v2
	v_cndmask_b32_e64 v2, 0, 1, s14
	s_bcnt1_i32_b32 s13, s13
	v_cmp_ne_u32_e64 s14, 0, v2
	v_cndmask_b32_e64 v2, 0, 1, s16
	s_add_i32 s12, s13, s12
	s_mul_i32 s13, s62, s49
	s_bcnt1_i32_b32 s14, s14
	v_cmp_ne_u32_e64 s16, 0, v2
	s_add_i32 s12, s12, s14
	s_bcnt1_i32_b32 s16, s16
	s_add_i32 s12, s12, s16
	s_add_u32 s72, s72, s12
	s_addc_u32 s73, s73, 0
	s_and_b32 s11, s11, s15
	s_and_b32 s12, vcc_lo, s19
	v_cndmask_b32_e64 v2, 0, 1, s11
	s_and_b32 s6, s6, s23
	s_and_b32 s9, s9, s27
	v_mov_b32_e32 v8, s72
	v_mov_b32_e32 v9, s73
	v_cmp_ne_u32_e64 s11, 0, v2
	v_cndmask_b32_e64 v2, 0, 1, s12
	v_add_co_u32 v28, s12, v28, s56
	v_add_co_ci_u32_e64 v29, null, 0, v29, s12
	v_cmp_ne_u32_e32 vcc_lo, 0, v2
	v_cndmask_b32_e64 v2, 0, 1, s6
	s_bcnt1_i32_b32 s11, s11
	v_cmp_le_u64_e64 s12, s[66:67], v[28:29]
	s_bcnt1_i32_b32 s14, vcc_lo
	v_cmp_ne_u32_e64 s6, 0, v2
	v_cndmask_b32_e64 v2, 0, 1, s9
	s_add_i32 s11, s14, s11
	s_bcnt1_i32_b32 s6, s6
	v_cmp_ne_u32_e64 s9, 0, v2
	s_add_i32 s6, s11, s6
	s_bcnt1_i32_b32 s9, s9
	s_add_i32 s6, s6, s9
	s_add_u32 s68, s68, s6
	s_addc_u32 s69, s69, 0
	v_mov_b32_e32 v10, s68
	v_mov_b32_e32 v11, s69
	s_add_u32 s70, s70, s13
	s_addc_u32 s71, s71, s65
	s_or_b32 s46, s12, s46
	s_andn2_b32 exec_lo, exec_lo, s46
	s_cbranch_execnz .LBB204_53
; %bb.54:                               ;   in Loop: Header=BB204_6 Depth=1
	s_or_b32 exec_lo, exec_lo, s46
.LBB204_55:                             ;   in Loop: Header=BB204_6 Depth=1
	s_or_b32 exec_lo, exec_lo, s52
	v_add_co_u32 v28, s6, s66, v0
	v_add_co_ci_u32_e64 v29, null, s67, 0, s6
	s_mov_b32 s13, exec_lo
	v_cmpx_gt_u64_e64 s[28:29], v[28:29]
	s_cbranch_execz .LBB204_61
; %bb.56:                               ;   in Loop: Header=BB204_6 Depth=1
	v_mul_lo_u32 v2, v29, s38
	v_mul_lo_u32 v45, v28, s39
	v_mad_u64_u32 v[43:44], null, v28, s38, 0
	s_mov_b32 s14, 0
	v_add3_u32 v44, v44, v45, v2
	v_lshlrev_b64 v[43:44], 1, v[43:44]
	v_add_co_u32 v43, vcc_lo, s54, v43
	v_add_co_ci_u32_e64 v44, null, s55, v44, vcc_lo
	global_load_ushort v43, v[43:44], off
	s_branch .LBB204_58
.LBB204_57:                             ;   in Loop: Header=BB204_58 Depth=2
	s_or_b32 exec_lo, exec_lo, s9
	s_waitcnt vmcnt(0)
	v_cmp_lt_i16_e64 s6, -1, v43
	s_and_b32 s9, exec_lo, vcc_lo
	s_or_b32 s14, s9, s14
	v_cndmask_b32_e64 v44, 0xffff, v39, s6
	v_cmp_o_f16_e64 s6, v43, v43
	v_xor_b32_sdwa v44, v44, v43 dst_sel:DWORD dst_unused:UNUSED_PAD src0_sel:DWORD src1_sel:WORD_0
	v_cndmask_b32_e64 v43, 0xffff, v44, s6
	v_and_b32_e32 v44, v43, v41
	v_bfe_u32 v43, v43, s91, 2
	v_cmp_eq_u32_e32 vcc_lo, v44, v20
	v_cmp_eq_u32_e64 s6, 0, v43
	v_cmp_eq_u32_e64 s9, 1, v43
	;; [unrolled: 1-line block ×4, first 2 shown]
	s_and_b32 s6, vcc_lo, s6
	v_cndmask_b32_e64 v43, 0, 1, s6
	s_and_b32 s6, vcc_lo, s9
	v_cndmask_b32_e64 v44, 0, 1, s6
	s_and_b32 s6, vcc_lo, s11
	v_cndmask_b32_e64 v45, 0, 1, s6
	s_and_b32 s6, vcc_lo, s12
	v_cmp_ne_u32_e32 vcc_lo, 0, v43
	v_cndmask_b32_e64 v46, 0, 1, s6
	v_cmp_ne_u32_e64 s6, 0, v44
	v_cmp_ne_u32_e64 s9, 0, v45
	v_mov_b32_e32 v43, v2
	s_bcnt1_i32_b32 s12, vcc_lo
	v_cmp_ne_u32_e64 s11, 0, v46
	s_bcnt1_i32_b32 s6, s6
	v_add_co_u32 v4, vcc_lo, v4, s12
	s_bcnt1_i32_b32 s9, s9
	v_add_co_ci_u32_e64 v5, null, 0, v5, vcc_lo
	v_add_co_u32 v6, vcc_lo, v6, s6
	v_add_co_ci_u32_e64 v7, null, 0, v7, vcc_lo
	v_add_co_u32 v8, vcc_lo, v8, s9
	s_bcnt1_i32_b32 s6, s11
	v_add_co_ci_u32_e64 v9, null, 0, v9, vcc_lo
	v_add_co_u32 v10, vcc_lo, v10, s6
	v_add_co_ci_u32_e64 v11, null, 0, v11, vcc_lo
	s_andn2_b32 exec_lo, exec_lo, s14
	s_cbranch_execz .LBB204_60
.LBB204_58:                             ;   Parent Loop BB204_6 Depth=1
                                        ; =>  This Inner Loop Header: Depth=2
	v_add_co_u32 v28, vcc_lo, v28, s49
	v_add_co_ci_u32_e64 v29, null, 0, v29, vcc_lo
	v_mov_b32_e32 v2, 0
	s_mov_b32 s9, exec_lo
	v_cmp_le_u64_e32 vcc_lo, s[28:29], v[28:29]
	v_cmpx_gt_u64_e64 s[28:29], v[28:29]
	s_cbranch_execz .LBB204_57
; %bb.59:                               ;   in Loop: Header=BB204_58 Depth=2
	v_mul_lo_u32 v2, v29, s38
	v_mul_lo_u32 v46, v28, s39
	v_mad_u64_u32 v[44:45], null, v28, s38, 0
	v_add3_u32 v45, v45, v46, v2
	v_lshlrev_b64 v[44:45], 1, v[44:45]
	v_add_co_u32 v44, s6, s54, v44
	v_add_co_ci_u32_e64 v45, null, s55, v45, s6
	global_load_ushort v2, v[44:45], off
	s_branch .LBB204_57
.LBB204_60:                             ;   in Loop: Header=BB204_6 Depth=1
	s_or_b32 exec_lo, exec_lo, s14
.LBB204_61:                             ;   in Loop: Header=BB204_6 Depth=1
	s_or_b32 exec_lo, exec_lo, s13
	s_branch .LBB204_40
.LBB204_62:                             ;   in Loop: Header=BB204_6 Depth=1
	global_load_ushort v2, v3, s[58:59]
	v_mov_b32_e32 v6, 0
	v_mov_b32_e32 v8, 0
	;; [unrolled: 1-line block ×6, first 2 shown]
	s_mov_b32 s47, exec_lo
	s_waitcnt vmcnt(0)
	v_readfirstlane_b32 s6, v2
	s_and_b32 s49, 0xffff, s6
	s_lshl_b32 s46, s49, 2
	v_cvt_f32_u32_e32 v4, s46
	s_sub_i32 s9, 0, s46
	v_rcp_iflag_f32_e32 v4, v4
	v_mul_f32_e32 v4, 0x4f7ffffe, v4
	v_cvt_u32_f32_e32 v4, v4
	v_readfirstlane_b32 s6, v4
	v_mov_b32_e32 v4, 0
	v_mov_b32_e32 v5, 0
	s_mul_i32 s9, s9, s6
	s_mul_hi_u32 s9, s6, s9
	s_add_i32 s6, s6, s9
	s_mul_hi_u32 s6, s64, s6
	s_mul_i32 s9, s6, s46
	s_add_i32 s11, s6, 1
	s_sub_i32 s9, s64, s9
	s_sub_i32 s12, s9, s46
	s_cmp_ge_u32 s9, s46
	s_cselect_b32 s6, s11, s6
	s_cselect_b32 s9, s12, s9
	s_add_i32 s11, s6, 1
	s_cmp_ge_u32 s9, s46
	s_cselect_b32 s6, s11, s6
	s_mul_hi_u32 s67, s49, s6
	s_mul_i32 s66, s49, s6
	s_lshl_b64 s[68:69], s[66:67], 2
	v_cmpx_gt_u64_e64 s[68:69], v[14:15]
	s_cbranch_execz .LBB204_66
; %bb.63:                               ;   in Loop: Header=BB204_6 Depth=1
	v_mov_b32_e32 v29, v15
	v_mov_b32_e32 v43, v35
	;; [unrolled: 1-line block ×3, first 2 shown]
	s_lshl_b32 s52, s49, 3
	s_mov_b64 s[70:71], 0
	s_mov_b32 s56, 0
	s_mov_b64 s[72:73], 0
	s_mov_b64 s[74:75], 0
	;; [unrolled: 1-line block ×3, first 2 shown]
.LBB204_64:                             ;   Parent Loop BB204_6 Depth=1
                                        ; =>  This Inner Loop Header: Depth=2
	ds_read_b64 v[4:5], v43
	v_add_nc_u32_e32 v43, s52, v43
	s_waitcnt lgkmcnt(0)
	v_cmp_lt_i16_e32 vcc_lo, -1, v4
	v_cmp_gt_i16_sdwa s6, v4, v40 src0_sel:WORD_1 src1_sel:DWORD
	v_cmp_lt_i16_e64 s9, -1, v5
	v_cmp_gt_i16_sdwa s11, v5, v40 src0_sel:WORD_1 src1_sel:DWORD
	v_cmp_o_f16_e64 s15, v4, v4
	v_cndmask_b32_e32 v6, 0xffff, v39, vcc_lo
	v_cndmask_b32_e64 v7, 0xffff, v39, s6
	v_cmp_o_f16_sdwa s12, v4, v4 src0_sel:WORD_1 src1_sel:WORD_1
	v_cndmask_b32_e64 v8, 0xffff, v39, s11
	v_cmp_o_f16_e64 s13, v5, v5
	v_xor_b32_sdwa v6, v6, v4 dst_sel:DWORD dst_unused:UNUSED_PAD src0_sel:DWORD src1_sel:WORD_0
	v_xor_b32_sdwa v4, v7, v4 dst_sel:DWORD dst_unused:UNUSED_PAD src0_sel:DWORD src1_sel:WORD_1
	v_cndmask_b32_e64 v7, 0xffff, v39, s9
	v_cmp_o_f16_sdwa s14, v5, v5 src0_sel:WORD_1 src1_sel:WORD_1
	v_cndmask_b32_e64 v6, 0xffff, v6, s15
	v_cndmask_b32_e64 v4, 0xffff, v4, s12
	v_xor_b32_sdwa v7, v7, v5 dst_sel:DWORD dst_unused:UNUSED_PAD src0_sel:DWORD src1_sel:WORD_0
	v_xor_b32_sdwa v5, v8, v5 dst_sel:DWORD dst_unused:UNUSED_PAD src0_sel:DWORD src1_sel:WORD_1
	v_and_b32_e32 v8, v6, v41
	v_bfe_u32 v6, v6, s91, 2
	v_cndmask_b32_e64 v7, 0xffff, v7, s13
	v_cndmask_b32_e64 v5, 0xffff, v5, s14
	v_cmp_eq_u32_e32 vcc_lo, v8, v20
	v_and_b32_e32 v8, v4, v41
	v_bfe_u32 v4, v4, s91, 2
	v_cmp_eq_u32_e64 s12, 0, v6
	v_cmp_eq_u32_e64 s13, 1, v6
	;; [unrolled: 1-line block ×8, first 2 shown]
	v_bfe_u32 v4, v7, s91, 2
	v_and_b32_e32 v8, v7, v41
	s_and_b32 s12, vcc_lo, s12
	s_and_b32 s16, s6, s16
	v_cmp_eq_u32_e64 s15, 3, v6
	v_cmp_eq_u32_e64 s20, 0, v4
	;; [unrolled: 1-line block ×5, first 2 shown]
	v_bfe_u32 v4, v5, s91, 2
	v_cmp_eq_u32_e64 s9, v8, v20
	v_and_b32_e32 v8, v5, v41
	v_cmp_eq_u32_e64 s24, 0, v4
	v_cmp_eq_u32_e64 s25, 1, v4
	;; [unrolled: 1-line block ×4, first 2 shown]
	v_cndmask_b32_e64 v4, 0, 1, s12
	v_cmp_eq_u32_e64 s11, v8, v20
	s_and_b32 s20, s9, s20
	v_cmp_ne_u32_e64 s12, 0, v4
	v_cndmask_b32_e64 v4, 0, 1, s16
	s_and_b32 s24, s11, s24
	s_bcnt1_i32_b32 s12, s12
	v_cmp_ne_u32_e64 s16, 0, v4
	v_cndmask_b32_e64 v4, 0, 1, s20
	s_bcnt1_i32_b32 s16, s16
	v_cmp_ne_u32_e64 s20, 0, v4
	v_cndmask_b32_e64 v4, 0, 1, s24
	s_add_i32 s12, s16, s12
	s_bcnt1_i32_b32 s20, s20
	v_cmp_ne_u32_e64 s24, 0, v4
	s_add_i32 s12, s12, s20
	s_bcnt1_i32_b32 s24, s24
	s_add_i32 s12, s12, s24
	s_add_u32 s76, s76, s12
	s_addc_u32 s77, s77, 0
	s_and_b32 s12, vcc_lo, s13
	s_and_b32 s13, s6, s17
	v_cndmask_b32_e64 v4, 0, 1, s12
	s_and_b32 s16, s9, s21
	s_and_b32 s17, s11, s25
	v_cmp_ne_u32_e64 s12, 0, v4
	v_cndmask_b32_e64 v4, 0, 1, s13
	s_bcnt1_i32_b32 s12, s12
	v_cmp_ne_u32_e64 s13, 0, v4
	v_cndmask_b32_e64 v4, 0, 1, s16
	s_bcnt1_i32_b32 s13, s13
	v_cmp_ne_u32_e64 s16, 0, v4
	v_cndmask_b32_e64 v4, 0, 1, s17
	s_add_i32 s12, s13, s12
	s_bcnt1_i32_b32 s16, s16
	v_cmp_ne_u32_e64 s17, 0, v4
	s_add_i32 s12, s12, s16
	s_bcnt1_i32_b32 s17, s17
	s_add_i32 s12, s12, s17
	s_add_u32 s74, s74, s12
	s_addc_u32 s75, s75, 0
	s_and_b32 s12, vcc_lo, s14
	s_and_b32 s13, s6, s18
	v_cndmask_b32_e64 v4, 0, 1, s12
	s_and_b32 s14, s9, s22
	s_and_b32 s16, s11, s26
	v_mov_b32_e32 v6, s74
	v_mov_b32_e32 v7, s75
	v_cmp_ne_u32_e64 s12, 0, v4
	v_cndmask_b32_e64 v4, 0, 1, s13
	s_bcnt1_i32_b32 s12, s12
	v_cmp_ne_u32_e64 s13, 0, v4
	v_cndmask_b32_e64 v4, 0, 1, s14
	s_bcnt1_i32_b32 s13, s13
	v_cmp_ne_u32_e64 s14, 0, v4
	v_cndmask_b32_e64 v4, 0, 1, s16
	s_add_i32 s12, s13, s12
	s_bcnt1_i32_b32 s14, s14
	v_cmp_ne_u32_e64 s16, 0, v4
	s_add_i32 s12, s12, s14
	s_bcnt1_i32_b32 s16, s16
	s_add_i32 s12, s12, s16
	s_add_u32 s72, s72, s12
	s_addc_u32 s73, s73, 0
	s_and_b32 s12, vcc_lo, s15
	s_and_b32 s6, s6, s19
	v_cndmask_b32_e64 v4, 0, 1, s12
	s_and_b32 s9, s9, s23
	s_and_b32 s11, s11, s27
	v_add_co_u32 v28, s12, v28, s46
	v_cmp_ne_u32_e32 vcc_lo, 0, v4
	v_cndmask_b32_e64 v4, 0, 1, s6
	v_add_co_ci_u32_e64 v29, null, 0, v29, s12
	v_mov_b32_e32 v8, s72
	s_bcnt1_i32_b32 s13, vcc_lo
	v_cmp_ne_u32_e64 s6, 0, v4
	v_cndmask_b32_e64 v4, 0, 1, s9
	v_cmp_le_u64_e64 s12, s[68:69], v[28:29]
	v_mov_b32_e32 v9, s73
	s_bcnt1_i32_b32 s6, s6
	v_cmp_ne_u32_e64 s9, 0, v4
	v_cndmask_b32_e64 v4, 0, 1, s11
	s_add_i32 s6, s6, s13
	s_bcnt1_i32_b32 s9, s9
	v_cmp_ne_u32_e64 s11, 0, v4
	s_add_i32 s6, s6, s9
	v_mov_b32_e32 v4, s76
	v_mov_b32_e32 v5, s77
	s_bcnt1_i32_b32 s11, s11
	s_add_i32 s6, s6, s11
	s_add_u32 s70, s70, s6
	s_addc_u32 s71, s71, 0
	v_mov_b32_e32 v10, s70
	v_mov_b32_e32 v11, s71
	s_or_b32 s56, s12, s56
	s_andn2_b32 exec_lo, exec_lo, s56
	s_cbranch_execnz .LBB204_64
; %bb.65:                               ;   in Loop: Header=BB204_6 Depth=1
	s_or_b32 exec_lo, exec_lo, s56
.LBB204_66:                             ;   in Loop: Header=BB204_6 Depth=1
	s_or_b32 exec_lo, exec_lo, s47
	v_add_co_u32 v28, s6, s68, v0
	v_and_b32_e32 v2, 0xffff, v2
	v_add_co_ci_u32_e64 v29, null, s69, 0, s6
	s_and_b32 s52, s64, 0x7fffffff
	s_mov_b32 s14, exec_lo
	v_cmpx_gt_u64_e64 s[52:53], v[28:29]
	s_cbranch_execz .LBB204_70
; %bb.67:                               ;   in Loop: Header=BB204_6 Depth=1
	v_lshl_add_u32 v43, s66, 3, v32
	s_lshl_b32 s16, s49, 1
	s_mov_b32 s15, 0
.LBB204_68:                             ;   Parent Loop BB204_6 Depth=1
                                        ; =>  This Inner Loop Header: Depth=2
	ds_read_u16 v44, v43
	v_add_co_u32 v28, vcc_lo, v28, v2
	v_add_co_ci_u32_e64 v29, null, 0, v29, vcc_lo
	v_add_nc_u32_e32 v43, s16, v43
	v_cmp_le_u64_e32 vcc_lo, s[52:53], v[28:29]
	s_waitcnt lgkmcnt(0)
	v_cmp_lt_i16_e64 s6, -1, v44
	v_cndmask_b32_e64 v45, 0xffff, v39, s6
	v_cmp_o_f16_e64 s6, v44, v44
	v_xor_b32_sdwa v45, v45, v44 dst_sel:DWORD dst_unused:UNUSED_PAD src0_sel:DWORD src1_sel:WORD_0
	v_cndmask_b32_e64 v44, 0xffff, v45, s6
	v_and_b32_e32 v45, v44, v41
	v_bfe_u32 v44, v44, s91, 2
	v_cmp_eq_u32_e64 s6, v45, v20
	v_cmp_eq_u32_e64 s9, 0, v44
	;; [unrolled: 1-line block ×5, first 2 shown]
	s_and_b32 s9, s6, s9
	v_cndmask_b32_e64 v44, 0, 1, s9
	s_and_b32 s9, s6, s11
	v_cndmask_b32_e64 v45, 0, 1, s9
	s_and_b32 s9, s6, s12
	s_and_b32 s6, s6, s13
	v_cndmask_b32_e64 v46, 0, 1, s9
	v_cndmask_b32_e64 v47, 0, 1, s6
	v_cmp_ne_u32_e64 s6, 0, v44
	v_cmp_ne_u32_e64 s9, 0, v45
	;; [unrolled: 1-line block ×4, first 2 shown]
	s_bcnt1_i32_b32 s6, s6
	s_bcnt1_i32_b32 s9, s9
	v_add_co_u32 v4, s6, v4, s6
	s_bcnt1_i32_b32 s11, s11
	v_add_co_ci_u32_e64 v5, null, 0, v5, s6
	v_add_co_u32 v6, s6, v6, s9
	s_bcnt1_i32_b32 s12, s12
	v_add_co_ci_u32_e64 v7, null, 0, v7, s6
	v_add_co_u32 v8, s6, v8, s11
	v_add_co_ci_u32_e64 v9, null, 0, v9, s6
	v_add_co_u32 v10, s6, v10, s12
	v_add_co_ci_u32_e64 v11, null, 0, v11, s6
	s_or_b32 s15, vcc_lo, s15
	s_andn2_b32 exec_lo, exec_lo, s15
	s_cbranch_execnz .LBB204_68
; %bb.69:                               ;   in Loop: Header=BB204_6 Depth=1
	s_or_b32 exec_lo, exec_lo, s15
.LBB204_70:                             ;   in Loop: Header=BB204_6 Depth=1
	s_or_b32 exec_lo, exec_lo, s14
	s_lshl_b32 s6, s95, 7
	s_and_saveexec_b32 s9, s0
	s_cbranch_execnz .LBB204_41
	s_branch .LBB204_42
.LBB204_71:                             ;   in Loop: Header=BB204_6 Depth=1
                                        ; implicit-def: $sgpr12_sgpr13
	s_branch .LBB204_50
.LBB204_72:                             ;   in Loop: Header=BB204_6 Depth=1
	s_mov_b32 s11, 0
	s_andn2_b32 vcc_lo, exec_lo, s89
	s_cbranch_vccnz .LBB204_75
.LBB204_73:                             ;   in Loop: Header=BB204_6 Depth=1
	s_lshl_b32 s12, s95, 10
	s_lshl_b32 s11, s11, 5
	v_add3_u32 v2, s12, s11, v38
	s_mov_b32 s11, s87
.LBB204_74:                             ;   Parent Loop BB204_6 Depth=1
                                        ; =>  This Inner Loop Header: Depth=2
	ds_read_b64 v[6:7], v2
	v_add_nc_u32_e32 v2, 32, v2
	s_add_i32 s11, s11, -1
	s_cmp_lg_u32 s11, 0
	s_waitcnt lgkmcnt(0)
	v_add_co_u32 v4, vcc_lo, v6, v4
	v_add_co_ci_u32_e64 v5, null, v7, v5, vcc_lo
	s_cbranch_scc1 .LBB204_74
.LBB204_75:                             ;   in Loop: Header=BB204_6 Depth=1
	v_add_lshl_u32 v2, s6, v31, 3
	ds_write_b64 v2, v[4:5] offset:3072
.LBB204_76:                             ;   in Loop: Header=BB204_6 Depth=1
	s_or_b32 exec_lo, exec_lo, s9
	s_lshl_b32 s6, s6, 3
	s_waitcnt lgkmcnt(0)
	v_mov_b32_e32 v2, s6
	s_barrier
	buffer_gl0_inv
	v_cmp_eq_u64_e64 s9, 1, v[26:27]
	s_lshl_b32 s11, 3, s91
	ds_read_b128 v[4:7], v2 offset:3072
	ds_read_b128 v[8:11], v2 offset:3088
	s_mov_b32 s67, -1
	s_not_b32 s26, s11
	s_mov_b32 s27, 0
	s_andn2_b32 vcc_lo, exec_lo, s79
	s_mov_b32 s64, 0
	s_mov_b32 s49, 0
                                        ; implicit-def: $sgpr65
                                        ; implicit-def: $sgpr66
                                        ; implicit-def: $vgpr2
	s_waitcnt lgkmcnt(1)
	v_readfirstlane_b32 s13, v5
	v_readfirstlane_b32 s12, v4
	;; [unrolled: 1-line block ×4, first 2 shown]
	s_waitcnt lgkmcnt(0)
	v_readfirstlane_b32 s17, v9
	v_readfirstlane_b32 s16, v8
	;; [unrolled: 1-line block ×4, first 2 shown]
                                        ; implicit-def: $vgpr4_vgpr5
                                        ; implicit-def: $vgpr10
                                        ; implicit-def: $vgpr11
                                        ; implicit-def: $vgpr8
	s_cbranch_vccnz .LBB204_279
; %bb.77:                               ;   in Loop: Header=BB204_6 Depth=1
	s_cmp_eq_u64 s[12:13], 1
	v_mov_b32_e32 v10, v20
	v_mov_b32_e32 v11, v41
	;; [unrolled: 1-line block ×3, first 2 shown]
	s_cselect_b32 s6, -1, 0
                                        ; implicit-def: $sgpr66
                                        ; implicit-def: $sgpr65
	s_and_b32 s69, s6, s9
	s_mov_b32 s6, -1
	s_and_saveexec_b32 s49, s69
	s_cbranch_execz .LBB204_114
; %bb.78:                               ;   in Loop: Header=BB204_6 Depth=1
	ds_read_b64 v[4:5], v3 offset:5120
	s_waitcnt lgkmcnt(0)
	s_barrier
	buffer_gl0_inv
	v_readfirstlane_b32 s20, v4
	v_readfirstlane_b32 s21, v5
	s_and_saveexec_b32 s6, s10
; %bb.79:                               ;   in Loop: Header=BB204_6 Depth=1
	ds_write_b16 v33, v3
; %bb.80:                               ;   in Loop: Header=BB204_6 Depth=1
	s_or_b32 exec_lo, exec_lo, s6
	v_and_b32_e32 v10, s26, v20
	v_or_b32_e32 v11, s11, v41
	s_mov_b32 s65, -1
	s_mov_b32 s66, 0
	s_cmp_eq_u64 s[20:21], 0
	s_mov_b32 s24, 0
	s_mov_b32 s6, -1
	s_waitcnt lgkmcnt(0)
	s_barrier
	buffer_gl0_inv
                                        ; implicit-def: $vgpr8
	s_cbranch_scc1 .LBB204_98
; %bb.81:                               ;   in Loop: Header=BB204_6 Depth=1
	s_add_u32 s6, s20, s82
	s_addc_u32 s23, s21, s83
	s_mov_b32 s22, s53
	s_cmp_lg_u64 s[22:23], 0
	s_cbranch_scc0 .LBB204_141
; %bb.82:                               ;   in Loop: Header=BB204_6 Depth=1
	v_cvt_f32_u32_e32 v2, s33
	s_sub_u32 s8, 0, s33
	s_subb_u32 s22, 0, 0
	v_fmac_f32_e64 v2, 0x4f800000, 0
	v_rcp_f32_e32 v2, v2
	v_mul_f32_e32 v2, 0x5f7ffffc, v2
	v_mul_f32_e32 v4, 0x2f800000, v2
	v_trunc_f32_e32 v4, v4
	v_fmac_f32_e32 v2, 0xcf800000, v4
	v_cvt_u32_f32_e32 v4, v4
	v_cvt_u32_f32_e32 v2, v2
	v_readfirstlane_b32 s2, v4
	v_readfirstlane_b32 s7, v2
	s_mul_i32 s24, s8, s2
	s_mul_hi_u32 s46, s8, s7
	s_mul_i32 s25, s22, s7
	s_add_i32 s24, s46, s24
	s_mul_i32 s47, s8, s7
	s_add_i32 s24, s24, s25
	s_mul_hi_u32 s46, s7, s47
	s_mul_i32 s51, s7, s24
	s_mul_hi_u32 s50, s2, s47
	s_mul_i32 s25, s2, s47
	s_mul_hi_u32 s47, s7, s24
	s_add_u32 s46, s46, s51
	s_addc_u32 s47, 0, s47
	s_mul_hi_u32 s52, s2, s24
	s_add_u32 s25, s46, s25
	s_mul_i32 s24, s2, s24
	s_addc_u32 s25, s47, s50
	s_addc_u32 s46, s52, 0
	s_add_u32 s24, s25, s24
	s_addc_u32 s25, 0, s46
	s_add_u32 s7, s7, s24
	s_cselect_b32 s24, -1, 0
	s_mul_hi_u32 s46, s8, s7
	s_cmp_lg_u32 s24, 0
	s_mul_i32 s24, s8, s7
	s_addc_u32 s2, s2, s25
	s_mul_i32 s22, s22, s7
	s_mul_i32 s8, s8, s2
	s_mul_hi_u32 s25, s7, s24
	s_add_i32 s8, s46, s8
	s_mul_hi_u32 s46, s2, s24
	s_add_i32 s8, s8, s22
	s_mul_i32 s22, s2, s24
	s_mul_i32 s50, s7, s8
	s_mul_hi_u32 s47, s7, s8
	s_add_u32 s25, s25, s50
	s_addc_u32 s47, 0, s47
	s_mul_hi_u32 s24, s2, s8
	s_add_u32 s22, s25, s22
	s_mul_i32 s8, s2, s8
	s_addc_u32 s22, s47, s46
	s_addc_u32 s24, s24, 0
	s_add_u32 s8, s22, s8
	s_addc_u32 s22, 0, s24
	s_add_u32 s7, s7, s8
	s_cselect_b32 s8, -1, 0
	s_mul_hi_u32 s24, s6, s7
	s_cmp_lg_u32 s8, 0
	s_mul_hi_u32 s8, s23, s7
	s_addc_u32 s2, s2, s22
	s_mul_i32 s7, s23, s7
	s_mul_i32 s25, s6, s2
	s_mul_hi_u32 s22, s6, s2
	s_add_u32 s24, s24, s25
	s_addc_u32 s22, 0, s22
	s_mul_hi_u32 s46, s23, s2
	s_add_u32 s7, s24, s7
	s_mul_i32 s2, s23, s2
	s_addc_u32 s7, s22, s8
	s_addc_u32 s8, s46, 0
	s_add_u32 s2, s7, s2
	s_addc_u32 s7, 0, s8
	s_mul_hi_u32 s8, s33, s2
	s_mul_i32 s7, s33, s7
	s_mul_i32 s2, s33, s2
	s_add_i32 s8, s8, s7
	s_sub_u32 s2, s6, s2
	s_cselect_b32 s7, -1, 0
	s_cmp_lg_u32 s7, 0
	s_subb_u32 s7, s23, s8
	s_sub_u32 s8, s2, s33
	s_cselect_b32 s22, -1, 0
	s_cmp_lg_u32 s22, 0
	s_subb_u32 s22, s7, 0
	;; [unrolled: 4-line block ×3, first 2 shown]
	s_cmp_ge_u32 s8, s33
	s_cselect_b32 s46, -1, 0
	s_cmp_eq_u32 s22, 0
	s_cselect_b32 s46, s46, -1
	s_cmp_lg_u32 s46, 0
	s_cselect_b32 s22, s25, s22
	s_cselect_b32 s8, s24, s8
	s_cmp_ge_u32 s2, s33
	s_cselect_b32 s24, -1, 0
	s_cmp_eq_u32 s7, 0
	s_cselect_b32 s24, s24, -1
	s_cmp_lg_u32 s24, 0
	s_cselect_b32 s25, s22, s7
	s_cselect_b32 s24, s8, s2
	s_cbranch_execnz .LBB204_84
.LBB204_83:                             ;   in Loop: Header=BB204_6 Depth=1
	v_cvt_f32_u32_e32 v2, s33
	s_sub_i32 s7, 0, s33
	v_rcp_iflag_f32_e32 v2, v2
	v_mul_f32_e32 v2, 0x4f7ffffe, v2
	v_cvt_u32_f32_e32 v2, v2
	v_readfirstlane_b32 s2, v2
	s_mul_i32 s7, s7, s2
	s_mul_hi_u32 s7, s2, s7
	s_add_i32 s2, s2, s7
	s_mul_hi_u32 s2, s6, s2
	s_mul_i32 s2, s2, s33
	s_sub_i32 s2, s6, s2
	s_sub_i32 s7, s2, s33
	s_cmp_ge_u32 s2, s33
	s_cselect_b32 s2, s7, s2
	s_sub_i32 s7, s2, s33
	s_cmp_ge_u32 s2, s33
	s_cselect_b32 s52, s7, s2
	s_mov_b64 s[24:25], s[52:53]
.LBB204_84:                             ;   in Loop: Header=BB204_6 Depth=1
	s_sub_u32 s22, s6, s24
	s_subb_u32 s23, s23, s25
	s_mov_b32 s6, 0
	s_mov_b32 s24, 0
	s_mov_b32 s25, exec_lo
                                        ; implicit-def: $vgpr8
	v_cmpx_gt_u64_e64 s[22:23], v[0:1]
	s_cbranch_execz .LBB204_97
; %bb.85:                               ;   in Loop: Header=BB204_6 Depth=1
	v_mov_b32_e32 v5, v1
	v_mov_b32_e32 v2, v32
	;; [unrolled: 1-line block ×3, first 2 shown]
                                        ; implicit-def: $sgpr46
	s_branch .LBB204_89
.LBB204_86:                             ;   in Loop: Header=BB204_89 Depth=2
	s_or_b32 exec_lo, exec_lo, s47
	s_waitcnt lgkmcnt(0)
	s_barrier
	buffer_gl0_inv
	ds_read_b32 v6, v3 offset:3072
	s_waitcnt lgkmcnt(0)
	s_barrier
	buffer_gl0_inv
	v_cmp_neq_f16_e32 vcc_lo, 0, v6
	s_cbranch_vccnz .LBB204_92
; %bb.87:                               ;   in Loop: Header=BB204_89 Depth=2
	v_add_co_u32 v4, vcc_lo, v4, s33
	v_add_co_ci_u32_e64 v5, null, 0, v5, vcc_lo
	v_add_nc_u32_e32 v2, s90, v2
	s_mov_b32 s47, 0
	v_cmp_le_u64_e32 vcc_lo, s[22:23], v[4:5]
	s_orn2_b32 s52, vcc_lo, exec_lo
.LBB204_88:                             ;   in Loop: Header=BB204_89 Depth=2
	s_and_b32 s2, exec_lo, s52
	s_or_b32 s24, s2, s24
	s_andn2_b32 s2, s46, exec_lo
	s_and_b32 s7, s47, exec_lo
	s_or_b32 s46, s2, s7
	s_andn2_b32 exec_lo, exec_lo, s24
	s_cbranch_execz .LBB204_96
.LBB204_89:                             ;   Parent Loop BB204_6 Depth=1
                                        ; =>  This Inner Loop Header: Depth=2
	s_mov_b32 s47, exec_lo
	v_cmpx_gt_u64_e64 s[20:21], v[4:5]
	s_cbranch_execz .LBB204_86
; %bb.90:                               ;   in Loop: Header=BB204_89 Depth=2
	ds_read_u16 v6, v2
	s_waitcnt lgkmcnt(0)
	v_cmp_lt_i16_e32 vcc_lo, -1, v6
	v_cndmask_b32_e32 v7, 0xffff, v39, vcc_lo
	v_cmp_o_f16_e32 vcc_lo, v6, v6
	v_xor_b32_sdwa v7, v7, v6 dst_sel:DWORD dst_unused:UNUSED_PAD src0_sel:DWORD src1_sel:WORD_0
	v_cndmask_b32_e32 v7, 0xffff, v7, vcc_lo
	v_and_b32_e32 v7, v7, v11
	v_cmp_eq_u32_e32 vcc_lo, v7, v10
	s_and_b32 exec_lo, exec_lo, vcc_lo
	s_cbranch_execz .LBB204_86
; %bb.91:                               ;   in Loop: Header=BB204_89 Depth=2
	v_perm_b32 v6, v6, s93, 0x5040100
	ds_write_b32 v3, v6 offset:3072
	s_branch .LBB204_86
.LBB204_92:                             ;   in Loop: Header=BB204_89 Depth=2
	s_mov_b32 s52, -1
	s_mov_b32 s47, -1
                                        ; implicit-def: $vgpr4_vgpr5
                                        ; implicit-def: $vgpr2
	s_branch .LBB204_88
.LBB204_93:                             ;   in Loop: Header=BB204_6 Depth=1
	s_or_b32 exec_lo, exec_lo, s13
	s_waitcnt lgkmcnt(0)
	s_barrier
	buffer_gl0_inv
	s_and_saveexec_b32 s6, s3
	s_cbranch_execz .LBB204_95
; %bb.94:                               ;   in Loop: Header=BB204_6 Depth=1
	ds_read_b32 v4, v3 offset:5144
	s_waitcnt lgkmcnt(0)
	v_ashrrev_i32_e32 v5, 31, v4
	ds_write_b64 v3, v[4:5] offset:5120
.LBB204_95:                             ;   in Loop: Header=BB204_6 Depth=1
	s_or_b32 exec_lo, exec_lo, s6
	s_waitcnt lgkmcnt(0)
	s_mov_b32 s6, -1
	s_barrier
	s_and_b32 vcc_lo, exec_lo, s11
	s_cbranch_vccnz .LBB204_21
	s_branch .LBB204_36
.LBB204_96:                             ;   in Loop: Header=BB204_6 Depth=1
	s_or_b32 exec_lo, exec_lo, s24
	v_lshrrev_b32_e32 v8, 16, v6
	s_and_b32 s24, s46, exec_lo
.LBB204_97:                             ;   in Loop: Header=BB204_6 Depth=1
	s_or_b32 exec_lo, exec_lo, s25
.LBB204_98:                             ;   in Loop: Header=BB204_6 Depth=1
	s_and_b32 vcc_lo, exec_lo, s6
	s_cbranch_vccz .LBB204_113
; %bb.99:                               ;   in Loop: Header=BB204_6 Depth=1
	s_mov_b32 s56, s53
	s_cmp_lg_u64 s[56:57], 0
	s_cbranch_scc0 .LBB204_142
; %bb.100:                              ;   in Loop: Header=BB204_6 Depth=1
	v_cvt_f32_u32_e32 v2, s33
	s_sub_u32 s7, 0, s33
	s_subb_u32 s8, 0, 0
	v_fmac_f32_e64 v2, 0x4f800000, 0
	v_rcp_f32_e32 v2, v2
	v_mul_f32_e32 v2, 0x5f7ffffc, v2
	v_mul_f32_e32 v4, 0x2f800000, v2
	v_trunc_f32_e32 v4, v4
	v_fmac_f32_e32 v2, 0xcf800000, v4
	v_cvt_u32_f32_e32 v4, v4
	v_cvt_u32_f32_e32 v2, v2
	v_readfirstlane_b32 s2, v4
	v_readfirstlane_b32 s6, v2
	s_mul_i32 s20, s7, s2
	s_mul_hi_u32 s22, s7, s6
	s_mul_i32 s21, s8, s6
	s_add_i32 s20, s22, s20
	s_mul_i32 s23, s7, s6
	s_add_i32 s20, s20, s21
	s_mul_hi_u32 s22, s6, s23
	s_mul_i32 s46, s6, s20
	s_mul_hi_u32 s25, s2, s23
	s_mul_i32 s21, s2, s23
	s_mul_hi_u32 s23, s6, s20
	s_add_u32 s22, s22, s46
	s_addc_u32 s23, 0, s23
	s_mul_hi_u32 s47, s2, s20
	s_add_u32 s21, s22, s21
	s_mul_i32 s20, s2, s20
	s_addc_u32 s21, s23, s25
	s_addc_u32 s22, s47, 0
	s_add_u32 s20, s21, s20
	s_addc_u32 s21, 0, s22
	s_add_u32 s6, s6, s20
	s_cselect_b32 s20, -1, 0
	s_mul_hi_u32 s22, s7, s6
	s_cmp_lg_u32 s20, 0
	s_mul_i32 s20, s7, s6
	s_addc_u32 s2, s2, s21
	s_mul_i32 s8, s8, s6
	s_mul_i32 s7, s7, s2
	s_mul_hi_u32 s21, s6, s20
	s_add_i32 s7, s22, s7
	s_mul_hi_u32 s22, s2, s20
	s_add_i32 s7, s7, s8
	s_mul_i32 s8, s2, s20
	s_mul_i32 s25, s6, s7
	s_mul_hi_u32 s23, s6, s7
	s_add_u32 s21, s21, s25
	s_addc_u32 s23, 0, s23
	s_mul_hi_u32 s20, s2, s7
	s_add_u32 s8, s21, s8
	s_mul_i32 s7, s2, s7
	s_addc_u32 s8, s23, s22
	s_addc_u32 s20, s20, 0
	s_add_u32 s7, s8, s7
	s_addc_u32 s8, 0, s20
	s_add_u32 s6, s6, s7
	s_cselect_b32 s7, -1, 0
	s_mul_hi_u32 s20, s84, s6
	s_cmp_lg_u32 s7, 0
	s_mul_hi_u32 s7, s57, s6
	s_addc_u32 s2, s2, s8
	s_mul_i32 s6, s57, s6
	s_mul_i32 s21, s84, s2
	s_mul_hi_u32 s8, s84, s2
	s_add_u32 s20, s20, s21
	s_addc_u32 s8, 0, s8
	s_mul_hi_u32 s22, s57, s2
	s_add_u32 s6, s20, s6
	s_mul_i32 s2, s57, s2
	s_addc_u32 s6, s8, s7
	s_addc_u32 s7, s22, 0
	s_add_u32 s2, s6, s2
	s_addc_u32 s6, 0, s7
	s_mul_hi_u32 s7, s33, s2
	s_mul_i32 s6, s33, s6
	s_mul_i32 s2, s33, s2
	s_add_i32 s7, s7, s6
	s_sub_u32 s2, s84, s2
	s_cselect_b32 s6, -1, 0
	s_cmp_lg_u32 s6, 0
	s_subb_u32 s6, s57, s7
	s_sub_u32 s7, s2, s33
	s_cselect_b32 s8, -1, 0
	s_cmp_lg_u32 s8, 0
	s_subb_u32 s8, s6, 0
	;; [unrolled: 4-line block ×3, first 2 shown]
	s_cmp_ge_u32 s7, s33
	s_cselect_b32 s22, -1, 0
	s_cmp_eq_u32 s8, 0
	s_cselect_b32 s22, s22, -1
	s_cmp_lg_u32 s22, 0
	s_cselect_b32 s8, s21, s8
	s_cselect_b32 s7, s20, s7
	s_cmp_ge_u32 s2, s33
	s_cselect_b32 s20, -1, 0
	s_cmp_eq_u32 s6, 0
	s_cselect_b32 s20, s20, -1
	s_cmp_lg_u32 s20, 0
	s_cselect_b32 s21, s8, s6
	s_cselect_b32 s20, s7, s2
	s_cbranch_execnz .LBB204_102
.LBB204_101:                            ;   in Loop: Header=BB204_6 Depth=1
	v_cvt_f32_u32_e32 v2, s33
	s_sub_i32 s6, 0, s33
	v_rcp_iflag_f32_e32 v2, v2
	v_mul_f32_e32 v2, 0x4f7ffffe, v2
	v_cvt_u32_f32_e32 v2, v2
	v_readfirstlane_b32 s2, v2
	s_mul_i32 s6, s6, s2
	s_mul_hi_u32 s6, s2, s6
	s_add_i32 s2, s2, s6
	s_mul_hi_u32 s2, s84, s2
	s_mul_i32 s2, s2, s33
	s_sub_i32 s2, s84, s2
	s_sub_i32 s6, s2, s33
	s_cmp_ge_u32 s2, s33
	s_cselect_b32 s2, s6, s2
	s_sub_i32 s6, s2, s33
	s_cmp_ge_u32 s2, s33
	s_cselect_b32 s52, s6, s2
	s_mov_b64 s[20:21], s[52:53]
.LBB204_102:                            ;   in Loop: Header=BB204_6 Depth=1
	s_sub_u32 s20, s84, s20
	s_subb_u32 s21, s57, s21
	s_mov_b32 s22, exec_lo
                                        ; implicit-def: $vgpr8
	v_cmpx_gt_u64_e64 s[20:21], v[0:1]
	s_cbranch_execz .LBB204_112
; %bb.103:                              ;   in Loop: Header=BB204_6 Depth=1
	v_mov_b32_e32 v4, v12
	v_mov_b32_e32 v7, v1
	;; [unrolled: 1-line block ×4, first 2 shown]
	s_mov_b32 s23, 0
                                        ; implicit-def: $sgpr25
	s_branch .LBB204_107
.LBB204_104:                            ;   in Loop: Header=BB204_107 Depth=2
	s_or_b32 exec_lo, exec_lo, s6
	s_waitcnt lgkmcnt(0)
	s_barrier
	buffer_gl0_inv
	ds_read_b32 v2, v3 offset:3072
	s_waitcnt lgkmcnt(0)
	s_barrier
	buffer_gl0_inv
	v_cmp_neq_f16_e32 vcc_lo, 0, v2
	s_cbranch_vccnz .LBB204_110
; %bb.105:                              ;   in Loop: Header=BB204_107 Depth=2
	v_add_co_u32 v6, vcc_lo, v6, s33
	v_add_co_ci_u32_e64 v7, null, 0, v7, vcc_lo
	v_add_co_u32 v4, s6, v4, s34
	v_add_co_ci_u32_e64 v5, null, s35, v5, s6
	v_cmp_le_u64_e32 vcc_lo, s[20:21], v[6:7]
	s_mov_b32 s6, 0
	s_orn2_b32 s46, vcc_lo, exec_lo
.LBB204_106:                            ;   in Loop: Header=BB204_107 Depth=2
	s_and_b32 s2, exec_lo, s46
	s_or_b32 s23, s2, s23
	s_andn2_b32 s2, s25, exec_lo
	s_and_b32 s6, s6, exec_lo
	s_or_b32 s25, s2, s6
	s_andn2_b32 exec_lo, exec_lo, s23
	s_cbranch_execz .LBB204_111
.LBB204_107:                            ;   Parent Loop BB204_6 Depth=1
                                        ; =>  This Inner Loop Header: Depth=2
	s_mov_b32 s6, exec_lo
	v_cmpx_gt_u64_e64 s[28:29], v[6:7]
	s_cbranch_execz .LBB204_104
; %bb.108:                              ;   in Loop: Header=BB204_107 Depth=2
	global_load_ushort v2, v[4:5], off
	s_waitcnt vmcnt(0)
	v_cmp_lt_i16_e32 vcc_lo, -1, v2
	v_cndmask_b32_e32 v8, 0xffff, v39, vcc_lo
	v_cmp_o_f16_e32 vcc_lo, v2, v2
	v_xor_b32_sdwa v8, v8, v2 dst_sel:DWORD dst_unused:UNUSED_PAD src0_sel:DWORD src1_sel:WORD_0
	v_cndmask_b32_e32 v8, 0xffff, v8, vcc_lo
	v_and_b32_e32 v8, v8, v11
	v_cmp_eq_u32_e32 vcc_lo, v8, v10
	s_and_b32 exec_lo, exec_lo, vcc_lo
	s_cbranch_execz .LBB204_104
; %bb.109:                              ;   in Loop: Header=BB204_107 Depth=2
	v_perm_b32 v2, v2, s93, 0x5040100
	ds_write_b32 v3, v2 offset:3072
	s_branch .LBB204_104
.LBB204_110:                            ;   in Loop: Header=BB204_107 Depth=2
	s_mov_b32 s46, -1
	s_mov_b32 s6, -1
                                        ; implicit-def: $vgpr6_vgpr7
                                        ; implicit-def: $vgpr4_vgpr5
	s_branch .LBB204_106
.LBB204_111:                            ;   in Loop: Header=BB204_6 Depth=1
	s_or_b32 exec_lo, exec_lo, s23
	v_lshrrev_b32_e32 v8, 16, v2
	s_andn2_b32 s2, s24, exec_lo
	s_and_b32 s6, s25, exec_lo
	s_or_b32 s24, s2, s6
.LBB204_112:                            ;   in Loop: Header=BB204_6 Depth=1
	s_or_b32 exec_lo, exec_lo, s22
	s_mov_b32 s65, 0
	s_mov_b32 s66, -1
.LBB204_113:                            ;   in Loop: Header=BB204_6 Depth=1
	s_orn2_b32 s6, s24, exec_lo
.LBB204_114:                            ;   in Loop: Header=BB204_6 Depth=1
	s_or_b32 exec_lo, exec_lo, s49
	s_mov_b32 s67, 0
	s_mov_b32 s64, 0
	;; [unrolled: 1-line block ×3, first 2 shown]
                                        ; implicit-def: $vgpr4_vgpr5
                                        ; implicit-def: $vgpr2
	s_and_saveexec_b32 s68, s6
	s_cbranch_execz .LBB204_278
; %bb.115:                              ;   in Loop: Header=BB204_6 Depth=1
	v_mov_b32_e32 v4, 1
	v_mov_b32_e32 v5, 0
	;; [unrolled: 1-line block ×3, first 2 shown]
	s_xor_b32 s2, s69, -1
	s_mov_b32 s20, 0
	s_and_saveexec_b32 s6, s2
	s_cbranch_execz .LBB204_124
; %bb.116:                              ;   in Loop: Header=BB204_6 Depth=1
	s_mov_b32 s2, exec_lo
	v_cmpx_ge_u64_e64 s[12:13], v[26:27]
	s_xor_b32 s20, exec_lo, s2
	s_cbranch_execz .LBB204_121
; %bb.117:                              ;   in Loop: Header=BB204_6 Depth=1
	ds_read_b64 v[4:5], v3 offset:5120
	v_and_b32_e32 v10, s26, v10
	v_or_b32_e32 v11, s11, v11
	s_waitcnt lgkmcnt(0)
	v_cmp_ne_u64_e32 vcc_lo, 0, v[4:5]
	s_cbranch_vccnz .LBB204_121
; %bb.118:                              ;   in Loop: Header=BB204_6 Depth=1
	s_and_saveexec_b32 s21, s3
; %bb.119:                              ;   in Loop: Header=BB204_6 Depth=1
	v_mov_b32_e32 v4, s12
	v_mov_b32_e32 v5, s13
	ds_write_b64 v3, v[4:5] offset:5128
; %bb.120:                              ;   in Loop: Header=BB204_6 Depth=1
	s_or_b32 exec_lo, exec_lo, s21
	s_waitcnt lgkmcnt(0)
	s_barrier
	buffer_gl0_inv
.LBB204_121:                            ;   in Loop: Header=BB204_6 Depth=1
	s_or_saveexec_b32 s20, s20
	v_mov_b32_e32 v4, v26
	v_mov_b32_e32 v2, 8
	;; [unrolled: 1-line block ×3, first 2 shown]
	s_mov_b32 s21, 0
	s_xor_b32 exec_lo, exec_lo, s20
; %bb.122:                              ;   in Loop: Header=BB204_6 Depth=1
	v_sub_co_u32 v4, vcc_lo, v26, s12
	v_subrev_co_ci_u32_e64 v5, null, s13, v27, vcc_lo
	v_mov_b32_e32 v2, 0
	s_mov_b32 s21, exec_lo
; %bb.123:                              ;   in Loop: Header=BB204_6 Depth=1
	s_or_b32 exec_lo, exec_lo, s20
	s_and_b32 s20, s21, exec_lo
.LBB204_124:                            ;   in Loop: Header=BB204_6 Depth=1
	s_or_b32 exec_lo, exec_lo, s6
	s_mov_b32 s6, -1
                                        ; implicit-def: $sgpr64
                                        ; implicit-def: $sgpr69
	s_and_saveexec_b32 s2, s20
	s_xor_b32 s49, exec_lo, s2
	s_cbranch_execz .LBB204_275
; %bb.125:                              ;   in Loop: Header=BB204_6 Depth=1
	v_cmp_eq_u64_e32 vcc_lo, 1, v[4:5]
	s_cmp_eq_u64 s[14:15], 1
                                        ; implicit-def: $sgpr69
                                        ; implicit-def: $sgpr64
	s_cselect_b32 s6, -1, 0
	s_and_b32 s71, s6, vcc_lo
	s_mov_b32 s6, -1
	s_and_saveexec_b32 s70, s71
	s_cbranch_execz .LBB204_161
; %bb.126:                              ;   in Loop: Header=BB204_6 Depth=1
	ds_read_b64 v[6:7], v3 offset:5120
	s_waitcnt lgkmcnt(0)
	s_barrier
	buffer_gl0_inv
	v_readfirstlane_b32 s20, v6
	v_readfirstlane_b32 s21, v7
	s_and_saveexec_b32 s6, s10
; %bb.127:                              ;   in Loop: Header=BB204_6 Depth=1
	ds_write_b16 v33, v3
; %bb.128:                              ;   in Loop: Header=BB204_6 Depth=1
	s_or_b32 exec_lo, exec_lo, s6
	s_lshl_b32 s6, 1, s91
	v_or_b32_e32 v11, s11, v11
	v_and_or_b32 v10, v10, s26, s6
	s_mov_b32 s64, -1
	s_mov_b32 s69, 0
	s_cmp_eq_u64 s[20:21], 0
	s_mov_b32 s24, 0
	s_mov_b32 s6, -1
	s_waitcnt lgkmcnt(0)
	s_barrier
	buffer_gl0_inv
                                        ; implicit-def: $vgpr8
	s_cbranch_scc1 .LBB204_145
; %bb.129:                              ;   in Loop: Header=BB204_6 Depth=1
	s_add_u32 s6, s20, s82
	s_addc_u32 s23, s21, s83
	s_mov_b32 s22, s53
	s_cmp_lg_u64 s[22:23], 0
	s_cbranch_scc0 .LBB204_188
; %bb.130:                              ;   in Loop: Header=BB204_6 Depth=1
	v_cvt_f32_u32_e32 v6, s33
	s_sub_u32 s25, 0, s33
	s_subb_u32 s46, 0, 0
	v_fmac_f32_e64 v6, 0x4f800000, 0
	v_rcp_f32_e32 v6, v6
	v_mul_f32_e32 v6, 0x5f7ffffc, v6
	v_mul_f32_e32 v7, 0x2f800000, v6
	v_trunc_f32_e32 v7, v7
	v_fmac_f32_e32 v6, 0xcf800000, v7
	v_cvt_u32_f32_e32 v7, v7
	v_cvt_u32_f32_e32 v6, v6
	v_readfirstlane_b32 s22, v7
	v_readfirstlane_b32 s24, v6
	s_mul_i32 s47, s25, s22
	s_mul_hi_u32 s56, s25, s24
	s_mul_i32 s52, s46, s24
	s_add_i32 s47, s56, s47
	s_mul_i32 s72, s25, s24
	s_add_i32 s47, s47, s52
	s_mul_hi_u32 s56, s24, s72
	s_mul_i32 s74, s24, s47
	s_mul_hi_u32 s73, s22, s72
	s_mul_i32 s52, s22, s72
	s_mul_hi_u32 s72, s24, s47
	s_add_u32 s56, s56, s74
	s_addc_u32 s72, 0, s72
	s_mul_hi_u32 s75, s22, s47
	s_add_u32 s52, s56, s52
	s_mul_i32 s47, s22, s47
	s_addc_u32 s52, s72, s73
	s_addc_u32 s56, s75, 0
	s_add_u32 s47, s52, s47
	s_addc_u32 s52, 0, s56
	s_add_u32 s24, s24, s47
	s_cselect_b32 s47, -1, 0
	s_mul_hi_u32 s56, s25, s24
	s_cmp_lg_u32 s47, 0
	s_mul_i32 s47, s25, s24
	s_addc_u32 s22, s22, s52
	s_mul_i32 s46, s46, s24
	s_mul_i32 s25, s25, s22
	s_mul_hi_u32 s52, s24, s47
	s_add_i32 s25, s56, s25
	s_mul_hi_u32 s56, s22, s47
	s_add_i32 s25, s25, s46
	s_mul_i32 s46, s22, s47
	s_mul_i32 s73, s24, s25
	s_mul_hi_u32 s72, s24, s25
	s_add_u32 s52, s52, s73
	s_addc_u32 s72, 0, s72
	s_mul_hi_u32 s47, s22, s25
	s_add_u32 s46, s52, s46
	s_mul_i32 s25, s22, s25
	s_addc_u32 s46, s72, s56
	s_addc_u32 s47, s47, 0
	s_add_u32 s25, s46, s25
	s_addc_u32 s46, 0, s47
	s_add_u32 s24, s24, s25
	s_cselect_b32 s25, -1, 0
	s_mul_hi_u32 s47, s6, s24
	s_cmp_lg_u32 s25, 0
	s_mul_hi_u32 s25, s23, s24
	s_addc_u32 s22, s22, s46
	s_mul_i32 s24, s23, s24
	s_mul_i32 s52, s6, s22
	s_mul_hi_u32 s46, s6, s22
	s_add_u32 s47, s47, s52
	s_addc_u32 s46, 0, s46
	s_mul_hi_u32 s56, s23, s22
	s_add_u32 s24, s47, s24
	s_mul_i32 s22, s23, s22
	s_addc_u32 s24, s46, s25
	s_addc_u32 s25, s56, 0
	s_add_u32 s22, s24, s22
	s_addc_u32 s24, 0, s25
	s_mul_hi_u32 s25, s33, s22
	s_mul_i32 s24, s33, s24
	s_mul_i32 s22, s33, s22
	s_add_i32 s25, s25, s24
	s_sub_u32 s22, s6, s22
	s_cselect_b32 s24, -1, 0
	s_cmp_lg_u32 s24, 0
	s_subb_u32 s24, s23, s25
	s_sub_u32 s25, s22, s33
	s_cselect_b32 s46, -1, 0
	s_cmp_lg_u32 s46, 0
	s_subb_u32 s46, s24, 0
	;; [unrolled: 4-line block ×3, first 2 shown]
	s_cmp_ge_u32 s25, s33
	s_cselect_b32 s56, -1, 0
	s_cmp_eq_u32 s46, 0
	s_cselect_b32 s56, s56, -1
	s_cmp_lg_u32 s56, 0
	s_cselect_b32 s46, s52, s46
	s_cselect_b32 s47, s47, s25
	s_cmp_ge_u32 s22, s33
	s_cselect_b32 s25, -1, 0
	s_cmp_eq_u32 s24, 0
	s_cselect_b32 s25, s25, -1
	s_cmp_lg_u32 s25, 0
	s_cselect_b32 s25, s46, s24
	s_cselect_b32 s24, s47, s22
	s_cbranch_execnz .LBB204_132
.LBB204_131:                            ;   in Loop: Header=BB204_6 Depth=1
	v_cvt_f32_u32_e32 v6, s33
	s_sub_i32 s24, 0, s33
	v_rcp_iflag_f32_e32 v6, v6
	v_mul_f32_e32 v6, 0x4f7ffffe, v6
	v_cvt_u32_f32_e32 v6, v6
	v_readfirstlane_b32 s22, v6
	s_mul_i32 s24, s24, s22
	s_mul_hi_u32 s24, s22, s24
	s_add_i32 s22, s22, s24
	s_mul_hi_u32 s22, s6, s22
	s_mul_i32 s22, s22, s33
	s_sub_i32 s22, s6, s22
	s_sub_i32 s24, s22, s33
	s_cmp_ge_u32 s22, s33
	s_cselect_b32 s22, s24, s22
	s_sub_i32 s24, s22, s33
	s_cmp_ge_u32 s22, s33
	s_cselect_b32 s52, s24, s22
	s_mov_b64 s[24:25], s[52:53]
.LBB204_132:                            ;   in Loop: Header=BB204_6 Depth=1
	s_sub_u32 s22, s6, s24
	s_subb_u32 s23, s23, s25
	s_mov_b32 s6, 0
	s_mov_b32 s24, 0
	s_mov_b32 s25, exec_lo
                                        ; implicit-def: $vgpr8
	v_cmpx_gt_u64_e64 s[22:23], v[0:1]
	s_cbranch_execz .LBB204_144
; %bb.133:                              ;   in Loop: Header=BB204_6 Depth=1
	v_mov_b32_e32 v7, v1
	v_mov_b32_e32 v8, v32
	;; [unrolled: 1-line block ×3, first 2 shown]
                                        ; implicit-def: $sgpr46
	s_branch .LBB204_137
.LBB204_134:                            ;   in Loop: Header=BB204_137 Depth=2
	s_or_b32 exec_lo, exec_lo, s47
	s_waitcnt lgkmcnt(0)
	s_barrier
	buffer_gl0_inv
	ds_read_b32 v9, v3 offset:3072
	s_waitcnt lgkmcnt(0)
	s_barrier
	buffer_gl0_inv
	v_cmp_neq_f16_e32 vcc_lo, 0, v9
	s_cbranch_vccnz .LBB204_140
; %bb.135:                              ;   in Loop: Header=BB204_137 Depth=2
	v_add_co_u32 v6, vcc_lo, v6, s33
	v_add_co_ci_u32_e64 v7, null, 0, v7, vcc_lo
	v_add_nc_u32_e32 v8, s90, v8
	s_mov_b32 s47, 0
	v_cmp_le_u64_e32 vcc_lo, s[22:23], v[6:7]
	s_orn2_b32 s52, vcc_lo, exec_lo
.LBB204_136:                            ;   in Loop: Header=BB204_137 Depth=2
	s_and_b32 s2, exec_lo, s52
	s_or_b32 s24, s2, s24
	s_andn2_b32 s2, s46, exec_lo
	s_and_b32 s7, s47, exec_lo
	s_or_b32 s46, s2, s7
	s_andn2_b32 exec_lo, exec_lo, s24
	s_cbranch_execz .LBB204_143
.LBB204_137:                            ;   Parent Loop BB204_6 Depth=1
                                        ; =>  This Inner Loop Header: Depth=2
	s_mov_b32 s47, exec_lo
	v_cmpx_gt_u64_e64 s[20:21], v[6:7]
	s_cbranch_execz .LBB204_134
; %bb.138:                              ;   in Loop: Header=BB204_137 Depth=2
	ds_read_u16 v9, v8
	s_waitcnt lgkmcnt(0)
	v_cmp_lt_i16_e32 vcc_lo, -1, v9
	v_cndmask_b32_e32 v28, 0xffff, v39, vcc_lo
	v_cmp_o_f16_e32 vcc_lo, v9, v9
	v_xor_b32_sdwa v28, v28, v9 dst_sel:DWORD dst_unused:UNUSED_PAD src0_sel:DWORD src1_sel:WORD_0
	v_cndmask_b32_e32 v28, 0xffff, v28, vcc_lo
	v_and_b32_e32 v28, v28, v11
	v_cmp_eq_u32_e32 vcc_lo, v28, v10
	s_and_b32 exec_lo, exec_lo, vcc_lo
	s_cbranch_execz .LBB204_134
; %bb.139:                              ;   in Loop: Header=BB204_137 Depth=2
	v_perm_b32 v9, v9, s93, 0x5040100
	ds_write_b32 v3, v9 offset:3072
	s_branch .LBB204_134
.LBB204_140:                            ;   in Loop: Header=BB204_137 Depth=2
	s_mov_b32 s52, -1
	s_mov_b32 s47, -1
                                        ; implicit-def: $vgpr6_vgpr7
                                        ; implicit-def: $vgpr8
	s_branch .LBB204_136
.LBB204_141:                            ;   in Loop: Header=BB204_6 Depth=1
                                        ; implicit-def: $sgpr24_sgpr25
	s_branch .LBB204_83
.LBB204_142:                            ;   in Loop: Header=BB204_6 Depth=1
                                        ; implicit-def: $sgpr20_sgpr21
	s_branch .LBB204_101
.LBB204_143:                            ;   in Loop: Header=BB204_6 Depth=1
	s_or_b32 exec_lo, exec_lo, s24
	v_lshrrev_b32_e32 v8, 16, v9
	s_and_b32 s24, s46, exec_lo
.LBB204_144:                            ;   in Loop: Header=BB204_6 Depth=1
	s_or_b32 exec_lo, exec_lo, s25
.LBB204_145:                            ;   in Loop: Header=BB204_6 Depth=1
	s_and_b32 vcc_lo, exec_lo, s6
	s_cbranch_vccz .LBB204_160
; %bb.146:                              ;   in Loop: Header=BB204_6 Depth=1
	s_mov_b32 s56, s53
	s_cmp_lg_u64 s[56:57], 0
	s_cbranch_scc0 .LBB204_189
; %bb.147:                              ;   in Loop: Header=BB204_6 Depth=1
	v_cvt_f32_u32_e32 v6, s33
	s_sub_u32 s21, 0, s33
	s_subb_u32 s22, 0, 0
	v_fmac_f32_e64 v6, 0x4f800000, 0
	v_rcp_f32_e32 v6, v6
	v_mul_f32_e32 v6, 0x5f7ffffc, v6
	v_mul_f32_e32 v7, 0x2f800000, v6
	v_trunc_f32_e32 v7, v7
	v_fmac_f32_e32 v6, 0xcf800000, v7
	v_cvt_u32_f32_e32 v7, v7
	v_cvt_u32_f32_e32 v6, v6
	v_readfirstlane_b32 s6, v7
	v_readfirstlane_b32 s20, v6
	s_mul_i32 s23, s21, s6
	s_mul_hi_u32 s46, s21, s20
	s_mul_i32 s25, s22, s20
	s_add_i32 s23, s46, s23
	s_mul_i32 s47, s21, s20
	s_add_i32 s23, s23, s25
	s_mul_hi_u32 s46, s20, s47
	s_mul_i32 s56, s20, s23
	s_mul_hi_u32 s52, s6, s47
	s_mul_i32 s25, s6, s47
	s_mul_hi_u32 s47, s20, s23
	s_add_u32 s46, s46, s56
	s_addc_u32 s47, 0, s47
	s_mul_hi_u32 s64, s6, s23
	s_add_u32 s25, s46, s25
	s_mul_i32 s23, s6, s23
	s_addc_u32 s25, s47, s52
	s_addc_u32 s46, s64, 0
	s_add_u32 s23, s25, s23
	s_addc_u32 s25, 0, s46
	s_add_u32 s20, s20, s23
	s_cselect_b32 s23, -1, 0
	s_mul_hi_u32 s46, s21, s20
	s_cmp_lg_u32 s23, 0
	s_mul_i32 s23, s21, s20
	s_addc_u32 s6, s6, s25
	s_mul_i32 s22, s22, s20
	s_mul_i32 s21, s21, s6
	s_mul_hi_u32 s25, s20, s23
	s_add_i32 s21, s46, s21
	s_mul_hi_u32 s46, s6, s23
	s_add_i32 s21, s21, s22
	s_mul_i32 s22, s6, s23
	s_mul_i32 s52, s20, s21
	s_mul_hi_u32 s47, s20, s21
	s_add_u32 s25, s25, s52
	s_addc_u32 s47, 0, s47
	s_mul_hi_u32 s23, s6, s21
	s_add_u32 s22, s25, s22
	s_mul_i32 s21, s6, s21
	s_addc_u32 s22, s47, s46
	s_addc_u32 s23, s23, 0
	s_add_u32 s21, s22, s21
	s_addc_u32 s22, 0, s23
	s_add_u32 s20, s20, s21
	s_cselect_b32 s21, -1, 0
	s_mul_hi_u32 s23, s84, s20
	s_cmp_lg_u32 s21, 0
	s_mul_hi_u32 s21, s57, s20
	s_addc_u32 s6, s6, s22
	s_mul_i32 s20, s57, s20
	s_mul_i32 s25, s84, s6
	s_mul_hi_u32 s22, s84, s6
	s_add_u32 s23, s23, s25
	s_addc_u32 s22, 0, s22
	s_mul_hi_u32 s46, s57, s6
	s_add_u32 s20, s23, s20
	s_mul_i32 s6, s57, s6
	s_addc_u32 s20, s22, s21
	s_addc_u32 s21, s46, 0
	s_add_u32 s6, s20, s6
	s_addc_u32 s20, 0, s21
	s_mul_hi_u32 s21, s33, s6
	s_mul_i32 s20, s33, s20
	s_mul_i32 s6, s33, s6
	s_add_i32 s21, s21, s20
	s_sub_u32 s6, s84, s6
	s_cselect_b32 s20, -1, 0
	s_cmp_lg_u32 s20, 0
	s_subb_u32 s20, s57, s21
	s_sub_u32 s21, s6, s33
	s_cselect_b32 s22, -1, 0
	s_cmp_lg_u32 s22, 0
	s_subb_u32 s22, s20, 0
	;; [unrolled: 4-line block ×3, first 2 shown]
	s_cmp_ge_u32 s21, s33
	s_cselect_b32 s46, -1, 0
	s_cmp_eq_u32 s22, 0
	s_cselect_b32 s46, s46, -1
	s_cmp_lg_u32 s46, 0
	s_cselect_b32 s22, s25, s22
	s_cselect_b32 s23, s23, s21
	s_cmp_ge_u32 s6, s33
	s_cselect_b32 s21, -1, 0
	s_cmp_eq_u32 s20, 0
	s_cselect_b32 s21, s21, -1
	s_cmp_lg_u32 s21, 0
	s_cselect_b32 s21, s22, s20
	s_cselect_b32 s20, s23, s6
	s_cbranch_execnz .LBB204_149
.LBB204_148:                            ;   in Loop: Header=BB204_6 Depth=1
	v_cvt_f32_u32_e32 v6, s33
	s_sub_i32 s20, 0, s33
	v_rcp_iflag_f32_e32 v6, v6
	v_mul_f32_e32 v6, 0x4f7ffffe, v6
	v_cvt_u32_f32_e32 v6, v6
	v_readfirstlane_b32 s6, v6
	s_mul_i32 s20, s20, s6
	s_mul_hi_u32 s20, s6, s20
	s_add_i32 s6, s6, s20
	s_mul_hi_u32 s6, s84, s6
	s_mul_i32 s6, s6, s33
	s_sub_i32 s6, s84, s6
	s_sub_i32 s20, s6, s33
	s_cmp_ge_u32 s6, s33
	s_cselect_b32 s6, s20, s6
	s_sub_i32 s20, s6, s33
	s_cmp_ge_u32 s6, s33
	s_cselect_b32 s52, s20, s6
	s_mov_b64 s[20:21], s[52:53]
.LBB204_149:                            ;   in Loop: Header=BB204_6 Depth=1
	s_sub_u32 s20, s84, s20
	s_subb_u32 s21, s57, s21
	s_mov_b32 s22, exec_lo
                                        ; implicit-def: $vgpr8
	v_cmpx_gt_u64_e64 s[20:21], v[0:1]
	s_cbranch_execz .LBB204_159
; %bb.150:                              ;   in Loop: Header=BB204_6 Depth=1
	v_mov_b32_e32 v6, v12
	v_mov_b32_e32 v9, v1
	;; [unrolled: 1-line block ×4, first 2 shown]
	s_mov_b32 s23, 0
                                        ; implicit-def: $sgpr25
	s_branch .LBB204_154
.LBB204_151:                            ;   in Loop: Header=BB204_154 Depth=2
	s_or_b32 exec_lo, exec_lo, s6
	s_waitcnt lgkmcnt(0)
	s_barrier
	buffer_gl0_inv
	ds_read_b32 v28, v3 offset:3072
	s_waitcnt lgkmcnt(0)
	s_barrier
	buffer_gl0_inv
	v_cmp_eq_f16_e32 vcc_lo, 0, v28
	s_cbranch_vccz .LBB204_157
; %bb.152:                              ;   in Loop: Header=BB204_154 Depth=2
	v_add_co_u32 v8, vcc_lo, v8, s33
	v_add_co_ci_u32_e64 v9, null, 0, v9, vcc_lo
	v_add_co_u32 v6, s6, v6, s34
	v_add_co_ci_u32_e64 v7, null, s35, v7, s6
	v_cmp_le_u64_e32 vcc_lo, s[20:21], v[8:9]
	s_mov_b32 s6, 0
	s_orn2_b32 s46, vcc_lo, exec_lo
.LBB204_153:                            ;   in Loop: Header=BB204_154 Depth=2
	s_and_b32 s2, exec_lo, s46
	s_or_b32 s23, s2, s23
	s_andn2_b32 s2, s25, exec_lo
	s_and_b32 s6, s6, exec_lo
	s_or_b32 s25, s2, s6
	s_andn2_b32 exec_lo, exec_lo, s23
	s_cbranch_execz .LBB204_158
.LBB204_154:                            ;   Parent Loop BB204_6 Depth=1
                                        ; =>  This Inner Loop Header: Depth=2
	s_mov_b32 s6, exec_lo
	v_cmpx_gt_u64_e64 s[28:29], v[8:9]
	s_cbranch_execz .LBB204_151
; %bb.155:                              ;   in Loop: Header=BB204_154 Depth=2
	global_load_ushort v28, v[6:7], off
	s_waitcnt vmcnt(0)
	v_cmp_lt_i16_e32 vcc_lo, -1, v28
	v_cndmask_b32_e32 v29, 0xffff, v39, vcc_lo
	v_cmp_o_f16_e32 vcc_lo, v28, v28
	v_xor_b32_sdwa v29, v29, v28 dst_sel:DWORD dst_unused:UNUSED_PAD src0_sel:DWORD src1_sel:WORD_0
	v_cndmask_b32_e32 v29, 0xffff, v29, vcc_lo
	v_and_b32_e32 v29, v29, v11
	v_cmp_eq_u32_e32 vcc_lo, v29, v10
	s_and_b32 exec_lo, exec_lo, vcc_lo
	s_cbranch_execz .LBB204_151
; %bb.156:                              ;   in Loop: Header=BB204_154 Depth=2
	v_perm_b32 v28, v28, s93, 0x5040100
	ds_write_b32 v3, v28 offset:3072
	s_branch .LBB204_151
.LBB204_157:                            ;   in Loop: Header=BB204_154 Depth=2
	s_mov_b32 s46, -1
	s_mov_b32 s6, -1
                                        ; implicit-def: $vgpr8_vgpr9
                                        ; implicit-def: $vgpr6_vgpr7
	s_branch .LBB204_153
.LBB204_158:                            ;   in Loop: Header=BB204_6 Depth=1
	s_or_b32 exec_lo, exec_lo, s23
	v_lshrrev_b32_e32 v8, 16, v28
	s_andn2_b32 s2, s24, exec_lo
	s_and_b32 s6, s25, exec_lo
	s_or_b32 s24, s2, s6
.LBB204_159:                            ;   in Loop: Header=BB204_6 Depth=1
	s_or_b32 exec_lo, exec_lo, s22
	s_mov_b32 s64, 0
	s_mov_b32 s69, -1
.LBB204_160:                            ;   in Loop: Header=BB204_6 Depth=1
	s_orn2_b32 s6, s24, exec_lo
.LBB204_161:                            ;   in Loop: Header=BB204_6 Depth=1
	s_or_b32 exec_lo, exec_lo, s70
	s_mov_b32 s20, 0
	s_and_saveexec_b32 s70, s6
	s_cbranch_execz .LBB204_274
; %bb.162:                              ;   in Loop: Header=BB204_6 Depth=1
	v_mov_b32_e32 v6, 1
	v_mov_b32_e32 v7, 0
	;; [unrolled: 1-line block ×3, first 2 shown]
	s_xor_b32 s21, s71, -1
	s_and_saveexec_b32 s6, s21
	s_cbranch_execz .LBB204_171
; %bb.163:                              ;   in Loop: Header=BB204_6 Depth=1
	s_mov_b32 s20, exec_lo
	v_cmpx_ge_u64_e64 s[14:15], v[4:5]
	s_xor_b32 s20, exec_lo, s20
	s_cbranch_execz .LBB204_168
; %bb.164:                              ;   in Loop: Header=BB204_6 Depth=1
	ds_read_b64 v[6:7], v3 offset:5120
	s_lshl_b32 s21, 1, s91
	v_or_b32_e32 v11, s11, v11
	v_and_or_b32 v10, v10, s26, s21
	s_waitcnt lgkmcnt(0)
	v_cmp_ne_u64_e32 vcc_lo, 0, v[6:7]
	s_cbranch_vccnz .LBB204_168
; %bb.165:                              ;   in Loop: Header=BB204_6 Depth=1
	s_and_saveexec_b32 s21, s3
; %bb.166:                              ;   in Loop: Header=BB204_6 Depth=1
	v_mov_b32_e32 v6, s14
	v_mov_b32_e32 v7, s15
	ds_write_b64 v3, v[6:7] offset:5128
; %bb.167:                              ;   in Loop: Header=BB204_6 Depth=1
	s_or_b32 exec_lo, exec_lo, s21
	s_waitcnt lgkmcnt(0)
	s_barrier
	buffer_gl0_inv
.LBB204_168:                            ;   in Loop: Header=BB204_6 Depth=1
	s_or_saveexec_b32 s20, s20
	v_mov_b32_e32 v2, 8
	s_mov_b32 s21, 0
	s_xor_b32 exec_lo, exec_lo, s20
; %bb.169:                              ;   in Loop: Header=BB204_6 Depth=1
	v_sub_co_u32 v4, vcc_lo, v4, s14
	v_subrev_co_ci_u32_e64 v5, null, s15, v5, vcc_lo
	v_mov_b32_e32 v2, 0
	s_mov_b32 s21, exec_lo
; %bb.170:                              ;   in Loop: Header=BB204_6 Depth=1
	s_or_b32 exec_lo, exec_lo, s20
	v_mov_b32_e32 v7, v5
	v_mov_b32_e32 v6, v4
	s_and_b32 s20, s21, exec_lo
.LBB204_171:                            ;   in Loop: Header=BB204_6 Depth=1
	s_or_b32 exec_lo, exec_lo, s6
	s_mov_b32 s6, -1
                                        ; implicit-def: $sgpr72
                                        ; implicit-def: $sgpr73
	s_and_saveexec_b32 s71, s20
	s_cbranch_execz .LBB204_273
; %bb.172:                              ;   in Loop: Header=BB204_6 Depth=1
	v_cmp_eq_u64_e32 vcc_lo, 1, v[6:7]
	s_cmp_eq_u64 s[16:17], 1
                                        ; implicit-def: $sgpr73
                                        ; implicit-def: $sgpr72
	s_cselect_b32 s6, -1, 0
	s_and_b32 s75, s6, vcc_lo
	s_mov_b32 s6, -1
	s_and_saveexec_b32 s74, s75
	s_cbranch_execz .LBB204_208
; %bb.173:                              ;   in Loop: Header=BB204_6 Depth=1
	ds_read_b64 v[4:5], v3 offset:5120
	s_waitcnt lgkmcnt(0)
	s_barrier
	buffer_gl0_inv
	v_readfirstlane_b32 s20, v4
	v_readfirstlane_b32 s21, v5
	s_and_saveexec_b32 s6, s10
; %bb.174:                              ;   in Loop: Header=BB204_6 Depth=1
	ds_write_b16 v33, v3
; %bb.175:                              ;   in Loop: Header=BB204_6 Depth=1
	s_or_b32 exec_lo, exec_lo, s6
	s_lshl_b32 s6, 2, s91
	v_or_b32_e32 v11, s11, v11
	v_and_or_b32 v10, v10, s26, s6
	s_mov_b32 s72, -1
	s_mov_b32 s73, 0
	s_cmp_eq_u64 s[20:21], 0
	s_mov_b32 s24, 0
	s_mov_b32 s6, -1
	s_waitcnt lgkmcnt(0)
	s_barrier
	buffer_gl0_inv
                                        ; implicit-def: $vgpr8
	s_cbranch_scc1 .LBB204_192
; %bb.176:                              ;   in Loop: Header=BB204_6 Depth=1
	s_add_u32 s6, s20, s82
	s_addc_u32 s23, s21, s83
	s_mov_b32 s22, s53
	s_cmp_lg_u64 s[22:23], 0
	s_cbranch_scc0 .LBB204_225
; %bb.177:                              ;   in Loop: Header=BB204_6 Depth=1
	v_cvt_f32_u32_e32 v4, s33
	s_sub_u32 s25, 0, s33
	s_subb_u32 s46, 0, 0
	v_fmac_f32_e64 v4, 0x4f800000, 0
	v_rcp_f32_e32 v4, v4
	v_mul_f32_e32 v4, 0x5f7ffffc, v4
	v_mul_f32_e32 v5, 0x2f800000, v4
	v_trunc_f32_e32 v5, v5
	v_fmac_f32_e32 v4, 0xcf800000, v5
	v_cvt_u32_f32_e32 v5, v5
	v_cvt_u32_f32_e32 v4, v4
	v_readfirstlane_b32 s22, v5
	v_readfirstlane_b32 s24, v4
	s_mul_i32 s47, s25, s22
	s_mul_hi_u32 s56, s25, s24
	s_mul_i32 s52, s46, s24
	s_add_i32 s47, s56, s47
	s_mul_i32 s76, s25, s24
	s_add_i32 s47, s47, s52
	s_mul_hi_u32 s56, s24, s76
	s_mul_i32 vcc_lo, s24, s47
	s_mul_hi_u32 s77, s22, s76
	s_mul_i32 s52, s22, s76
	s_mul_hi_u32 s76, s24, s47
	s_add_u32 s51, s56, vcc_lo
	s_addc_u32 s56, 0, s76
	s_mul_hi_u32 s50, s22, s47
	s_add_u32 s51, s51, s52
	s_mul_i32 s47, s22, s47
	s_addc_u32 s51, s56, s77
	s_addc_u32 s50, s50, 0
	s_add_u32 s47, s51, s47
	s_addc_u32 s50, 0, s50
	s_add_u32 s24, s24, s47
	s_cselect_b32 s47, -1, 0
	s_mul_hi_u32 s51, s25, s24
	s_cmp_lg_u32 s47, 0
	s_mul_i32 s47, s25, s24
	s_addc_u32 s22, s22, s50
	s_mul_i32 s46, s46, s24
	s_mul_i32 s25, s25, s22
	s_mul_hi_u32 s50, s24, s47
	s_add_i32 s25, s51, s25
	s_mul_hi_u32 s51, s22, s47
	s_add_i32 s25, s25, s46
	s_mul_i32 s46, s22, s47
	s_mul_i32 s56, s24, s25
	s_mul_hi_u32 s52, s24, s25
	s_add_u32 s50, s50, s56
	s_addc_u32 s52, 0, s52
	s_mul_hi_u32 s47, s22, s25
	s_add_u32 s46, s50, s46
	s_mul_i32 s25, s22, s25
	s_addc_u32 s46, s52, s51
	s_addc_u32 s47, s47, 0
	s_add_u32 s25, s46, s25
	s_addc_u32 s46, 0, s47
	s_add_u32 s24, s24, s25
	s_cselect_b32 s25, -1, 0
	s_mul_hi_u32 s47, s6, s24
	s_cmp_lg_u32 s25, 0
	s_mul_hi_u32 s25, s23, s24
	s_addc_u32 s22, s22, s46
	s_mul_i32 s24, s23, s24
	s_mul_i32 s50, s6, s22
	s_mul_hi_u32 s46, s6, s22
	s_add_u32 s47, s47, s50
	s_addc_u32 s46, 0, s46
	s_mul_hi_u32 s51, s23, s22
	s_add_u32 s24, s47, s24
	s_mul_i32 s22, s23, s22
	s_addc_u32 s24, s46, s25
	s_addc_u32 s25, s51, 0
	s_add_u32 s22, s24, s22
	s_addc_u32 s24, 0, s25
	s_mul_hi_u32 s25, s33, s22
	s_mul_i32 s24, s33, s24
	s_mul_i32 s22, s33, s22
	s_add_i32 s25, s25, s24
	s_sub_u32 s22, s6, s22
	s_cselect_b32 s24, -1, 0
	s_cmp_lg_u32 s24, 0
	s_subb_u32 s24, s23, s25
	s_sub_u32 s25, s22, s33
	s_cselect_b32 s46, -1, 0
	s_cmp_lg_u32 s46, 0
	s_subb_u32 s46, s24, 0
	;; [unrolled: 4-line block ×3, first 2 shown]
	s_cmp_ge_u32 s25, s33
	s_cselect_b32 s51, -1, 0
	s_cmp_eq_u32 s46, 0
	s_cselect_b32 s51, s51, -1
	s_cmp_lg_u32 s51, 0
	s_cselect_b32 s46, s50, s46
	s_cselect_b32 s47, s47, s25
	s_cmp_ge_u32 s22, s33
	s_cselect_b32 s25, -1, 0
	s_cmp_eq_u32 s24, 0
	s_cselect_b32 s25, s25, -1
	s_cmp_lg_u32 s25, 0
	s_cselect_b32 s25, s46, s24
	s_cselect_b32 s24, s47, s22
	s_cbranch_execnz .LBB204_179
.LBB204_178:                            ;   in Loop: Header=BB204_6 Depth=1
	v_cvt_f32_u32_e32 v4, s33
	s_sub_i32 s24, 0, s33
	v_rcp_iflag_f32_e32 v4, v4
	v_mul_f32_e32 v4, 0x4f7ffffe, v4
	v_cvt_u32_f32_e32 v4, v4
	v_readfirstlane_b32 s22, v4
	s_mul_i32 s24, s24, s22
	s_mul_hi_u32 s24, s22, s24
	s_add_i32 s22, s22, s24
	s_mul_hi_u32 s22, s6, s22
	s_mul_i32 s22, s22, s33
	s_sub_i32 s22, s6, s22
	s_sub_i32 s24, s22, s33
	s_cmp_ge_u32 s22, s33
	s_cselect_b32 s22, s24, s22
	s_sub_i32 s24, s22, s33
	s_cmp_ge_u32 s22, s33
	s_cselect_b32 s52, s24, s22
	s_mov_b64 s[24:25], s[52:53]
.LBB204_179:                            ;   in Loop: Header=BB204_6 Depth=1
	s_sub_u32 s22, s6, s24
	s_subb_u32 s23, s23, s25
	s_mov_b32 s6, 0
	s_mov_b32 s24, 0
	s_mov_b32 s25, exec_lo
                                        ; implicit-def: $vgpr8
	v_cmpx_gt_u64_e64 s[22:23], v[0:1]
	s_cbranch_execz .LBB204_191
; %bb.180:                              ;   in Loop: Header=BB204_6 Depth=1
	v_mov_b32_e32 v5, v1
	v_mov_b32_e32 v8, v32
	;; [unrolled: 1-line block ×3, first 2 shown]
                                        ; implicit-def: $sgpr46
	s_branch .LBB204_184
.LBB204_181:                            ;   in Loop: Header=BB204_184 Depth=2
	s_or_b32 exec_lo, exec_lo, s47
	s_waitcnt lgkmcnt(0)
	s_barrier
	buffer_gl0_inv
	ds_read_b32 v9, v3 offset:3072
	s_waitcnt lgkmcnt(0)
	s_barrier
	buffer_gl0_inv
	v_cmp_neq_f16_e32 vcc_lo, 0, v9
	s_cbranch_vccnz .LBB204_187
; %bb.182:                              ;   in Loop: Header=BB204_184 Depth=2
	v_add_co_u32 v4, vcc_lo, v4, s33
	v_add_co_ci_u32_e64 v5, null, 0, v5, vcc_lo
	v_add_nc_u32_e32 v8, s90, v8
	s_mov_b32 s47, 0
	v_cmp_le_u64_e32 vcc_lo, s[22:23], v[4:5]
	s_orn2_b32 s52, vcc_lo, exec_lo
.LBB204_183:                            ;   in Loop: Header=BB204_184 Depth=2
	s_and_b32 s2, exec_lo, s52
	s_or_b32 s24, s2, s24
	s_andn2_b32 s2, s46, exec_lo
	s_and_b32 s7, s47, exec_lo
	s_or_b32 s46, s2, s7
	s_andn2_b32 exec_lo, exec_lo, s24
	s_cbranch_execz .LBB204_190
.LBB204_184:                            ;   Parent Loop BB204_6 Depth=1
                                        ; =>  This Inner Loop Header: Depth=2
	s_mov_b32 s47, exec_lo
	v_cmpx_gt_u64_e64 s[20:21], v[4:5]
	s_cbranch_execz .LBB204_181
; %bb.185:                              ;   in Loop: Header=BB204_184 Depth=2
	ds_read_u16 v9, v8
	s_waitcnt lgkmcnt(0)
	v_cmp_lt_i16_e32 vcc_lo, -1, v9
	v_cndmask_b32_e32 v28, 0xffff, v39, vcc_lo
	v_cmp_o_f16_e32 vcc_lo, v9, v9
	v_xor_b32_sdwa v28, v28, v9 dst_sel:DWORD dst_unused:UNUSED_PAD src0_sel:DWORD src1_sel:WORD_0
	v_cndmask_b32_e32 v28, 0xffff, v28, vcc_lo
	v_and_b32_e32 v28, v28, v11
	v_cmp_eq_u32_e32 vcc_lo, v28, v10
	s_and_b32 exec_lo, exec_lo, vcc_lo
	s_cbranch_execz .LBB204_181
; %bb.186:                              ;   in Loop: Header=BB204_184 Depth=2
	v_perm_b32 v9, v9, s93, 0x5040100
	ds_write_b32 v3, v9 offset:3072
	s_branch .LBB204_181
.LBB204_187:                            ;   in Loop: Header=BB204_184 Depth=2
	s_mov_b32 s52, -1
	s_mov_b32 s47, -1
                                        ; implicit-def: $vgpr4_vgpr5
                                        ; implicit-def: $vgpr8
	s_branch .LBB204_183
.LBB204_188:                            ;   in Loop: Header=BB204_6 Depth=1
                                        ; implicit-def: $sgpr24_sgpr25
	s_branch .LBB204_131
.LBB204_189:                            ;   in Loop: Header=BB204_6 Depth=1
                                        ; implicit-def: $sgpr20_sgpr21
	s_branch .LBB204_148
.LBB204_190:                            ;   in Loop: Header=BB204_6 Depth=1
	s_or_b32 exec_lo, exec_lo, s24
	v_lshrrev_b32_e32 v8, 16, v9
	s_and_b32 s24, s46, exec_lo
.LBB204_191:                            ;   in Loop: Header=BB204_6 Depth=1
	s_or_b32 exec_lo, exec_lo, s25
.LBB204_192:                            ;   in Loop: Header=BB204_6 Depth=1
	s_and_b32 vcc_lo, exec_lo, s6
	s_cbranch_vccz .LBB204_207
; %bb.193:                              ;   in Loop: Header=BB204_6 Depth=1
	s_mov_b32 s56, s53
	s_cmp_lg_u64 s[56:57], 0
	s_cbranch_scc0 .LBB204_226
; %bb.194:                              ;   in Loop: Header=BB204_6 Depth=1
	v_cvt_f32_u32_e32 v4, s33
	s_sub_u32 s21, 0, s33
	s_subb_u32 s22, 0, 0
	v_fmac_f32_e64 v4, 0x4f800000, 0
	v_rcp_f32_e32 v4, v4
	v_mul_f32_e32 v4, 0x5f7ffffc, v4
	v_mul_f32_e32 v5, 0x2f800000, v4
	v_trunc_f32_e32 v5, v5
	v_fmac_f32_e32 v4, 0xcf800000, v5
	v_cvt_u32_f32_e32 v5, v5
	v_cvt_u32_f32_e32 v4, v4
	v_readfirstlane_b32 s6, v5
	v_readfirstlane_b32 s20, v4
	s_mul_i32 s23, s21, s6
	s_mul_hi_u32 s46, s21, s20
	s_mul_i32 s25, s22, s20
	s_add_i32 s23, s46, s23
	s_mul_i32 s47, s21, s20
	s_add_i32 s23, s23, s25
	s_mul_hi_u32 s46, s20, s47
	s_mul_i32 s51, s20, s23
	s_mul_hi_u32 s50, s6, s47
	s_mul_i32 s25, s6, s47
	s_mul_hi_u32 s47, s20, s23
	s_add_u32 s46, s46, s51
	s_addc_u32 s47, 0, s47
	s_mul_hi_u32 s52, s6, s23
	s_add_u32 s25, s46, s25
	s_mul_i32 s23, s6, s23
	s_addc_u32 s25, s47, s50
	s_addc_u32 s46, s52, 0
	s_add_u32 s23, s25, s23
	s_addc_u32 s25, 0, s46
	s_add_u32 s20, s20, s23
	s_cselect_b32 s23, -1, 0
	s_mul_hi_u32 s46, s21, s20
	s_cmp_lg_u32 s23, 0
	s_mul_i32 s23, s21, s20
	s_addc_u32 s6, s6, s25
	s_mul_i32 s22, s22, s20
	s_mul_i32 s21, s21, s6
	s_mul_hi_u32 s25, s20, s23
	s_add_i32 s21, s46, s21
	s_mul_hi_u32 s46, s6, s23
	s_add_i32 s21, s21, s22
	s_mul_i32 s22, s6, s23
	s_mul_i32 s50, s20, s21
	s_mul_hi_u32 s47, s20, s21
	s_add_u32 s25, s25, s50
	s_addc_u32 s47, 0, s47
	s_mul_hi_u32 s23, s6, s21
	s_add_u32 s22, s25, s22
	s_mul_i32 s21, s6, s21
	s_addc_u32 s22, s47, s46
	s_addc_u32 s23, s23, 0
	s_add_u32 s21, s22, s21
	s_addc_u32 s22, 0, s23
	s_add_u32 s20, s20, s21
	s_cselect_b32 s21, -1, 0
	s_mul_hi_u32 s23, s84, s20
	s_cmp_lg_u32 s21, 0
	s_mul_hi_u32 s21, s57, s20
	s_addc_u32 s6, s6, s22
	s_mul_i32 s20, s57, s20
	s_mul_i32 s25, s84, s6
	s_mul_hi_u32 s22, s84, s6
	s_add_u32 s23, s23, s25
	s_addc_u32 s22, 0, s22
	s_mul_hi_u32 s46, s57, s6
	s_add_u32 s20, s23, s20
	s_mul_i32 s6, s57, s6
	s_addc_u32 s20, s22, s21
	s_addc_u32 s21, s46, 0
	s_add_u32 s6, s20, s6
	s_addc_u32 s20, 0, s21
	s_mul_hi_u32 s21, s33, s6
	s_mul_i32 s20, s33, s20
	s_mul_i32 s6, s33, s6
	s_add_i32 s21, s21, s20
	s_sub_u32 s6, s84, s6
	s_cselect_b32 s20, -1, 0
	s_cmp_lg_u32 s20, 0
	s_subb_u32 s20, s57, s21
	s_sub_u32 s21, s6, s33
	s_cselect_b32 s22, -1, 0
	s_cmp_lg_u32 s22, 0
	s_subb_u32 s22, s20, 0
	;; [unrolled: 4-line block ×3, first 2 shown]
	s_cmp_ge_u32 s21, s33
	s_cselect_b32 s46, -1, 0
	s_cmp_eq_u32 s22, 0
	s_cselect_b32 s46, s46, -1
	s_cmp_lg_u32 s46, 0
	s_cselect_b32 s22, s25, s22
	s_cselect_b32 s23, s23, s21
	s_cmp_ge_u32 s6, s33
	s_cselect_b32 s21, -1, 0
	s_cmp_eq_u32 s20, 0
	s_cselect_b32 s21, s21, -1
	s_cmp_lg_u32 s21, 0
	s_cselect_b32 s21, s22, s20
	s_cselect_b32 s20, s23, s6
	s_cbranch_execnz .LBB204_196
.LBB204_195:                            ;   in Loop: Header=BB204_6 Depth=1
	v_cvt_f32_u32_e32 v4, s33
	s_sub_i32 s20, 0, s33
	v_rcp_iflag_f32_e32 v4, v4
	v_mul_f32_e32 v4, 0x4f7ffffe, v4
	v_cvt_u32_f32_e32 v4, v4
	v_readfirstlane_b32 s6, v4
	s_mul_i32 s20, s20, s6
	s_mul_hi_u32 s20, s6, s20
	s_add_i32 s6, s6, s20
	s_mul_hi_u32 s6, s84, s6
	s_mul_i32 s6, s6, s33
	s_sub_i32 s6, s84, s6
	s_sub_i32 s20, s6, s33
	s_cmp_ge_u32 s6, s33
	s_cselect_b32 s6, s20, s6
	s_sub_i32 s20, s6, s33
	s_cmp_ge_u32 s6, s33
	s_cselect_b32 s52, s20, s6
	s_mov_b64 s[20:21], s[52:53]
.LBB204_196:                            ;   in Loop: Header=BB204_6 Depth=1
	s_sub_u32 s20, s84, s20
	s_subb_u32 s21, s57, s21
	s_mov_b32 s22, exec_lo
                                        ; implicit-def: $vgpr8
	v_cmpx_gt_u64_e64 s[20:21], v[0:1]
	s_cbranch_execz .LBB204_206
; %bb.197:                              ;   in Loop: Header=BB204_6 Depth=1
	v_mov_b32_e32 v4, v12
	v_mov_b32_e32 v9, v1
	v_mov_b32_e32 v5, v13
	v_mov_b32_e32 v8, v0
	s_mov_b32 s23, 0
                                        ; implicit-def: $sgpr25
	s_branch .LBB204_201
.LBB204_198:                            ;   in Loop: Header=BB204_201 Depth=2
	s_or_b32 exec_lo, exec_lo, s6
	s_waitcnt lgkmcnt(0)
	s_barrier
	buffer_gl0_inv
	ds_read_b32 v28, v3 offset:3072
	s_waitcnt lgkmcnt(0)
	s_barrier
	buffer_gl0_inv
	v_cmp_eq_f16_e32 vcc_lo, 0, v28
	s_cbranch_vccz .LBB204_204
; %bb.199:                              ;   in Loop: Header=BB204_201 Depth=2
	v_add_co_u32 v8, vcc_lo, v8, s33
	v_add_co_ci_u32_e64 v9, null, 0, v9, vcc_lo
	v_add_co_u32 v4, s6, v4, s34
	v_add_co_ci_u32_e64 v5, null, s35, v5, s6
	v_cmp_le_u64_e32 vcc_lo, s[20:21], v[8:9]
	s_mov_b32 s6, 0
	s_orn2_b32 s46, vcc_lo, exec_lo
.LBB204_200:                            ;   in Loop: Header=BB204_201 Depth=2
	s_and_b32 s2, exec_lo, s46
	s_or_b32 s23, s2, s23
	s_andn2_b32 s2, s25, exec_lo
	s_and_b32 s6, s6, exec_lo
	s_or_b32 s25, s2, s6
	s_andn2_b32 exec_lo, exec_lo, s23
	s_cbranch_execz .LBB204_205
.LBB204_201:                            ;   Parent Loop BB204_6 Depth=1
                                        ; =>  This Inner Loop Header: Depth=2
	s_mov_b32 s6, exec_lo
	v_cmpx_gt_u64_e64 s[28:29], v[8:9]
	s_cbranch_execz .LBB204_198
; %bb.202:                              ;   in Loop: Header=BB204_201 Depth=2
	global_load_ushort v28, v[4:5], off
	s_waitcnt vmcnt(0)
	v_cmp_lt_i16_e32 vcc_lo, -1, v28
	v_cndmask_b32_e32 v29, 0xffff, v39, vcc_lo
	v_cmp_o_f16_e32 vcc_lo, v28, v28
	v_xor_b32_sdwa v29, v29, v28 dst_sel:DWORD dst_unused:UNUSED_PAD src0_sel:DWORD src1_sel:WORD_0
	v_cndmask_b32_e32 v29, 0xffff, v29, vcc_lo
	v_and_b32_e32 v29, v29, v11
	v_cmp_eq_u32_e32 vcc_lo, v29, v10
	s_and_b32 exec_lo, exec_lo, vcc_lo
	s_cbranch_execz .LBB204_198
; %bb.203:                              ;   in Loop: Header=BB204_201 Depth=2
	v_perm_b32 v28, v28, s93, 0x5040100
	ds_write_b32 v3, v28 offset:3072
	s_branch .LBB204_198
.LBB204_204:                            ;   in Loop: Header=BB204_201 Depth=2
	s_mov_b32 s46, -1
	s_mov_b32 s6, -1
                                        ; implicit-def: $vgpr8_vgpr9
                                        ; implicit-def: $vgpr4_vgpr5
	s_branch .LBB204_200
.LBB204_205:                            ;   in Loop: Header=BB204_6 Depth=1
	s_or_b32 exec_lo, exec_lo, s23
	v_lshrrev_b32_e32 v8, 16, v28
	s_andn2_b32 s2, s24, exec_lo
	s_and_b32 s6, s25, exec_lo
	s_or_b32 s24, s2, s6
.LBB204_206:                            ;   in Loop: Header=BB204_6 Depth=1
	s_or_b32 exec_lo, exec_lo, s22
	s_mov_b32 s72, 0
	s_mov_b32 s73, -1
.LBB204_207:                            ;   in Loop: Header=BB204_6 Depth=1
	s_orn2_b32 s6, s24, exec_lo
.LBB204_208:                            ;   in Loop: Header=BB204_6 Depth=1
	s_or_b32 exec_lo, exec_lo, s74
	s_mov_b32 s20, 0
	s_and_saveexec_b32 s74, s6
	s_cbranch_execz .LBB204_272
; %bb.209:                              ;   in Loop: Header=BB204_6 Depth=1
	v_mov_b32_e32 v4, 1
	v_mov_b32_e32 v5, 0
	;; [unrolled: 1-line block ×3, first 2 shown]
	s_xor_b32 s20, s75, -1
	s_mov_b32 s21, 0
	s_and_saveexec_b32 s6, s20
	s_cbranch_execz .LBB204_218
; %bb.210:                              ;   in Loop: Header=BB204_6 Depth=1
	s_mov_b32 s20, exec_lo
	v_cmpx_ge_u64_e64 s[16:17], v[6:7]
	s_xor_b32 s20, exec_lo, s20
	s_cbranch_execz .LBB204_215
; %bb.211:                              ;   in Loop: Header=BB204_6 Depth=1
	ds_read_b64 v[4:5], v3 offset:5120
	s_lshl_b32 s21, 2, s91
	v_or_b32_e32 v11, s11, v11
	v_and_or_b32 v10, v10, s26, s21
	s_waitcnt lgkmcnt(0)
	v_cmp_ne_u64_e32 vcc_lo, 0, v[4:5]
	s_cbranch_vccnz .LBB204_215
; %bb.212:                              ;   in Loop: Header=BB204_6 Depth=1
	s_and_saveexec_b32 s21, s3
; %bb.213:                              ;   in Loop: Header=BB204_6 Depth=1
	v_mov_b32_e32 v4, s16
	v_mov_b32_e32 v5, s17
	ds_write_b64 v3, v[4:5] offset:5128
; %bb.214:                              ;   in Loop: Header=BB204_6 Depth=1
	s_or_b32 exec_lo, exec_lo, s21
	s_waitcnt lgkmcnt(0)
	s_barrier
	buffer_gl0_inv
.LBB204_215:                            ;   in Loop: Header=BB204_6 Depth=1
	s_or_saveexec_b32 s20, s20
	v_mov_b32_e32 v2, 8
	s_mov_b32 s21, 0
	s_xor_b32 exec_lo, exec_lo, s20
; %bb.216:                              ;   in Loop: Header=BB204_6 Depth=1
	v_sub_co_u32 v6, vcc_lo, v6, s16
	v_subrev_co_ci_u32_e64 v7, null, s17, v7, vcc_lo
	v_mov_b32_e32 v2, 0
	s_mov_b32 s21, exec_lo
; %bb.217:                              ;   in Loop: Header=BB204_6 Depth=1
	s_or_b32 exec_lo, exec_lo, s20
	v_mov_b32_e32 v4, v6
	v_mov_b32_e32 v5, v7
	s_and_b32 s21, s21, exec_lo
.LBB204_218:                            ;   in Loop: Header=BB204_6 Depth=1
	s_or_b32 exec_lo, exec_lo, s6
	s_mov_b32 s20, -1
                                        ; implicit-def: $sgpr56
                                        ; implicit-def: $sgpr6
	s_and_saveexec_b32 s75, s21
	s_cbranch_execz .LBB204_271
; %bb.219:                              ;   in Loop: Header=BB204_6 Depth=1
	v_cmp_eq_u64_e32 vcc_lo, 1, v[4:5]
	s_cmp_eq_u64 s[18:19], 1
	s_mov_b32 s21, -1
	s_cselect_b32 s6, -1, 0
                                        ; implicit-def: $sgpr56
	s_and_b32 s76, s6, vcc_lo
                                        ; implicit-def: $sgpr6
	s_and_saveexec_b32 s77, s76
	s_cbranch_execz .LBB204_259
; %bb.220:                              ;   in Loop: Header=BB204_6 Depth=1
	ds_read_b64 v[6:7], v3 offset:5120
	s_waitcnt lgkmcnt(0)
	s_barrier
	buffer_gl0_inv
	v_readfirstlane_b32 s20, v6
	v_readfirstlane_b32 s21, v7
	s_and_saveexec_b32 s6, s10
; %bb.221:                              ;   in Loop: Header=BB204_6 Depth=1
	ds_write_b16 v33, v3
; %bb.222:                              ;   in Loop: Header=BB204_6 Depth=1
	s_or_b32 exec_lo, exec_lo, s6
	v_or_b32_e32 v10, s11, v10
	v_or_b32_e32 v11, s11, v11
	s_mov_b32 s6, -1
	s_mov_b32 s56, 0
	s_cmp_eq_u64 s[20:21], 0
	s_mov_b32 s24, 0
	s_mov_b32 s25, -1
	s_waitcnt lgkmcnt(0)
	s_barrier
	buffer_gl0_inv
                                        ; implicit-def: $vgpr8
	s_cbranch_scc1 .LBB204_241
; %bb.223:                              ;   in Loop: Header=BB204_6 Depth=1
	s_add_u32 s46, s20, s82
	s_addc_u32 s23, s21, s83
	s_mov_b32 s22, s53
	s_cmp_lg_u64 s[22:23], 0
	s_cbranch_scc0 .LBB204_227
; %bb.224:                              ;   in Loop: Header=BB204_6 Depth=1
	v_cvt_f32_u32_e32 v6, s33
	s_sub_u32 s25, 0, s33
	s_subb_u32 s47, 0, 0
	v_fmac_f32_e64 v6, 0x4f800000, 0
	v_rcp_f32_e32 v6, v6
	v_mul_f32_e32 v6, 0x5f7ffffc, v6
	v_mul_f32_e32 v7, 0x2f800000, v6
	v_trunc_f32_e32 v7, v7
	v_fmac_f32_e32 v6, 0xcf800000, v7
	v_cvt_u32_f32_e32 v7, v7
	v_cvt_u32_f32_e32 v6, v6
	v_readfirstlane_b32 s22, v7
	v_readfirstlane_b32 s24, v6
	s_mul_i32 s50, s25, s22
	s_mul_hi_u32 s52, s25, s24
	s_mul_i32 s51, s47, s24
	s_add_i32 s50, s52, s50
	s_mul_i32 vcc_lo, s25, s24
	s_add_i32 s50, s50, s51
	s_mul_hi_u32 s52, s24, vcc_lo
	s_mul_i32 s2, s24, s50
	s_mul_hi_u32 s8, s22, vcc_lo
	s_mul_i32 s51, s22, vcc_lo
	s_mul_hi_u32 vcc_lo, s24, s50
	s_add_u32 s2, s52, s2
	s_addc_u32 s52, 0, vcc_lo
	s_mul_hi_u32 s7, s22, s50
	s_add_u32 s2, s2, s51
	s_mul_i32 s50, s22, s50
	s_addc_u32 s2, s52, s8
	s_addc_u32 s7, s7, 0
	s_add_u32 s2, s2, s50
	s_addc_u32 s7, 0, s7
	s_add_u32 s2, s24, s2
	s_cselect_b32 s8, -1, 0
	s_mul_hi_u32 s24, s25, s2
	s_cmp_lg_u32 s8, 0
	s_mul_i32 s8, s25, s2
	s_addc_u32 s7, s22, s7
	s_mul_i32 s47, s47, s2
	s_mul_i32 s25, s25, s7
	s_mul_hi_u32 s22, s2, s8
	s_add_i32 s24, s24, s25
	s_mul_hi_u32 s25, s7, s8
	s_add_i32 s24, s24, s47
	s_mul_i32 s8, s7, s8
	s_mul_i32 s51, s2, s24
	s_mul_hi_u32 s50, s2, s24
	s_add_u32 s22, s22, s51
	s_addc_u32 s50, 0, s50
	s_mul_hi_u32 s47, s7, s24
	s_add_u32 s8, s22, s8
	s_mul_i32 s24, s7, s24
	s_addc_u32 s8, s50, s25
	s_addc_u32 s22, s47, 0
	s_add_u32 s8, s8, s24
	s_addc_u32 s22, 0, s22
	s_add_u32 s2, s2, s8
	s_cselect_b32 s8, -1, 0
	s_mul_hi_u32 s24, s46, s2
	s_cmp_lg_u32 s8, 0
	s_mul_hi_u32 s8, s23, s2
	s_addc_u32 s7, s7, s22
	s_mul_i32 s2, s23, s2
	s_mul_i32 s25, s46, s7
	s_mul_hi_u32 s22, s46, s7
	s_add_u32 s24, s24, s25
	s_addc_u32 s22, 0, s22
	s_mul_hi_u32 s47, s23, s7
	s_add_u32 s2, s24, s2
	s_mul_i32 s7, s23, s7
	s_addc_u32 s2, s22, s8
	s_addc_u32 s8, s47, 0
	s_add_u32 s2, s2, s7
	s_addc_u32 s7, 0, s8
	s_mul_hi_u32 s8, s33, s2
	s_mul_i32 s7, s33, s7
	s_mul_i32 s2, s33, s2
	s_add_i32 s8, s8, s7
	s_sub_u32 s2, s46, s2
	s_cselect_b32 s7, -1, 0
	s_cmp_lg_u32 s7, 0
	s_subb_u32 s7, s23, s8
	s_sub_u32 s8, s2, s33
	s_cselect_b32 s22, -1, 0
	s_cmp_lg_u32 s22, 0
	s_subb_u32 s22, s7, 0
	;; [unrolled: 4-line block ×3, first 2 shown]
	s_cmp_ge_u32 s8, s33
	s_cselect_b32 s47, -1, 0
	s_cmp_eq_u32 s22, 0
	s_cselect_b32 s47, s47, -1
	s_cmp_lg_u32 s47, 0
	s_cselect_b32 s22, s25, s22
	s_cselect_b32 s8, s24, s8
	s_cmp_ge_u32 s2, s33
	s_cselect_b32 s24, -1, 0
	s_cmp_eq_u32 s7, 0
	s_cselect_b32 s24, s24, -1
	s_cmp_lg_u32 s24, 0
	s_cselect_b32 s25, s22, s7
	s_cselect_b32 s24, s8, s2
	s_mov_b32 s22, 0
	s_branch .LBB204_228
.LBB204_225:                            ;   in Loop: Header=BB204_6 Depth=1
                                        ; implicit-def: $sgpr24_sgpr25
	s_branch .LBB204_178
.LBB204_226:                            ;   in Loop: Header=BB204_6 Depth=1
                                        ; implicit-def: $sgpr20_sgpr21
	s_branch .LBB204_195
.LBB204_227:                            ;   in Loop: Header=BB204_6 Depth=1
	s_mov_b32 s22, -1
                                        ; implicit-def: $sgpr24_sgpr25
.LBB204_228:                            ;   in Loop: Header=BB204_6 Depth=1
	s_andn2_b32 vcc_lo, exec_lo, s22
	s_cbranch_vccnz .LBB204_230
; %bb.229:                              ;   in Loop: Header=BB204_6 Depth=1
	v_cvt_f32_u32_e32 v6, s33
	s_sub_i32 s24, 0, s33
	v_rcp_iflag_f32_e32 v6, v6
	v_mul_f32_e32 v6, 0x4f7ffffe, v6
	v_cvt_u32_f32_e32 v6, v6
	v_readfirstlane_b32 s22, v6
	s_mul_i32 s24, s24, s22
	s_mul_hi_u32 s24, s22, s24
	s_add_i32 s22, s22, s24
	s_mul_hi_u32 s22, s46, s22
	s_mul_i32 s22, s22, s33
	s_sub_i32 s22, s46, s22
	s_sub_i32 s24, s22, s33
	s_cmp_ge_u32 s22, s33
	s_cselect_b32 s22, s24, s22
	s_sub_i32 s24, s22, s33
	s_cmp_ge_u32 s22, s33
	s_cselect_b32 s52, s24, s22
	s_mov_b64 s[24:25], s[52:53]
.LBB204_230:                            ;   in Loop: Header=BB204_6 Depth=1
	s_sub_u32 s22, s46, s24
	s_subb_u32 s23, s23, s25
	s_mov_b32 s25, 0
	s_mov_b32 s24, 0
	s_mov_b32 s46, exec_lo
                                        ; implicit-def: $vgpr8
	v_cmpx_gt_u64_e64 s[22:23], v[0:1]
	s_cbranch_execz .LBB204_240
; %bb.231:                              ;   in Loop: Header=BB204_6 Depth=1
	v_mov_b32_e32 v7, v1
	v_mov_b32_e32 v8, v32
	;; [unrolled: 1-line block ×3, first 2 shown]
                                        ; implicit-def: $sgpr47
	s_branch .LBB204_235
.LBB204_232:                            ;   in Loop: Header=BB204_235 Depth=2
	s_or_b32 exec_lo, exec_lo, s52
	s_waitcnt lgkmcnt(0)
	s_barrier
	buffer_gl0_inv
	ds_read_b32 v9, v3 offset:3072
	s_waitcnt lgkmcnt(0)
	s_barrier
	buffer_gl0_inv
	v_cmp_neq_f16_e32 vcc_lo, 0, v9
	s_cbranch_vccnz .LBB204_238
; %bb.233:                              ;   in Loop: Header=BB204_235 Depth=2
	v_add_co_u32 v6, vcc_lo, v6, s33
	v_add_co_ci_u32_e64 v7, null, 0, v7, vcc_lo
	v_add_nc_u32_e32 v8, s90, v8
	s_mov_b32 s52, 0
	v_cmp_le_u64_e32 vcc_lo, s[22:23], v[6:7]
	s_orn2_b32 vcc_lo, vcc_lo, exec_lo
.LBB204_234:                            ;   in Loop: Header=BB204_235 Depth=2
	s_and_b32 s2, exec_lo, vcc_lo
	s_or_b32 s24, s2, s24
	s_andn2_b32 s2, s47, exec_lo
	s_and_b32 s7, s52, exec_lo
	s_or_b32 s47, s2, s7
	s_andn2_b32 exec_lo, exec_lo, s24
	s_cbranch_execz .LBB204_239
.LBB204_235:                            ;   Parent Loop BB204_6 Depth=1
                                        ; =>  This Inner Loop Header: Depth=2
	s_mov_b32 s52, exec_lo
	v_cmpx_gt_u64_e64 s[20:21], v[6:7]
	s_cbranch_execz .LBB204_232
; %bb.236:                              ;   in Loop: Header=BB204_235 Depth=2
	ds_read_u16 v9, v8
	s_waitcnt lgkmcnt(0)
	v_cmp_lt_i16_e32 vcc_lo, -1, v9
	v_cndmask_b32_e32 v28, 0xffff, v39, vcc_lo
	v_cmp_o_f16_e32 vcc_lo, v9, v9
	v_xor_b32_sdwa v28, v28, v9 dst_sel:DWORD dst_unused:UNUSED_PAD src0_sel:DWORD src1_sel:WORD_0
	v_cndmask_b32_e32 v28, 0xffff, v28, vcc_lo
	v_and_b32_e32 v28, v28, v11
	v_cmp_eq_u32_e32 vcc_lo, v28, v10
	s_and_b32 exec_lo, exec_lo, vcc_lo
	s_cbranch_execz .LBB204_232
; %bb.237:                              ;   in Loop: Header=BB204_235 Depth=2
	v_perm_b32 v9, v9, s93, 0x5040100
	ds_write_b32 v3, v9 offset:3072
	s_branch .LBB204_232
.LBB204_238:                            ;   in Loop: Header=BB204_235 Depth=2
	s_mov_b32 vcc_lo, -1
	s_mov_b32 s52, -1
                                        ; implicit-def: $vgpr6_vgpr7
                                        ; implicit-def: $vgpr8
	s_branch .LBB204_234
.LBB204_239:                            ;   in Loop: Header=BB204_6 Depth=1
	s_or_b32 exec_lo, exec_lo, s24
	v_lshrrev_b32_e32 v8, 16, v9
	s_and_b32 s24, s47, exec_lo
.LBB204_240:                            ;   in Loop: Header=BB204_6 Depth=1
	s_or_b32 exec_lo, exec_lo, s46
.LBB204_241:                            ;   in Loop: Header=BB204_6 Depth=1
	s_and_b32 vcc_lo, exec_lo, s25
	s_cbranch_vccz .LBB204_258
; %bb.242:                              ;   in Loop: Header=BB204_6 Depth=1
	s_mov_b32 s56, s53
	s_cmp_lg_u64 s[56:57], 0
	s_cbranch_scc0 .LBB204_244
; %bb.243:                              ;   in Loop: Header=BB204_6 Depth=1
	v_cvt_f32_u32_e32 v6, s33
	s_sub_u32 s7, 0, s33
	s_subb_u32 s8, 0, 0
	v_fmac_f32_e64 v6, 0x4f800000, 0
	v_rcp_f32_e32 v6, v6
	v_mul_f32_e32 v6, 0x5f7ffffc, v6
	v_mul_f32_e32 v7, 0x2f800000, v6
	v_trunc_f32_e32 v7, v7
	v_fmac_f32_e32 v6, 0xcf800000, v7
	v_cvt_u32_f32_e32 v7, v7
	v_cvt_u32_f32_e32 v6, v6
	v_readfirstlane_b32 s2, v7
	v_readfirstlane_b32 s6, v6
	s_mul_i32 s20, s7, s2
	s_mul_hi_u32 s22, s7, s6
	s_mul_i32 s21, s8, s6
	s_add_i32 s20, s22, s20
	s_mul_i32 s23, s7, s6
	s_add_i32 s20, s20, s21
	s_mul_hi_u32 s22, s6, s23
	s_mul_i32 s46, s6, s20
	s_mul_hi_u32 s25, s2, s23
	s_mul_i32 s21, s2, s23
	s_mul_hi_u32 s23, s6, s20
	s_add_u32 s22, s22, s46
	s_addc_u32 s23, 0, s23
	s_mul_hi_u32 s47, s2, s20
	s_add_u32 s21, s22, s21
	s_mul_i32 s20, s2, s20
	s_addc_u32 s21, s23, s25
	s_addc_u32 s22, s47, 0
	s_add_u32 s20, s21, s20
	s_addc_u32 s21, 0, s22
	s_add_u32 s6, s6, s20
	s_cselect_b32 s20, -1, 0
	s_mul_hi_u32 s22, s7, s6
	s_cmp_lg_u32 s20, 0
	s_mul_i32 s20, s7, s6
	s_addc_u32 s2, s2, s21
	s_mul_i32 s8, s8, s6
	s_mul_i32 s7, s7, s2
	s_mul_hi_u32 s21, s6, s20
	s_add_i32 s7, s22, s7
	s_mul_hi_u32 s22, s2, s20
	s_add_i32 s7, s7, s8
	s_mul_i32 s8, s2, s20
	s_mul_i32 s25, s6, s7
	s_mul_hi_u32 s23, s6, s7
	s_add_u32 s21, s21, s25
	s_addc_u32 s23, 0, s23
	s_mul_hi_u32 s20, s2, s7
	s_add_u32 s8, s21, s8
	s_mul_i32 s7, s2, s7
	s_addc_u32 s8, s23, s22
	s_addc_u32 s20, s20, 0
	s_add_u32 s7, s8, s7
	s_addc_u32 s8, 0, s20
	s_add_u32 s6, s6, s7
	s_cselect_b32 s7, -1, 0
	s_mul_hi_u32 s20, s84, s6
	s_cmp_lg_u32 s7, 0
	s_mul_hi_u32 s7, s57, s6
	s_addc_u32 s2, s2, s8
	s_mul_i32 s6, s57, s6
	s_mul_i32 s21, s84, s2
	s_mul_hi_u32 s8, s84, s2
	s_add_u32 s20, s20, s21
	s_addc_u32 s8, 0, s8
	s_mul_hi_u32 s22, s57, s2
	s_add_u32 s6, s20, s6
	s_mul_i32 s2, s57, s2
	s_addc_u32 s6, s8, s7
	s_addc_u32 s7, s22, 0
	s_add_u32 s2, s6, s2
	s_addc_u32 s6, 0, s7
	s_mul_hi_u32 s7, s33, s2
	s_mul_i32 s6, s33, s6
	s_mul_i32 s2, s33, s2
	s_add_i32 s7, s7, s6
	s_sub_u32 s2, s84, s2
	s_cselect_b32 s6, -1, 0
	s_cmp_lg_u32 s6, 0
	s_subb_u32 s6, s57, s7
	s_sub_u32 s7, s2, s33
	s_cselect_b32 s8, -1, 0
	s_cmp_lg_u32 s8, 0
	s_subb_u32 s8, s6, 0
	;; [unrolled: 4-line block ×3, first 2 shown]
	s_cmp_ge_u32 s7, s33
	s_cselect_b32 s22, -1, 0
	s_cmp_eq_u32 s8, 0
	s_cselect_b32 s22, s22, -1
	s_cmp_lg_u32 s22, 0
	s_cselect_b32 s8, s21, s8
	s_cselect_b32 s7, s20, s7
	s_cmp_ge_u32 s2, s33
	s_cselect_b32 s20, -1, 0
	s_cmp_eq_u32 s6, 0
	s_cselect_b32 s20, s20, -1
	s_cmp_lg_u32 s20, 0
	s_cselect_b32 s21, s8, s6
	s_cselect_b32 s20, s7, s2
	s_mov_b32 s6, 0
	s_branch .LBB204_245
.LBB204_244:                            ;   in Loop: Header=BB204_6 Depth=1
	s_mov_b32 s6, -1
                                        ; implicit-def: $sgpr20_sgpr21
.LBB204_245:                            ;   in Loop: Header=BB204_6 Depth=1
	s_andn2_b32 vcc_lo, exec_lo, s6
	s_cbranch_vccnz .LBB204_247
; %bb.246:                              ;   in Loop: Header=BB204_6 Depth=1
	v_cvt_f32_u32_e32 v6, s33
	s_sub_i32 s6, 0, s33
	v_rcp_iflag_f32_e32 v6, v6
	v_mul_f32_e32 v6, 0x4f7ffffe, v6
	v_cvt_u32_f32_e32 v6, v6
	v_readfirstlane_b32 s2, v6
	s_mul_i32 s6, s6, s2
	s_mul_hi_u32 s6, s2, s6
	s_add_i32 s2, s2, s6
	s_mul_hi_u32 s2, s84, s2
	s_mul_i32 s2, s2, s33
	s_sub_i32 s2, s84, s2
	s_sub_i32 s6, s2, s33
	s_cmp_ge_u32 s2, s33
	s_cselect_b32 s2, s6, s2
	s_sub_i32 s6, s2, s33
	s_cmp_ge_u32 s2, s33
	s_cselect_b32 s52, s6, s2
	s_mov_b64 s[20:21], s[52:53]
.LBB204_247:                            ;   in Loop: Header=BB204_6 Depth=1
	s_sub_u32 s20, s84, s20
	s_subb_u32 s21, s57, s21
	s_mov_b32 s22, exec_lo
                                        ; implicit-def: $vgpr8
	v_cmpx_gt_u64_e64 s[20:21], v[0:1]
	s_cbranch_execz .LBB204_257
; %bb.248:                              ;   in Loop: Header=BB204_6 Depth=1
	v_mov_b32_e32 v6, v12
	v_mov_b32_e32 v9, v1
	;; [unrolled: 1-line block ×4, first 2 shown]
	s_mov_b32 s23, 0
                                        ; implicit-def: $sgpr25
	s_branch .LBB204_252
.LBB204_249:                            ;   in Loop: Header=BB204_252 Depth=2
	s_or_b32 exec_lo, exec_lo, s6
	s_waitcnt lgkmcnt(0)
	s_barrier
	buffer_gl0_inv
	ds_read_b32 v28, v3 offset:3072
	s_waitcnt lgkmcnt(0)
	s_barrier
	buffer_gl0_inv
	v_cmp_eq_f16_e32 vcc_lo, 0, v28
	s_cbranch_vccz .LBB204_255
; %bb.250:                              ;   in Loop: Header=BB204_252 Depth=2
	v_add_co_u32 v8, vcc_lo, v8, s33
	v_add_co_ci_u32_e64 v9, null, 0, v9, vcc_lo
	v_add_co_u32 v6, s6, v6, s34
	v_add_co_ci_u32_e64 v7, null, s35, v7, s6
	v_cmp_le_u64_e32 vcc_lo, s[20:21], v[8:9]
	s_mov_b32 s6, 0
	s_orn2_b32 s46, vcc_lo, exec_lo
.LBB204_251:                            ;   in Loop: Header=BB204_252 Depth=2
	s_and_b32 s2, exec_lo, s46
	s_or_b32 s23, s2, s23
	s_andn2_b32 s2, s25, exec_lo
	s_and_b32 s6, s6, exec_lo
	s_or_b32 s25, s2, s6
	s_andn2_b32 exec_lo, exec_lo, s23
	s_cbranch_execz .LBB204_256
.LBB204_252:                            ;   Parent Loop BB204_6 Depth=1
                                        ; =>  This Inner Loop Header: Depth=2
	s_mov_b32 s6, exec_lo
	v_cmpx_gt_u64_e64 s[28:29], v[8:9]
	s_cbranch_execz .LBB204_249
; %bb.253:                              ;   in Loop: Header=BB204_252 Depth=2
	global_load_ushort v28, v[6:7], off
	s_waitcnt vmcnt(0)
	v_cmp_lt_i16_e32 vcc_lo, -1, v28
	v_cndmask_b32_e32 v29, 0xffff, v39, vcc_lo
	v_cmp_o_f16_e32 vcc_lo, v28, v28
	v_xor_b32_sdwa v29, v29, v28 dst_sel:DWORD dst_unused:UNUSED_PAD src0_sel:DWORD src1_sel:WORD_0
	v_cndmask_b32_e32 v29, 0xffff, v29, vcc_lo
	v_and_b32_e32 v29, v29, v11
	v_cmp_eq_u32_e32 vcc_lo, v29, v10
	s_and_b32 exec_lo, exec_lo, vcc_lo
	s_cbranch_execz .LBB204_249
; %bb.254:                              ;   in Loop: Header=BB204_252 Depth=2
	v_perm_b32 v28, v28, s93, 0x5040100
	ds_write_b32 v3, v28 offset:3072
	s_branch .LBB204_249
.LBB204_255:                            ;   in Loop: Header=BB204_252 Depth=2
	s_mov_b32 s46, -1
	s_mov_b32 s6, -1
                                        ; implicit-def: $vgpr8_vgpr9
                                        ; implicit-def: $vgpr6_vgpr7
	s_branch .LBB204_251
.LBB204_256:                            ;   in Loop: Header=BB204_6 Depth=1
	s_or_b32 exec_lo, exec_lo, s23
	v_lshrrev_b32_e32 v8, 16, v28
	s_andn2_b32 s2, s24, exec_lo
	s_and_b32 s6, s25, exec_lo
	s_or_b32 s24, s2, s6
.LBB204_257:                            ;   in Loop: Header=BB204_6 Depth=1
	s_or_b32 exec_lo, exec_lo, s22
	s_mov_b32 s6, 0
	s_mov_b32 s56, -1
.LBB204_258:                            ;   in Loop: Header=BB204_6 Depth=1
	s_orn2_b32 s21, s24, exec_lo
.LBB204_259:                            ;   in Loop: Header=BB204_6 Depth=1
	s_or_b32 exec_lo, exec_lo, s77
	s_mov_b32 s22, 0
	s_and_saveexec_b32 s20, s21
	s_cbranch_execz .LBB204_270
; %bb.260:                              ;   in Loop: Header=BB204_6 Depth=1
	v_mov_b32_e32 v6, 1
	v_mov_b32_e32 v7, 0
	;; [unrolled: 1-line block ×3, first 2 shown]
	s_xor_b32 s2, s76, -1
	s_and_saveexec_b32 s21, s2
	s_cbranch_execz .LBB204_269
; %bb.261:                              ;   in Loop: Header=BB204_6 Depth=1
	s_mov_b32 s2, exec_lo
	v_cmpx_ge_u64_e64 s[18:19], v[4:5]
	s_xor_b32 s22, exec_lo, s2
	s_cbranch_execz .LBB204_266
; %bb.262:                              ;   in Loop: Header=BB204_6 Depth=1
	ds_read_b64 v[6:7], v3 offset:5120
	v_or_b32_e32 v10, s11, v10
	v_or_b32_e32 v11, s11, v11
	s_waitcnt lgkmcnt(0)
	v_cmp_ne_u64_e32 vcc_lo, 0, v[6:7]
	s_cbranch_vccnz .LBB204_266
; %bb.263:                              ;   in Loop: Header=BB204_6 Depth=1
	s_and_saveexec_b32 s23, s3
; %bb.264:                              ;   in Loop: Header=BB204_6 Depth=1
	v_mov_b32_e32 v6, s18
	v_mov_b32_e32 v7, s19
	ds_write_b64 v3, v[6:7] offset:5128
; %bb.265:                              ;   in Loop: Header=BB204_6 Depth=1
	s_or_b32 exec_lo, exec_lo, s23
	s_waitcnt lgkmcnt(0)
	s_barrier
	buffer_gl0_inv
.LBB204_266:                            ;   in Loop: Header=BB204_6 Depth=1
	s_andn2_saveexec_b32 s22, s22
; %bb.267:                              ;   in Loop: Header=BB204_6 Depth=1
	v_sub_co_u32 v4, vcc_lo, v4, s18
	v_subrev_co_ci_u32_e64 v5, null, s19, v5, vcc_lo
; %bb.268:                              ;   in Loop: Header=BB204_6 Depth=1
	s_or_b32 exec_lo, exec_lo, s22
	v_mov_b32_e32 v7, v5
	v_mov_b32_e32 v2, 8
	;; [unrolled: 1-line block ×3, first 2 shown]
.LBB204_269:                            ;   in Loop: Header=BB204_6 Depth=1
	s_or_b32 exec_lo, exec_lo, s21
	v_mov_b32_e32 v4, v6
	v_mov_b32_e32 v5, v7
	s_mov_b32 s22, exec_lo
.LBB204_270:                            ;   in Loop: Header=BB204_6 Depth=1
	s_or_b32 exec_lo, exec_lo, s20
	s_orn2_b32 s20, s22, exec_lo
.LBB204_271:                            ;   in Loop: Header=BB204_6 Depth=1
	s_or_b32 exec_lo, exec_lo, s75
	v_mov_b32_e32 v7, v5
	v_mov_b32_e32 v6, v4
	s_andn2_b32 s21, s73, exec_lo
	s_and_b32 s22, s56, exec_lo
	s_andn2_b32 s23, s72, exec_lo
	s_and_b32 s6, s6, exec_lo
	s_or_b32 s73, s21, s22
	s_or_b32 s72, s23, s6
	s_and_b32 s20, s20, exec_lo
.LBB204_272:                            ;   in Loop: Header=BB204_6 Depth=1
	s_or_b32 exec_lo, exec_lo, s74
	s_orn2_b32 s6, s20, exec_lo
.LBB204_273:                            ;   in Loop: Header=BB204_6 Depth=1
	s_or_b32 exec_lo, exec_lo, s71
	v_mov_b32_e32 v4, v6
	v_mov_b32_e32 v5, v7
	s_andn2_b32 s20, s69, exec_lo
	s_and_b32 s21, s73, exec_lo
	s_andn2_b32 s22, s64, exec_lo
	s_and_b32 s23, s72, exec_lo
	s_or_b32 s69, s20, s21
	s_or_b32 s64, s22, s23
	s_and_b32 s20, s6, exec_lo
.LBB204_274:                            ;   in Loop: Header=BB204_6 Depth=1
	s_or_b32 exec_lo, exec_lo, s70
	s_orn2_b32 s6, s20, exec_lo
.LBB204_275:                            ;   in Loop: Header=BB204_6 Depth=1
	s_or_b32 exec_lo, exec_lo, s49
	s_mov_b32 s20, 0
	s_mov_b32 s21, 0
	s_and_saveexec_b32 s22, s6
	s_xor_b32 s22, exec_lo, s22
; %bb.276:                              ;   in Loop: Header=BB204_6 Depth=1
	v_cmp_ne_u32_e32 vcc_lo, 8, v2
	v_cmp_eq_u32_e64 s6, 8, v2
	s_and_b32 s21, vcc_lo, exec_lo
	s_and_b32 s20, s6, exec_lo
; %bb.277:                              ;   in Loop: Header=BB204_6 Depth=1
	s_or_b32 exec_lo, exec_lo, s22
	s_andn2_b32 s6, s66, exec_lo
	s_and_b32 s22, s69, exec_lo
	s_andn2_b32 s23, s65, exec_lo
	s_and_b32 s24, s64, exec_lo
	s_or_b32 s66, s6, s22
	s_or_b32 s65, s23, s24
	s_and_b32 s49, s21, exec_lo
	s_and_b32 s64, s20, exec_lo
.LBB204_278:                            ;   in Loop: Header=BB204_6 Depth=1
	s_or_b32 exec_lo, exec_lo, s68
.LBB204_279:                            ;   in Loop: Header=BB204_6 Depth=1
	s_and_b32 vcc_lo, exec_lo, s67
	s_cbranch_vccz .LBB204_296
; %bb.280:                              ;   in Loop: Header=BB204_6 Depth=1
	s_cmp_eq_u64 s[18:19], 1
                                        ; implicit-def: $sgpr27
	s_cselect_b32 s6, -1, 0
	s_and_b32 s65, s6, s9
	s_mov_b32 s6, -1
                                        ; implicit-def: $sgpr9
	s_and_saveexec_b32 s66, s65
	s_cbranch_execz .LBB204_315
; %bb.281:                              ;   in Loop: Header=BB204_6 Depth=1
	ds_read_b64 v[4:5], v3 offset:5120
	s_waitcnt lgkmcnt(0)
	s_barrier
	buffer_gl0_inv
	v_readfirstlane_b32 s20, v4
	v_readfirstlane_b32 s21, v5
	s_and_saveexec_b32 s6, s10
; %bb.282:                              ;   in Loop: Header=BB204_6 Depth=1
	ds_write_b16 v33, v3
; %bb.283:                              ;   in Loop: Header=BB204_6 Depth=1
	s_or_b32 exec_lo, exec_lo, s6
	v_or_b32_e32 v20, s11, v20
	v_or_b32_e32 v41, s11, v41
	s_mov_b32 s27, -1
	s_mov_b32 s9, 0
	s_cmp_eq_u64 s[20:21], 0
	s_mov_b32 s24, 0
	s_mov_b32 s6, -1
	s_waitcnt lgkmcnt(0)
	s_barrier
	buffer_gl0_inv
                                        ; implicit-def: $vgpr42
	s_cbranch_scc1 .LBB204_299
; %bb.284:                              ;   in Loop: Header=BB204_6 Depth=1
	s_add_u32 s6, s20, s82
	s_addc_u32 s23, s21, s83
	s_mov_b32 s22, s53
	s_cmp_lg_u64 s[22:23], 0
	s_cbranch_scc0 .LBB204_342
; %bb.285:                              ;   in Loop: Header=BB204_6 Depth=1
	v_cvt_f32_u32_e32 v2, s33
	s_sub_u32 s25, 0, s33
	s_subb_u32 s46, 0, 0
	v_fmac_f32_e64 v2, 0x4f800000, 0
	v_rcp_f32_e32 v2, v2
	v_mul_f32_e32 v2, 0x5f7ffffc, v2
	v_mul_f32_e32 v4, 0x2f800000, v2
	v_trunc_f32_e32 v4, v4
	v_fmac_f32_e32 v2, 0xcf800000, v4
	v_cvt_u32_f32_e32 v4, v4
	v_cvt_u32_f32_e32 v2, v2
	v_readfirstlane_b32 s22, v4
	v_readfirstlane_b32 s24, v2
	s_mul_i32 s47, s25, s22
	s_mul_hi_u32 s56, s25, s24
	s_mul_i32 s52, s46, s24
	s_add_i32 s47, s56, s47
	s_mul_i32 s67, s25, s24
	s_add_i32 s47, s47, s52
	s_mul_hi_u32 s56, s24, s67
	s_mul_i32 s69, s24, s47
	s_mul_hi_u32 s68, s22, s67
	s_mul_i32 s52, s22, s67
	s_mul_hi_u32 s67, s24, s47
	s_add_u32 s56, s56, s69
	s_addc_u32 s67, 0, s67
	s_mul_hi_u32 s70, s22, s47
	s_add_u32 s52, s56, s52
	s_mul_i32 s47, s22, s47
	s_addc_u32 s52, s67, s68
	s_addc_u32 s56, s70, 0
	s_add_u32 s47, s52, s47
	s_addc_u32 s52, 0, s56
	s_add_u32 s24, s24, s47
	s_cselect_b32 s47, -1, 0
	s_mul_hi_u32 s56, s25, s24
	s_cmp_lg_u32 s47, 0
	s_mul_i32 s47, s25, s24
	s_addc_u32 s22, s22, s52
	s_mul_i32 s46, s46, s24
	s_mul_i32 s25, s25, s22
	s_mul_hi_u32 s52, s24, s47
	s_add_i32 s25, s56, s25
	s_mul_hi_u32 s56, s22, s47
	s_add_i32 s25, s25, s46
	s_mul_i32 s46, s22, s47
	s_mul_i32 s68, s24, s25
	s_mul_hi_u32 s67, s24, s25
	s_add_u32 s52, s52, s68
	s_addc_u32 s67, 0, s67
	s_mul_hi_u32 s47, s22, s25
	s_add_u32 s46, s52, s46
	s_mul_i32 s25, s22, s25
	s_addc_u32 s46, s67, s56
	s_addc_u32 s47, s47, 0
	s_add_u32 s25, s46, s25
	s_addc_u32 s46, 0, s47
	s_add_u32 s24, s24, s25
	s_cselect_b32 s25, -1, 0
	s_mul_hi_u32 s47, s6, s24
	s_cmp_lg_u32 s25, 0
	s_mul_hi_u32 s25, s23, s24
	s_addc_u32 s22, s22, s46
	s_mul_i32 s24, s23, s24
	s_mul_i32 s52, s6, s22
	s_mul_hi_u32 s46, s6, s22
	s_add_u32 s47, s47, s52
	s_addc_u32 s46, 0, s46
	s_mul_hi_u32 s56, s23, s22
	s_add_u32 s24, s47, s24
	s_mul_i32 s22, s23, s22
	s_addc_u32 s24, s46, s25
	s_addc_u32 s25, s56, 0
	s_add_u32 s22, s24, s22
	s_addc_u32 s24, 0, s25
	s_mul_hi_u32 s25, s33, s22
	s_mul_i32 s24, s33, s24
	s_mul_i32 s22, s33, s22
	s_add_i32 s25, s25, s24
	s_sub_u32 s22, s6, s22
	s_cselect_b32 s24, -1, 0
	s_cmp_lg_u32 s24, 0
	s_subb_u32 s24, s23, s25
	s_sub_u32 s25, s22, s33
	s_cselect_b32 s46, -1, 0
	s_cmp_lg_u32 s46, 0
	s_subb_u32 s46, s24, 0
	;; [unrolled: 4-line block ×3, first 2 shown]
	s_cmp_ge_u32 s25, s33
	s_cselect_b32 s56, -1, 0
	s_cmp_eq_u32 s46, 0
	s_cselect_b32 s56, s56, -1
	s_cmp_lg_u32 s56, 0
	s_cselect_b32 s46, s52, s46
	s_cselect_b32 s47, s47, s25
	s_cmp_ge_u32 s22, s33
	s_cselect_b32 s25, -1, 0
	s_cmp_eq_u32 s24, 0
	s_cselect_b32 s25, s25, -1
	s_cmp_lg_u32 s25, 0
	s_cselect_b32 s25, s46, s24
	s_cselect_b32 s24, s47, s22
	s_cbranch_execnz .LBB204_287
.LBB204_286:                            ;   in Loop: Header=BB204_6 Depth=1
	v_cvt_f32_u32_e32 v2, s33
	s_sub_i32 s24, 0, s33
	v_rcp_iflag_f32_e32 v2, v2
	v_mul_f32_e32 v2, 0x4f7ffffe, v2
	v_cvt_u32_f32_e32 v2, v2
	v_readfirstlane_b32 s22, v2
	s_mul_i32 s24, s24, s22
	s_mul_hi_u32 s24, s22, s24
	s_add_i32 s22, s22, s24
	s_mul_hi_u32 s22, s6, s22
	s_mul_i32 s22, s22, s33
	s_sub_i32 s22, s6, s22
	s_sub_i32 s24, s22, s33
	s_cmp_ge_u32 s22, s33
	s_cselect_b32 s22, s24, s22
	s_sub_i32 s24, s22, s33
	s_cmp_ge_u32 s22, s33
	s_cselect_b32 s52, s24, s22
	s_mov_b64 s[24:25], s[52:53]
.LBB204_287:                            ;   in Loop: Header=BB204_6 Depth=1
	s_sub_u32 s22, s6, s24
	s_subb_u32 s23, s23, s25
	s_mov_b32 s6, 0
	s_mov_b32 s24, 0
	s_mov_b32 s25, exec_lo
                                        ; implicit-def: $vgpr42
	v_cmpx_gt_u64_e64 s[22:23], v[0:1]
	s_cbranch_execz .LBB204_298
; %bb.288:                              ;   in Loop: Header=BB204_6 Depth=1
	v_mov_b32_e32 v5, v1
	v_mov_b32_e32 v2, v32
	;; [unrolled: 1-line block ×3, first 2 shown]
                                        ; implicit-def: $sgpr46
	s_branch .LBB204_292
.LBB204_289:                            ;   in Loop: Header=BB204_292 Depth=2
	s_or_b32 exec_lo, exec_lo, s47
	s_waitcnt lgkmcnt(0)
	s_barrier
	buffer_gl0_inv
	ds_read_b32 v6, v3 offset:3072
	s_waitcnt lgkmcnt(0)
	s_barrier
	buffer_gl0_inv
	v_cmp_neq_f16_e32 vcc_lo, 0, v6
	s_cbranch_vccnz .LBB204_295
; %bb.290:                              ;   in Loop: Header=BB204_292 Depth=2
	v_add_co_u32 v4, vcc_lo, v4, s33
	v_add_co_ci_u32_e64 v5, null, 0, v5, vcc_lo
	v_add_nc_u32_e32 v2, s90, v2
	s_mov_b32 s47, 0
	v_cmp_le_u64_e32 vcc_lo, s[22:23], v[4:5]
	s_orn2_b32 s52, vcc_lo, exec_lo
.LBB204_291:                            ;   in Loop: Header=BB204_292 Depth=2
	s_and_b32 s2, exec_lo, s52
	s_or_b32 s24, s2, s24
	s_andn2_b32 s2, s46, exec_lo
	s_and_b32 s7, s47, exec_lo
	s_or_b32 s46, s2, s7
	s_andn2_b32 exec_lo, exec_lo, s24
	s_cbranch_execz .LBB204_297
.LBB204_292:                            ;   Parent Loop BB204_6 Depth=1
                                        ; =>  This Inner Loop Header: Depth=2
	s_mov_b32 s47, exec_lo
	v_cmpx_gt_u64_e64 s[20:21], v[4:5]
	s_cbranch_execz .LBB204_289
; %bb.293:                              ;   in Loop: Header=BB204_292 Depth=2
	ds_read_u16 v6, v2
	s_waitcnt lgkmcnt(0)
	v_cmp_lt_i16_e32 vcc_lo, -1, v6
	v_cndmask_b32_e32 v7, 0xffff, v39, vcc_lo
	v_cmp_o_f16_e32 vcc_lo, v6, v6
	v_xor_b32_sdwa v7, v7, v6 dst_sel:DWORD dst_unused:UNUSED_PAD src0_sel:DWORD src1_sel:WORD_0
	v_cndmask_b32_e32 v7, 0xffff, v7, vcc_lo
	v_and_b32_e32 v7, v7, v41
	v_cmp_eq_u32_e32 vcc_lo, v7, v20
	s_and_b32 exec_lo, exec_lo, vcc_lo
	s_cbranch_execz .LBB204_289
; %bb.294:                              ;   in Loop: Header=BB204_292 Depth=2
	v_perm_b32 v6, v6, s93, 0x5040100
	ds_write_b32 v3, v6 offset:3072
	s_branch .LBB204_289
.LBB204_295:                            ;   in Loop: Header=BB204_292 Depth=2
	s_mov_b32 s52, -1
	s_mov_b32 s47, -1
                                        ; implicit-def: $vgpr4_vgpr5
                                        ; implicit-def: $vgpr2
	s_branch .LBB204_291
.LBB204_296:                            ;   in Loop: Header=BB204_6 Depth=1
	v_mov_b32_e32 v20, v10
	v_mov_b32_e32 v41, v11
	;; [unrolled: 1-line block ×3, first 2 shown]
	s_mov_b32 s9, 0
	s_and_saveexec_b32 s6, s64
	s_cbranch_execnz .LBB204_480
	s_branch .LBB204_481
.LBB204_297:                            ;   in Loop: Header=BB204_6 Depth=1
	s_or_b32 exec_lo, exec_lo, s24
	v_lshrrev_b32_e32 v42, 16, v6
	s_and_b32 s24, s46, exec_lo
.LBB204_298:                            ;   in Loop: Header=BB204_6 Depth=1
	s_or_b32 exec_lo, exec_lo, s25
.LBB204_299:                            ;   in Loop: Header=BB204_6 Depth=1
	s_and_b32 vcc_lo, exec_lo, s6
	s_cbranch_vccz .LBB204_314
; %bb.300:                              ;   in Loop: Header=BB204_6 Depth=1
	s_mov_b32 s56, s53
	s_cmp_lg_u64 s[56:57], 0
	s_cbranch_scc0 .LBB204_343
; %bb.301:                              ;   in Loop: Header=BB204_6 Depth=1
	v_cvt_f32_u32_e32 v2, s33
	s_sub_u32 s20, 0, s33
	s_subb_u32 s21, 0, 0
	v_fmac_f32_e64 v2, 0x4f800000, 0
	v_rcp_f32_e32 v2, v2
	v_mul_f32_e32 v2, 0x5f7ffffc, v2
	v_mul_f32_e32 v4, 0x2f800000, v2
	v_trunc_f32_e32 v4, v4
	v_fmac_f32_e32 v2, 0xcf800000, v4
	v_cvt_u32_f32_e32 v4, v4
	v_cvt_u32_f32_e32 v2, v2
	v_readfirstlane_b32 s6, v4
	v_readfirstlane_b32 s9, v2
	s_mul_i32 s22, s20, s6
	s_mul_hi_u32 s25, s20, s9
	s_mul_i32 s23, s21, s9
	s_add_i32 s22, s25, s22
	s_mul_i32 s27, s20, s9
	s_add_i32 s22, s22, s23
	s_mul_hi_u32 s25, s9, s27
	s_mul_i32 s47, s9, s22
	s_mul_hi_u32 s46, s6, s27
	s_mul_i32 s23, s6, s27
	s_mul_hi_u32 s27, s9, s22
	s_add_u32 s25, s25, s47
	s_addc_u32 s27, 0, s27
	s_mul_hi_u32 s52, s6, s22
	s_add_u32 s23, s25, s23
	s_mul_i32 s22, s6, s22
	s_addc_u32 s23, s27, s46
	s_addc_u32 s25, s52, 0
	s_add_u32 s22, s23, s22
	s_addc_u32 s23, 0, s25
	s_add_u32 s9, s9, s22
	s_cselect_b32 s22, -1, 0
	s_mul_hi_u32 s25, s20, s9
	s_cmp_lg_u32 s22, 0
	s_mul_i32 s22, s20, s9
	s_addc_u32 s6, s6, s23
	s_mul_i32 s21, s21, s9
	s_mul_i32 s20, s20, s6
	s_mul_hi_u32 s23, s9, s22
	s_add_i32 s20, s25, s20
	s_mul_hi_u32 s25, s6, s22
	s_add_i32 s20, s20, s21
	s_mul_i32 s21, s6, s22
	s_mul_i32 s46, s9, s20
	s_mul_hi_u32 s27, s9, s20
	s_add_u32 s23, s23, s46
	s_addc_u32 s27, 0, s27
	s_mul_hi_u32 s22, s6, s20
	s_add_u32 s21, s23, s21
	s_mul_i32 s20, s6, s20
	s_addc_u32 s21, s27, s25
	s_addc_u32 s22, s22, 0
	s_add_u32 s20, s21, s20
	s_addc_u32 s21, 0, s22
	s_add_u32 s9, s9, s20
	s_cselect_b32 s20, -1, 0
	s_mul_hi_u32 s22, s84, s9
	s_cmp_lg_u32 s20, 0
	s_mul_hi_u32 s20, s57, s9
	s_addc_u32 s6, s6, s21
	s_mul_i32 s9, s57, s9
	s_mul_i32 s23, s84, s6
	s_mul_hi_u32 s21, s84, s6
	s_add_u32 s22, s22, s23
	s_addc_u32 s21, 0, s21
	s_mul_hi_u32 s25, s57, s6
	s_add_u32 s9, s22, s9
	s_mul_i32 s6, s57, s6
	s_addc_u32 s9, s21, s20
	s_addc_u32 s20, s25, 0
	s_add_u32 s6, s9, s6
	s_addc_u32 s9, 0, s20
	s_mul_hi_u32 s20, s33, s6
	s_mul_i32 s9, s33, s9
	s_mul_i32 s6, s33, s6
	s_add_i32 s20, s20, s9
	s_sub_u32 s6, s84, s6
	s_cselect_b32 s9, -1, 0
	s_cmp_lg_u32 s9, 0
	s_subb_u32 s9, s57, s20
	s_sub_u32 s20, s6, s33
	s_cselect_b32 s21, -1, 0
	s_cmp_lg_u32 s21, 0
	s_subb_u32 s21, s9, 0
	;; [unrolled: 4-line block ×3, first 2 shown]
	s_cmp_ge_u32 s20, s33
	s_cselect_b32 s25, -1, 0
	s_cmp_eq_u32 s21, 0
	s_cselect_b32 s25, s25, -1
	s_cmp_lg_u32 s25, 0
	s_cselect_b32 s21, s23, s21
	s_cselect_b32 s20, s22, s20
	s_cmp_ge_u32 s6, s33
	s_cselect_b32 s22, -1, 0
	s_cmp_eq_u32 s9, 0
	s_cselect_b32 s22, s22, -1
	s_cmp_lg_u32 s22, 0
	s_cselect_b32 s21, s21, s9
	s_cselect_b32 s20, s20, s6
	s_cbranch_execnz .LBB204_303
.LBB204_302:                            ;   in Loop: Header=BB204_6 Depth=1
	v_cvt_f32_u32_e32 v2, s33
	s_sub_i32 s9, 0, s33
	v_rcp_iflag_f32_e32 v2, v2
	v_mul_f32_e32 v2, 0x4f7ffffe, v2
	v_cvt_u32_f32_e32 v2, v2
	v_readfirstlane_b32 s6, v2
	s_mul_i32 s9, s9, s6
	s_mul_hi_u32 s9, s6, s9
	s_add_i32 s6, s6, s9
	s_mul_hi_u32 s6, s84, s6
	s_mul_i32 s6, s6, s33
	s_sub_i32 s6, s84, s6
	s_sub_i32 s9, s6, s33
	s_cmp_ge_u32 s6, s33
	s_cselect_b32 s6, s9, s6
	s_sub_i32 s9, s6, s33
	s_cmp_ge_u32 s6, s33
	s_cselect_b32 s52, s9, s6
	s_mov_b64 s[20:21], s[52:53]
.LBB204_303:                            ;   in Loop: Header=BB204_6 Depth=1
	s_sub_u32 s20, s84, s20
	s_subb_u32 s21, s57, s21
	s_mov_b32 s9, exec_lo
                                        ; implicit-def: $vgpr42
	v_cmpx_gt_u64_e64 s[20:21], v[0:1]
	s_cbranch_execz .LBB204_313
; %bb.304:                              ;   in Loop: Header=BB204_6 Depth=1
	v_mov_b32_e32 v4, v12
	v_mov_b32_e32 v7, v1
	;; [unrolled: 1-line block ×4, first 2 shown]
	s_mov_b32 s22, 0
                                        ; implicit-def: $sgpr23
	s_branch .LBB204_308
.LBB204_305:                            ;   in Loop: Header=BB204_308 Depth=2
	s_or_b32 exec_lo, exec_lo, s6
	s_waitcnt lgkmcnt(0)
	s_barrier
	buffer_gl0_inv
	ds_read_b32 v2, v3 offset:3072
	s_waitcnt lgkmcnt(0)
	s_barrier
	buffer_gl0_inv
	v_cmp_neq_f16_e32 vcc_lo, 0, v2
	s_cbranch_vccnz .LBB204_311
; %bb.306:                              ;   in Loop: Header=BB204_308 Depth=2
	v_add_co_u32 v6, vcc_lo, v6, s33
	v_add_co_ci_u32_e64 v7, null, 0, v7, vcc_lo
	v_add_co_u32 v4, s6, v4, s34
	v_add_co_ci_u32_e64 v5, null, s35, v5, s6
	v_cmp_le_u64_e32 vcc_lo, s[20:21], v[6:7]
	s_mov_b32 s6, 0
	s_orn2_b32 s25, vcc_lo, exec_lo
.LBB204_307:                            ;   in Loop: Header=BB204_308 Depth=2
	s_and_b32 s2, exec_lo, s25
	s_or_b32 s22, s2, s22
	s_andn2_b32 s2, s23, exec_lo
	s_and_b32 s6, s6, exec_lo
	s_or_b32 s23, s2, s6
	s_andn2_b32 exec_lo, exec_lo, s22
	s_cbranch_execz .LBB204_312
.LBB204_308:                            ;   Parent Loop BB204_6 Depth=1
                                        ; =>  This Inner Loop Header: Depth=2
	s_mov_b32 s6, exec_lo
	v_cmpx_gt_u64_e64 s[28:29], v[6:7]
	s_cbranch_execz .LBB204_305
; %bb.309:                              ;   in Loop: Header=BB204_308 Depth=2
	global_load_ushort v2, v[4:5], off
	s_waitcnt vmcnt(0)
	v_cmp_lt_i16_e32 vcc_lo, -1, v2
	v_cndmask_b32_e32 v8, 0xffff, v39, vcc_lo
	v_cmp_o_f16_e32 vcc_lo, v2, v2
	v_xor_b32_sdwa v8, v8, v2 dst_sel:DWORD dst_unused:UNUSED_PAD src0_sel:DWORD src1_sel:WORD_0
	v_cndmask_b32_e32 v8, 0xffff, v8, vcc_lo
	v_and_b32_e32 v8, v8, v41
	v_cmp_eq_u32_e32 vcc_lo, v8, v20
	s_and_b32 exec_lo, exec_lo, vcc_lo
	s_cbranch_execz .LBB204_305
; %bb.310:                              ;   in Loop: Header=BB204_308 Depth=2
	v_perm_b32 v2, v2, s93, 0x5040100
	ds_write_b32 v3, v2 offset:3072
	s_branch .LBB204_305
.LBB204_311:                            ;   in Loop: Header=BB204_308 Depth=2
	s_mov_b32 s25, -1
	s_mov_b32 s6, -1
                                        ; implicit-def: $vgpr6_vgpr7
                                        ; implicit-def: $vgpr4_vgpr5
	s_branch .LBB204_307
.LBB204_312:                            ;   in Loop: Header=BB204_6 Depth=1
	s_or_b32 exec_lo, exec_lo, s22
	s_andn2_b32 s2, s24, exec_lo
	s_and_b32 s6, s23, exec_lo
	v_lshrrev_b32_e32 v42, 16, v2
	s_or_b32 s24, s2, s6
.LBB204_313:                            ;   in Loop: Header=BB204_6 Depth=1
	s_or_b32 exec_lo, exec_lo, s9
	s_mov_b32 s27, 0
	s_mov_b32 s9, -1
.LBB204_314:                            ;   in Loop: Header=BB204_6 Depth=1
	s_orn2_b32 s6, s24, exec_lo
.LBB204_315:                            ;   in Loop: Header=BB204_6 Depth=1
	s_or_b32 exec_lo, exec_lo, s66
                                        ; implicit-def: $vgpr4_vgpr5
                                        ; implicit-def: $vgpr2
	s_and_saveexec_b32 s24, s6
	s_cbranch_execz .LBB204_479
; %bb.316:                              ;   in Loop: Header=BB204_6 Depth=1
	v_mov_b32_e32 v4, 1
	v_mov_b32_e32 v5, 0
	;; [unrolled: 1-line block ×3, first 2 shown]
	s_xor_b32 s21, s65, -1
	s_mov_b32 s20, 0
	s_and_saveexec_b32 s6, s21
	s_cbranch_execz .LBB204_325
; %bb.317:                              ;   in Loop: Header=BB204_6 Depth=1
	s_mov_b32 s20, exec_lo
	v_cmpx_ge_u64_e64 s[18:19], v[26:27]
	s_xor_b32 s20, exec_lo, s20
	s_cbranch_execz .LBB204_322
; %bb.318:                              ;   in Loop: Header=BB204_6 Depth=1
	ds_read_b64 v[4:5], v3 offset:5120
	v_or_b32_e32 v20, s11, v20
	v_or_b32_e32 v41, s11, v41
	s_waitcnt lgkmcnt(0)
	v_cmp_ne_u64_e32 vcc_lo, 0, v[4:5]
	s_cbranch_vccnz .LBB204_322
; %bb.319:                              ;   in Loop: Header=BB204_6 Depth=1
	s_and_saveexec_b32 s21, s3
; %bb.320:                              ;   in Loop: Header=BB204_6 Depth=1
	v_mov_b32_e32 v4, s18
	v_mov_b32_e32 v5, s19
	ds_write_b64 v3, v[4:5] offset:5128
; %bb.321:                              ;   in Loop: Header=BB204_6 Depth=1
	s_or_b32 exec_lo, exec_lo, s21
	s_waitcnt lgkmcnt(0)
	s_barrier
	buffer_gl0_inv
.LBB204_322:                            ;   in Loop: Header=BB204_6 Depth=1
	s_or_saveexec_b32 s20, s20
	v_mov_b32_e32 v2, 5
	s_mov_b32 s21, 0
	s_xor_b32 exec_lo, exec_lo, s20
; %bb.323:                              ;   in Loop: Header=BB204_6 Depth=1
	v_sub_co_u32 v26, vcc_lo, v26, s18
	v_subrev_co_ci_u32_e64 v27, null, s19, v27, vcc_lo
	v_mov_b32_e32 v2, 0
	s_mov_b32 s21, exec_lo
; %bb.324:                              ;   in Loop: Header=BB204_6 Depth=1
	s_or_b32 exec_lo, exec_lo, s20
	v_mov_b32_e32 v4, v26
	v_mov_b32_e32 v5, v27
	s_and_b32 s20, s21, exec_lo
.LBB204_325:                            ;   in Loop: Header=BB204_6 Depth=1
	s_or_b32 exec_lo, exec_lo, s6
	s_mov_b32 s6, -1
                                        ; implicit-def: $sgpr65
                                        ; implicit-def: $sgpr66
	s_and_saveexec_b32 s18, s20
	s_xor_b32 s25, exec_lo, s18
	s_cbranch_execz .LBB204_476
; %bb.326:                              ;   in Loop: Header=BB204_6 Depth=1
	v_cmp_eq_u64_e32 vcc_lo, 1, v[4:5]
	s_cmp_eq_u64 s[16:17], 1
                                        ; implicit-def: $sgpr66
                                        ; implicit-def: $sgpr65
	s_cselect_b32 s6, -1, 0
	s_and_b32 s67, s6, vcc_lo
	s_mov_b32 s6, -1
	s_and_saveexec_b32 s68, s67
	s_cbranch_execz .LBB204_362
; %bb.327:                              ;   in Loop: Header=BB204_6 Depth=1
	ds_read_b64 v[6:7], v3 offset:5120
	s_waitcnt lgkmcnt(0)
	s_barrier
	buffer_gl0_inv
	v_readfirstlane_b32 s18, v6
	v_readfirstlane_b32 s19, v7
	s_and_saveexec_b32 s6, s10
; %bb.328:                              ;   in Loop: Header=BB204_6 Depth=1
	ds_write_b16 v33, v3
; %bb.329:                              ;   in Loop: Header=BB204_6 Depth=1
	s_or_b32 exec_lo, exec_lo, s6
	s_lshl_b32 s6, 2, s91
	v_or_b32_e32 v41, s11, v41
	v_and_or_b32 v20, v20, s26, s6
	s_mov_b32 s65, -1
	s_mov_b32 s66, 0
	s_cmp_eq_u64 s[18:19], 0
	s_mov_b32 s22, 0
	s_mov_b32 s6, -1
	s_waitcnt lgkmcnt(0)
	s_barrier
	buffer_gl0_inv
                                        ; implicit-def: $vgpr42
	s_cbranch_scc1 .LBB204_346
; %bb.330:                              ;   in Loop: Header=BB204_6 Depth=1
	s_add_u32 s6, s18, s82
	s_addc_u32 s21, s19, s83
	s_mov_b32 s20, s53
	s_cmp_lg_u64 s[20:21], 0
	s_cbranch_scc0 .LBB204_389
; %bb.331:                              ;   in Loop: Header=BB204_6 Depth=1
	v_cvt_f32_u32_e32 v6, s33
	s_sub_u32 s23, 0, s33
	s_subb_u32 s46, 0, 0
	v_fmac_f32_e64 v6, 0x4f800000, 0
	v_rcp_f32_e32 v6, v6
	v_mul_f32_e32 v6, 0x5f7ffffc, v6
	v_mul_f32_e32 v7, 0x2f800000, v6
	v_trunc_f32_e32 v7, v7
	v_fmac_f32_e32 v6, 0xcf800000, v7
	v_cvt_u32_f32_e32 v7, v7
	v_cvt_u32_f32_e32 v6, v6
	v_readfirstlane_b32 s20, v7
	v_readfirstlane_b32 s22, v6
	s_mul_i32 s47, s23, s20
	s_mul_hi_u32 s56, s23, s22
	s_mul_i32 s52, s46, s22
	s_add_i32 s47, s56, s47
	s_mul_i32 s69, s23, s22
	s_add_i32 s47, s47, s52
	s_mul_hi_u32 s56, s22, s69
	s_mul_i32 s71, s22, s47
	s_mul_hi_u32 s70, s20, s69
	s_mul_i32 s52, s20, s69
	s_mul_hi_u32 s69, s22, s47
	s_add_u32 s56, s56, s71
	s_addc_u32 s69, 0, s69
	s_mul_hi_u32 s72, s20, s47
	s_add_u32 s52, s56, s52
	s_mul_i32 s47, s20, s47
	s_addc_u32 s52, s69, s70
	s_addc_u32 s56, s72, 0
	s_add_u32 s47, s52, s47
	s_addc_u32 s52, 0, s56
	s_add_u32 s22, s22, s47
	s_cselect_b32 s47, -1, 0
	s_mul_hi_u32 s56, s23, s22
	s_cmp_lg_u32 s47, 0
	s_mul_i32 s47, s23, s22
	s_addc_u32 s20, s20, s52
	s_mul_i32 s46, s46, s22
	s_mul_i32 s23, s23, s20
	s_mul_hi_u32 s52, s22, s47
	s_add_i32 s23, s56, s23
	s_mul_hi_u32 s56, s20, s47
	s_add_i32 s23, s23, s46
	s_mul_i32 s46, s20, s47
	s_mul_i32 s70, s22, s23
	s_mul_hi_u32 s69, s22, s23
	s_add_u32 s52, s52, s70
	s_addc_u32 s69, 0, s69
	s_mul_hi_u32 s47, s20, s23
	s_add_u32 s46, s52, s46
	s_mul_i32 s23, s20, s23
	s_addc_u32 s46, s69, s56
	s_addc_u32 s47, s47, 0
	s_add_u32 s23, s46, s23
	s_addc_u32 s46, 0, s47
	s_add_u32 s22, s22, s23
	s_cselect_b32 s23, -1, 0
	s_mul_hi_u32 s47, s6, s22
	s_cmp_lg_u32 s23, 0
	s_mul_hi_u32 s23, s21, s22
	s_addc_u32 s20, s20, s46
	s_mul_i32 s22, s21, s22
	s_mul_i32 s52, s6, s20
	s_mul_hi_u32 s46, s6, s20
	s_add_u32 s47, s47, s52
	s_addc_u32 s46, 0, s46
	s_mul_hi_u32 s56, s21, s20
	s_add_u32 s22, s47, s22
	s_mul_i32 s20, s21, s20
	s_addc_u32 s22, s46, s23
	s_addc_u32 s23, s56, 0
	s_add_u32 s20, s22, s20
	s_addc_u32 s22, 0, s23
	s_mul_hi_u32 s23, s33, s20
	s_mul_i32 s22, s33, s22
	s_mul_i32 s20, s33, s20
	s_add_i32 s23, s23, s22
	s_sub_u32 s20, s6, s20
	s_cselect_b32 s22, -1, 0
	s_cmp_lg_u32 s22, 0
	s_subb_u32 s22, s21, s23
	s_sub_u32 s23, s20, s33
	s_cselect_b32 s46, -1, 0
	s_cmp_lg_u32 s46, 0
	s_subb_u32 s46, s22, 0
	;; [unrolled: 4-line block ×3, first 2 shown]
	s_cmp_ge_u32 s23, s33
	s_cselect_b32 s56, -1, 0
	s_cmp_eq_u32 s46, 0
	s_cselect_b32 s56, s56, -1
	s_cmp_lg_u32 s56, 0
	s_cselect_b32 s46, s52, s46
	s_cselect_b32 s47, s47, s23
	s_cmp_ge_u32 s20, s33
	s_cselect_b32 s23, -1, 0
	s_cmp_eq_u32 s22, 0
	s_cselect_b32 s23, s23, -1
	s_cmp_lg_u32 s23, 0
	s_cselect_b32 s23, s46, s22
	s_cselect_b32 s22, s47, s20
	s_cbranch_execnz .LBB204_333
.LBB204_332:                            ;   in Loop: Header=BB204_6 Depth=1
	v_cvt_f32_u32_e32 v6, s33
	s_sub_i32 s22, 0, s33
	v_rcp_iflag_f32_e32 v6, v6
	v_mul_f32_e32 v6, 0x4f7ffffe, v6
	v_cvt_u32_f32_e32 v6, v6
	v_readfirstlane_b32 s20, v6
	s_mul_i32 s22, s22, s20
	s_mul_hi_u32 s22, s20, s22
	s_add_i32 s20, s20, s22
	s_mul_hi_u32 s20, s6, s20
	s_mul_i32 s20, s20, s33
	s_sub_i32 s20, s6, s20
	s_sub_i32 s22, s20, s33
	s_cmp_ge_u32 s20, s33
	s_cselect_b32 s20, s22, s20
	s_sub_i32 s22, s20, s33
	s_cmp_ge_u32 s20, s33
	s_cselect_b32 s52, s22, s20
	s_mov_b64 s[22:23], s[52:53]
.LBB204_333:                            ;   in Loop: Header=BB204_6 Depth=1
	s_sub_u32 s20, s6, s22
	s_subb_u32 s21, s21, s23
	s_mov_b32 s6, 0
	s_mov_b32 s22, 0
	s_mov_b32 s23, exec_lo
                                        ; implicit-def: $vgpr42
	v_cmpx_gt_u64_e64 s[20:21], v[0:1]
	s_cbranch_execz .LBB204_345
; %bb.334:                              ;   in Loop: Header=BB204_6 Depth=1
	v_mov_b32_e32 v7, v1
	v_mov_b32_e32 v8, v32
	;; [unrolled: 1-line block ×3, first 2 shown]
                                        ; implicit-def: $sgpr46
	s_branch .LBB204_338
.LBB204_335:                            ;   in Loop: Header=BB204_338 Depth=2
	s_or_b32 exec_lo, exec_lo, s47
	s_waitcnt lgkmcnt(0)
	s_barrier
	buffer_gl0_inv
	ds_read_b32 v9, v3 offset:3072
	s_waitcnt lgkmcnt(0)
	s_barrier
	buffer_gl0_inv
	v_cmp_neq_f16_e32 vcc_lo, 0, v9
	s_cbranch_vccnz .LBB204_341
; %bb.336:                              ;   in Loop: Header=BB204_338 Depth=2
	v_add_co_u32 v6, vcc_lo, v6, s33
	v_add_co_ci_u32_e64 v7, null, 0, v7, vcc_lo
	v_add_nc_u32_e32 v8, s90, v8
	s_mov_b32 s47, 0
	v_cmp_le_u64_e32 vcc_lo, s[20:21], v[6:7]
	s_orn2_b32 s52, vcc_lo, exec_lo
.LBB204_337:                            ;   in Loop: Header=BB204_338 Depth=2
	s_and_b32 s2, exec_lo, s52
	s_or_b32 s22, s2, s22
	s_andn2_b32 s2, s46, exec_lo
	s_and_b32 s7, s47, exec_lo
	s_or_b32 s46, s2, s7
	s_andn2_b32 exec_lo, exec_lo, s22
	s_cbranch_execz .LBB204_344
.LBB204_338:                            ;   Parent Loop BB204_6 Depth=1
                                        ; =>  This Inner Loop Header: Depth=2
	s_mov_b32 s47, exec_lo
	v_cmpx_gt_u64_e64 s[18:19], v[6:7]
	s_cbranch_execz .LBB204_335
; %bb.339:                              ;   in Loop: Header=BB204_338 Depth=2
	ds_read_u16 v9, v8
	s_waitcnt lgkmcnt(0)
	v_cmp_lt_i16_e32 vcc_lo, -1, v9
	v_cndmask_b32_e32 v10, 0xffff, v39, vcc_lo
	v_cmp_o_f16_e32 vcc_lo, v9, v9
	v_xor_b32_sdwa v10, v10, v9 dst_sel:DWORD dst_unused:UNUSED_PAD src0_sel:DWORD src1_sel:WORD_0
	v_cndmask_b32_e32 v10, 0xffff, v10, vcc_lo
	v_and_b32_e32 v10, v10, v41
	v_cmp_eq_u32_e32 vcc_lo, v10, v20
	s_and_b32 exec_lo, exec_lo, vcc_lo
	s_cbranch_execz .LBB204_335
; %bb.340:                              ;   in Loop: Header=BB204_338 Depth=2
	v_perm_b32 v9, v9, s93, 0x5040100
	ds_write_b32 v3, v9 offset:3072
	s_branch .LBB204_335
.LBB204_341:                            ;   in Loop: Header=BB204_338 Depth=2
	s_mov_b32 s52, -1
	s_mov_b32 s47, -1
                                        ; implicit-def: $vgpr6_vgpr7
                                        ; implicit-def: $vgpr8
	s_branch .LBB204_337
.LBB204_342:                            ;   in Loop: Header=BB204_6 Depth=1
                                        ; implicit-def: $sgpr24_sgpr25
	s_branch .LBB204_286
.LBB204_343:                            ;   in Loop: Header=BB204_6 Depth=1
                                        ; implicit-def: $sgpr20_sgpr21
	s_branch .LBB204_302
.LBB204_344:                            ;   in Loop: Header=BB204_6 Depth=1
	s_or_b32 exec_lo, exec_lo, s22
	v_lshrrev_b32_e32 v42, 16, v9
	s_and_b32 s22, s46, exec_lo
.LBB204_345:                            ;   in Loop: Header=BB204_6 Depth=1
	s_or_b32 exec_lo, exec_lo, s23
.LBB204_346:                            ;   in Loop: Header=BB204_6 Depth=1
	s_and_b32 vcc_lo, exec_lo, s6
	s_cbranch_vccz .LBB204_361
; %bb.347:                              ;   in Loop: Header=BB204_6 Depth=1
	s_mov_b32 s56, s53
	s_cmp_lg_u64 s[56:57], 0
	s_cbranch_scc0 .LBB204_390
; %bb.348:                              ;   in Loop: Header=BB204_6 Depth=1
	v_cvt_f32_u32_e32 v6, s33
	s_sub_u32 s19, 0, s33
	s_subb_u32 s20, 0, 0
	v_fmac_f32_e64 v6, 0x4f800000, 0
	v_rcp_f32_e32 v6, v6
	v_mul_f32_e32 v6, 0x5f7ffffc, v6
	v_mul_f32_e32 v7, 0x2f800000, v6
	v_trunc_f32_e32 v7, v7
	v_fmac_f32_e32 v6, 0xcf800000, v7
	v_cvt_u32_f32_e32 v7, v7
	v_cvt_u32_f32_e32 v6, v6
	v_readfirstlane_b32 s6, v7
	v_readfirstlane_b32 s18, v6
	s_mul_i32 s21, s19, s6
	s_mul_hi_u32 s46, s19, s18
	s_mul_i32 s23, s20, s18
	s_add_i32 s21, s46, s21
	s_mul_i32 s47, s19, s18
	s_add_i32 s21, s21, s23
	s_mul_hi_u32 s46, s18, s47
	s_mul_i32 s56, s18, s21
	s_mul_hi_u32 s52, s6, s47
	s_mul_i32 s23, s6, s47
	s_mul_hi_u32 s47, s18, s21
	s_add_u32 s46, s46, s56
	s_addc_u32 s47, 0, s47
	s_mul_hi_u32 s65, s6, s21
	s_add_u32 s23, s46, s23
	s_mul_i32 s21, s6, s21
	s_addc_u32 s23, s47, s52
	s_addc_u32 s46, s65, 0
	s_add_u32 s21, s23, s21
	s_addc_u32 s23, 0, s46
	s_add_u32 s18, s18, s21
	s_cselect_b32 s21, -1, 0
	s_mul_hi_u32 s46, s19, s18
	s_cmp_lg_u32 s21, 0
	s_mul_i32 s21, s19, s18
	s_addc_u32 s6, s6, s23
	s_mul_i32 s20, s20, s18
	s_mul_i32 s19, s19, s6
	s_mul_hi_u32 s23, s18, s21
	s_add_i32 s19, s46, s19
	s_mul_hi_u32 s46, s6, s21
	s_add_i32 s19, s19, s20
	s_mul_i32 s20, s6, s21
	s_mul_i32 s52, s18, s19
	s_mul_hi_u32 s47, s18, s19
	s_add_u32 s23, s23, s52
	s_addc_u32 s47, 0, s47
	s_mul_hi_u32 s21, s6, s19
	s_add_u32 s20, s23, s20
	s_mul_i32 s19, s6, s19
	s_addc_u32 s20, s47, s46
	s_addc_u32 s21, s21, 0
	s_add_u32 s19, s20, s19
	s_addc_u32 s20, 0, s21
	s_add_u32 s18, s18, s19
	s_cselect_b32 s19, -1, 0
	s_mul_hi_u32 s21, s84, s18
	s_cmp_lg_u32 s19, 0
	s_mul_hi_u32 s19, s57, s18
	s_addc_u32 s6, s6, s20
	s_mul_i32 s18, s57, s18
	s_mul_i32 s23, s84, s6
	s_mul_hi_u32 s20, s84, s6
	s_add_u32 s21, s21, s23
	s_addc_u32 s20, 0, s20
	s_mul_hi_u32 s46, s57, s6
	s_add_u32 s18, s21, s18
	s_mul_i32 s6, s57, s6
	s_addc_u32 s18, s20, s19
	s_addc_u32 s19, s46, 0
	s_add_u32 s6, s18, s6
	s_addc_u32 s18, 0, s19
	s_mul_hi_u32 s19, s33, s6
	s_mul_i32 s18, s33, s18
	s_mul_i32 s6, s33, s6
	s_add_i32 s19, s19, s18
	s_sub_u32 s6, s84, s6
	s_cselect_b32 s18, -1, 0
	s_cmp_lg_u32 s18, 0
	s_subb_u32 s18, s57, s19
	s_sub_u32 s19, s6, s33
	s_cselect_b32 s20, -1, 0
	s_cmp_lg_u32 s20, 0
	s_subb_u32 s20, s18, 0
	;; [unrolled: 4-line block ×3, first 2 shown]
	s_cmp_ge_u32 s19, s33
	s_cselect_b32 s46, -1, 0
	s_cmp_eq_u32 s20, 0
	s_cselect_b32 s46, s46, -1
	s_cmp_lg_u32 s46, 0
	s_cselect_b32 s20, s23, s20
	s_cselect_b32 s21, s21, s19
	s_cmp_ge_u32 s6, s33
	s_cselect_b32 s19, -1, 0
	s_cmp_eq_u32 s18, 0
	s_cselect_b32 s19, s19, -1
	s_cmp_lg_u32 s19, 0
	s_cselect_b32 s19, s20, s18
	s_cselect_b32 s18, s21, s6
	s_cbranch_execnz .LBB204_350
.LBB204_349:                            ;   in Loop: Header=BB204_6 Depth=1
	v_cvt_f32_u32_e32 v6, s33
	s_sub_i32 s18, 0, s33
	v_rcp_iflag_f32_e32 v6, v6
	v_mul_f32_e32 v6, 0x4f7ffffe, v6
	v_cvt_u32_f32_e32 v6, v6
	v_readfirstlane_b32 s6, v6
	s_mul_i32 s18, s18, s6
	s_mul_hi_u32 s18, s6, s18
	s_add_i32 s6, s6, s18
	s_mul_hi_u32 s6, s84, s6
	s_mul_i32 s6, s6, s33
	s_sub_i32 s6, s84, s6
	s_sub_i32 s18, s6, s33
	s_cmp_ge_u32 s6, s33
	s_cselect_b32 s6, s18, s6
	s_sub_i32 s18, s6, s33
	s_cmp_ge_u32 s6, s33
	s_cselect_b32 s52, s18, s6
	s_mov_b64 s[18:19], s[52:53]
.LBB204_350:                            ;   in Loop: Header=BB204_6 Depth=1
	s_sub_u32 s18, s84, s18
	s_subb_u32 s19, s57, s19
	s_mov_b32 s20, exec_lo
                                        ; implicit-def: $vgpr42
	v_cmpx_gt_u64_e64 s[18:19], v[0:1]
	s_cbranch_execz .LBB204_360
; %bb.351:                              ;   in Loop: Header=BB204_6 Depth=1
	v_mov_b32_e32 v6, v12
	v_mov_b32_e32 v9, v1
	;; [unrolled: 1-line block ×4, first 2 shown]
	s_mov_b32 s21, 0
                                        ; implicit-def: $sgpr23
	s_branch .LBB204_355
.LBB204_352:                            ;   in Loop: Header=BB204_355 Depth=2
	s_or_b32 exec_lo, exec_lo, s6
	s_waitcnt lgkmcnt(0)
	s_barrier
	buffer_gl0_inv
	ds_read_b32 v10, v3 offset:3072
	s_waitcnt lgkmcnt(0)
	s_barrier
	buffer_gl0_inv
	v_cmp_eq_f16_e32 vcc_lo, 0, v10
	s_cbranch_vccz .LBB204_358
; %bb.353:                              ;   in Loop: Header=BB204_355 Depth=2
	v_add_co_u32 v8, vcc_lo, v8, s33
	v_add_co_ci_u32_e64 v9, null, 0, v9, vcc_lo
	v_add_co_u32 v6, s6, v6, s34
	v_add_co_ci_u32_e64 v7, null, s35, v7, s6
	v_cmp_le_u64_e32 vcc_lo, s[18:19], v[8:9]
	s_mov_b32 s6, 0
	s_orn2_b32 s46, vcc_lo, exec_lo
.LBB204_354:                            ;   in Loop: Header=BB204_355 Depth=2
	s_and_b32 s2, exec_lo, s46
	s_or_b32 s21, s2, s21
	s_andn2_b32 s2, s23, exec_lo
	s_and_b32 s6, s6, exec_lo
	s_or_b32 s23, s2, s6
	s_andn2_b32 exec_lo, exec_lo, s21
	s_cbranch_execz .LBB204_359
.LBB204_355:                            ;   Parent Loop BB204_6 Depth=1
                                        ; =>  This Inner Loop Header: Depth=2
	s_mov_b32 s6, exec_lo
	v_cmpx_gt_u64_e64 s[28:29], v[8:9]
	s_cbranch_execz .LBB204_352
; %bb.356:                              ;   in Loop: Header=BB204_355 Depth=2
	global_load_ushort v10, v[6:7], off
	s_waitcnt vmcnt(0)
	v_cmp_lt_i16_e32 vcc_lo, -1, v10
	v_cndmask_b32_e32 v11, 0xffff, v39, vcc_lo
	v_cmp_o_f16_e32 vcc_lo, v10, v10
	v_xor_b32_sdwa v11, v11, v10 dst_sel:DWORD dst_unused:UNUSED_PAD src0_sel:DWORD src1_sel:WORD_0
	v_cndmask_b32_e32 v11, 0xffff, v11, vcc_lo
	v_and_b32_e32 v11, v11, v41
	v_cmp_eq_u32_e32 vcc_lo, v11, v20
	s_and_b32 exec_lo, exec_lo, vcc_lo
	s_cbranch_execz .LBB204_352
; %bb.357:                              ;   in Loop: Header=BB204_355 Depth=2
	v_perm_b32 v10, v10, s93, 0x5040100
	ds_write_b32 v3, v10 offset:3072
	s_branch .LBB204_352
.LBB204_358:                            ;   in Loop: Header=BB204_355 Depth=2
	s_mov_b32 s46, -1
	s_mov_b32 s6, -1
                                        ; implicit-def: $vgpr8_vgpr9
                                        ; implicit-def: $vgpr6_vgpr7
	s_branch .LBB204_354
.LBB204_359:                            ;   in Loop: Header=BB204_6 Depth=1
	s_or_b32 exec_lo, exec_lo, s21
	v_lshrrev_b32_e32 v42, 16, v10
	s_andn2_b32 s2, s22, exec_lo
	s_and_b32 s6, s23, exec_lo
	s_or_b32 s22, s2, s6
.LBB204_360:                            ;   in Loop: Header=BB204_6 Depth=1
	s_or_b32 exec_lo, exec_lo, s20
	s_mov_b32 s65, 0
	s_mov_b32 s66, -1
.LBB204_361:                            ;   in Loop: Header=BB204_6 Depth=1
	s_orn2_b32 s6, s22, exec_lo
.LBB204_362:                            ;   in Loop: Header=BB204_6 Depth=1
	s_or_b32 exec_lo, exec_lo, s68
	s_mov_b32 s18, 0
	s_and_saveexec_b32 s22, s6
	s_cbranch_execz .LBB204_475
; %bb.363:                              ;   in Loop: Header=BB204_6 Depth=1
	v_mov_b32_e32 v6, 1
	v_mov_b32_e32 v7, 0
	;; [unrolled: 1-line block ×3, first 2 shown]
	s_xor_b32 s19, s67, -1
	s_and_saveexec_b32 s6, s19
	s_cbranch_execz .LBB204_372
; %bb.364:                              ;   in Loop: Header=BB204_6 Depth=1
	s_mov_b32 s18, exec_lo
	v_cmpx_ge_u64_e64 s[16:17], v[4:5]
	s_xor_b32 s18, exec_lo, s18
	s_cbranch_execz .LBB204_369
; %bb.365:                              ;   in Loop: Header=BB204_6 Depth=1
	ds_read_b64 v[6:7], v3 offset:5120
	s_lshl_b32 s19, 2, s91
	v_or_b32_e32 v41, s11, v41
	v_and_or_b32 v20, v20, s26, s19
	s_waitcnt lgkmcnt(0)
	v_cmp_ne_u64_e32 vcc_lo, 0, v[6:7]
	s_cbranch_vccnz .LBB204_369
; %bb.366:                              ;   in Loop: Header=BB204_6 Depth=1
	s_and_saveexec_b32 s19, s3
; %bb.367:                              ;   in Loop: Header=BB204_6 Depth=1
	v_mov_b32_e32 v6, s16
	v_mov_b32_e32 v7, s17
	ds_write_b64 v3, v[6:7] offset:5128
; %bb.368:                              ;   in Loop: Header=BB204_6 Depth=1
	s_or_b32 exec_lo, exec_lo, s19
	s_waitcnt lgkmcnt(0)
	s_barrier
	buffer_gl0_inv
.LBB204_369:                            ;   in Loop: Header=BB204_6 Depth=1
	s_or_saveexec_b32 s18, s18
	v_mov_b32_e32 v2, 5
	s_mov_b32 s19, 0
	s_xor_b32 exec_lo, exec_lo, s18
; %bb.370:                              ;   in Loop: Header=BB204_6 Depth=1
	v_sub_co_u32 v4, vcc_lo, v4, s16
	v_subrev_co_ci_u32_e64 v5, null, s17, v5, vcc_lo
	v_mov_b32_e32 v2, 0
	s_mov_b32 s19, exec_lo
; %bb.371:                              ;   in Loop: Header=BB204_6 Depth=1
	s_or_b32 exec_lo, exec_lo, s18
	v_mov_b32_e32 v7, v5
	v_mov_b32_e32 v6, v4
	s_and_b32 s18, s19, exec_lo
.LBB204_372:                            ;   in Loop: Header=BB204_6 Depth=1
	s_or_b32 exec_lo, exec_lo, s6
	s_mov_b32 s6, -1
                                        ; implicit-def: $sgpr67
                                        ; implicit-def: $sgpr68
	s_and_saveexec_b32 s23, s18
	s_cbranch_execz .LBB204_474
; %bb.373:                              ;   in Loop: Header=BB204_6 Depth=1
	v_cmp_eq_u64_e32 vcc_lo, 1, v[6:7]
	s_cmp_eq_u64 s[14:15], 1
                                        ; implicit-def: $sgpr68
                                        ; implicit-def: $sgpr67
	s_cselect_b32 s6, -1, 0
	s_and_b32 s69, s6, vcc_lo
	s_mov_b32 s6, -1
	s_and_saveexec_b32 s70, s69
	s_cbranch_execz .LBB204_409
; %bb.374:                              ;   in Loop: Header=BB204_6 Depth=1
	ds_read_b64 v[4:5], v3 offset:5120
	s_waitcnt lgkmcnt(0)
	s_barrier
	buffer_gl0_inv
	v_readfirstlane_b32 s16, v4
	v_readfirstlane_b32 s17, v5
	s_and_saveexec_b32 s6, s10
; %bb.375:                              ;   in Loop: Header=BB204_6 Depth=1
	ds_write_b16 v33, v3
; %bb.376:                              ;   in Loop: Header=BB204_6 Depth=1
	s_or_b32 exec_lo, exec_lo, s6
	s_lshl_b32 s6, 1, s91
	v_or_b32_e32 v41, s11, v41
	v_and_or_b32 v20, v20, s26, s6
	s_mov_b32 s67, -1
	s_mov_b32 s68, 0
	s_cmp_eq_u64 s[16:17], 0
	s_mov_b32 s20, 0
	s_mov_b32 s6, -1
	s_waitcnt lgkmcnt(0)
	s_barrier
	buffer_gl0_inv
                                        ; implicit-def: $vgpr42
	s_cbranch_scc1 .LBB204_393
; %bb.377:                              ;   in Loop: Header=BB204_6 Depth=1
	s_add_u32 s6, s16, s82
	s_addc_u32 s19, s17, s83
	s_mov_b32 s18, s53
	s_cmp_lg_u64 s[18:19], 0
	s_cbranch_scc0 .LBB204_426
; %bb.378:                              ;   in Loop: Header=BB204_6 Depth=1
	v_cvt_f32_u32_e32 v4, s33
	s_sub_u32 s21, 0, s33
	s_subb_u32 s46, 0, 0
	v_fmac_f32_e64 v4, 0x4f800000, 0
	v_rcp_f32_e32 v4, v4
	v_mul_f32_e32 v4, 0x5f7ffffc, v4
	v_mul_f32_e32 v5, 0x2f800000, v4
	v_trunc_f32_e32 v5, v5
	v_fmac_f32_e32 v4, 0xcf800000, v5
	v_cvt_u32_f32_e32 v5, v5
	v_cvt_u32_f32_e32 v4, v4
	v_readfirstlane_b32 s18, v5
	v_readfirstlane_b32 s20, v4
	s_mul_i32 s47, s21, s18
	s_mul_hi_u32 s56, s21, s20
	s_mul_i32 s52, s46, s20
	s_add_i32 s47, s56, s47
	s_mul_i32 s71, s21, s20
	s_add_i32 s47, s47, s52
	s_mul_hi_u32 s56, s20, s71
	s_mul_i32 s73, s20, s47
	s_mul_hi_u32 s72, s18, s71
	s_mul_i32 s52, s18, s71
	s_mul_hi_u32 s71, s20, s47
	s_add_u32 s56, s56, s73
	s_addc_u32 s71, 0, s71
	s_mul_hi_u32 s74, s18, s47
	s_add_u32 s52, s56, s52
	s_mul_i32 s47, s18, s47
	s_addc_u32 s52, s71, s72
	s_addc_u32 s56, s74, 0
	s_add_u32 s47, s52, s47
	s_addc_u32 s52, 0, s56
	s_add_u32 s20, s20, s47
	s_cselect_b32 s47, -1, 0
	s_mul_hi_u32 s56, s21, s20
	s_cmp_lg_u32 s47, 0
	s_mul_i32 s47, s21, s20
	s_addc_u32 s18, s18, s52
	s_mul_i32 s46, s46, s20
	s_mul_i32 s21, s21, s18
	s_mul_hi_u32 s52, s20, s47
	s_add_i32 s21, s56, s21
	s_mul_hi_u32 s56, s18, s47
	s_add_i32 s21, s21, s46
	s_mul_i32 s46, s18, s47
	s_mul_i32 s72, s20, s21
	s_mul_hi_u32 s71, s20, s21
	s_add_u32 s52, s52, s72
	s_addc_u32 s71, 0, s71
	s_mul_hi_u32 s47, s18, s21
	s_add_u32 s46, s52, s46
	s_mul_i32 s21, s18, s21
	s_addc_u32 s46, s71, s56
	s_addc_u32 s47, s47, 0
	s_add_u32 s21, s46, s21
	s_addc_u32 s46, 0, s47
	s_add_u32 s20, s20, s21
	s_cselect_b32 s21, -1, 0
	s_mul_hi_u32 s47, s6, s20
	s_cmp_lg_u32 s21, 0
	s_mul_hi_u32 s21, s19, s20
	s_addc_u32 s18, s18, s46
	s_mul_i32 s20, s19, s20
	s_mul_i32 s52, s6, s18
	s_mul_hi_u32 s46, s6, s18
	s_add_u32 s47, s47, s52
	s_addc_u32 s46, 0, s46
	s_mul_hi_u32 s56, s19, s18
	s_add_u32 s20, s47, s20
	s_mul_i32 s18, s19, s18
	s_addc_u32 s20, s46, s21
	s_addc_u32 s21, s56, 0
	s_add_u32 s18, s20, s18
	s_addc_u32 s20, 0, s21
	s_mul_hi_u32 s21, s33, s18
	s_mul_i32 s20, s33, s20
	s_mul_i32 s18, s33, s18
	s_add_i32 s21, s21, s20
	s_sub_u32 s18, s6, s18
	s_cselect_b32 s20, -1, 0
	s_cmp_lg_u32 s20, 0
	s_subb_u32 s20, s19, s21
	s_sub_u32 s21, s18, s33
	s_cselect_b32 s46, -1, 0
	s_cmp_lg_u32 s46, 0
	s_subb_u32 s46, s20, 0
	s_sub_u32 s47, s21, s33
	s_cselect_b32 s52, -1, 0
	s_cmp_lg_u32 s52, 0
	s_subb_u32 s52, s46, 0
	s_cmp_ge_u32 s21, s33
	s_cselect_b32 s56, -1, 0
	s_cmp_eq_u32 s46, 0
	s_cselect_b32 s56, s56, -1
	s_cmp_lg_u32 s56, 0
	s_cselect_b32 s46, s52, s46
	s_cselect_b32 s47, s47, s21
	s_cmp_ge_u32 s18, s33
	s_cselect_b32 s21, -1, 0
	s_cmp_eq_u32 s20, 0
	s_cselect_b32 s21, s21, -1
	s_cmp_lg_u32 s21, 0
	s_cselect_b32 s21, s46, s20
	s_cselect_b32 s20, s47, s18
	s_cbranch_execnz .LBB204_380
.LBB204_379:                            ;   in Loop: Header=BB204_6 Depth=1
	v_cvt_f32_u32_e32 v4, s33
	s_sub_i32 s20, 0, s33
	v_rcp_iflag_f32_e32 v4, v4
	v_mul_f32_e32 v4, 0x4f7ffffe, v4
	v_cvt_u32_f32_e32 v4, v4
	v_readfirstlane_b32 s18, v4
	s_mul_i32 s20, s20, s18
	s_mul_hi_u32 s20, s18, s20
	s_add_i32 s18, s18, s20
	s_mul_hi_u32 s18, s6, s18
	s_mul_i32 s18, s18, s33
	s_sub_i32 s18, s6, s18
	s_sub_i32 s20, s18, s33
	s_cmp_ge_u32 s18, s33
	s_cselect_b32 s18, s20, s18
	s_sub_i32 s20, s18, s33
	s_cmp_ge_u32 s18, s33
	s_cselect_b32 s52, s20, s18
	s_mov_b64 s[20:21], s[52:53]
.LBB204_380:                            ;   in Loop: Header=BB204_6 Depth=1
	s_sub_u32 s18, s6, s20
	s_subb_u32 s19, s19, s21
	s_mov_b32 s6, 0
	s_mov_b32 s20, 0
	s_mov_b32 s21, exec_lo
                                        ; implicit-def: $vgpr42
	v_cmpx_gt_u64_e64 s[18:19], v[0:1]
	s_cbranch_execz .LBB204_392
; %bb.381:                              ;   in Loop: Header=BB204_6 Depth=1
	v_mov_b32_e32 v5, v1
	v_mov_b32_e32 v8, v32
	;; [unrolled: 1-line block ×3, first 2 shown]
                                        ; implicit-def: $sgpr46
	s_branch .LBB204_385
.LBB204_382:                            ;   in Loop: Header=BB204_385 Depth=2
	s_or_b32 exec_lo, exec_lo, s47
	s_waitcnt lgkmcnt(0)
	s_barrier
	buffer_gl0_inv
	ds_read_b32 v9, v3 offset:3072
	s_waitcnt lgkmcnt(0)
	s_barrier
	buffer_gl0_inv
	v_cmp_neq_f16_e32 vcc_lo, 0, v9
	s_cbranch_vccnz .LBB204_388
; %bb.383:                              ;   in Loop: Header=BB204_385 Depth=2
	v_add_co_u32 v4, vcc_lo, v4, s33
	v_add_co_ci_u32_e64 v5, null, 0, v5, vcc_lo
	v_add_nc_u32_e32 v8, s90, v8
	s_mov_b32 s47, 0
	v_cmp_le_u64_e32 vcc_lo, s[18:19], v[4:5]
	s_orn2_b32 s52, vcc_lo, exec_lo
.LBB204_384:                            ;   in Loop: Header=BB204_385 Depth=2
	s_and_b32 s2, exec_lo, s52
	s_or_b32 s20, s2, s20
	s_andn2_b32 s2, s46, exec_lo
	s_and_b32 s7, s47, exec_lo
	s_or_b32 s46, s2, s7
	s_andn2_b32 exec_lo, exec_lo, s20
	s_cbranch_execz .LBB204_391
.LBB204_385:                            ;   Parent Loop BB204_6 Depth=1
                                        ; =>  This Inner Loop Header: Depth=2
	s_mov_b32 s47, exec_lo
	v_cmpx_gt_u64_e64 s[16:17], v[4:5]
	s_cbranch_execz .LBB204_382
; %bb.386:                              ;   in Loop: Header=BB204_385 Depth=2
	ds_read_u16 v9, v8
	s_waitcnt lgkmcnt(0)
	v_cmp_lt_i16_e32 vcc_lo, -1, v9
	v_cndmask_b32_e32 v10, 0xffff, v39, vcc_lo
	v_cmp_o_f16_e32 vcc_lo, v9, v9
	v_xor_b32_sdwa v10, v10, v9 dst_sel:DWORD dst_unused:UNUSED_PAD src0_sel:DWORD src1_sel:WORD_0
	v_cndmask_b32_e32 v10, 0xffff, v10, vcc_lo
	v_and_b32_e32 v10, v10, v41
	v_cmp_eq_u32_e32 vcc_lo, v10, v20
	s_and_b32 exec_lo, exec_lo, vcc_lo
	s_cbranch_execz .LBB204_382
; %bb.387:                              ;   in Loop: Header=BB204_385 Depth=2
	v_perm_b32 v9, v9, s93, 0x5040100
	ds_write_b32 v3, v9 offset:3072
	s_branch .LBB204_382
.LBB204_388:                            ;   in Loop: Header=BB204_385 Depth=2
	s_mov_b32 s52, -1
	s_mov_b32 s47, -1
                                        ; implicit-def: $vgpr4_vgpr5
                                        ; implicit-def: $vgpr8
	s_branch .LBB204_384
.LBB204_389:                            ;   in Loop: Header=BB204_6 Depth=1
                                        ; implicit-def: $sgpr22_sgpr23
	s_branch .LBB204_332
.LBB204_390:                            ;   in Loop: Header=BB204_6 Depth=1
                                        ; implicit-def: $sgpr18_sgpr19
	s_branch .LBB204_349
.LBB204_391:                            ;   in Loop: Header=BB204_6 Depth=1
	s_or_b32 exec_lo, exec_lo, s20
	v_lshrrev_b32_e32 v42, 16, v9
	s_and_b32 s20, s46, exec_lo
.LBB204_392:                            ;   in Loop: Header=BB204_6 Depth=1
	s_or_b32 exec_lo, exec_lo, s21
.LBB204_393:                            ;   in Loop: Header=BB204_6 Depth=1
	s_and_b32 vcc_lo, exec_lo, s6
	s_cbranch_vccz .LBB204_408
; %bb.394:                              ;   in Loop: Header=BB204_6 Depth=1
	s_mov_b32 s56, s53
	s_cmp_lg_u64 s[56:57], 0
	s_cbranch_scc0 .LBB204_427
; %bb.395:                              ;   in Loop: Header=BB204_6 Depth=1
	v_cvt_f32_u32_e32 v4, s33
	s_sub_u32 s17, 0, s33
	s_subb_u32 s18, 0, 0
	v_fmac_f32_e64 v4, 0x4f800000, 0
	v_rcp_f32_e32 v4, v4
	v_mul_f32_e32 v4, 0x5f7ffffc, v4
	v_mul_f32_e32 v5, 0x2f800000, v4
	v_trunc_f32_e32 v5, v5
	v_fmac_f32_e32 v4, 0xcf800000, v5
	v_cvt_u32_f32_e32 v5, v5
	v_cvt_u32_f32_e32 v4, v4
	v_readfirstlane_b32 s6, v5
	v_readfirstlane_b32 s16, v4
	s_mul_i32 s19, s17, s6
	s_mul_hi_u32 s46, s17, s16
	s_mul_i32 s21, s18, s16
	s_add_i32 s19, s46, s19
	s_mul_i32 s47, s17, s16
	s_add_i32 s19, s19, s21
	s_mul_hi_u32 s46, s16, s47
	s_mul_i32 s56, s16, s19
	s_mul_hi_u32 s52, s6, s47
	s_mul_i32 s21, s6, s47
	s_mul_hi_u32 s47, s16, s19
	s_add_u32 s46, s46, s56
	s_addc_u32 s47, 0, s47
	s_mul_hi_u32 s67, s6, s19
	s_add_u32 s21, s46, s21
	s_mul_i32 s19, s6, s19
	s_addc_u32 s21, s47, s52
	s_addc_u32 s46, s67, 0
	s_add_u32 s19, s21, s19
	s_addc_u32 s21, 0, s46
	s_add_u32 s16, s16, s19
	s_cselect_b32 s19, -1, 0
	s_mul_hi_u32 s46, s17, s16
	s_cmp_lg_u32 s19, 0
	s_mul_i32 s19, s17, s16
	s_addc_u32 s6, s6, s21
	s_mul_i32 s18, s18, s16
	s_mul_i32 s17, s17, s6
	s_mul_hi_u32 s21, s16, s19
	s_add_i32 s17, s46, s17
	s_mul_hi_u32 s46, s6, s19
	s_add_i32 s17, s17, s18
	s_mul_i32 s18, s6, s19
	s_mul_i32 s52, s16, s17
	s_mul_hi_u32 s47, s16, s17
	s_add_u32 s21, s21, s52
	s_addc_u32 s47, 0, s47
	s_mul_hi_u32 s19, s6, s17
	s_add_u32 s18, s21, s18
	s_mul_i32 s17, s6, s17
	s_addc_u32 s18, s47, s46
	s_addc_u32 s19, s19, 0
	s_add_u32 s17, s18, s17
	s_addc_u32 s18, 0, s19
	s_add_u32 s16, s16, s17
	s_cselect_b32 s17, -1, 0
	s_mul_hi_u32 s19, s84, s16
	s_cmp_lg_u32 s17, 0
	s_mul_hi_u32 s17, s57, s16
	s_addc_u32 s6, s6, s18
	s_mul_i32 s16, s57, s16
	s_mul_i32 s21, s84, s6
	s_mul_hi_u32 s18, s84, s6
	s_add_u32 s19, s19, s21
	s_addc_u32 s18, 0, s18
	s_mul_hi_u32 s46, s57, s6
	s_add_u32 s16, s19, s16
	s_mul_i32 s6, s57, s6
	s_addc_u32 s16, s18, s17
	s_addc_u32 s17, s46, 0
	s_add_u32 s6, s16, s6
	s_addc_u32 s16, 0, s17
	s_mul_hi_u32 s17, s33, s6
	s_mul_i32 s16, s33, s16
	s_mul_i32 s6, s33, s6
	s_add_i32 s17, s17, s16
	s_sub_u32 s6, s84, s6
	s_cselect_b32 s16, -1, 0
	s_cmp_lg_u32 s16, 0
	s_subb_u32 s16, s57, s17
	s_sub_u32 s17, s6, s33
	s_cselect_b32 s18, -1, 0
	s_cmp_lg_u32 s18, 0
	s_subb_u32 s18, s16, 0
	;; [unrolled: 4-line block ×3, first 2 shown]
	s_cmp_ge_u32 s17, s33
	s_cselect_b32 s46, -1, 0
	s_cmp_eq_u32 s18, 0
	s_cselect_b32 s46, s46, -1
	s_cmp_lg_u32 s46, 0
	s_cselect_b32 s18, s21, s18
	s_cselect_b32 s19, s19, s17
	s_cmp_ge_u32 s6, s33
	s_cselect_b32 s17, -1, 0
	s_cmp_eq_u32 s16, 0
	s_cselect_b32 s17, s17, -1
	s_cmp_lg_u32 s17, 0
	s_cselect_b32 s17, s18, s16
	s_cselect_b32 s16, s19, s6
	s_cbranch_execnz .LBB204_397
.LBB204_396:                            ;   in Loop: Header=BB204_6 Depth=1
	v_cvt_f32_u32_e32 v4, s33
	s_sub_i32 s16, 0, s33
	v_rcp_iflag_f32_e32 v4, v4
	v_mul_f32_e32 v4, 0x4f7ffffe, v4
	v_cvt_u32_f32_e32 v4, v4
	v_readfirstlane_b32 s6, v4
	s_mul_i32 s16, s16, s6
	s_mul_hi_u32 s16, s6, s16
	s_add_i32 s6, s6, s16
	s_mul_hi_u32 s6, s84, s6
	s_mul_i32 s6, s6, s33
	s_sub_i32 s6, s84, s6
	s_sub_i32 s16, s6, s33
	s_cmp_ge_u32 s6, s33
	s_cselect_b32 s6, s16, s6
	s_sub_i32 s16, s6, s33
	s_cmp_ge_u32 s6, s33
	s_cselect_b32 s52, s16, s6
	s_mov_b64 s[16:17], s[52:53]
.LBB204_397:                            ;   in Loop: Header=BB204_6 Depth=1
	s_sub_u32 s16, s84, s16
	s_subb_u32 s17, s57, s17
	s_mov_b32 s18, exec_lo
                                        ; implicit-def: $vgpr42
	v_cmpx_gt_u64_e64 s[16:17], v[0:1]
	s_cbranch_execz .LBB204_407
; %bb.398:                              ;   in Loop: Header=BB204_6 Depth=1
	v_mov_b32_e32 v4, v12
	v_mov_b32_e32 v9, v1
	;; [unrolled: 1-line block ×4, first 2 shown]
	s_mov_b32 s19, 0
                                        ; implicit-def: $sgpr21
	s_branch .LBB204_402
.LBB204_399:                            ;   in Loop: Header=BB204_402 Depth=2
	s_or_b32 exec_lo, exec_lo, s6
	s_waitcnt lgkmcnt(0)
	s_barrier
	buffer_gl0_inv
	ds_read_b32 v10, v3 offset:3072
	s_waitcnt lgkmcnt(0)
	s_barrier
	buffer_gl0_inv
	v_cmp_eq_f16_e32 vcc_lo, 0, v10
	s_cbranch_vccz .LBB204_405
; %bb.400:                              ;   in Loop: Header=BB204_402 Depth=2
	v_add_co_u32 v8, vcc_lo, v8, s33
	v_add_co_ci_u32_e64 v9, null, 0, v9, vcc_lo
	v_add_co_u32 v4, s6, v4, s34
	v_add_co_ci_u32_e64 v5, null, s35, v5, s6
	v_cmp_le_u64_e32 vcc_lo, s[16:17], v[8:9]
	s_mov_b32 s6, 0
	s_orn2_b32 s46, vcc_lo, exec_lo
.LBB204_401:                            ;   in Loop: Header=BB204_402 Depth=2
	s_and_b32 s2, exec_lo, s46
	s_or_b32 s19, s2, s19
	s_andn2_b32 s2, s21, exec_lo
	s_and_b32 s6, s6, exec_lo
	s_or_b32 s21, s2, s6
	s_andn2_b32 exec_lo, exec_lo, s19
	s_cbranch_execz .LBB204_406
.LBB204_402:                            ;   Parent Loop BB204_6 Depth=1
                                        ; =>  This Inner Loop Header: Depth=2
	s_mov_b32 s6, exec_lo
	v_cmpx_gt_u64_e64 s[28:29], v[8:9]
	s_cbranch_execz .LBB204_399
; %bb.403:                              ;   in Loop: Header=BB204_402 Depth=2
	global_load_ushort v10, v[4:5], off
	s_waitcnt vmcnt(0)
	v_cmp_lt_i16_e32 vcc_lo, -1, v10
	v_cndmask_b32_e32 v11, 0xffff, v39, vcc_lo
	v_cmp_o_f16_e32 vcc_lo, v10, v10
	v_xor_b32_sdwa v11, v11, v10 dst_sel:DWORD dst_unused:UNUSED_PAD src0_sel:DWORD src1_sel:WORD_0
	v_cndmask_b32_e32 v11, 0xffff, v11, vcc_lo
	v_and_b32_e32 v11, v11, v41
	v_cmp_eq_u32_e32 vcc_lo, v11, v20
	s_and_b32 exec_lo, exec_lo, vcc_lo
	s_cbranch_execz .LBB204_399
; %bb.404:                              ;   in Loop: Header=BB204_402 Depth=2
	v_perm_b32 v10, v10, s93, 0x5040100
	ds_write_b32 v3, v10 offset:3072
	s_branch .LBB204_399
.LBB204_405:                            ;   in Loop: Header=BB204_402 Depth=2
	s_mov_b32 s46, -1
	s_mov_b32 s6, -1
                                        ; implicit-def: $vgpr8_vgpr9
                                        ; implicit-def: $vgpr4_vgpr5
	s_branch .LBB204_401
.LBB204_406:                            ;   in Loop: Header=BB204_6 Depth=1
	s_or_b32 exec_lo, exec_lo, s19
	v_lshrrev_b32_e32 v42, 16, v10
	s_andn2_b32 s2, s20, exec_lo
	s_and_b32 s6, s21, exec_lo
	s_or_b32 s20, s2, s6
.LBB204_407:                            ;   in Loop: Header=BB204_6 Depth=1
	s_or_b32 exec_lo, exec_lo, s18
	s_mov_b32 s67, 0
	s_mov_b32 s68, -1
.LBB204_408:                            ;   in Loop: Header=BB204_6 Depth=1
	s_orn2_b32 s6, s20, exec_lo
.LBB204_409:                            ;   in Loop: Header=BB204_6 Depth=1
	s_or_b32 exec_lo, exec_lo, s70
	s_mov_b32 s16, 0
	s_and_saveexec_b32 s20, s6
	s_cbranch_execz .LBB204_473
; %bb.410:                              ;   in Loop: Header=BB204_6 Depth=1
	v_mov_b32_e32 v4, 1
	v_mov_b32_e32 v5, 0
	;; [unrolled: 1-line block ×3, first 2 shown]
	s_xor_b32 s17, s69, -1
	s_and_saveexec_b32 s6, s17
	s_cbranch_execz .LBB204_419
; %bb.411:                              ;   in Loop: Header=BB204_6 Depth=1
	s_mov_b32 s16, exec_lo
	v_cmpx_ge_u64_e64 s[14:15], v[6:7]
	s_xor_b32 s16, exec_lo, s16
	s_cbranch_execz .LBB204_416
; %bb.412:                              ;   in Loop: Header=BB204_6 Depth=1
	ds_read_b64 v[4:5], v3 offset:5120
	s_lshl_b32 s17, 1, s91
	v_or_b32_e32 v41, s11, v41
	v_and_or_b32 v20, v20, s26, s17
	s_waitcnt lgkmcnt(0)
	v_cmp_ne_u64_e32 vcc_lo, 0, v[4:5]
	s_cbranch_vccnz .LBB204_416
; %bb.413:                              ;   in Loop: Header=BB204_6 Depth=1
	s_and_saveexec_b32 s17, s3
; %bb.414:                              ;   in Loop: Header=BB204_6 Depth=1
	v_mov_b32_e32 v4, s14
	v_mov_b32_e32 v5, s15
	ds_write_b64 v3, v[4:5] offset:5128
; %bb.415:                              ;   in Loop: Header=BB204_6 Depth=1
	s_or_b32 exec_lo, exec_lo, s17
	s_waitcnt lgkmcnt(0)
	s_barrier
	buffer_gl0_inv
.LBB204_416:                            ;   in Loop: Header=BB204_6 Depth=1
	s_or_saveexec_b32 s16, s16
	v_mov_b32_e32 v2, 5
	s_mov_b32 s17, 0
	s_xor_b32 exec_lo, exec_lo, s16
; %bb.417:                              ;   in Loop: Header=BB204_6 Depth=1
	v_sub_co_u32 v6, vcc_lo, v6, s14
	v_subrev_co_ci_u32_e64 v7, null, s15, v7, vcc_lo
	v_mov_b32_e32 v2, 0
	s_mov_b32 s17, exec_lo
; %bb.418:                              ;   in Loop: Header=BB204_6 Depth=1
	s_or_b32 exec_lo, exec_lo, s16
	v_mov_b32_e32 v4, v6
	v_mov_b32_e32 v5, v7
	s_and_b32 s16, s17, exec_lo
.LBB204_419:                            ;   in Loop: Header=BB204_6 Depth=1
	s_or_b32 exec_lo, exec_lo, s6
	s_mov_b32 s14, -1
                                        ; implicit-def: $sgpr56
                                        ; implicit-def: $sgpr6
	s_and_saveexec_b32 s21, s16
	s_cbranch_execz .LBB204_472
; %bb.420:                              ;   in Loop: Header=BB204_6 Depth=1
	v_cmp_eq_u64_e32 vcc_lo, 1, v[4:5]
	s_cmp_eq_u64 s[12:13], 1
	s_mov_b32 s15, -1
	s_cselect_b32 s6, -1, 0
                                        ; implicit-def: $sgpr56
	s_and_b32 s69, s6, vcc_lo
                                        ; implicit-def: $sgpr6
	s_and_saveexec_b32 s70, s69
	s_cbranch_execz .LBB204_460
; %bb.421:                              ;   in Loop: Header=BB204_6 Depth=1
	ds_read_b64 v[6:7], v3 offset:5120
	s_waitcnt lgkmcnt(0)
	s_barrier
	buffer_gl0_inv
	v_readfirstlane_b32 s14, v6
	v_readfirstlane_b32 s15, v7
	s_and_saveexec_b32 s6, s10
; %bb.422:                              ;   in Loop: Header=BB204_6 Depth=1
	ds_write_b16 v33, v3
; %bb.423:                              ;   in Loop: Header=BB204_6 Depth=1
	s_or_b32 exec_lo, exec_lo, s6
	v_and_b32_e32 v20, s26, v20
	v_or_b32_e32 v41, s11, v41
	s_mov_b32 s6, -1
	s_mov_b32 s56, 0
	s_cmp_eq_u64 s[14:15], 0
	s_mov_b32 s18, 0
	s_mov_b32 s19, -1
	s_waitcnt lgkmcnt(0)
	s_barrier
	buffer_gl0_inv
                                        ; implicit-def: $vgpr42
	s_cbranch_scc1 .LBB204_442
; %bb.424:                              ;   in Loop: Header=BB204_6 Depth=1
	s_add_u32 s46, s14, s82
	s_addc_u32 s17, s15, s83
	s_mov_b32 s16, s53
	s_cmp_lg_u64 s[16:17], 0
	s_cbranch_scc0 .LBB204_428
; %bb.425:                              ;   in Loop: Header=BB204_6 Depth=1
	v_cvt_f32_u32_e32 v6, s33
	s_sub_u32 s19, 0, s33
	s_subb_u32 s47, 0, 0
	v_fmac_f32_e64 v6, 0x4f800000, 0
	v_rcp_f32_e32 v6, v6
	v_mul_f32_e32 v6, 0x5f7ffffc, v6
	v_mul_f32_e32 v7, 0x2f800000, v6
	v_trunc_f32_e32 v7, v7
	v_fmac_f32_e32 v6, 0xcf800000, v7
	v_cvt_u32_f32_e32 v7, v7
	v_cvt_u32_f32_e32 v6, v6
	v_readfirstlane_b32 s16, v7
	v_readfirstlane_b32 s18, v6
	s_mul_i32 s52, s19, s16
	s_mul_hi_u32 s72, s19, s18
	s_mul_i32 s71, s47, s18
	s_add_i32 s52, s72, s52
	s_mul_i32 s73, s19, s18
	s_add_i32 s52, s52, s71
	s_mul_hi_u32 s72, s18, s73
	s_mul_i32 s75, s18, s52
	s_mul_hi_u32 s74, s16, s73
	s_mul_i32 s71, s16, s73
	s_mul_hi_u32 s73, s18, s52
	s_add_u32 s72, s72, s75
	s_addc_u32 s73, 0, s73
	s_mul_hi_u32 s76, s16, s52
	s_add_u32 s71, s72, s71
	s_mul_i32 s52, s16, s52
	s_addc_u32 s71, s73, s74
	s_addc_u32 s72, s76, 0
	s_add_u32 s52, s71, s52
	s_addc_u32 s71, 0, s72
	s_add_u32 s18, s18, s52
	s_cselect_b32 s52, -1, 0
	s_mul_hi_u32 s72, s19, s18
	s_cmp_lg_u32 s52, 0
	s_mul_i32 s52, s19, s18
	s_addc_u32 s16, s16, s71
	s_mul_i32 s47, s47, s18
	s_mul_i32 s19, s19, s16
	s_mul_hi_u32 s71, s18, s52
	s_add_i32 s19, s72, s19
	s_mul_hi_u32 s72, s16, s52
	s_add_i32 s19, s19, s47
	s_mul_i32 s47, s16, s52
	s_mul_i32 s74, s18, s19
	s_mul_hi_u32 s73, s18, s19
	s_add_u32 s71, s71, s74
	s_addc_u32 s73, 0, s73
	s_mul_hi_u32 s52, s16, s19
	s_add_u32 s47, s71, s47
	s_mul_i32 s19, s16, s19
	s_addc_u32 s47, s73, s72
	s_addc_u32 s52, s52, 0
	s_add_u32 s19, s47, s19
	s_addc_u32 s47, 0, s52
	s_add_u32 s18, s18, s19
	s_cselect_b32 s19, -1, 0
	s_mul_hi_u32 s52, s46, s18
	s_cmp_lg_u32 s19, 0
	s_mul_hi_u32 s19, s17, s18
	s_addc_u32 s16, s16, s47
	s_mul_i32 s18, s17, s18
	s_mul_i32 s71, s46, s16
	s_mul_hi_u32 s47, s46, s16
	s_add_u32 s52, s52, s71
	s_addc_u32 s47, 0, s47
	s_mul_hi_u32 s72, s17, s16
	s_add_u32 s18, s52, s18
	s_mul_i32 s16, s17, s16
	s_addc_u32 s18, s47, s19
	s_addc_u32 s19, s72, 0
	s_add_u32 s16, s18, s16
	s_addc_u32 s18, 0, s19
	s_mul_hi_u32 s19, s33, s16
	s_mul_i32 s18, s33, s18
	s_mul_i32 s16, s33, s16
	s_add_i32 s19, s19, s18
	s_sub_u32 s16, s46, s16
	s_cselect_b32 s18, -1, 0
	s_cmp_lg_u32 s18, 0
	s_subb_u32 s18, s17, s19
	s_sub_u32 s19, s16, s33
	s_cselect_b32 s47, -1, 0
	s_cmp_lg_u32 s47, 0
	s_subb_u32 s47, s18, 0
	;; [unrolled: 4-line block ×3, first 2 shown]
	s_cmp_ge_u32 s19, s33
	s_cselect_b32 s72, -1, 0
	s_cmp_eq_u32 s47, 0
	s_cselect_b32 s72, s72, -1
	s_cmp_lg_u32 s72, 0
	s_cselect_b32 s47, s71, s47
	s_cselect_b32 s52, s52, s19
	s_cmp_ge_u32 s16, s33
	s_cselect_b32 s19, -1, 0
	s_cmp_eq_u32 s18, 0
	s_cselect_b32 s19, s19, -1
	s_cmp_lg_u32 s19, 0
	s_cselect_b32 s19, s47, s18
	s_cselect_b32 s18, s52, s16
	s_mov_b32 s16, 0
	s_branch .LBB204_429
.LBB204_426:                            ;   in Loop: Header=BB204_6 Depth=1
                                        ; implicit-def: $sgpr20_sgpr21
	s_branch .LBB204_379
.LBB204_427:                            ;   in Loop: Header=BB204_6 Depth=1
                                        ; implicit-def: $sgpr16_sgpr17
	s_branch .LBB204_396
.LBB204_428:                            ;   in Loop: Header=BB204_6 Depth=1
	s_mov_b32 s16, -1
                                        ; implicit-def: $sgpr18_sgpr19
.LBB204_429:                            ;   in Loop: Header=BB204_6 Depth=1
	s_andn2_b32 vcc_lo, exec_lo, s16
	s_cbranch_vccnz .LBB204_431
; %bb.430:                              ;   in Loop: Header=BB204_6 Depth=1
	v_cvt_f32_u32_e32 v6, s33
	s_sub_i32 s18, 0, s33
	v_rcp_iflag_f32_e32 v6, v6
	v_mul_f32_e32 v6, 0x4f7ffffe, v6
	v_cvt_u32_f32_e32 v6, v6
	v_readfirstlane_b32 s16, v6
	s_mul_i32 s18, s18, s16
	s_mul_hi_u32 s18, s16, s18
	s_add_i32 s16, s16, s18
	s_mul_hi_u32 s16, s46, s16
	s_mul_i32 s16, s16, s33
	s_sub_i32 s16, s46, s16
	s_sub_i32 s18, s16, s33
	s_cmp_ge_u32 s16, s33
	s_cselect_b32 s16, s18, s16
	s_sub_i32 s18, s16, s33
	s_cmp_ge_u32 s16, s33
	s_cselect_b32 s52, s18, s16
	s_mov_b64 s[18:19], s[52:53]
.LBB204_431:                            ;   in Loop: Header=BB204_6 Depth=1
	s_sub_u32 s16, s46, s18
	s_subb_u32 s17, s17, s19
	s_mov_b32 s19, 0
	s_mov_b32 s18, 0
	s_mov_b32 s46, exec_lo
                                        ; implicit-def: $vgpr42
	v_cmpx_gt_u64_e64 s[16:17], v[0:1]
	s_cbranch_execz .LBB204_441
; %bb.432:                              ;   in Loop: Header=BB204_6 Depth=1
	v_mov_b32_e32 v7, v1
	v_mov_b32_e32 v8, v32
	;; [unrolled: 1-line block ×3, first 2 shown]
                                        ; implicit-def: $sgpr47
	s_branch .LBB204_436
.LBB204_433:                            ;   in Loop: Header=BB204_436 Depth=2
	s_or_b32 exec_lo, exec_lo, s52
	s_waitcnt lgkmcnt(0)
	s_barrier
	buffer_gl0_inv
	ds_read_b32 v9, v3 offset:3072
	s_waitcnt lgkmcnt(0)
	s_barrier
	buffer_gl0_inv
	v_cmp_neq_f16_e32 vcc_lo, 0, v9
	s_cbranch_vccnz .LBB204_439
; %bb.434:                              ;   in Loop: Header=BB204_436 Depth=2
	v_add_co_u32 v6, vcc_lo, v6, s33
	v_add_co_ci_u32_e64 v7, null, 0, v7, vcc_lo
	v_add_nc_u32_e32 v8, s90, v8
	s_mov_b32 s52, 0
	v_cmp_le_u64_e32 vcc_lo, s[16:17], v[6:7]
	s_orn2_b32 s71, vcc_lo, exec_lo
.LBB204_435:                            ;   in Loop: Header=BB204_436 Depth=2
	s_and_b32 s2, exec_lo, s71
	s_or_b32 s18, s2, s18
	s_andn2_b32 s2, s47, exec_lo
	s_and_b32 s7, s52, exec_lo
	s_or_b32 s47, s2, s7
	s_andn2_b32 exec_lo, exec_lo, s18
	s_cbranch_execz .LBB204_440
.LBB204_436:                            ;   Parent Loop BB204_6 Depth=1
                                        ; =>  This Inner Loop Header: Depth=2
	s_mov_b32 s52, exec_lo
	v_cmpx_gt_u64_e64 s[14:15], v[6:7]
	s_cbranch_execz .LBB204_433
; %bb.437:                              ;   in Loop: Header=BB204_436 Depth=2
	ds_read_u16 v9, v8
	s_waitcnt lgkmcnt(0)
	v_cmp_lt_i16_e32 vcc_lo, -1, v9
	v_cndmask_b32_e32 v10, 0xffff, v39, vcc_lo
	v_cmp_o_f16_e32 vcc_lo, v9, v9
	v_xor_b32_sdwa v10, v10, v9 dst_sel:DWORD dst_unused:UNUSED_PAD src0_sel:DWORD src1_sel:WORD_0
	v_cndmask_b32_e32 v10, 0xffff, v10, vcc_lo
	v_and_b32_e32 v10, v10, v41
	v_cmp_eq_u32_e32 vcc_lo, v10, v20
	s_and_b32 exec_lo, exec_lo, vcc_lo
	s_cbranch_execz .LBB204_433
; %bb.438:                              ;   in Loop: Header=BB204_436 Depth=2
	v_perm_b32 v9, v9, s93, 0x5040100
	ds_write_b32 v3, v9 offset:3072
	s_branch .LBB204_433
.LBB204_439:                            ;   in Loop: Header=BB204_436 Depth=2
	s_mov_b32 s71, -1
	s_mov_b32 s52, -1
                                        ; implicit-def: $vgpr6_vgpr7
                                        ; implicit-def: $vgpr8
	s_branch .LBB204_435
.LBB204_440:                            ;   in Loop: Header=BB204_6 Depth=1
	s_or_b32 exec_lo, exec_lo, s18
	v_lshrrev_b32_e32 v42, 16, v9
	s_and_b32 s18, s47, exec_lo
.LBB204_441:                            ;   in Loop: Header=BB204_6 Depth=1
	s_or_b32 exec_lo, exec_lo, s46
.LBB204_442:                            ;   in Loop: Header=BB204_6 Depth=1
	s_and_b32 vcc_lo, exec_lo, s19
	s_cbranch_vccz .LBB204_459
; %bb.443:                              ;   in Loop: Header=BB204_6 Depth=1
	s_mov_b32 s56, s53
	s_cmp_lg_u64 s[56:57], 0
	s_cbranch_scc0 .LBB204_445
; %bb.444:                              ;   in Loop: Header=BB204_6 Depth=1
	v_cvt_f32_u32_e32 v6, s33
	s_sub_u32 s15, 0, s33
	s_subb_u32 s16, 0, 0
	v_fmac_f32_e64 v6, 0x4f800000, 0
	v_rcp_f32_e32 v6, v6
	v_mul_f32_e32 v6, 0x5f7ffffc, v6
	v_mul_f32_e32 v7, 0x2f800000, v6
	v_trunc_f32_e32 v7, v7
	v_fmac_f32_e32 v6, 0xcf800000, v7
	v_cvt_u32_f32_e32 v7, v7
	v_cvt_u32_f32_e32 v6, v6
	v_readfirstlane_b32 s6, v7
	v_readfirstlane_b32 s14, v6
	s_mul_i32 s17, s15, s6
	s_mul_hi_u32 s46, s15, s14
	s_mul_i32 s19, s16, s14
	s_add_i32 s17, s46, s17
	s_mul_i32 s47, s15, s14
	s_add_i32 s17, s17, s19
	s_mul_hi_u32 s46, s14, s47
	s_mul_i32 s56, s14, s17
	s_mul_hi_u32 s52, s6, s47
	s_mul_i32 s19, s6, s47
	s_mul_hi_u32 s47, s14, s17
	s_add_u32 s46, s46, s56
	s_addc_u32 s47, 0, s47
	s_mul_hi_u32 s71, s6, s17
	s_add_u32 s19, s46, s19
	s_mul_i32 s17, s6, s17
	s_addc_u32 s19, s47, s52
	s_addc_u32 s46, s71, 0
	s_add_u32 s17, s19, s17
	s_addc_u32 s19, 0, s46
	s_add_u32 s14, s14, s17
	s_cselect_b32 s17, -1, 0
	s_mul_hi_u32 s46, s15, s14
	s_cmp_lg_u32 s17, 0
	s_mul_i32 s17, s15, s14
	s_addc_u32 s6, s6, s19
	s_mul_i32 s16, s16, s14
	s_mul_i32 s15, s15, s6
	s_mul_hi_u32 s19, s14, s17
	s_add_i32 s15, s46, s15
	s_mul_hi_u32 s46, s6, s17
	s_add_i32 s15, s15, s16
	s_mul_i32 s16, s6, s17
	s_mul_i32 s52, s14, s15
	s_mul_hi_u32 s47, s14, s15
	s_add_u32 s19, s19, s52
	s_addc_u32 s47, 0, s47
	s_mul_hi_u32 s17, s6, s15
	s_add_u32 s16, s19, s16
	s_mul_i32 s15, s6, s15
	s_addc_u32 s16, s47, s46
	s_addc_u32 s17, s17, 0
	s_add_u32 s15, s16, s15
	s_addc_u32 s16, 0, s17
	s_add_u32 s14, s14, s15
	s_cselect_b32 s15, -1, 0
	s_mul_hi_u32 s17, s84, s14
	s_cmp_lg_u32 s15, 0
	s_mul_hi_u32 s15, s57, s14
	s_addc_u32 s6, s6, s16
	s_mul_i32 s14, s57, s14
	s_mul_i32 s19, s84, s6
	s_mul_hi_u32 s16, s84, s6
	s_add_u32 s17, s17, s19
	s_addc_u32 s16, 0, s16
	s_mul_hi_u32 s46, s57, s6
	s_add_u32 s14, s17, s14
	s_mul_i32 s6, s57, s6
	s_addc_u32 s14, s16, s15
	s_addc_u32 s15, s46, 0
	s_add_u32 s6, s14, s6
	s_addc_u32 s14, 0, s15
	s_mul_hi_u32 s15, s33, s6
	s_mul_i32 s14, s33, s14
	s_mul_i32 s6, s33, s6
	s_add_i32 s15, s15, s14
	s_sub_u32 s6, s84, s6
	s_cselect_b32 s14, -1, 0
	s_cmp_lg_u32 s14, 0
	s_subb_u32 s14, s57, s15
	s_sub_u32 s15, s6, s33
	s_cselect_b32 s16, -1, 0
	s_cmp_lg_u32 s16, 0
	s_subb_u32 s16, s14, 0
	;; [unrolled: 4-line block ×3, first 2 shown]
	s_cmp_ge_u32 s15, s33
	s_cselect_b32 s46, -1, 0
	s_cmp_eq_u32 s16, 0
	s_cselect_b32 s46, s46, -1
	s_cmp_lg_u32 s46, 0
	s_cselect_b32 s16, s19, s16
	s_cselect_b32 s17, s17, s15
	s_cmp_ge_u32 s6, s33
	s_cselect_b32 s15, -1, 0
	s_cmp_eq_u32 s14, 0
	s_cselect_b32 s15, s15, -1
	s_cmp_lg_u32 s15, 0
	s_cselect_b32 s15, s16, s14
	s_cselect_b32 s14, s17, s6
	s_mov_b32 s6, 0
	s_branch .LBB204_446
.LBB204_445:                            ;   in Loop: Header=BB204_6 Depth=1
	s_mov_b32 s6, -1
                                        ; implicit-def: $sgpr14_sgpr15
.LBB204_446:                            ;   in Loop: Header=BB204_6 Depth=1
	s_andn2_b32 vcc_lo, exec_lo, s6
	s_cbranch_vccnz .LBB204_448
; %bb.447:                              ;   in Loop: Header=BB204_6 Depth=1
	v_cvt_f32_u32_e32 v6, s33
	s_sub_i32 s14, 0, s33
	v_rcp_iflag_f32_e32 v6, v6
	v_mul_f32_e32 v6, 0x4f7ffffe, v6
	v_cvt_u32_f32_e32 v6, v6
	v_readfirstlane_b32 s6, v6
	s_mul_i32 s14, s14, s6
	s_mul_hi_u32 s14, s6, s14
	s_add_i32 s6, s6, s14
	s_mul_hi_u32 s6, s84, s6
	s_mul_i32 s6, s6, s33
	s_sub_i32 s6, s84, s6
	s_sub_i32 s14, s6, s33
	s_cmp_ge_u32 s6, s33
	s_cselect_b32 s6, s14, s6
	s_sub_i32 s14, s6, s33
	s_cmp_ge_u32 s6, s33
	s_cselect_b32 s52, s14, s6
	s_mov_b64 s[14:15], s[52:53]
.LBB204_448:                            ;   in Loop: Header=BB204_6 Depth=1
	s_sub_u32 s14, s84, s14
	s_subb_u32 s15, s57, s15
	s_mov_b32 s16, exec_lo
                                        ; implicit-def: $vgpr42
	v_cmpx_gt_u64_e64 s[14:15], v[0:1]
	s_cbranch_execz .LBB204_458
; %bb.449:                              ;   in Loop: Header=BB204_6 Depth=1
	v_mov_b32_e32 v6, v12
	v_mov_b32_e32 v9, v1
	;; [unrolled: 1-line block ×4, first 2 shown]
	s_mov_b32 s17, 0
                                        ; implicit-def: $sgpr19
	s_branch .LBB204_453
.LBB204_450:                            ;   in Loop: Header=BB204_453 Depth=2
	s_or_b32 exec_lo, exec_lo, s6
	s_waitcnt lgkmcnt(0)
	s_barrier
	buffer_gl0_inv
	ds_read_b32 v10, v3 offset:3072
	s_waitcnt lgkmcnt(0)
	s_barrier
	buffer_gl0_inv
	v_cmp_eq_f16_e32 vcc_lo, 0, v10
	s_cbranch_vccz .LBB204_456
; %bb.451:                              ;   in Loop: Header=BB204_453 Depth=2
	v_add_co_u32 v8, vcc_lo, v8, s33
	v_add_co_ci_u32_e64 v9, null, 0, v9, vcc_lo
	v_add_co_u32 v6, s6, v6, s34
	v_add_co_ci_u32_e64 v7, null, s35, v7, s6
	v_cmp_le_u64_e32 vcc_lo, s[14:15], v[8:9]
	s_mov_b32 s6, 0
	s_orn2_b32 s46, vcc_lo, exec_lo
.LBB204_452:                            ;   in Loop: Header=BB204_453 Depth=2
	s_and_b32 s2, exec_lo, s46
	s_or_b32 s17, s2, s17
	s_andn2_b32 s2, s19, exec_lo
	s_and_b32 s6, s6, exec_lo
	s_or_b32 s19, s2, s6
	s_andn2_b32 exec_lo, exec_lo, s17
	s_cbranch_execz .LBB204_457
.LBB204_453:                            ;   Parent Loop BB204_6 Depth=1
                                        ; =>  This Inner Loop Header: Depth=2
	s_mov_b32 s6, exec_lo
	v_cmpx_gt_u64_e64 s[28:29], v[8:9]
	s_cbranch_execz .LBB204_450
; %bb.454:                              ;   in Loop: Header=BB204_453 Depth=2
	global_load_ushort v10, v[6:7], off
	s_waitcnt vmcnt(0)
	v_cmp_lt_i16_e32 vcc_lo, -1, v10
	v_cndmask_b32_e32 v11, 0xffff, v39, vcc_lo
	v_cmp_o_f16_e32 vcc_lo, v10, v10
	v_xor_b32_sdwa v11, v11, v10 dst_sel:DWORD dst_unused:UNUSED_PAD src0_sel:DWORD src1_sel:WORD_0
	v_cndmask_b32_e32 v11, 0xffff, v11, vcc_lo
	v_and_b32_e32 v11, v11, v41
	v_cmp_eq_u32_e32 vcc_lo, v11, v20
	s_and_b32 exec_lo, exec_lo, vcc_lo
	s_cbranch_execz .LBB204_450
; %bb.455:                              ;   in Loop: Header=BB204_453 Depth=2
	v_perm_b32 v10, v10, s93, 0x5040100
	ds_write_b32 v3, v10 offset:3072
	s_branch .LBB204_450
.LBB204_456:                            ;   in Loop: Header=BB204_453 Depth=2
	s_mov_b32 s46, -1
	s_mov_b32 s6, -1
                                        ; implicit-def: $vgpr8_vgpr9
                                        ; implicit-def: $vgpr6_vgpr7
	s_branch .LBB204_452
.LBB204_457:                            ;   in Loop: Header=BB204_6 Depth=1
	s_or_b32 exec_lo, exec_lo, s17
	v_lshrrev_b32_e32 v42, 16, v10
	s_andn2_b32 s2, s18, exec_lo
	s_and_b32 s6, s19, exec_lo
	s_or_b32 s18, s2, s6
.LBB204_458:                            ;   in Loop: Header=BB204_6 Depth=1
	s_or_b32 exec_lo, exec_lo, s16
	s_mov_b32 s6, 0
	s_mov_b32 s56, -1
.LBB204_459:                            ;   in Loop: Header=BB204_6 Depth=1
	s_orn2_b32 s15, s18, exec_lo
.LBB204_460:                            ;   in Loop: Header=BB204_6 Depth=1
	s_or_b32 exec_lo, exec_lo, s70
	s_mov_b32 s16, 0
	s_and_saveexec_b32 s14, s15
	s_cbranch_execz .LBB204_471
; %bb.461:                              ;   in Loop: Header=BB204_6 Depth=1
	v_mov_b32_e32 v6, 1
	v_mov_b32_e32 v7, 0
	;; [unrolled: 1-line block ×3, first 2 shown]
	s_xor_b32 s16, s69, -1
	s_and_saveexec_b32 s15, s16
	s_cbranch_execz .LBB204_470
; %bb.462:                              ;   in Loop: Header=BB204_6 Depth=1
	s_mov_b32 s16, exec_lo
	v_cmpx_ge_u64_e64 s[12:13], v[4:5]
	s_xor_b32 s16, exec_lo, s16
	s_cbranch_execz .LBB204_467
; %bb.463:                              ;   in Loop: Header=BB204_6 Depth=1
	ds_read_b64 v[6:7], v3 offset:5120
	v_and_b32_e32 v20, s26, v20
	v_or_b32_e32 v41, s11, v41
	s_waitcnt lgkmcnt(0)
	v_cmp_ne_u64_e32 vcc_lo, 0, v[6:7]
	s_cbranch_vccnz .LBB204_467
; %bb.464:                              ;   in Loop: Header=BB204_6 Depth=1
	s_and_saveexec_b32 s11, s3
; %bb.465:                              ;   in Loop: Header=BB204_6 Depth=1
	v_mov_b32_e32 v6, s12
	v_mov_b32_e32 v7, s13
	ds_write_b64 v3, v[6:7] offset:5128
; %bb.466:                              ;   in Loop: Header=BB204_6 Depth=1
	s_or_b32 exec_lo, exec_lo, s11
	s_waitcnt lgkmcnt(0)
	s_barrier
	buffer_gl0_inv
.LBB204_467:                            ;   in Loop: Header=BB204_6 Depth=1
	s_andn2_saveexec_b32 s11, s16
; %bb.468:                              ;   in Loop: Header=BB204_6 Depth=1
	v_sub_co_u32 v4, vcc_lo, v4, s12
	v_subrev_co_ci_u32_e64 v5, null, s13, v5, vcc_lo
; %bb.469:                              ;   in Loop: Header=BB204_6 Depth=1
	s_or_b32 exec_lo, exec_lo, s11
	v_mov_b32_e32 v7, v5
	v_mov_b32_e32 v2, 5
	;; [unrolled: 1-line block ×3, first 2 shown]
.LBB204_470:                            ;   in Loop: Header=BB204_6 Depth=1
	s_or_b32 exec_lo, exec_lo, s15
	v_mov_b32_e32 v4, v6
	v_mov_b32_e32 v5, v7
	s_mov_b32 s16, exec_lo
.LBB204_471:                            ;   in Loop: Header=BB204_6 Depth=1
	s_or_b32 exec_lo, exec_lo, s14
	s_orn2_b32 s14, s16, exec_lo
.LBB204_472:                            ;   in Loop: Header=BB204_6 Depth=1
	s_or_b32 exec_lo, exec_lo, s21
	s_andn2_b32 s11, s68, exec_lo
	s_and_b32 s12, s56, exec_lo
	s_andn2_b32 s13, s67, exec_lo
	s_and_b32 s6, s6, exec_lo
	v_mov_b32_e32 v7, v5
	v_mov_b32_e32 v6, v4
	s_or_b32 s68, s11, s12
	s_or_b32 s67, s13, s6
	s_and_b32 s16, s14, exec_lo
.LBB204_473:                            ;   in Loop: Header=BB204_6 Depth=1
	s_or_b32 exec_lo, exec_lo, s20
	s_orn2_b32 s6, s16, exec_lo
.LBB204_474:                            ;   in Loop: Header=BB204_6 Depth=1
	s_or_b32 exec_lo, exec_lo, s23
	s_andn2_b32 s11, s66, exec_lo
	s_and_b32 s12, s68, exec_lo
	s_andn2_b32 s13, s65, exec_lo
	s_and_b32 s14, s67, exec_lo
	v_mov_b32_e32 v4, v6
	v_mov_b32_e32 v5, v7
	s_or_b32 s66, s11, s12
	s_or_b32 s65, s13, s14
	s_and_b32 s18, s6, exec_lo
.LBB204_475:                            ;   in Loop: Header=BB204_6 Depth=1
	s_or_b32 exec_lo, exec_lo, s22
	s_orn2_b32 s6, s18, exec_lo
.LBB204_476:                            ;   in Loop: Header=BB204_6 Depth=1
	s_or_b32 exec_lo, exec_lo, s25
	s_mov_b32 s11, s64
	s_mov_b32 s12, s49
	s_and_saveexec_b32 s13, s6
; %bb.477:                              ;   in Loop: Header=BB204_6 Depth=1
	v_cmp_ne_u32_e32 vcc_lo, 5, v2
	v_cmp_eq_u32_e64 s6, 5, v2
	s_andn2_b32 s11, s49, exec_lo
	s_andn2_b32 s14, s64, exec_lo
	s_and_b32 s12, vcc_lo, exec_lo
	s_and_b32 s6, s6, exec_lo
	s_or_b32 s12, s11, s12
	s_or_b32 s11, s14, s6
; %bb.478:                              ;   in Loop: Header=BB204_6 Depth=1
	s_or_b32 exec_lo, exec_lo, s13
	s_andn2_b32 s2, s9, exec_lo
	s_and_b32 s6, s66, exec_lo
	s_andn2_b32 s7, s27, exec_lo
	s_and_b32 s8, s65, exec_lo
	s_or_b32 s9, s2, s6
	s_or_b32 s27, s7, s8
	s_andn2_b32 s2, s49, exec_lo
	s_and_b32 s6, s12, exec_lo
	s_andn2_b32 s7, s64, exec_lo
	s_and_b32 s8, s11, exec_lo
	s_or_b32 s49, s2, s6
	s_or_b32 s64, s7, s8
.LBB204_479:                            ;   in Loop: Header=BB204_6 Depth=1
	s_or_b32 exec_lo, exec_lo, s24
	s_mov_b32 s65, 0
	s_mov_b32 s66, 0
	s_and_saveexec_b32 s6, s64
.LBB204_480:                            ;   in Loop: Header=BB204_6 Depth=1
	v_mov_b32_e32 v2, 0
	s_or_b32 s49, s49, exec_lo
.LBB204_481:                            ;   in Loop: Header=BB204_6 Depth=1
	s_or_b32 exec_lo, exec_lo, s6
	s_andn2_b32 s2, s44, exec_lo
	s_and_b32 s6, s9, exec_lo
	s_andn2_b32 s7, s104, exec_lo
	s_and_b32 s8, s27, exec_lo
	v_mov_b32_e32 v27, v5
	v_mov_b32_e32 v26, v4
	s_or_b32 s44, s2, s6
	s_or_b32 s104, s7, s8
	s_andn2_b32 s2, s48, exec_lo
	s_and_b32 s6, s66, exec_lo
	s_andn2_b32 s7, s45, exec_lo
	s_and_b32 s8, s65, exec_lo
	s_mov_b32 s11, -1
	s_andn2_b32 vcc_hi, vcc_hi, exec_lo
	s_or_b32 s48, s2, s6
	s_or_b32 s45, s7, s8
	s_and_saveexec_b32 s2, s49
	s_xor_b32 s6, exec_lo, s2
	s_cbranch_execz .LBB204_5
; %bb.482:                              ;   in Loop: Header=BB204_6 Depth=1
	s_mov_b32 s9, -1
	s_mov_b32 s12, exec_lo
	v_cmpx_eq_u32_e32 0, v2
	s_cbranch_execz .LBB204_4
; %bb.483:                              ;   in Loop: Header=BB204_6 Depth=1
	s_xor_b32 s95, s95, 1
	s_add_i32 s13, s91, -2
	s_cmp_eq_u32 s91, 0
	s_mov_b32 s91, s13
	s_cselect_b32 s9, -1, 0
	s_xor_b32 s11, exec_lo, -1
	s_orn2_b32 s9, s9, exec_lo
	s_branch .LBB204_4
.LBB204_484:
	s_or_b32 exec_lo, exec_lo, s92
	s_xor_b32 s7, s99, -1
	s_xor_b32 s9, s97, -1
	;; [unrolled: 1-line block ×5, first 2 shown]
	s_mov_b32 s8, 0
	s_and_saveexec_b32 s11, s2
	s_xor_b32 s12, exec_lo, s11
	s_cbranch_execnz .LBB204_489
; %bb.485:
	s_andn2_saveexec_b32 s0, s12
	s_cbranch_execnz .LBB204_508
.LBB204_486:
	s_or_b32 exec_lo, exec_lo, s0
	s_and_saveexec_b32 s0, s8
.LBB204_487:
	; divergent unreachable
.LBB204_488:
	s_endpgm
.LBB204_489:
	s_and_saveexec_b32 s2, s10
	s_xor_b32 s13, exec_lo, s2
	s_cbranch_execz .LBB204_506
; %bb.490:
	s_and_saveexec_b32 s2, s9
	s_xor_b32 s14, exec_lo, s2
	s_cbranch_execz .LBB204_504
; %bb.491:
	;; [unrolled: 4-line block ×3, first 2 shown]
	s_and_saveexec_b32 s2, s6
	s_xor_b32 s6, exec_lo, s2
; %bb.493:
	v_and_b32_e32 v2, 0x8000, v20
	v_mov_b32_e32 v3, 0xffff
	v_cmp_eq_u32_e32 vcc_lo, 0, v2
	v_cndmask_b32_e32 v2, 0x8000, v3, vcc_lo
	v_xor_b32_e32 v42, v2, v20
; %bb.494:
	s_or_b32 exec_lo, exec_lo, s6
	s_and_saveexec_b32 s6, s3
	v_readlane_b32 s43, v51, 4
; %bb.495:
	v_mov_b32_e32 v2, 0
	v_mov_b32_e32 v3, v2
	ds_write_b64 v2, v[2:3] offset:5136
; %bb.496:
	s_or_b32 exec_lo, exec_lo, s6
	v_mov_b32_e32 v18, 0
	s_waitcnt lgkmcnt(0)
	s_barrier
	buffer_gl0_inv
	s_and_saveexec_b32 s3, s1
	s_cbranch_execz .LBB204_498
; %bb.497:
	global_load_ushort v18, v[12:13], off
.LBB204_498:
	s_or_b32 exec_lo, exec_lo, s3
	s_clause 0x1
	s_load_dwordx2 s[22:23], s[4:5], 0x298
	s_load_dwordx2 s[18:19], s[4:5], 0x440
	v_mov_b32_e32 v17, 0x8000
	v_cmp_lt_i16_e32 vcc_lo, -1, v42
	s_clause 0x1
	s_load_dwordx2 s[6:7], s[4:5], 0x368
	s_load_dwordx2 s[8:9], s[4:5], 0x510
	s_add_u32 s2, s28, 31
	s_addc_u32 s11, s29, 0
	s_and_b32 s10, s2, 0xffffffe0
	v_cndmask_b32_e32 v2, 0xffff, v17, vcc_lo
	v_cmp_o_f16_e32 vcc_lo, v42, v42
	s_mov_b32 s21, -1
	v_xor_b32_sdwa v2, v2, v42 dst_sel:DWORD dst_unused:UNUSED_PAD src0_sel:DWORD src1_sel:WORD_0
	v_cndmask_b32_e32 v16, 0xffff, v2, vcc_lo
	v_cmp_gt_u64_e32 vcc_lo, s[10:11], v[0:1]
	s_waitcnt lgkmcnt(0)
	s_mul_i32 s3, s23, s42
	s_mul_hi_u32 s16, s22, s42
	s_mul_i32 s17, s19, s42
	s_mul_hi_u32 s2, s18, s42
	s_add_i32 s5, s16, s3
	s_add_i32 s19, s2, s17
	v_readlane_b32 s2, v51, 2
	s_mul_i32 s4, s22, s42
	v_readlane_b32 s3, v51, 3
	s_lshl_b64 s[16:17], s[4:5], 1
	s_mul_i32 s18, s18, s42
	s_add_u32 s5, s2, s16
	s_addc_u32 s16, s3, s17
	v_readlane_b32 s2, v51, 0
	v_readlane_b32 s3, v51, 1
	s_lshl_b64 s[18:19], s[18:19], 3
	s_add_u32 s17, s2, s18
	s_addc_u32 s18, s3, s19
	s_mov_b32 s19, 0
	s_mov_b32 s3, 0
	s_and_saveexec_b32 s20, vcc_lo
	s_cbranch_execnz .LBB204_509
; %bb.499:
	s_or_b32 exec_lo, exec_lo, s20
	s_and_saveexec_b32 s2, s21
	s_cbranch_execnz .LBB204_526
.LBB204_500:
	s_or_b32 exec_lo, exec_lo, s2
	s_and_saveexec_b32 s0, s3
	s_xor_b32 s0, exec_lo, s0
	s_cbranch_execnz .LBB204_549
.LBB204_501:
	s_or_b32 exec_lo, exec_lo, s0
	s_and_b32 s8, s19, exec_lo
.LBB204_502:
	s_andn2_saveexec_b32 s0, s15
	s_cbranch_execnz .LBB204_551
.LBB204_503:
	s_or_b32 exec_lo, exec_lo, s0
	s_and_b32 s8, s8, exec_lo
.LBB204_504:
	s_andn2_saveexec_b32 s0, s14
	s_cbranch_execnz .LBB204_550
.LBB204_505:
	s_or_b32 exec_lo, exec_lo, s0
	s_and_b32 s8, s8, exec_lo
.LBB204_506:
	s_andn2_saveexec_b32 s0, s13
	s_cbranch_execnz .LBB204_545
.LBB204_507:
	s_or_b32 exec_lo, exec_lo, s0
	s_and_b32 s8, s8, exec_lo
	s_andn2_saveexec_b32 s0, s12
	s_cbranch_execz .LBB204_486
.LBB204_508:
	s_or_b32 s8, s8, exec_lo
	s_trap 2
	s_or_b32 exec_lo, exec_lo, s0
	s_and_saveexec_b32 s0, s8
	s_cbranch_execnz .LBB204_487
	s_branch .LBB204_488
.LBB204_509:
	v_add_co_u32 v2, s2, v0, s33
	v_add_co_ci_u32_e64 v3, null, 0, 0, s2
	s_add_u32 s2, s36, s40
	v_mul_lo_u32 v4, s39, v2
	s_addc_u32 s4, s37, s41
	v_mul_lo_u32 v5, s38, v3
	v_mad_u64_u32 v[2:3], null, s38, v2, 0
	v_mov_b32_e32 v11, v1
	v_mov_b32_e32 v10, v0
	s_mov_b32 s21, 0
                                        ; implicit-def: $sgpr22
                                        ; implicit-def: $vgpr8_vgpr9
	v_add3_u32 v3, v3, v5, v4
	v_lshlrev_b64 v[4:5], 1, v[2:3]
	v_mov_b32_e32 v3, 0
	v_add_co_u32 v4, s3, s2, v4
	v_add_co_ci_u32_e64 v5, null, s4, v5, s3
	s_branch .LBB204_511
.LBB204_510:                            ;   in Loop: Header=BB204_511 Depth=1
	s_or_b32 exec_lo, exec_lo, s23
	s_xor_b32 s2, s24, -1
	s_and_b32 s3, exec_lo, s4
	v_mov_b32_e32 v11, v7
	v_mov_b32_e32 v10, v6
	s_or_b32 s21, s3, s21
	s_waitcnt vmcnt(0)
	v_mov_b32_e32 v18, v19
	s_andn2_b32 s3, s22, exec_lo
	s_and_b32 s2, s2, exec_lo
	s_or_b32 s22, s3, s2
	s_andn2_b32 exec_lo, exec_lo, s21
	s_cbranch_execz .LBB204_525
.LBB204_511:                            ; =>This Inner Loop Header: Depth=1
	v_add_co_u32 v6, s3, v10, s33
	v_add_co_ci_u32_e64 v7, null, 0, v11, s3
	v_mov_b32_e32 v19, 0
	s_mov_b32 s4, exec_lo
	v_cmpx_gt_u64_e64 s[28:29], v[6:7]
	s_cbranch_execz .LBB204_513
; %bb.512:                              ;   in Loop: Header=BB204_511 Depth=1
	global_load_ushort v19, v[4:5], off
.LBB204_513:                            ;   in Loop: Header=BB204_511 Depth=1
	s_or_b32 exec_lo, exec_lo, s4
	s_mov_b32 s23, 0
	s_mov_b32 s4, exec_lo
	v_cmpx_gt_u64_e64 s[28:29], v[10:11]
	s_cbranch_execz .LBB204_515
; %bb.514:                              ;   in Loop: Header=BB204_511 Depth=1
	s_waitcnt vmcnt(0)
	v_cmp_lt_i16_e64 s3, -1, v18
	v_cndmask_b32_e64 v2, 0xffff, v17, s3
	v_cmp_o_f16_e64 s3, v18, v18
	v_xor_b32_sdwa v2, v2, v18 dst_sel:DWORD dst_unused:UNUSED_PAD src0_sel:DWORD src1_sel:WORD_0
	v_cndmask_b32_e64 v2, 0xffff, v2, s3
	v_cmp_gt_u32_e64 s3, v2, v16
	v_cndmask_b32_e64 v14, 0, 1, s3
	v_cmp_lt_u32_e64 s3, v2, v16
	v_cndmask_b32_e64 v2, 0, 1, s3
	v_cndmask_b32_e64 v2, v2, v14, s43
	v_and_b32_e32 v2, 1, v2
	v_cmp_eq_u32_e64 s3, 1, v2
	s_and_b32 s23, s3, exec_lo
.LBB204_515:                            ;   in Loop: Header=BB204_511 Depth=1
	s_or_b32 exec_lo, exec_lo, s4
	v_cndmask_b32_e64 v2, 0, 1, s23
	v_cmp_ne_u32_e64 s3, 0, v2
	s_cmp_lg_u32 s3, 0
	s_cselect_b32 s2, -1, 0
	s_and_b32 s2, s0, s2
	s_and_saveexec_b32 s24, s2
	s_cbranch_execz .LBB204_519
; %bb.516:                              ;   in Loop: Header=BB204_511 Depth=1
	s_mov_b32 s27, exec_lo
	s_bcnt1_i32_b32 s25, s3
	v_mbcnt_lo_u32_b32 v14, s27, 0
	s_mov_b32 s26, exec_lo
                                        ; implicit-def: $vgpr8_vgpr9
	v_cmpx_eq_u32_e32 0, v14
	s_cbranch_execz .LBB204_518
; %bb.517:                              ;   in Loop: Header=BB204_511 Depth=1
	s_bcnt1_i32_b32 s2, s27
	s_mul_i32 s2, s25, s2
	v_mov_b32_e32 v2, s2
	s_waitcnt lgkmcnt(0)
	ds_add_rtn_u64 v[8:9], v3, v[2:3] offset:5136
.LBB204_518:                            ;   in Loop: Header=BB204_511 Depth=1
	s_or_b32 exec_lo, exec_lo, s26
	s_waitcnt lgkmcnt(0)
	v_readfirstlane_b32 s27, v9
	v_readfirstlane_b32 s26, v8
	v_mad_u64_u32 v[8:9], null, s25, v14, s[26:27]
.LBB204_519:                            ;   in Loop: Header=BB204_511 Depth=1
	s_or_b32 exec_lo, exec_lo, s24
	s_waitcnt lgkmcnt(1)
	ds_bpermute_b32 v8, v3, v8
	s_waitcnt lgkmcnt(1)
	ds_bpermute_b32 v9, v3, v9
	s_mov_b32 s4, -1
	s_mov_b32 s25, -1
	s_and_saveexec_b32 s24, s23
	s_cbranch_execz .LBB204_523
; %bb.520:                              ;   in Loop: Header=BB204_511 Depth=1
	v_and_b32_e32 v2, s3, v30
	s_mov_b32 s23, 0
	s_mov_b32 s25, exec_lo
	v_bcnt_u32_b32 v2, v2, 0
	s_waitcnt lgkmcnt(1)
	v_add_co_u32 v14, s3, v8, v2
	s_waitcnt lgkmcnt(0)
	v_add_co_ci_u32_e64 v15, null, 0, v9, s3
	v_cmpx_gt_u64_e64 s[30:31], v[14:15]
	s_cbranch_execz .LBB204_522
; %bb.521:                              ;   in Loop: Header=BB204_511 Depth=1
	v_mul_lo_u32 v2, v15, s6
	v_mul_lo_u32 v22, v14, s7
	v_mad_u64_u32 v[20:21], null, v14, s6, 0
	v_mul_lo_u32 v23, v15, s8
	v_mul_lo_u32 v24, v14, s9
	v_mad_u64_u32 v[14:15], null, v14, s8, 0
	s_mov_b32 s23, exec_lo
	v_add3_u32 v21, v21, v22, v2
	v_add3_u32 v15, v15, v24, v23
	v_lshlrev_b64 v[20:21], 1, v[20:21]
	v_lshlrev_b64 v[14:15], 3, v[14:15]
	v_add_co_u32 v20, s3, s5, v20
	v_add_co_ci_u32_e64 v21, null, s16, v21, s3
	v_add_co_u32 v14, s3, s17, v14
	v_add_co_ci_u32_e64 v15, null, s18, v15, s3
	s_waitcnt vmcnt(0)
	global_store_short v[20:21], v18, off
	global_store_dwordx2 v[14:15], v[10:11], off
.LBB204_522:                            ;   in Loop: Header=BB204_511 Depth=1
	s_or_b32 exec_lo, exec_lo, s25
	s_orn2_b32 s25, s23, exec_lo
.LBB204_523:                            ;   in Loop: Header=BB204_511 Depth=1
	s_or_b32 exec_lo, exec_lo, s24
	s_mov_b32 s24, -1
	s_and_saveexec_b32 s23, s25
	s_cbranch_execz .LBB204_510
; %bb.524:                              ;   in Loop: Header=BB204_511 Depth=1
	v_cmp_le_u64_e64 s3, s[10:11], v[6:7]
	v_add_co_u32 v4, s4, v4, s34
	v_add_co_ci_u32_e64 v5, null, s35, v5, s4
	s_xor_b32 s24, exec_lo, -1
	s_orn2_b32 s4, s3, exec_lo
	s_branch .LBB204_510
.LBB204_525:
	s_or_b32 exec_lo, exec_lo, s21
	s_mov_b32 s3, exec_lo
	s_orn2_b32 s21, s22, exec_lo
	s_or_b32 exec_lo, exec_lo, s20
	s_and_saveexec_b32 s2, s21
	s_cbranch_execz .LBB204_500
.LBB204_526:
	v_mov_b32_e32 v14, 0
	s_waitcnt vmcnt(0) lgkmcnt(0)
	s_waitcnt_vscnt null, 0x0
	s_barrier
	buffer_gl0_inv
	s_and_saveexec_b32 s4, s1
	s_cbranch_execz .LBB204_528
; %bb.527:
	global_load_ushort v14, v[12:13], off
.LBB204_528:
	s_or_b32 exec_lo, exec_lo, s4
	s_mov_b32 s1, 0
	s_and_saveexec_b32 s4, vcc_lo
	s_cbranch_execz .LBB204_548
; %bb.529:
	v_add_co_u32 v2, s1, v0, s33
	v_add_co_ci_u32_e64 v3, null, 0, 0, s1
	s_add_u32 s1, s36, s40
	v_mul_lo_u32 v4, s39, v2
	s_addc_u32 s19, s37, s41
	v_mul_lo_u32 v5, s38, v3
	v_mad_u64_u32 v[2:3], null, s38, v2, 0
	v_mov_b32_e32 v12, 0x8000
                                        ; implicit-def: $sgpr20
                                        ; implicit-def: $vgpr8_vgpr9
	v_add3_u32 v3, v3, v5, v4
	v_mov_b32_e32 v5, 0
	v_lshlrev_b64 v[2:3], 1, v[2:3]
	v_add_co_u32 v2, vcc_lo, s1, v2
	v_add_co_ci_u32_e64 v3, null, s19, v3, vcc_lo
	s_mov_b32 s19, 0
	s_branch .LBB204_532
.LBB204_530:                            ;   in Loop: Header=BB204_532 Depth=1
	s_or_b32 exec_lo, exec_lo, s22
	s_orn2_b32 s24, s23, exec_lo
	s_orn2_b32 s23, s1, exec_lo
.LBB204_531:                            ;   in Loop: Header=BB204_532 Depth=1
	s_or_b32 exec_lo, exec_lo, s21
	s_xor_b32 s1, s24, -1
	s_and_b32 s21, exec_lo, s23
	v_mov_b32_e32 v0, v6
	v_mov_b32_e32 v1, v7
	s_or_b32 s19, s21, s19
	v_mov_b32_e32 v14, v13
	s_andn2_b32 s20, s20, exec_lo
	s_and_b32 s1, s1, exec_lo
	s_or_b32 s20, s20, s1
	s_andn2_b32 exec_lo, exec_lo, s19
	s_cbranch_execz .LBB204_546
.LBB204_532:                            ; =>This Inner Loop Header: Depth=1
	v_add_co_u32 v6, vcc_lo, v0, s33
	v_add_co_ci_u32_e64 v7, null, 0, v1, vcc_lo
	v_mov_b32_e32 v13, 0
	s_mov_b32 s1, exec_lo
	v_cmpx_gt_u64_e64 s[28:29], v[6:7]
	s_cbranch_execz .LBB204_534
; %bb.533:                              ;   in Loop: Header=BB204_532 Depth=1
	global_load_ushort v13, v[2:3], off
.LBB204_534:                            ;   in Loop: Header=BB204_532 Depth=1
	s_or_b32 exec_lo, exec_lo, s1
	s_waitcnt vmcnt(0)
	v_cmp_lt_i16_e32 vcc_lo, -1, v14
	v_cndmask_b32_e32 v4, 0xffff, v12, vcc_lo
	v_cmp_o_f16_e32 vcc_lo, v14, v14
	v_xor_b32_sdwa v4, v4, v14 dst_sel:DWORD dst_unused:UNUSED_PAD src0_sel:DWORD src1_sel:WORD_0
	v_cndmask_b32_e32 v4, 0xffff, v4, vcc_lo
	v_cmp_gt_u64_e32 vcc_lo, s[28:29], v[0:1]
	v_cmp_eq_u32_e64 s1, v4, v16
	s_and_b32 s22, vcc_lo, s1
	v_cndmask_b32_e64 v4, 0, 1, s22
	v_cmp_ne_u32_e32 vcc_lo, 0, v4
	s_cmp_lg_u32 vcc_lo, 0
	s_cselect_b32 s1, -1, 0
	s_and_b32 s1, s0, s1
	s_and_saveexec_b32 s21, s1
	s_cbranch_execz .LBB204_538
; %bb.535:                              ;   in Loop: Header=BB204_532 Depth=1
	s_mov_b32 s25, exec_lo
	s_bcnt1_i32_b32 s23, vcc_lo
	v_mbcnt_lo_u32_b32 v10, s25, 0
	s_mov_b32 s24, exec_lo
                                        ; implicit-def: $vgpr8_vgpr9
	v_cmpx_eq_u32_e32 0, v10
; %bb.536:                              ;   in Loop: Header=BB204_532 Depth=1
	s_bcnt1_i32_b32 s1, s25
	s_mul_i32 s1, s23, s1
	v_mov_b32_e32 v4, s1
	ds_add_rtn_u64 v[8:9], v5, v[4:5] offset:5136
; %bb.537:                              ;   in Loop: Header=BB204_532 Depth=1
	s_or_b32 exec_lo, exec_lo, s24
	s_waitcnt lgkmcnt(0)
	v_readfirstlane_b32 s25, v9
	v_readfirstlane_b32 s24, v8
	v_mad_u64_u32 v[8:9], null, s23, v10, s[24:25]
.LBB204_538:                            ;   in Loop: Header=BB204_532 Depth=1
	s_or_b32 exec_lo, exec_lo, s21
	ds_bpermute_b32 v8, v5, v8
	ds_bpermute_b32 v9, v5, v9
	s_cmp_eq_u32 vcc_lo, 0
	s_mov_b32 s23, -1
	s_cselect_b32 s21, -1, 0
	s_mov_b32 s24, -1
	s_waitcnt lgkmcnt(0)
	v_cmp_gt_u64_e64 s1, s[30:31], v[8:9]
	s_or_b32 s1, s21, s1
	s_and_saveexec_b32 s21, s1
	s_cbranch_execz .LBB204_531
; %bb.539:                              ;   in Loop: Header=BB204_532 Depth=1
	v_and_b32_e32 v4, vcc_lo, v30
	v_sub_co_u32 v10, vcc_lo, s30, v8
	v_sub_co_ci_u32_e64 v11, null, s31, v9, vcc_lo
	v_bcnt_u32_b32 v4, v4, 0
	s_mov_b32 s1, -1
	v_bcnt_u32_b32 v4, 0, v4
	v_cmp_gt_u64_e32 vcc_lo, v[10:11], v[4:5]
	s_and_b32 s25, s22, vcc_lo
	s_and_saveexec_b32 s22, s25
	s_cbranch_execz .LBB204_543
; %bb.540:                              ;   in Loop: Header=BB204_532 Depth=1
	v_add_co_u32 v10, vcc_lo, v8, v4
	v_add_co_ci_u32_e64 v11, null, 0, v9, vcc_lo
	s_mov_b32 s24, 0
	s_mov_b32 s23, exec_lo
	v_cmpx_gt_u64_e64 s[30:31], v[10:11]
; %bb.541:                              ;   in Loop: Header=BB204_532 Depth=1
	v_mul_lo_u32 v4, v11, s6
	v_mul_lo_u32 v15, v10, s7
	v_mad_u64_u32 v[17:18], null, v10, s6, 0
	v_mul_lo_u32 v19, v11, s8
	v_mul_lo_u32 v20, v10, s9
	v_mad_u64_u32 v[10:11], null, v10, s8, 0
	s_mov_b32 s24, exec_lo
	v_add3_u32 v18, v18, v15, v4
	v_add3_u32 v11, v11, v20, v19
	v_lshlrev_b64 v[17:18], 1, v[17:18]
	v_lshlrev_b64 v[10:11], 3, v[10:11]
	v_add_co_u32 v17, vcc_lo, s5, v17
	v_add_co_ci_u32_e64 v18, null, s16, v18, vcc_lo
	v_add_co_u32 v10, vcc_lo, s17, v10
	v_add_co_ci_u32_e64 v11, null, s18, v11, vcc_lo
	global_store_short v[17:18], v14, off
	global_store_dwordx2 v[10:11], v[0:1], off
; %bb.542:                              ;   in Loop: Header=BB204_532 Depth=1
	s_or_b32 exec_lo, exec_lo, s23
	s_xor_b32 s23, exec_lo, -1
	s_orn2_b32 s24, s24, exec_lo
.LBB204_543:                            ;   in Loop: Header=BB204_532 Depth=1
	s_or_b32 exec_lo, exec_lo, s22
	s_and_saveexec_b32 s22, s24
	s_cbranch_execz .LBB204_530
; %bb.544:                              ;   in Loop: Header=BB204_532 Depth=1
	v_cmp_le_u64_e32 vcc_lo, s[10:11], v[6:7]
	v_add_co_u32 v2, s1, v2, s34
	v_add_co_ci_u32_e64 v3, null, s35, v3, s1
	s_or_b32 s23, s23, exec_lo
	s_orn2_b32 s1, vcc_lo, exec_lo
	s_branch .LBB204_530
.LBB204_545:
	s_or_b32 s8, s8, exec_lo
	s_trap 2
	s_branch .LBB204_507
.LBB204_546:
	s_or_b32 exec_lo, exec_lo, s19
	s_mov_b32 s0, 0
	s_and_saveexec_b32 s1, s20
	s_xor_b32 s1, exec_lo, s1
	s_cbranch_execnz .LBB204_552
.LBB204_547:
	s_or_b32 exec_lo, exec_lo, s1
	s_and_b32 s1, s0, exec_lo
.LBB204_548:
	s_or_b32 exec_lo, exec_lo, s4
	s_and_b32 s19, s1, exec_lo
	s_andn2_b32 s3, s3, exec_lo
	s_or_b32 exec_lo, exec_lo, s2
	s_and_saveexec_b32 s0, s3
	s_xor_b32 s0, exec_lo, s0
	s_cbranch_execz .LBB204_501
.LBB204_549:
	s_or_b32 s19, s19, exec_lo
	s_trap 2
	s_branch .LBB204_501
.LBB204_550:
	s_or_b32 s8, s8, exec_lo
	s_trap 2
	s_branch .LBB204_505
.LBB204_551:
	s_or_b32 s8, s8, exec_lo
	s_trap 2
	s_branch .LBB204_503
.LBB204_552:
	s_mov_b32 s0, exec_lo
	s_trap 2
	s_branch .LBB204_547
	.section	.rodata,"a",@progbits
	.p2align	6, 0x0
	.amdhsa_kernel _ZN2at6native6sbtopk10gatherTopKIN3c104HalfEmLi1ELb0EEEvNS_4cuda6detail10TensorInfoIKT_T0_EESA_SA_bSA_SA_NS7_IS8_SA_EESA_NS7_IlSA_EESA_PS8_
		.amdhsa_group_segment_fixed_size 5152
		.amdhsa_private_segment_fixed_size 0
		.amdhsa_kernarg_size 1568
		.amdhsa_user_sgpr_count 6
		.amdhsa_user_sgpr_private_segment_buffer 1
		.amdhsa_user_sgpr_dispatch_ptr 0
		.amdhsa_user_sgpr_queue_ptr 0
		.amdhsa_user_sgpr_kernarg_segment_ptr 1
		.amdhsa_user_sgpr_dispatch_id 0
		.amdhsa_user_sgpr_flat_scratch_init 0
		.amdhsa_user_sgpr_private_segment_size 0
		.amdhsa_wavefront_size32 1
		.amdhsa_uses_dynamic_stack 0
		.amdhsa_system_sgpr_private_segment_wavefront_offset 0
		.amdhsa_system_sgpr_workgroup_id_x 1
		.amdhsa_system_sgpr_workgroup_id_y 1
		.amdhsa_system_sgpr_workgroup_id_z 1
		.amdhsa_system_sgpr_workgroup_info 0
		.amdhsa_system_vgpr_workitem_id 0
		.amdhsa_next_free_vgpr 52
		.amdhsa_next_free_sgpr 105
		.amdhsa_reserve_vcc 1
		.amdhsa_reserve_flat_scratch 0
		.amdhsa_float_round_mode_32 0
		.amdhsa_float_round_mode_16_64 0
		.amdhsa_float_denorm_mode_32 3
		.amdhsa_float_denorm_mode_16_64 3
		.amdhsa_dx10_clamp 1
		.amdhsa_ieee_mode 1
		.amdhsa_fp16_overflow 0
		.amdhsa_workgroup_processor_mode 1
		.amdhsa_memory_ordered 1
		.amdhsa_forward_progress 1
		.amdhsa_shared_vgpr_count 0
		.amdhsa_exception_fp_ieee_invalid_op 0
		.amdhsa_exception_fp_denorm_src 0
		.amdhsa_exception_fp_ieee_div_zero 0
		.amdhsa_exception_fp_ieee_overflow 0
		.amdhsa_exception_fp_ieee_underflow 0
		.amdhsa_exception_fp_ieee_inexact 0
		.amdhsa_exception_int_div_zero 0
	.end_amdhsa_kernel
	.section	.text._ZN2at6native6sbtopk10gatherTopKIN3c104HalfEmLi1ELb0EEEvNS_4cuda6detail10TensorInfoIKT_T0_EESA_SA_bSA_SA_NS7_IS8_SA_EESA_NS7_IlSA_EESA_PS8_,"axG",@progbits,_ZN2at6native6sbtopk10gatherTopKIN3c104HalfEmLi1ELb0EEEvNS_4cuda6detail10TensorInfoIKT_T0_EESA_SA_bSA_SA_NS7_IS8_SA_EESA_NS7_IlSA_EESA_PS8_,comdat
.Lfunc_end204:
	.size	_ZN2at6native6sbtopk10gatherTopKIN3c104HalfEmLi1ELb0EEEvNS_4cuda6detail10TensorInfoIKT_T0_EESA_SA_bSA_SA_NS7_IS8_SA_EESA_NS7_IlSA_EESA_PS8_, .Lfunc_end204-_ZN2at6native6sbtopk10gatherTopKIN3c104HalfEmLi1ELb0EEEvNS_4cuda6detail10TensorInfoIKT_T0_EESA_SA_bSA_SA_NS7_IS8_SA_EESA_NS7_IlSA_EESA_PS8_
                                        ; -- End function
	.set _ZN2at6native6sbtopk10gatherTopKIN3c104HalfEmLi1ELb0EEEvNS_4cuda6detail10TensorInfoIKT_T0_EESA_SA_bSA_SA_NS7_IS8_SA_EESA_NS7_IlSA_EESA_PS8_.num_vgpr, 52
	.set _ZN2at6native6sbtopk10gatherTopKIN3c104HalfEmLi1ELb0EEEvNS_4cuda6detail10TensorInfoIKT_T0_EESA_SA_bSA_SA_NS7_IS8_SA_EESA_NS7_IlSA_EESA_PS8_.num_agpr, 0
	.set _ZN2at6native6sbtopk10gatherTopKIN3c104HalfEmLi1ELb0EEEvNS_4cuda6detail10TensorInfoIKT_T0_EESA_SA_bSA_SA_NS7_IS8_SA_EESA_NS7_IlSA_EESA_PS8_.numbered_sgpr, 105
	.set _ZN2at6native6sbtopk10gatherTopKIN3c104HalfEmLi1ELb0EEEvNS_4cuda6detail10TensorInfoIKT_T0_EESA_SA_bSA_SA_NS7_IS8_SA_EESA_NS7_IlSA_EESA_PS8_.num_named_barrier, 0
	.set _ZN2at6native6sbtopk10gatherTopKIN3c104HalfEmLi1ELb0EEEvNS_4cuda6detail10TensorInfoIKT_T0_EESA_SA_bSA_SA_NS7_IS8_SA_EESA_NS7_IlSA_EESA_PS8_.private_seg_size, 0
	.set _ZN2at6native6sbtopk10gatherTopKIN3c104HalfEmLi1ELb0EEEvNS_4cuda6detail10TensorInfoIKT_T0_EESA_SA_bSA_SA_NS7_IS8_SA_EESA_NS7_IlSA_EESA_PS8_.uses_vcc, 1
	.set _ZN2at6native6sbtopk10gatherTopKIN3c104HalfEmLi1ELb0EEEvNS_4cuda6detail10TensorInfoIKT_T0_EESA_SA_bSA_SA_NS7_IS8_SA_EESA_NS7_IlSA_EESA_PS8_.uses_flat_scratch, 0
	.set _ZN2at6native6sbtopk10gatherTopKIN3c104HalfEmLi1ELb0EEEvNS_4cuda6detail10TensorInfoIKT_T0_EESA_SA_bSA_SA_NS7_IS8_SA_EESA_NS7_IlSA_EESA_PS8_.has_dyn_sized_stack, 0
	.set _ZN2at6native6sbtopk10gatherTopKIN3c104HalfEmLi1ELb0EEEvNS_4cuda6detail10TensorInfoIKT_T0_EESA_SA_bSA_SA_NS7_IS8_SA_EESA_NS7_IlSA_EESA_PS8_.has_recursion, 0
	.set _ZN2at6native6sbtopk10gatherTopKIN3c104HalfEmLi1ELb0EEEvNS_4cuda6detail10TensorInfoIKT_T0_EESA_SA_bSA_SA_NS7_IS8_SA_EESA_NS7_IlSA_EESA_PS8_.has_indirect_call, 0
	.section	.AMDGPU.csdata,"",@progbits
; Kernel info:
; codeLenInByte = 25780
; TotalNumSgprs: 107
; NumVgprs: 52
; ScratchSize: 0
; MemoryBound: 0
; FloatMode: 240
; IeeeMode: 1
; LDSByteSize: 5152 bytes/workgroup (compile time only)
; SGPRBlocks: 0
; VGPRBlocks: 6
; NumSGPRsForWavesPerEU: 107
; NumVGPRsForWavesPerEU: 52
; Occupancy: 16
; WaveLimiterHint : 1
; COMPUTE_PGM_RSRC2:SCRATCH_EN: 0
; COMPUTE_PGM_RSRC2:USER_SGPR: 6
; COMPUTE_PGM_RSRC2:TRAP_HANDLER: 0
; COMPUTE_PGM_RSRC2:TGID_X_EN: 1
; COMPUTE_PGM_RSRC2:TGID_Y_EN: 1
; COMPUTE_PGM_RSRC2:TGID_Z_EN: 1
; COMPUTE_PGM_RSRC2:TIDIG_COMP_CNT: 0
	.section	.text._ZN2at6native6mbtopk23computeBlockDigitCountsIN3c104HalfEmjLi2EEEvNS_4cuda6detail10TensorInfoIKT_T0_EEjPjjSA_iijT1_PSD_Ps,"axG",@progbits,_ZN2at6native6mbtopk23computeBlockDigitCountsIN3c104HalfEmjLi2EEEvNS_4cuda6detail10TensorInfoIKT_T0_EEjPjjSA_iijT1_PSD_Ps,comdat
	.protected	_ZN2at6native6mbtopk23computeBlockDigitCountsIN3c104HalfEmjLi2EEEvNS_4cuda6detail10TensorInfoIKT_T0_EEjPjjSA_iijT1_PSD_Ps ; -- Begin function _ZN2at6native6mbtopk23computeBlockDigitCountsIN3c104HalfEmjLi2EEEvNS_4cuda6detail10TensorInfoIKT_T0_EEjPjjSA_iijT1_PSD_Ps
	.globl	_ZN2at6native6mbtopk23computeBlockDigitCountsIN3c104HalfEmjLi2EEEvNS_4cuda6detail10TensorInfoIKT_T0_EEjPjjSA_iijT1_PSD_Ps
	.p2align	8
	.type	_ZN2at6native6mbtopk23computeBlockDigitCountsIN3c104HalfEmjLi2EEEvNS_4cuda6detail10TensorInfoIKT_T0_EEjPjjSA_iijT1_PSD_Ps,@function
_ZN2at6native6mbtopk23computeBlockDigitCountsIN3c104HalfEmjLi2EEEvNS_4cuda6detail10TensorInfoIKT_T0_EEjPjjSA_iijT1_PSD_Ps: ; @_ZN2at6native6mbtopk23computeBlockDigitCountsIN3c104HalfEmjLi2EEEvNS_4cuda6detail10TensorInfoIKT_T0_EEjPjjSA_iijT1_PSD_Ps
; %bb.0:
	s_clause 0x2
	s_load_dwordx4 s[0:3], s[4:5], 0x1c0
	s_load_dword s12, s[4:5], 0x1b0
	s_load_dwordx2 s[10:11], s[4:5], 0x1e0
	s_waitcnt lgkmcnt(0)
	v_cvt_f32_u32_e32 v1, s2
	s_mul_i32 s8, s11, s8
	s_sub_i32 s11, 0, s2
	s_add_i32 s7, s8, s7
	v_rcp_iflag_f32_e32 v1, v1
	s_mul_i32 s16, s7, s10
	s_add_i32 s16, s16, s6
	v_mul_f32_e32 v1, 0x4f7ffffe, v1
	v_cvt_u32_f32_e32 v1, v1
	v_readfirstlane_b32 s9, v1
	s_mul_i32 s11, s11, s9
	s_mul_hi_u32 s7, s9, s11
	s_add_i32 s9, s9, s7
	s_mul_hi_u32 s6, s16, s9
	s_mul_i32 s7, s6, s2
	s_add_i32 s8, s6, 1
	s_sub_i32 s7, s16, s7
	s_sub_i32 s9, s7, s2
	s_cmp_ge_u32 s7, s2
	s_cselect_b32 s6, s8, s6
	s_cselect_b32 s7, s9, s7
	s_add_i32 s8, s6, 1
	s_cmp_ge_u32 s7, s2
	s_mov_b32 s7, 0
	s_cselect_b32 s6, s8, s6
	s_cmp_ge_u32 s6, s12
	s_cbranch_scc1 .LBB205_23
; %bb.1:
	s_clause 0x1
	s_load_dwordx2 s[12:13], s[4:5], 0x10
	s_load_dwordx4 s[8:11], s[4:5], 0x1d0
	s_lshl_b64 s[14:15], s[6:7], 2
	s_waitcnt lgkmcnt(0)
	v_cmp_lt_u64_e64 s17, s[6:7], s[12:13]
	s_add_u32 s14, s8, s14
	s_addc_u32 s15, s9, s15
	s_mov_b64 s[8:9], 0
	s_and_b32 vcc_lo, exec_lo, s17
	s_cbranch_vccnz .LBB205_3
; %bb.2:
	v_cvt_f32_u32_e32 v1, s12
	s_sub_i32 s8, 0, s12
	v_rcp_iflag_f32_e32 v1, v1
	v_mul_f32_e32 v1, 0x4f7ffffe, v1
	v_cvt_u32_f32_e32 v1, v1
	v_readfirstlane_b32 s7, v1
	s_mul_i32 s8, s8, s7
	s_mul_hi_u32 s8, s7, s8
	s_add_i32 s7, s7, s8
	s_mul_hi_u32 s7, s6, s7
	s_mul_i32 s8, s7, s12
	s_add_i32 s9, s7, 1
	s_sub_i32 s8, s6, s8
	s_sub_i32 s17, s8, s12
	s_cmp_ge_u32 s8, s12
	s_cselect_b32 s7, s9, s7
	s_cselect_b32 s8, s17, s8
	s_add_i32 s9, s7, 1
	s_cmp_ge_u32 s8, s12
	s_cselect_b32 s8, s9, s7
.LBB205_3:
	v_cmp_gt_u32_e32 vcc_lo, 0x100, v0
	v_lshlrev_b32_e32 v1, 2, v0
	s_and_saveexec_b32 s7, vcc_lo
; %bb.4:
	v_mov_b32_e32 v2, 0
	ds_write_b32 v1, v2
; %bb.5:
	s_or_b32 exec_lo, exec_lo, s7
	s_load_dword s7, s[4:5], 0x1a0
	s_mul_i32 s9, s6, s2
	s_waitcnt lgkmcnt(0)
	s_sub_i32 s17, s16, s9
	s_barrier
	s_mul_i32 s9, s1, s17
	s_add_i32 s17, s17, 1
	s_lshl_b32 s9, s9, 8
	buffer_gl0_inv
	s_sub_i32 s18, s7, s9
	s_add_u32 s18, s18, 0xff
	s_addc_u32 s19, 0, 0
	s_lshr_b64 s[18:19], s[18:19], 8
	s_cmp_lt_u32 s17, s2
	s_mov_b32 s17, 0
	s_cselect_b32 s2, s1, s18
	s_cmp_lt_i32 s2, 1
	s_cbranch_scc1 .LBB205_21
; %bb.6:
	s_clause 0x1
	s_load_dwordx4 s[20:23], s[4:5], 0xd0
	s_load_dwordx2 s[18:19], s[4:5], 0x0
	s_load_dword s1, s[14:15], 0x0
	s_load_dwordx2 s[4:5], s[4:5], 0x1b8
	s_mul_i32 s13, s8, s13
	s_mul_hi_u32 s14, s8, s12
	s_mul_i32 s12, s8, s12
	s_add_i32 s14, s14, s13
	s_sub_u32 s6, s6, s12
	s_subb_u32 s12, 0, s14
	v_add_nc_u32_e32 v2, s9, v0
	s_waitcnt lgkmcnt(0)
	s_mul_i32 s13, s6, s23
	s_mul_hi_u32 s23, s6, s22
	s_mul_i32 s24, s12, s22
	s_mul_i32 s12, s6, s22
	;; [unrolled: 1-line block ×3, first 2 shown]
	s_mul_hi_u32 s15, s8, s20
	s_mul_i32 s14, s8, s20
	s_add_i32 s15, s15, s6
	s_add_i32 s6, s23, s13
	s_lshl_b64 s[14:15], s[14:15], 1
	s_add_i32 s13, s6, s24
	s_add_u32 s6, s18, s14
	s_addc_u32 s14, s19, s15
	s_lshl_b64 s[12:13], s[12:13], 1
	s_add_u32 s8, s6, s12
	s_addc_u32 s9, s14, s13
	s_and_b32 s6, s0, 0xff
	s_cmp_eq_u32 s2, 1
	s_cbranch_scc1 .LBB205_16
; %bb.7:
	v_mov_b32_e32 v3, 1
	v_mov_b32_e32 v4, 0x8000
	;; [unrolled: 1-line block ×3, first 2 shown]
	s_and_b32 s12, s2, 0x7ffffffe
	s_mov_b32 s13, 0
	s_branch .LBB205_9
.LBB205_8:                              ;   in Loop: Header=BB205_9 Depth=1
	s_or_b32 exec_lo, exec_lo, s14
	v_add_nc_u32_e32 v5, 0x200, v5
	s_add_i32 s13, s13, 2
	s_cmp_eq_u32 s12, s13
	s_cbranch_scc1 .LBB205_15
.LBB205_9:                              ; =>This Inner Loop Header: Depth=1
	s_mov_b32 s14, exec_lo
	v_cmpx_gt_u32_e64 s7, v5
	s_cbranch_execz .LBB205_12
; %bb.10:                               ;   in Loop: Header=BB205_9 Depth=1
	v_mad_u64_u32 v[6:7], null, s4, v5, 0
	v_mad_u64_u32 v[7:8], null, s5, v5, v[7:8]
	v_lshlrev_b64 v[6:7], 1, v[6:7]
	v_add_co_u32 v6, s0, s8, v6
	v_add_co_ci_u32_e64 v7, null, s9, v7, s0
	global_load_ushort v6, v[6:7], off
	s_waitcnt vmcnt(0)
	v_cmp_lt_i16_e64 s0, -1, v6
	v_cndmask_b32_e64 v7, 0xffff, v4, s0
	v_cmp_o_f16_e64 s0, v6, v6
	v_xor_b32_sdwa v7, v7, v6 dst_sel:DWORD dst_unused:UNUSED_PAD src0_sel:DWORD src1_sel:WORD_0
	v_cndmask_b32_e64 v6, 0xffff, v7, s0
	v_xor_b32_e32 v7, s1, v6
	v_and_b32_e32 v7, s3, v7
	v_cmp_eq_u32_e64 s0, 0, v7
	s_and_b32 exec_lo, exec_lo, s0
; %bb.11:                               ;   in Loop: Header=BB205_9 Depth=1
	v_bfe_u32 v6, v6, s6, 8
	v_lshlrev_b32_e32 v6, 2, v6
	ds_add_u32 v6, v3
.LBB205_12:                             ;   in Loop: Header=BB205_9 Depth=1
	s_or_b32 exec_lo, exec_lo, s14
	v_add_nc_u32_e32 v6, 0x100, v5
	s_mov_b32 s14, exec_lo
	v_cmpx_gt_u32_e64 s7, v6
	s_cbranch_execz .LBB205_8
; %bb.13:                               ;   in Loop: Header=BB205_9 Depth=1
	v_mad_u64_u32 v[7:8], null, s4, v6, 0
	v_mad_u64_u32 v[8:9], null, s5, v6, v[8:9]
	v_lshlrev_b64 v[6:7], 1, v[7:8]
	v_add_co_u32 v6, s0, s8, v6
	v_add_co_ci_u32_e64 v7, null, s9, v7, s0
	global_load_ushort v6, v[6:7], off
	s_waitcnt vmcnt(0)
	v_cmp_lt_i16_e64 s0, -1, v6
	v_cndmask_b32_e64 v7, 0xffff, v4, s0
	v_cmp_o_f16_e64 s0, v6, v6
	v_xor_b32_sdwa v7, v7, v6 dst_sel:DWORD dst_unused:UNUSED_PAD src0_sel:DWORD src1_sel:WORD_0
	v_cndmask_b32_e64 v6, 0xffff, v7, s0
	v_xor_b32_e32 v7, s1, v6
	v_and_b32_e32 v7, s3, v7
	v_cmp_eq_u32_e64 s0, 0, v7
	s_and_b32 exec_lo, exec_lo, s0
	s_cbranch_execz .LBB205_8
; %bb.14:                               ;   in Loop: Header=BB205_9 Depth=1
	v_bfe_u32 v6, v6, s6, 8
	v_lshlrev_b32_e32 v6, 2, v6
	ds_add_u32 v6, v3
	s_branch .LBB205_8
.LBB205_15:
	s_lshl_b32 s17, s12, 8
.LBB205_16:
	s_bitcmp0_b32 s2, 0
	s_cbranch_scc1 .LBB205_21
; %bb.17:
	v_add_nc_u32_e32 v2, s17, v2
	s_mov_b32 s2, exec_lo
	v_cmpx_gt_u32_e64 s7, v2
	s_cbranch_execz .LBB205_20
; %bb.18:
	v_mad_u64_u32 v[3:4], null, s4, v2, 0
	v_mad_u64_u32 v[4:5], null, s5, v2, v[4:5]
	v_lshlrev_b64 v[2:3], 1, v[3:4]
	v_add_co_u32 v2, s0, s8, v2
	v_add_co_ci_u32_e64 v3, null, s9, v3, s0
	global_load_ushort v2, v[2:3], off
	v_mov_b32_e32 v3, 0x8000
	s_waitcnt vmcnt(0)
	v_cmp_lt_i16_e64 s0, -1, v2
	v_cndmask_b32_e64 v3, 0xffff, v3, s0
	v_cmp_o_f16_e64 s0, v2, v2
	v_xor_b32_sdwa v3, v3, v2 dst_sel:DWORD dst_unused:UNUSED_PAD src0_sel:DWORD src1_sel:WORD_0
	v_cndmask_b32_e64 v2, 0xffff, v3, s0
	v_xor_b32_e32 v3, s1, v2
	v_and_b32_e32 v3, s3, v3
	v_cmp_eq_u32_e64 s0, 0, v3
	s_and_b32 exec_lo, exec_lo, s0
	s_cbranch_execz .LBB205_20
; %bb.19:
	v_bfe_u32 v2, v2, s6, 8
	v_mov_b32_e32 v3, 1
	v_lshlrev_b32_e32 v2, 2, v2
	ds_add_u32 v2, v3
.LBB205_20:
	s_or_b32 exec_lo, exec_lo, s2
.LBB205_21:
	s_waitcnt lgkmcnt(0)
	s_barrier
	buffer_gl0_inv
	s_and_saveexec_b32 s0, vcc_lo
	s_cbranch_execz .LBB205_23
; %bb.22:
	ds_read_b32 v2, v1
	v_lshl_or_b32 v0, s16, 8, v0
	v_mov_b32_e32 v1, 0
	v_lshlrev_b64 v[0:1], 1, v[0:1]
	v_add_co_u32 v0, vcc_lo, s10, v0
	v_add_co_ci_u32_e64 v1, null, s11, v1, vcc_lo
	s_waitcnt lgkmcnt(0)
	global_store_short v[0:1], v2, off
.LBB205_23:
	s_endpgm
	.section	.rodata,"a",@progbits
	.p2align	6, 0x0
	.amdhsa_kernel _ZN2at6native6mbtopk23computeBlockDigitCountsIN3c104HalfEmjLi2EEEvNS_4cuda6detail10TensorInfoIKT_T0_EEjPjjSA_iijT1_PSD_Ps
		.amdhsa_group_segment_fixed_size 1024
		.amdhsa_private_segment_fixed_size 0
		.amdhsa_kernarg_size 736
		.amdhsa_user_sgpr_count 6
		.amdhsa_user_sgpr_private_segment_buffer 1
		.amdhsa_user_sgpr_dispatch_ptr 0
		.amdhsa_user_sgpr_queue_ptr 0
		.amdhsa_user_sgpr_kernarg_segment_ptr 1
		.amdhsa_user_sgpr_dispatch_id 0
		.amdhsa_user_sgpr_flat_scratch_init 0
		.amdhsa_user_sgpr_private_segment_size 0
		.amdhsa_wavefront_size32 1
		.amdhsa_uses_dynamic_stack 0
		.amdhsa_system_sgpr_private_segment_wavefront_offset 0
		.amdhsa_system_sgpr_workgroup_id_x 1
		.amdhsa_system_sgpr_workgroup_id_y 1
		.amdhsa_system_sgpr_workgroup_id_z 1
		.amdhsa_system_sgpr_workgroup_info 0
		.amdhsa_system_vgpr_workitem_id 0
		.amdhsa_next_free_vgpr 10
		.amdhsa_next_free_sgpr 25
		.amdhsa_reserve_vcc 1
		.amdhsa_reserve_flat_scratch 0
		.amdhsa_float_round_mode_32 0
		.amdhsa_float_round_mode_16_64 0
		.amdhsa_float_denorm_mode_32 3
		.amdhsa_float_denorm_mode_16_64 3
		.amdhsa_dx10_clamp 1
		.amdhsa_ieee_mode 1
		.amdhsa_fp16_overflow 0
		.amdhsa_workgroup_processor_mode 1
		.amdhsa_memory_ordered 1
		.amdhsa_forward_progress 1
		.amdhsa_shared_vgpr_count 0
		.amdhsa_exception_fp_ieee_invalid_op 0
		.amdhsa_exception_fp_denorm_src 0
		.amdhsa_exception_fp_ieee_div_zero 0
		.amdhsa_exception_fp_ieee_overflow 0
		.amdhsa_exception_fp_ieee_underflow 0
		.amdhsa_exception_fp_ieee_inexact 0
		.amdhsa_exception_int_div_zero 0
	.end_amdhsa_kernel
	.section	.text._ZN2at6native6mbtopk23computeBlockDigitCountsIN3c104HalfEmjLi2EEEvNS_4cuda6detail10TensorInfoIKT_T0_EEjPjjSA_iijT1_PSD_Ps,"axG",@progbits,_ZN2at6native6mbtopk23computeBlockDigitCountsIN3c104HalfEmjLi2EEEvNS_4cuda6detail10TensorInfoIKT_T0_EEjPjjSA_iijT1_PSD_Ps,comdat
.Lfunc_end205:
	.size	_ZN2at6native6mbtopk23computeBlockDigitCountsIN3c104HalfEmjLi2EEEvNS_4cuda6detail10TensorInfoIKT_T0_EEjPjjSA_iijT1_PSD_Ps, .Lfunc_end205-_ZN2at6native6mbtopk23computeBlockDigitCountsIN3c104HalfEmjLi2EEEvNS_4cuda6detail10TensorInfoIKT_T0_EEjPjjSA_iijT1_PSD_Ps
                                        ; -- End function
	.set _ZN2at6native6mbtopk23computeBlockDigitCountsIN3c104HalfEmjLi2EEEvNS_4cuda6detail10TensorInfoIKT_T0_EEjPjjSA_iijT1_PSD_Ps.num_vgpr, 10
	.set _ZN2at6native6mbtopk23computeBlockDigitCountsIN3c104HalfEmjLi2EEEvNS_4cuda6detail10TensorInfoIKT_T0_EEjPjjSA_iijT1_PSD_Ps.num_agpr, 0
	.set _ZN2at6native6mbtopk23computeBlockDigitCountsIN3c104HalfEmjLi2EEEvNS_4cuda6detail10TensorInfoIKT_T0_EEjPjjSA_iijT1_PSD_Ps.numbered_sgpr, 25
	.set _ZN2at6native6mbtopk23computeBlockDigitCountsIN3c104HalfEmjLi2EEEvNS_4cuda6detail10TensorInfoIKT_T0_EEjPjjSA_iijT1_PSD_Ps.num_named_barrier, 0
	.set _ZN2at6native6mbtopk23computeBlockDigitCountsIN3c104HalfEmjLi2EEEvNS_4cuda6detail10TensorInfoIKT_T0_EEjPjjSA_iijT1_PSD_Ps.private_seg_size, 0
	.set _ZN2at6native6mbtopk23computeBlockDigitCountsIN3c104HalfEmjLi2EEEvNS_4cuda6detail10TensorInfoIKT_T0_EEjPjjSA_iijT1_PSD_Ps.uses_vcc, 1
	.set _ZN2at6native6mbtopk23computeBlockDigitCountsIN3c104HalfEmjLi2EEEvNS_4cuda6detail10TensorInfoIKT_T0_EEjPjjSA_iijT1_PSD_Ps.uses_flat_scratch, 0
	.set _ZN2at6native6mbtopk23computeBlockDigitCountsIN3c104HalfEmjLi2EEEvNS_4cuda6detail10TensorInfoIKT_T0_EEjPjjSA_iijT1_PSD_Ps.has_dyn_sized_stack, 0
	.set _ZN2at6native6mbtopk23computeBlockDigitCountsIN3c104HalfEmjLi2EEEvNS_4cuda6detail10TensorInfoIKT_T0_EEjPjjSA_iijT1_PSD_Ps.has_recursion, 0
	.set _ZN2at6native6mbtopk23computeBlockDigitCountsIN3c104HalfEmjLi2EEEvNS_4cuda6detail10TensorInfoIKT_T0_EEjPjjSA_iijT1_PSD_Ps.has_indirect_call, 0
	.section	.AMDGPU.csdata,"",@progbits
; Kernel info:
; codeLenInByte = 1212
; TotalNumSgprs: 27
; NumVgprs: 10
; ScratchSize: 0
; MemoryBound: 0
; FloatMode: 240
; IeeeMode: 1
; LDSByteSize: 1024 bytes/workgroup (compile time only)
; SGPRBlocks: 0
; VGPRBlocks: 1
; NumSGPRsForWavesPerEU: 27
; NumVGPRsForWavesPerEU: 10
; Occupancy: 16
; WaveLimiterHint : 1
; COMPUTE_PGM_RSRC2:SCRATCH_EN: 0
; COMPUTE_PGM_RSRC2:USER_SGPR: 6
; COMPUTE_PGM_RSRC2:TRAP_HANDLER: 0
; COMPUTE_PGM_RSRC2:TGID_X_EN: 1
; COMPUTE_PGM_RSRC2:TGID_Y_EN: 1
; COMPUTE_PGM_RSRC2:TGID_Z_EN: 1
; COMPUTE_PGM_RSRC2:TIDIG_COMP_CNT: 0
	.section	.text._ZN2at6native6mbtopk10gatherTopKIN3c104HalfEmLi2EEEvNS_4cuda6detail10TensorInfoIKT_T0_EESA_SA_bjSA_NS7_IS8_SA_EESA_NS7_IlSA_EESA_jjPS8_PjSF_j,"axG",@progbits,_ZN2at6native6mbtopk10gatherTopKIN3c104HalfEmLi2EEEvNS_4cuda6detail10TensorInfoIKT_T0_EESA_SA_bjSA_NS7_IS8_SA_EESA_NS7_IlSA_EESA_jjPS8_PjSF_j,comdat
	.protected	_ZN2at6native6mbtopk10gatherTopKIN3c104HalfEmLi2EEEvNS_4cuda6detail10TensorInfoIKT_T0_EESA_SA_bjSA_NS7_IS8_SA_EESA_NS7_IlSA_EESA_jjPS8_PjSF_j ; -- Begin function _ZN2at6native6mbtopk10gatherTopKIN3c104HalfEmLi2EEEvNS_4cuda6detail10TensorInfoIKT_T0_EESA_SA_bjSA_NS7_IS8_SA_EESA_NS7_IlSA_EESA_jjPS8_PjSF_j
	.globl	_ZN2at6native6mbtopk10gatherTopKIN3c104HalfEmLi2EEEvNS_4cuda6detail10TensorInfoIKT_T0_EESA_SA_bjSA_NS7_IS8_SA_EESA_NS7_IlSA_EESA_jjPS8_PjSF_j
	.p2align	8
	.type	_ZN2at6native6mbtopk10gatherTopKIN3c104HalfEmLi2EEEvNS_4cuda6detail10TensorInfoIKT_T0_EESA_SA_bjSA_NS7_IS8_SA_EESA_NS7_IlSA_EESA_jjPS8_PjSF_j,@function
_ZN2at6native6mbtopk10gatherTopKIN3c104HalfEmLi2EEEvNS_4cuda6detail10TensorInfoIKT_T0_EESA_SA_bjSA_NS7_IS8_SA_EESA_NS7_IlSA_EESA_jjPS8_PjSF_j: ; @_ZN2at6native6mbtopk10gatherTopKIN3c104HalfEmLi2EEEvNS_4cuda6detail10TensorInfoIKT_T0_EESA_SA_bjSA_NS7_IS8_SA_EESA_NS7_IlSA_EESA_jjPS8_PjSF_j
; %bb.0:
	s_clause 0x1
	s_load_dwordx2 s[0:1], s[4:5], 0x538
	s_load_dword s2, s[4:5], 0x530
	s_waitcnt lgkmcnt(0)
	s_mul_i32 s1, s1, s8
	s_add_i32 s1, s1, s7
	s_mul_i32 s0, s1, s0
	s_add_i32 s0, s0, s6
	s_cmp_ge_u32 s0, s2
	s_cbranch_scc1 .LBB206_48
; %bb.1:
	s_clause 0x3
	s_load_dwordx2 s[6:7], s[4:5], 0x510
	s_load_dwordx2 s[38:39], s[4:5], 0x1d0
	s_load_dwordx4 s[8:11], s[4:5], 0x1a0
	s_load_dwordx2 s[36:37], s[4:5], 0x10
	s_mov_b32 s35, 0
	s_waitcnt lgkmcnt(0)
	v_cvt_f32_u32_e32 v1, s7
	s_sub_i32 s2, 0, s7
	s_lshl_b32 s33, s6, 8
	v_rcp_iflag_f32_e32 v1, v1
	v_mul_f32_e32 v1, 0x4f7ffffe, v1
	v_cvt_u32_f32_e32 v1, v1
	v_readfirstlane_b32 s1, v1
	s_mul_i32 s2, s2, s1
	s_mul_hi_u32 s2, s1, s2
	s_add_i32 s1, s1, s2
	s_mul_hi_u32 s1, s0, s1
	s_mul_i32 s2, s1, s7
	s_add_i32 s3, s1, 1
	s_sub_i32 s2, s0, s2
	s_sub_i32 s12, s2, s7
	s_cmp_ge_u32 s2, s7
	s_cselect_b32 s1, s3, s1
	s_cselect_b32 s2, s12, s2
	s_add_i32 s3, s1, 1
	s_cmp_ge_u32 s2, s7
	s_cselect_b32 s34, s3, s1
	s_mul_i32 s16, s34, s7
	s_sub_i32 s50, s0, s16
	s_add_i32 s0, s50, 1
	s_cmp_lt_u32 s0, s7
	s_cbranch_scc1 .LBB206_3
; %bb.2:
	s_mul_i32 s0, s50, s33
	s_sub_u32 s0, s8, s0
	s_subb_u32 s1, s9, 0
	s_add_u32 s0, s0, 0xff
	s_addc_u32 s1, s1, 0
	s_ashr_i32 s2, s1, 31
	s_lshr_b32 s2, s2, 24
	s_add_u32 s0, s0, s2
	s_addc_u32 s1, s1, 0
	s_lshr_b64 s[0:1], s[0:1], 8
	s_mov_b32 s6, s0
.LBB206_3:
	s_load_dwordx2 s[40:41], s[4:5], 0x378
	v_cmp_lt_u64_e64 s0, s[34:35], s[36:37]
	s_mov_b64 s[42:43], 0
	s_mov_b64 s[44:45], 0
	s_and_b32 vcc_lo, exec_lo, s0
	s_cbranch_vccz .LBB206_20
; %bb.4:
	v_cmp_lt_u64_e64 s0, s[34:35], s[38:39]
	s_and_b32 vcc_lo, exec_lo, s0
	s_cbranch_vccz .LBB206_21
.LBB206_5:
	s_waitcnt lgkmcnt(0)
	v_cmp_lt_u64_e64 s0, s[34:35], s[40:41]
	s_mov_b64 s[46:47], 0
	s_and_b32 vcc_lo, exec_lo, s0
	s_cbranch_vccnz .LBB206_7
.LBB206_6:
	v_cvt_f32_u32_e32 v1, s40
	s_sub_i32 s1, 0, s40
	v_rcp_iflag_f32_e32 v1, v1
	v_mul_f32_e32 v1, 0x4f7ffffe, v1
	v_cvt_u32_f32_e32 v1, v1
	v_readfirstlane_b32 s0, v1
	s_mul_i32 s1, s1, s0
	s_mul_hi_u32 s1, s0, s1
	s_add_i32 s0, s0, s1
	s_mul_hi_u32 s0, s34, s0
	s_mul_i32 s1, s0, s40
	s_add_i32 s2, s0, 1
	s_sub_i32 s1, s34, s1
	s_sub_i32 s3, s1, s40
	s_cmp_ge_u32 s1, s40
	s_cselect_b32 s0, s2, s0
	s_cselect_b32 s1, s3, s1
	s_add_i32 s2, s0, 1
	s_cmp_ge_u32 s1, s40
	s_cselect_b32 s46, s2, s0
.LBB206_7:
	s_clause 0x1
	s_load_dwordx4 s[0:3], s[4:5], 0x518
	s_load_dwordx2 s[48:49], s[4:5], 0x0
	s_lshl_b64 s[12:13], s[34:35], 1
	v_mov_b32_e32 v1, 0
	s_mov_b32 s17, 0
	s_waitcnt lgkmcnt(0)
	s_add_u32 s0, s0, s12
	s_addc_u32 s1, s1, s13
	global_load_ushort v1, v1, s[0:1]
	v_cmp_ne_u32_e64 s0, 0, v0
	v_cmp_eq_u32_e64 s1, 0, v0
	s_waitcnt vmcnt(0)
	v_readfirstlane_b32 s35, v1
	s_and_saveexec_b32 s24, s1
	s_cbranch_execz .LBB206_25
; %bb.8:
	s_load_dwordx2 s[18:19], s[4:5], 0x528
	s_lshl_b64 s[20:21], s[16:17], 2
	s_mov_b32 s16, 0
	s_add_u32 s12, s2, s20
	s_addc_u32 s13, s3, s21
	s_mov_b32 s25, 0
	s_waitcnt lgkmcnt(0)
	s_add_u32 s14, s18, s20
	s_addc_u32 s15, s19, s21
	s_cmp_lt_u32 s7, 4
	s_cbranch_scc1 .LBB206_22
; %bb.9:
	s_mov_b32 s26, 0
.LBB206_10:                             ; =>This Inner Loop Header: Depth=1
	s_add_u32 s12, s2, s20
	s_addc_u32 s13, s3, s21
	s_add_u32 s22, s18, s20
	s_load_dwordx4 s[12:15], s[12:13], 0x0
	s_addc_u32 s23, s19, s21
	s_cmp_ge_u32 s26, s50
	s_cbranch_scc0 .LBB206_17
; %bb.11:                               ;   in Loop: Header=BB206_10 Depth=1
	s_add_i32 s27, s26, 1
	s_cmp_ge_u32 s27, s50
	s_cbranch_scc0 .LBB206_18
.LBB206_12:                             ;   in Loop: Header=BB206_10 Depth=1
	s_add_i32 s27, s27, 1
	s_cmp_ge_u32 s27, s50
	s_cbranch_scc0 .LBB206_19
.LBB206_13:                             ;   in Loop: Header=BB206_10 Depth=1
	s_add_i32 s27, s27, 1
	s_cmp_ge_u32 s27, s50
	s_cbranch_scc1 .LBB206_15
.LBB206_14:                             ;   in Loop: Header=BB206_10 Depth=1
	s_load_dword s22, s[22:23], 0xc
	s_waitcnt lgkmcnt(0)
	s_add_i32 s17, s17, s15
	s_add_i32 s16, s22, s16
.LBB206_15:                             ;   in Loop: Header=BB206_10 Depth=1
	s_waitcnt lgkmcnt(0)
	s_add_i32 s12, s12, s25
	s_add_i32 s12, s12, s13
	s_add_i32 s12, s12, s14
	s_add_i32 s25, s12, s15
	s_add_u32 s2, s2, 16
	s_addc_u32 s3, s3, 0
	s_add_u32 s18, s18, 16
	s_addc_u32 s19, s19, 0
	s_add_i32 s23, s27, 4
	s_add_u32 s14, s18, s20
	s_addc_u32 s15, s19, s21
	s_add_u32 s12, s2, s20
	s_addc_u32 s13, s3, s21
	s_add_i32 s22, s27, 1
	s_cmp_ge_u32 s23, s7
	s_cbranch_scc1 .LBB206_23
; %bb.16:                               ;   in Loop: Header=BB206_10 Depth=1
	s_mov_b32 s26, s22
	s_branch .LBB206_10
.LBB206_17:                             ;   in Loop: Header=BB206_10 Depth=1
	s_load_dword s27, s[22:23], 0x0
	s_waitcnt lgkmcnt(0)
	s_add_i32 s17, s12, s17
	s_add_i32 s16, s27, s16
	;; [unrolled: 1-line block ×3, first 2 shown]
	s_cmp_ge_u32 s27, s50
	s_cbranch_scc1 .LBB206_12
.LBB206_18:                             ;   in Loop: Header=BB206_10 Depth=1
	s_load_dword s28, s[22:23], 0x4
	s_waitcnt lgkmcnt(0)
	s_add_i32 s17, s17, s13
	s_add_i32 s16, s28, s16
	;; [unrolled: 1-line block ×3, first 2 shown]
	s_cmp_ge_u32 s27, s50
	s_cbranch_scc1 .LBB206_13
.LBB206_19:                             ;   in Loop: Header=BB206_10 Depth=1
	s_load_dword s28, s[22:23], 0x8
	s_waitcnt lgkmcnt(0)
	s_add_i32 s17, s17, s14
	s_add_i32 s16, s28, s16
	;; [unrolled: 1-line block ×3, first 2 shown]
	s_cmp_ge_u32 s27, s50
	s_cbranch_scc0 .LBB206_14
	s_branch .LBB206_15
.LBB206_20:
	v_cvt_f32_u32_e32 v1, s36
	s_sub_i32 s1, 0, s36
	v_rcp_iflag_f32_e32 v1, v1
	v_mul_f32_e32 v1, 0x4f7ffffe, v1
	v_cvt_u32_f32_e32 v1, v1
	v_readfirstlane_b32 s0, v1
	s_mul_i32 s1, s1, s0
	s_mul_hi_u32 s1, s0, s1
	s_add_i32 s0, s0, s1
	s_mul_hi_u32 s0, s34, s0
	s_mul_i32 s1, s0, s36
	s_add_i32 s2, s0, 1
	s_sub_i32 s1, s34, s1
	s_sub_i32 s3, s1, s36
	s_cmp_ge_u32 s1, s36
	s_cselect_b32 s0, s2, s0
	s_cselect_b32 s1, s3, s1
	s_add_i32 s2, s0, 1
	s_cmp_ge_u32 s1, s36
	s_cselect_b32 s44, s2, s0
	v_cmp_lt_u64_e64 s0, s[34:35], s[38:39]
	s_and_b32 vcc_lo, exec_lo, s0
	s_cbranch_vccnz .LBB206_5
.LBB206_21:
	v_cvt_f32_u32_e32 v1, s38
	s_sub_i32 s1, 0, s38
	v_rcp_iflag_f32_e32 v1, v1
	v_mul_f32_e32 v1, 0x4f7ffffe, v1
	v_cvt_u32_f32_e32 v1, v1
	v_readfirstlane_b32 s0, v1
	s_mul_i32 s1, s1, s0
	s_mul_hi_u32 s1, s0, s1
	s_add_i32 s0, s0, s1
	s_mul_hi_u32 s0, s34, s0
	s_mul_i32 s1, s0, s38
	s_add_i32 s2, s0, 1
	s_sub_i32 s1, s34, s1
	s_sub_i32 s3, s1, s38
	s_cmp_ge_u32 s1, s38
	s_cselect_b32 s0, s2, s0
	s_cselect_b32 s1, s3, s1
	s_add_i32 s2, s0, 1
	s_cmp_ge_u32 s1, s38
	s_cselect_b32 s42, s2, s0
	s_waitcnt lgkmcnt(0)
	v_cmp_lt_u64_e64 s0, s[34:35], s[40:41]
	s_mov_b64 s[46:47], 0
	s_and_b32 vcc_lo, exec_lo, s0
	s_cbranch_vccz .LBB206_6
	s_branch .LBB206_7
.LBB206_22:
	s_mov_b32 s2, 0
	s_cmp_ge_u32 s2, s7
	s_cbranch_scc0 .LBB206_46
	s_branch .LBB206_24
.LBB206_23:
	s_add_i32 s2, s26, 4
	s_cmp_ge_u32 s2, s7
	s_cbranch_scc0 .LBB206_46
.LBB206_24:
	v_mov_b32_e32 v1, s16
	v_mov_b32_e32 v2, s25
	v_mov_b32_e32 v3, s17
	v_mov_b32_e32 v4, 0
	ds_write_b96 v4, v[1:3] offset:1056
.LBB206_25:
	s_or_b32 exec_lo, exec_lo, s24
	s_clause 0x4
	s_load_dwordx4 s[12:15], s[4:5], 0x1b8
	s_load_dwordx4 s[28:31], s[4:5], 0xd0
	;; [unrolled: 1-line block ×5, first 2 shown]
	s_cmp_eq_u32 s6, 0
	s_waitcnt lgkmcnt(0)
	s_barrier
	buffer_gl0_inv
	s_cbranch_scc1 .LBB206_48
; %bb.26:
	s_mul_i32 s2, s42, s39
	s_mul_hi_u32 s3, s42, s38
	s_mul_i32 s7, s42, s38
	s_add_i32 s3, s3, s2
	s_sub_u32 s2, s34, s7
	s_subb_u32 s3, 0, s3
	s_mul_i32 s7, s2, s27
	s_mul_hi_u32 s27, s2, s26
	s_mul_i32 s3, s3, s26
	s_add_i32 s7, s27, s7
	s_mul_i32 s25, s42, s25
	s_mul_hi_u32 s27, s42, s24
	s_add_i32 s3, s7, s3
	s_add_i32 s25, s27, s25
	s_mul_i32 s7, s44, s37
	s_mul_hi_u32 s27, s44, s36
	s_mul_i32 s36, s44, s36
	s_add_i32 s27, s27, s7
	s_sub_u32 s7, s34, s36
	s_subb_u32 s27, 0, s27
	s_mul_i32 s31, s7, s31
	s_mul_hi_u32 s36, s7, s30
	s_mul_i32 s27, s27, s30
	s_add_i32 s31, s36, s31
	s_mul_i32 s29, s44, s29
	s_mul_hi_u32 s36, s44, s28
	s_add_i32 s31, s31, s27
	s_add_i32 s29, s36, s29
	s_mul_i32 s27, s46, s41
	s_mul_hi_u32 s36, s46, s40
	s_mul_i32 s37, s46, s40
	s_add_i32 s36, s36, s27
	s_sub_u32 s34, s34, s37
	s_mul_i32 s30, s7, s30
	s_mul_i32 s7, s34, s23
	s_mul_hi_u32 s23, s34, s22
	s_subb_u32 s27, 0, s36
	s_add_i32 s7, s23, s7
	s_mul_i32 s27, s27, s22
	s_mul_i32 s28, s44, s28
	s_add_i32 s23, s7, s27
	s_mul_i32 s7, s46, s21
	s_mul_hi_u32 s21, s46, s20
	s_lshl_b64 s[28:29], s[28:29], 1
	s_add_i32 s27, s21, s7
	s_add_u32 s7, s48, s28
	s_addc_u32 s21, s49, s29
	s_lshl_b64 s[28:29], s[30:31], 1
	s_mul_i32 s24, s42, s24
	s_add_u32 s7, s7, s28
	s_addc_u32 s21, s21, s29
	s_lshl_b64 s[24:25], s[24:25], 1
	v_mov_b32_e32 v5, 0
	s_mul_i32 s2, s2, s26
	s_add_u32 s14, s14, s24
	s_addc_u32 s15, s15, s25
	s_lshl_b64 s[2:3], s[2:3], 1
	s_mul_i32 s26, s46, s20
	s_add_u32 s14, s14, s2
	ds_read_b96 v[1:3], v5 offset:1056
	s_addc_u32 s15, s15, s3
	s_lshl_b64 s[2:3], s[26:27], 3
	s_mul_i32 s22, s34, s22
	s_add_u32 s18, s18, s2
	s_addc_u32 s19, s19, s3
	s_lshl_b64 s[2:3], s[22:23], 3
	v_cmp_o_f16_e64 s20, s35, s35
	s_add_u32 s18, s18, s2
	s_sext_i32_i16 s2, s35
	s_addc_u32 s19, s19, s3
	s_and_b32 s3, 0xffff, s35
	s_cmp_gt_i32 s2, -1
	s_mov_b32 s2, 0x8000
	v_add_nc_u32_e32 v10, -1, v0
	s_cselect_b32 s2, s2, 0xffff
	v_lshrrev_b32_e32 v4, 3, v0
	s_xor_b32 s2, s2, s3
	s_and_b32 s3, s20, exec_lo
	s_clause 0x1
	s_load_dword s3, s[4:5], 0x1b0
	s_load_dwordx2 s[4:5], s[4:5], 0x508
	v_lshrrev_b32_e32 v6, 3, v10
	s_waitcnt lgkmcnt(0)
	v_add_nc_u32_e32 v1, v1, v2
	v_and_b32_e32 v4, 28, v4
	v_and_b32_e32 v2, 0xfc, v0
	v_mbcnt_lo_u32_b32 v9, -1, 0
	v_and_b32_e32 v11, 0x1ffffffc, v6
	v_mad_u64_u32 v[6:7], null, s50, s33, v[0:1]
	v_lshl_add_u32 v8, v0, 2, v4
	v_lshlrev_b32_e32 v4, 5, v0
	s_cselect_b32 s20, s2, 0xffff
	v_cmp_gt_u32_e64 s2, 32, v0
	v_lshl_add_u32 v0, v10, 2, v11
	v_and_b32_e32 v11, 15, v9
	v_add_nc_u32_e32 v10, v2, v4
	v_bfe_i32 v12, v9, 4, 1
	v_add_nc_u32_e32 v13, -1, v9
	v_mov_b32_e32 v14, 0x8000
	v_mov_b32_e32 v4, v6
	s_bitcmp1_b32 s3, 0
                                        ; implicit-def: $vgpr15
	s_cselect_b32 s3, -1, 0
	s_branch .LBB206_29
.LBB206_27:                             ;   in Loop: Header=BB206_29 Depth=1
	s_or_b32 exec_lo, exec_lo, s22
	v_add_nc_u32_e32 v1, v2, v1
.LBB206_28:                             ;   in Loop: Header=BB206_29 Depth=1
	v_add_nc_u32_e32 v3, v16, v3
	v_add_nc_u32_e32 v4, 0x100, v4
	s_add_i32 s6, s6, -1
	s_cmp_lg_u32 s6, 0
	s_cbranch_scc0 .LBB206_48
.LBB206_29:                             ; =>This Inner Loop Header: Depth=1
	v_mov_b32_e32 v2, v5
	v_mov_b32_e32 v6, v5
	s_mov_b32 s22, exec_lo
	v_cmpx_gt_u64_e64 s[8:9], v[4:5]
	s_cbranch_execz .LBB206_31
; %bb.30:                               ;   in Loop: Header=BB206_29 Depth=1
	v_mad_u64_u32 v[6:7], null, s12, v4, 0
	v_mov_b32_e32 v2, v7
	v_mad_u64_u32 v[15:16], null, s13, v4, v[2:3]
	v_mov_b32_e32 v7, v15
	v_lshlrev_b64 v[6:7], 1, v[6:7]
	v_add_co_u32 v6, vcc_lo, s7, v6
	v_add_co_ci_u32_e64 v7, null, s21, v7, vcc_lo
	global_load_ushort v15, v[6:7], off
	s_waitcnt vmcnt(0)
	v_cmp_lt_i16_e32 vcc_lo, -1, v15
	v_cndmask_b32_e32 v2, 0xffff, v14, vcc_lo
	v_cmp_o_f16_e32 vcc_lo, v15, v15
	v_xor_b32_sdwa v2, v2, v15 dst_sel:DWORD dst_unused:UNUSED_PAD src0_sel:DWORD src1_sel:WORD_0
	v_cndmask_b32_e32 v6, 0xffff, v2, vcc_lo
	v_cmp_lt_u32_e32 vcc_lo, s20, v6
	v_cndmask_b32_e64 v2, 0, 1, vcc_lo
	v_cmp_gt_u32_e32 vcc_lo, s20, v6
	v_cndmask_b32_e64 v7, 0, 1, vcc_lo
	v_cmp_eq_u32_e32 vcc_lo, s20, v6
	v_cndmask_b32_e64 v2, v7, v2, s3
	v_cndmask_b32_e64 v6, 0, 1, vcc_lo
	v_and_b32_e32 v2, 1, v2
.LBB206_31:                             ;   in Loop: Header=BB206_29 Depth=1
	s_or_b32 exec_lo, exec_lo, s22
	ds_write_b32 v8, v2
	s_waitcnt lgkmcnt(0)
	s_barrier
	buffer_gl0_inv
	s_and_saveexec_b32 s22, s2
	s_cbranch_execz .LBB206_33
; %bb.32:                               ;   in Loop: Header=BB206_29 Depth=1
	ds_read2_b32 v[16:17], v10 offset1:1
	ds_read2_b32 v[18:19], v10 offset0:2 offset1:3
	ds_read2_b32 v[20:21], v10 offset0:4 offset1:5
	;; [unrolled: 1-line block ×3, first 2 shown]
	v_cmp_ne_u32_e32 vcc_lo, 0, v11
	; wave barrier
	s_waitcnt lgkmcnt(3)
	v_add_nc_u32_e32 v7, v17, v16
	s_waitcnt lgkmcnt(2)
	v_add3_u32 v7, v7, v18, v19
	s_waitcnt lgkmcnt(1)
	v_add3_u32 v7, v7, v20, v21
	s_waitcnt lgkmcnt(0)
	v_add3_u32 v7, v7, v22, v23
	v_mov_b32_dpp v17, v7 row_shr:1 row_mask:0xf bank_mask:0xf
	v_cndmask_b32_e32 v17, 0, v17, vcc_lo
	v_cmp_lt_u32_e32 vcc_lo, 1, v11
	v_add_nc_u32_e32 v7, v17, v7
	v_mov_b32_dpp v17, v7 row_shr:2 row_mask:0xf bank_mask:0xf
	v_cndmask_b32_e32 v17, 0, v17, vcc_lo
	v_cmp_lt_u32_e32 vcc_lo, 3, v11
	v_add_nc_u32_e32 v7, v7, v17
	;; [unrolled: 4-line block ×3, first 2 shown]
	v_mov_b32_dpp v17, v7 row_shr:8 row_mask:0xf bank_mask:0xf
	v_cndmask_b32_e32 v17, 0, v17, vcc_lo
	v_cmp_gt_i32_e32 vcc_lo, 0, v13
	v_add_nc_u32_e32 v7, v7, v17
	v_cndmask_b32_e32 v18, v13, v9, vcc_lo
	ds_swizzle_b32 v17, v7 offset:swizzle(BROADCAST,32,15)
	v_lshlrev_b32_e32 v18, 2, v18
	s_waitcnt lgkmcnt(0)
	v_and_b32_e32 v17, v12, v17
	v_add_nc_u32_e32 v7, v7, v17
	ds_bpermute_b32 v7, v18, v7
	s_waitcnt lgkmcnt(0)
	v_add_nc_u32_e32 v7, v7, v16
	v_cndmask_b32_e64 v7, v7, v2, s1
	ds_write_b32 v10, v7
	; wave barrier
	ds_read2_b32 v[16:17], v10 offset0:1 offset1:2
	ds_read2_b32 v[18:19], v10 offset0:3 offset1:4
	;; [unrolled: 1-line block ×3, first 2 shown]
	ds_read_b32 v22, v10 offset:28
	s_waitcnt lgkmcnt(3)
	v_add_nc_u32_e32 v7, v16, v7
	v_add_nc_u32_e32 v16, v17, v7
	s_waitcnt lgkmcnt(2)
	v_add_nc_u32_e32 v17, v18, v16
	v_add_nc_u32_e32 v18, v19, v17
	;; [unrolled: 3-line block ×3, first 2 shown]
	s_waitcnt lgkmcnt(0)
	v_add_nc_u32_e32 v21, v22, v20
	ds_write2_b32 v10, v7, v16 offset0:1 offset1:2
	ds_write2_b32 v10, v17, v18 offset0:3 offset1:4
	;; [unrolled: 1-line block ×3, first 2 shown]
	ds_write_b32 v10, v21 offset:28
.LBB206_33:                             ;   in Loop: Header=BB206_29 Depth=1
	s_or_b32 exec_lo, exec_lo, s22
	v_mov_b32_e32 v7, 0
	s_waitcnt lgkmcnt(0)
	s_barrier
	buffer_gl0_inv
	s_and_saveexec_b32 s22, s0
; %bb.34:                               ;   in Loop: Header=BB206_29 Depth=1
	ds_read_b32 v7, v0
; %bb.35:                               ;   in Loop: Header=BB206_29 Depth=1
	s_or_b32 exec_lo, exec_lo, s22
	ds_read_b32 v16, v5 offset:1048
	s_mov_b32 s22, exec_lo
	s_waitcnt lgkmcnt(0)
	s_barrier
	buffer_gl0_inv
	v_cmpx_ne_u32_e32 0, v2
	s_cbranch_execz .LBB206_37
; %bb.36:                               ;   in Loop: Header=BB206_29 Depth=1
	v_add_nc_u32_e32 v22, v7, v3
	v_mad_u64_u32 v[17:18], null, s16, v22, 0
	v_mad_u64_u32 v[19:20], null, s4, v22, 0
	v_mov_b32_e32 v2, v18
	v_mov_b32_e32 v7, v20
	v_mad_u64_u32 v[20:21], null, s17, v22, v[2:3]
	v_mad_u64_u32 v[21:22], null, s5, v22, v[7:8]
	v_mov_b32_e32 v18, v20
	v_mov_b32_e32 v20, v21
	v_lshlrev_b64 v[17:18], 1, v[17:18]
	v_lshlrev_b64 v[19:20], 3, v[19:20]
	v_add_co_u32 v17, vcc_lo, s14, v17
	v_add_co_ci_u32_e64 v18, null, s15, v18, vcc_lo
	v_add_co_u32 v19, vcc_lo, s18, v19
	v_add_co_ci_u32_e64 v20, null, s19, v20, vcc_lo
	global_store_short v[17:18], v15, off
	global_store_dwordx2 v[19:20], v[4:5], off
.LBB206_37:                             ;   in Loop: Header=BB206_29 Depth=1
	s_or_b32 exec_lo, exec_lo, s22
	v_mov_b32_e32 v2, v5
	v_cmp_le_u64_e32 vcc_lo, s[10:11], v[1:2]
	s_cbranch_vccnz .LBB206_28
; %bb.38:                               ;   in Loop: Header=BB206_29 Depth=1
	ds_write_b32 v8, v6
	s_waitcnt lgkmcnt(0)
	s_waitcnt_vscnt null, 0x0
	s_barrier
	buffer_gl0_inv
	s_and_saveexec_b32 s22, s2
	s_cbranch_execz .LBB206_40
; %bb.39:                               ;   in Loop: Header=BB206_29 Depth=1
	ds_read2_b32 v[17:18], v10 offset1:1
	ds_read2_b32 v[19:20], v10 offset0:2 offset1:3
	ds_read2_b32 v[21:22], v10 offset0:4 offset1:5
	;; [unrolled: 1-line block ×3, first 2 shown]
	v_cmp_ne_u32_e32 vcc_lo, 0, v11
	; wave barrier
	s_waitcnt lgkmcnt(3)
	v_add_nc_u32_e32 v2, v18, v17
	s_waitcnt lgkmcnt(2)
	v_add3_u32 v2, v2, v19, v20
	s_waitcnt lgkmcnt(1)
	v_add3_u32 v2, v2, v21, v22
	;; [unrolled: 2-line block ×3, first 2 shown]
	v_mov_b32_dpp v7, v2 row_shr:1 row_mask:0xf bank_mask:0xf
	v_cndmask_b32_e32 v7, 0, v7, vcc_lo
	v_cmp_lt_u32_e32 vcc_lo, 1, v11
	v_add_nc_u32_e32 v2, v7, v2
	v_mov_b32_dpp v7, v2 row_shr:2 row_mask:0xf bank_mask:0xf
	v_cndmask_b32_e32 v7, 0, v7, vcc_lo
	v_cmp_lt_u32_e32 vcc_lo, 3, v11
	v_add_nc_u32_e32 v2, v2, v7
	;; [unrolled: 4-line block ×3, first 2 shown]
	v_mov_b32_dpp v7, v2 row_shr:8 row_mask:0xf bank_mask:0xf
	v_cndmask_b32_e32 v7, 0, v7, vcc_lo
	v_cmp_gt_i32_e32 vcc_lo, 0, v13
	v_add_nc_u32_e32 v2, v2, v7
	v_cndmask_b32_e32 v18, v13, v9, vcc_lo
	ds_swizzle_b32 v7, v2 offset:swizzle(BROADCAST,32,15)
	v_lshlrev_b32_e32 v18, 2, v18
	s_waitcnt lgkmcnt(0)
	v_and_b32_e32 v7, v12, v7
	v_add_nc_u32_e32 v2, v2, v7
	ds_bpermute_b32 v2, v18, v2
	s_waitcnt lgkmcnt(0)
	v_add_nc_u32_e32 v2, v2, v17
	v_cndmask_b32_e64 v2, v2, v6, s1
	ds_write_b32 v10, v2
	; wave barrier
	ds_read2_b32 v[17:18], v10 offset0:1 offset1:2
	ds_read2_b32 v[19:20], v10 offset0:3 offset1:4
	;; [unrolled: 1-line block ×3, first 2 shown]
	ds_read_b32 v7, v10 offset:28
	s_waitcnt lgkmcnt(3)
	v_add_nc_u32_e32 v2, v17, v2
	v_add_nc_u32_e32 v17, v18, v2
	s_waitcnt lgkmcnt(2)
	v_add_nc_u32_e32 v18, v19, v17
	v_add_nc_u32_e32 v19, v20, v18
	;; [unrolled: 3-line block ×3, first 2 shown]
	s_waitcnt lgkmcnt(0)
	v_add_nc_u32_e32 v7, v7, v21
	ds_write2_b32 v10, v2, v17 offset0:1 offset1:2
	ds_write2_b32 v10, v18, v19 offset0:3 offset1:4
	;; [unrolled: 1-line block ×3, first 2 shown]
	ds_write_b32 v10, v7 offset:28
.LBB206_40:                             ;   in Loop: Header=BB206_29 Depth=1
	s_or_b32 exec_lo, exec_lo, s22
	v_mov_b32_e32 v7, 0
	s_waitcnt lgkmcnt(0)
	s_barrier
	buffer_gl0_inv
	s_and_saveexec_b32 s22, s0
; %bb.41:                               ;   in Loop: Header=BB206_29 Depth=1
	ds_read_b32 v7, v0
; %bb.42:                               ;   in Loop: Header=BB206_29 Depth=1
	s_or_b32 exec_lo, exec_lo, s22
	ds_read_b32 v2, v5 offset:1048
	s_mov_b32 s22, exec_lo
	s_waitcnt lgkmcnt(0)
	s_barrier
	buffer_gl0_inv
	v_cmpx_ne_u32_e32 0, v6
	s_cbranch_execz .LBB206_27
; %bb.43:                               ;   in Loop: Header=BB206_29 Depth=1
	v_add_nc_u32_e32 v6, v7, v1
	v_mov_b32_e32 v7, v5
	v_cmp_gt_u64_e32 vcc_lo, s[10:11], v[6:7]
	s_and_b32 exec_lo, exec_lo, vcc_lo
	s_cbranch_execz .LBB206_27
; %bb.44:                               ;   in Loop: Header=BB206_29 Depth=1
	v_mad_u64_u32 v[17:18], null, s16, v6, 0
	v_mad_u64_u32 v[19:20], null, s4, v6, 0
	v_mov_b32_e32 v7, v18
	v_mov_b32_e32 v18, v20
	v_mad_u64_u32 v[20:21], null, s17, v6, v[7:8]
	v_mad_u64_u32 v[6:7], null, s5, v6, v[18:19]
	v_mov_b32_e32 v18, v20
	v_mov_b32_e32 v20, v6
	v_lshlrev_b64 v[6:7], 1, v[17:18]
	v_lshlrev_b64 v[17:18], 3, v[19:20]
	v_add_co_u32 v6, vcc_lo, s14, v6
	v_add_co_ci_u32_e64 v7, null, s15, v7, vcc_lo
	v_add_co_u32 v17, vcc_lo, s18, v17
	v_add_co_ci_u32_e64 v18, null, s19, v18, vcc_lo
	global_store_short v[6:7], v15, off
	global_store_dwordx2 v[17:18], v[4:5], off
	s_branch .LBB206_27
	.p2align	6
.LBB206_45:                             ;   in Loop: Header=BB206_46 Depth=1
	s_add_u32 s12, s12, 4
	s_addc_u32 s13, s13, 0
	s_waitcnt lgkmcnt(0)
	s_add_i32 s25, s3, s25
	s_add_u32 s14, s14, 4
	s_addc_u32 s15, s15, 0
	s_add_i32 s2, s2, 1
	s_cmp_lt_u32 s2, s7
	s_cbranch_scc0 .LBB206_24
.LBB206_46:                             ; =>This Inner Loop Header: Depth=1
	s_load_dword s3, s[12:13], 0x0
	s_cmp_ge_u32 s2, s50
	s_cbranch_scc1 .LBB206_45
; %bb.47:                               ;   in Loop: Header=BB206_46 Depth=1
	s_load_dword s18, s[14:15], 0x0
	s_waitcnt lgkmcnt(0)
	s_add_i32 s17, s3, s17
	s_add_i32 s16, s18, s16
	s_branch .LBB206_45
.LBB206_48:
	s_endpgm
	.section	.rodata,"a",@progbits
	.p2align	6, 0x0
	.amdhsa_kernel _ZN2at6native6mbtopk10gatherTopKIN3c104HalfEmLi2EEEvNS_4cuda6detail10TensorInfoIKT_T0_EESA_SA_bjSA_NS7_IS8_SA_EESA_NS7_IlSA_EESA_jjPS8_PjSF_j
		.amdhsa_group_segment_fixed_size 1068
		.amdhsa_private_segment_fixed_size 0
		.amdhsa_kernarg_size 1592
		.amdhsa_user_sgpr_count 6
		.amdhsa_user_sgpr_private_segment_buffer 1
		.amdhsa_user_sgpr_dispatch_ptr 0
		.amdhsa_user_sgpr_queue_ptr 0
		.amdhsa_user_sgpr_kernarg_segment_ptr 1
		.amdhsa_user_sgpr_dispatch_id 0
		.amdhsa_user_sgpr_flat_scratch_init 0
		.amdhsa_user_sgpr_private_segment_size 0
		.amdhsa_wavefront_size32 1
		.amdhsa_uses_dynamic_stack 0
		.amdhsa_system_sgpr_private_segment_wavefront_offset 0
		.amdhsa_system_sgpr_workgroup_id_x 1
		.amdhsa_system_sgpr_workgroup_id_y 1
		.amdhsa_system_sgpr_workgroup_id_z 1
		.amdhsa_system_sgpr_workgroup_info 0
		.amdhsa_system_vgpr_workitem_id 0
		.amdhsa_next_free_vgpr 25
		.amdhsa_next_free_sgpr 51
		.amdhsa_reserve_vcc 1
		.amdhsa_reserve_flat_scratch 0
		.amdhsa_float_round_mode_32 0
		.amdhsa_float_round_mode_16_64 0
		.amdhsa_float_denorm_mode_32 3
		.amdhsa_float_denorm_mode_16_64 3
		.amdhsa_dx10_clamp 1
		.amdhsa_ieee_mode 1
		.amdhsa_fp16_overflow 0
		.amdhsa_workgroup_processor_mode 1
		.amdhsa_memory_ordered 1
		.amdhsa_forward_progress 1
		.amdhsa_shared_vgpr_count 0
		.amdhsa_exception_fp_ieee_invalid_op 0
		.amdhsa_exception_fp_denorm_src 0
		.amdhsa_exception_fp_ieee_div_zero 0
		.amdhsa_exception_fp_ieee_overflow 0
		.amdhsa_exception_fp_ieee_underflow 0
		.amdhsa_exception_fp_ieee_inexact 0
		.amdhsa_exception_int_div_zero 0
	.end_amdhsa_kernel
	.section	.text._ZN2at6native6mbtopk10gatherTopKIN3c104HalfEmLi2EEEvNS_4cuda6detail10TensorInfoIKT_T0_EESA_SA_bjSA_NS7_IS8_SA_EESA_NS7_IlSA_EESA_jjPS8_PjSF_j,"axG",@progbits,_ZN2at6native6mbtopk10gatherTopKIN3c104HalfEmLi2EEEvNS_4cuda6detail10TensorInfoIKT_T0_EESA_SA_bjSA_NS7_IS8_SA_EESA_NS7_IlSA_EESA_jjPS8_PjSF_j,comdat
.Lfunc_end206:
	.size	_ZN2at6native6mbtopk10gatherTopKIN3c104HalfEmLi2EEEvNS_4cuda6detail10TensorInfoIKT_T0_EESA_SA_bjSA_NS7_IS8_SA_EESA_NS7_IlSA_EESA_jjPS8_PjSF_j, .Lfunc_end206-_ZN2at6native6mbtopk10gatherTopKIN3c104HalfEmLi2EEEvNS_4cuda6detail10TensorInfoIKT_T0_EESA_SA_bjSA_NS7_IS8_SA_EESA_NS7_IlSA_EESA_jjPS8_PjSF_j
                                        ; -- End function
	.set _ZN2at6native6mbtopk10gatherTopKIN3c104HalfEmLi2EEEvNS_4cuda6detail10TensorInfoIKT_T0_EESA_SA_bjSA_NS7_IS8_SA_EESA_NS7_IlSA_EESA_jjPS8_PjSF_j.num_vgpr, 25
	.set _ZN2at6native6mbtopk10gatherTopKIN3c104HalfEmLi2EEEvNS_4cuda6detail10TensorInfoIKT_T0_EESA_SA_bjSA_NS7_IS8_SA_EESA_NS7_IlSA_EESA_jjPS8_PjSF_j.num_agpr, 0
	.set _ZN2at6native6mbtopk10gatherTopKIN3c104HalfEmLi2EEEvNS_4cuda6detail10TensorInfoIKT_T0_EESA_SA_bjSA_NS7_IS8_SA_EESA_NS7_IlSA_EESA_jjPS8_PjSF_j.numbered_sgpr, 51
	.set _ZN2at6native6mbtopk10gatherTopKIN3c104HalfEmLi2EEEvNS_4cuda6detail10TensorInfoIKT_T0_EESA_SA_bjSA_NS7_IS8_SA_EESA_NS7_IlSA_EESA_jjPS8_PjSF_j.num_named_barrier, 0
	.set _ZN2at6native6mbtopk10gatherTopKIN3c104HalfEmLi2EEEvNS_4cuda6detail10TensorInfoIKT_T0_EESA_SA_bjSA_NS7_IS8_SA_EESA_NS7_IlSA_EESA_jjPS8_PjSF_j.private_seg_size, 0
	.set _ZN2at6native6mbtopk10gatherTopKIN3c104HalfEmLi2EEEvNS_4cuda6detail10TensorInfoIKT_T0_EESA_SA_bjSA_NS7_IS8_SA_EESA_NS7_IlSA_EESA_jjPS8_PjSF_j.uses_vcc, 1
	.set _ZN2at6native6mbtopk10gatherTopKIN3c104HalfEmLi2EEEvNS_4cuda6detail10TensorInfoIKT_T0_EESA_SA_bjSA_NS7_IS8_SA_EESA_NS7_IlSA_EESA_jjPS8_PjSF_j.uses_flat_scratch, 0
	.set _ZN2at6native6mbtopk10gatherTopKIN3c104HalfEmLi2EEEvNS_4cuda6detail10TensorInfoIKT_T0_EESA_SA_bjSA_NS7_IS8_SA_EESA_NS7_IlSA_EESA_jjPS8_PjSF_j.has_dyn_sized_stack, 0
	.set _ZN2at6native6mbtopk10gatherTopKIN3c104HalfEmLi2EEEvNS_4cuda6detail10TensorInfoIKT_T0_EESA_SA_bjSA_NS7_IS8_SA_EESA_NS7_IlSA_EESA_jjPS8_PjSF_j.has_recursion, 0
	.set _ZN2at6native6mbtopk10gatherTopKIN3c104HalfEmLi2EEEvNS_4cuda6detail10TensorInfoIKT_T0_EESA_SA_bjSA_NS7_IS8_SA_EESA_NS7_IlSA_EESA_jjPS8_PjSF_j.has_indirect_call, 0
	.section	.AMDGPU.csdata,"",@progbits
; Kernel info:
; codeLenInByte = 3088
; TotalNumSgprs: 53
; NumVgprs: 25
; ScratchSize: 0
; MemoryBound: 0
; FloatMode: 240
; IeeeMode: 1
; LDSByteSize: 1068 bytes/workgroup (compile time only)
; SGPRBlocks: 0
; VGPRBlocks: 3
; NumSGPRsForWavesPerEU: 53
; NumVGPRsForWavesPerEU: 25
; Occupancy: 16
; WaveLimiterHint : 1
; COMPUTE_PGM_RSRC2:SCRATCH_EN: 0
; COMPUTE_PGM_RSRC2:USER_SGPR: 6
; COMPUTE_PGM_RSRC2:TRAP_HANDLER: 0
; COMPUTE_PGM_RSRC2:TGID_X_EN: 1
; COMPUTE_PGM_RSRC2:TGID_Y_EN: 1
; COMPUTE_PGM_RSRC2:TGID_Z_EN: 1
; COMPUTE_PGM_RSRC2:TIDIG_COMP_CNT: 0
	.section	.text._ZN2at6native6sbtopk10gatherTopKIN3c104HalfEmLi2ELb0EEEvNS_4cuda6detail10TensorInfoIKT_T0_EESA_SA_bSA_SA_NS7_IS8_SA_EESA_NS7_IlSA_EESA_PS8_,"axG",@progbits,_ZN2at6native6sbtopk10gatherTopKIN3c104HalfEmLi2ELb0EEEvNS_4cuda6detail10TensorInfoIKT_T0_EESA_SA_bSA_SA_NS7_IS8_SA_EESA_NS7_IlSA_EESA_PS8_,comdat
	.protected	_ZN2at6native6sbtopk10gatherTopKIN3c104HalfEmLi2ELb0EEEvNS_4cuda6detail10TensorInfoIKT_T0_EESA_SA_bSA_SA_NS7_IS8_SA_EESA_NS7_IlSA_EESA_PS8_ ; -- Begin function _ZN2at6native6sbtopk10gatherTopKIN3c104HalfEmLi2ELb0EEEvNS_4cuda6detail10TensorInfoIKT_T0_EESA_SA_bSA_SA_NS7_IS8_SA_EESA_NS7_IlSA_EESA_PS8_
	.globl	_ZN2at6native6sbtopk10gatherTopKIN3c104HalfEmLi2ELb0EEEvNS_4cuda6detail10TensorInfoIKT_T0_EESA_SA_bSA_SA_NS7_IS8_SA_EESA_NS7_IlSA_EESA_PS8_
	.p2align	8
	.type	_ZN2at6native6sbtopk10gatherTopKIN3c104HalfEmLi2ELb0EEEvNS_4cuda6detail10TensorInfoIKT_T0_EESA_SA_bSA_SA_NS7_IS8_SA_EESA_NS7_IlSA_EESA_PS8_,@function
_ZN2at6native6sbtopk10gatherTopKIN3c104HalfEmLi2ELb0EEEvNS_4cuda6detail10TensorInfoIKT_T0_EESA_SA_bSA_SA_NS7_IS8_SA_EESA_NS7_IlSA_EESA_PS8_: ; @_ZN2at6native6sbtopk10gatherTopKIN3c104HalfEmLi2ELb0EEEvNS_4cuda6detail10TensorInfoIKT_T0_EESA_SA_bSA_SA_NS7_IS8_SA_EESA_NS7_IlSA_EESA_PS8_
; %bb.0:
	s_clause 0x1
	s_load_dwordx2 s[14:15], s[4:5], 0x520
	s_load_dwordx4 s[28:31], s[4:5], 0x1b8
	s_add_u32 s12, s4, 0x520
	s_addc_u32 s13, s5, 0
	s_mov_b32 s35, 0
	s_waitcnt lgkmcnt(0)
	s_mul_i32 s0, s15, s8
	s_add_i32 s0, s0, s7
	s_mul_i32 s0, s0, s14
	s_add_i32 s34, s0, s6
	v_cmp_le_u64_e64 s0, s[28:29], s[34:35]
	s_and_b32 vcc_lo, exec_lo, s0
	s_cbranch_vccnz .LBB207_494
; %bb.1:
	s_clause 0x2
	s_load_dwordx2 s[16:17], s[4:5], 0x10
	s_load_dwordx2 s[28:29], s[4:5], 0x380
	;; [unrolled: 1-line block ×3, first 2 shown]
	s_mov_b64 s[48:49], 0
	s_waitcnt lgkmcnt(0)
	v_cmp_lt_u64_e64 s0, s[34:35], s[16:17]
	s_and_b32 vcc_lo, exec_lo, s0
	s_mov_b64 s[0:1], 0
	s_cbranch_vccnz .LBB207_3
; %bb.2:
	v_cvt_f32_u32_e32 v1, s16
	s_sub_i32 s1, 0, s16
	v_rcp_iflag_f32_e32 v1, v1
	v_mul_f32_e32 v1, 0x4f7ffffe, v1
	v_cvt_u32_f32_e32 v1, v1
	v_readfirstlane_b32 s0, v1
	s_mul_i32 s1, s1, s0
	s_mul_hi_u32 s1, s0, s1
	s_add_i32 s0, s0, s1
	s_mul_hi_u32 s0, s34, s0
	s_mul_i32 s1, s0, s16
	s_add_i32 s2, s0, 1
	s_sub_i32 s1, s34, s1
	s_sub_i32 s3, s1, s16
	s_cmp_ge_u32 s1, s16
	s_cselect_b32 s0, s2, s0
	s_cselect_b32 s1, s3, s1
	s_add_i32 s2, s0, 1
	s_cmp_ge_u32 s1, s16
	s_cselect_b32 s0, s2, s0
.LBB207_3:
	v_cmp_lt_u64_e64 s1, s[34:35], s[50:51]
	s_and_b32 vcc_lo, exec_lo, s1
	s_cbranch_vccnz .LBB207_5
; %bb.4:
	v_cvt_f32_u32_e32 v1, s50
	s_sub_i32 s2, 0, s50
	v_rcp_iflag_f32_e32 v1, v1
	v_mul_f32_e32 v1, 0x4f7ffffe, v1
	v_cvt_u32_f32_e32 v1, v1
	v_readfirstlane_b32 s1, v1
	s_mul_i32 s2, s2, s1
	s_mul_hi_u32 s2, s1, s2
	s_add_i32 s1, s1, s2
	s_mul_hi_u32 s1, s34, s1
	s_mul_i32 s2, s1, s50
	s_add_i32 s3, s1, 1
	s_sub_i32 s2, s34, s2
	s_sub_i32 s7, s2, s50
	s_cmp_ge_u32 s2, s50
	s_cselect_b32 s1, s3, s1
	s_cselect_b32 s2, s7, s2
	s_add_i32 s3, s1, 1
	s_cmp_ge_u32 s2, s50
	s_cselect_b32 s48, s3, s1
.LBB207_5:
	s_load_dwordx2 s[18:19], s[4:5], 0x0
	v_cmp_lt_u64_e64 s1, s[34:35], s[28:29]
	s_mov_b64 s[52:53], 0
	s_and_b32 vcc_lo, exec_lo, s1
	s_cbranch_vccnz .LBB207_7
; %bb.6:
	v_cvt_f32_u32_e32 v1, s28
	s_sub_i32 s2, 0, s28
	v_rcp_iflag_f32_e32 v1, v1
	v_mul_f32_e32 v1, 0x4f7ffffe, v1
	v_cvt_u32_f32_e32 v1, v1
	v_readfirstlane_b32 s1, v1
	s_mul_i32 s2, s2, s1
	s_mul_hi_u32 s2, s1, s2
	s_add_i32 s1, s1, s2
	s_mul_hi_u32 s1, s34, s1
	s_mul_i32 s2, s1, s28
	s_add_i32 s3, s1, 1
	s_sub_i32 s2, s34, s2
	s_sub_i32 s7, s2, s28
	s_cmp_ge_u32 s2, s28
	s_cselect_b32 s1, s3, s1
	s_cselect_b32 s2, s7, s2
	s_add_i32 s3, s1, 1
	s_cmp_ge_u32 s2, s28
	s_cselect_b32 s52, s3, s1
.LBB207_7:
	s_clause 0x2
	s_load_dwordx2 s[2:3], s[4:5], 0x370
	; meta instruction
	s_load_dwordx4 s[8:11], s[4:5], 0xd0
	s_load_dwordx4 s[36:39], s[4:5], 0x1a0
	s_mov_b32 s59, 0
	s_waitcnt lgkmcnt(0)
	v_writelane_b32 v43, s2, 0
	v_writelane_b32 v43, s3, 1
	s_load_dwordx2 s[2:3], s[4:5], 0x1c8
	s_waitcnt lgkmcnt(0)
	v_writelane_b32 v43, s2, 2
	v_writelane_b32 v43, s3, 3
	v_cmp_eq_u32_e64 s3, 0, v0
	s_and_saveexec_b32 s1, s3
	s_cbranch_execz .LBB207_9
; %bb.8:
	v_mov_b32_e32 v1, 0
	v_mov_b32_e32 v3, s36
	;; [unrolled: 1-line block ×4, first 2 shown]
	ds_write_b32 v1, v1 offset:5144
	ds_write_b128 v1, v[1:4] offset:5120
.LBB207_9:
	s_or_b32 exec_lo, exec_lo, s1
	s_mul_i32 s1, s0, s17
	s_mul_hi_u32 s2, s0, s16
	s_mul_i32 s7, s0, s16
	s_add_i32 s2, s2, s1
	s_sub_u32 s7, s34, s7
	s_subb_u32 s2, 0, s2
	s_mul_i32 s1, s7, s11
	s_mul_hi_u32 s15, s7, s10
	s_load_dword s11, s[4:5], 0x1b0
	s_add_i32 s15, s15, s1
	s_mul_i32 s1, s0, s9
	s_mul_hi_u32 s9, s0, s8
	s_mul_i32 s0, s0, s8
	s_add_i32 s1, s9, s1
	s_mul_i32 s2, s2, s10
	v_mad_u64_u32 v[1:2], null, s30, v0, 0
	s_lshl_b64 s[0:1], s[0:1], 1
	s_add_i32 s9, s15, s2
	s_mul_i32 s8, s7, s10
	s_add_u32 s2, s18, s0
	s_addc_u32 s7, s19, s1
	s_lshl_b64 s[0:1], s[8:9], 1
	s_waitcnt lgkmcnt(0)
	s_add_u32 s33, s2, s0
	s_addc_u32 s35, s7, s1
	s_barrier
	buffer_gl0_inv
	s_load_dword s7, s[12:13], 0xc
	v_mad_u64_u32 v[2:3], null, s31, v0, v[2:3]
	v_mbcnt_lo_u32_b32 v24, -1, 0
	v_cmp_gt_u32_e32 vcc_lo, 32, v0
	v_mov_b32_e32 v3, 0
	s_bitcmp1_b32 s11, 0
	v_lshlrev_b32_e32 v25, 1, v0
	v_cmp_gt_i32_e64 s2, 4, v24
	v_lshlrev_b64 v[4:5], 1, v[1:2]
	v_add_nc_u32_e32 v2, 2, v0
	s_cselect_b32 s1, -1, 0
	v_mov_b32_e32 v1, v3
	s_and_b32 s78, vcc_lo, s2
	s_xor_b32 s53, s1, -1
	v_add_co_u32 v12, vcc_lo, s33, v4
	v_add_co_ci_u32_e64 v13, null, s35, v5, vcc_lo
	v_lshlrev_b64 v[4:5], v24, -1
	v_cmp_gt_u64_e32 vcc_lo, s[36:37], v[2:3]
	s_waitcnt lgkmcnt(0)
	s_and_b32 s49, s7, 0xffff
	v_cmp_lt_u64_e64 s79, 0x600, s[36:37]
	s_bfe_u32 s8, s49, 0x80008
	v_cmp_gt_u64_e64 s2, s[36:37], v[0:1]
	v_not_b32_e32 v23, v4
	v_cndmask_b32_e64 v2, v2, s36, vcc_lo
	v_not_b32_e32 v4, v0
	s_lshl_b32 s80, s8, 3
	s_bfe_u32 s8, s7, 0xb0005
	s_cmp_gt_u32 s49, 31
	v_cndmask_b32_e64 v5, 0, s37, vcc_lo
	s_cselect_b32 s81, -1, 0
	s_add_u32 s82, s49, -1
	s_addc_u32 s83, 0, -1
	v_add_co_u32 v4, vcc_lo, v2, v4
	s_add_u32 s84, s82, s36
	s_addc_u32 s61, s83, s37
	v_add_co_ci_u32_e64 v5, null, -1, v5, vcc_lo
	s_cmp_lt_u32 s6, s14
	v_and_b32_e32 v16, -2, v4
	s_cselect_b32 s7, 12, 18
	v_mov_b32_e32 v17, v5
	s_add_u32 s62, s12, s7
	s_movk_i32 s6, 0x3e0
	s_addc_u32 s63, s13, 0
	s_add_i32 s8, s8, -1
	v_and_or_b32 v27, v0, s6, 0xc00
	s_and_b32 s6, s8, 0xffff
	s_bfe_u32 s86, s49, 0x30005
	v_cmp_lt_u64_e64 s7, 1, v[4:5]
	s_cmp_gt_u32 s6, 6
	v_cmp_ne_u64_e64 s8, v[4:5], v[16:17]
	v_mov_b32_e32 v19, s38
	v_cmp_eq_u32_e64 s0, 0, v24
	v_lshlrev_b32_e32 v14, 2, v0
	v_mov_b32_e32 v15, v3
	v_cmp_gt_u32_e64 s10, 2, v0
	v_add_nc_u32_e32 v26, 0xc00, v25
	v_add_co_u32 v18, vcc_lo, v16, v0
	v_lshlrev_b32_e32 v29, 3, v0
	v_lshl_or_b32 v30, v24, 3, 0xc00
	v_mov_b32_e32 v20, s39
	v_mov_b32_e32 v31, 0x8000
	v_mov_b32_e32 v32, -1
	v_mov_b32_e32 v34, 0
	v_mov_b32_e32 v28, 0
	;; [unrolled: 1-line block ×3, first 2 shown]
	s_cselect_b32 s88, -1, 0
	s_cmp_lg_u32 s86, 0
	s_mov_b32 s85, s30
	s_mov_b32 s87, s31
	s_cselect_b32 s89, -1, 0
	s_lshl_b32 s90, s49, 1
	s_mov_b32 s91, 14
	s_movk_i32 s93, 0x3c00
	s_mov_b32 s92, 0
	s_mov_b32 s95, 0
	v_add_co_ci_u32_e64 v2, null, 0, v5, vcc_lo
                                        ; implicit-def: $sgpr94
                                        ; implicit-def: $sgpr98
                                        ; implicit-def: $sgpr97
                                        ; implicit-def: $sgpr99
                                        ; implicit-def: $sgpr96
                                        ; implicit-def: $sgpr41
                                        ; implicit-def: $sgpr42
                                        ; implicit-def: $sgpr104
                                        ; implicit-def: $sgpr40
                                        ; implicit-def: $vcc_hi
	s_branch .LBB207_12
.LBB207_10:                             ;   in Loop: Header=BB207_12 Depth=1
	s_or_b32 exec_lo, exec_lo, s12
	v_mov_b32_e32 v20, v5
	v_mov_b32_e32 v19, v4
	s_andn2_b32 s12, vcc_hi, exec_lo
	s_and_b32 s11, s11, exec_lo
	s_andn2_b32 s40, s40, exec_lo
	s_or_b32 vcc_hi, s12, s11
	s_andn2_b32 s104, s104, exec_lo
	s_andn2_b32 s42, s42, exec_lo
	;; [unrolled: 1-line block ×3, first 2 shown]
	s_orn2_b32 s11, s9, exec_lo
.LBB207_11:                             ;   in Loop: Header=BB207_12 Depth=1
	s_or_b32 exec_lo, exec_lo, s6
	s_and_b32 s6, exec_lo, s11
	s_or_b32 s92, s6, s92
	s_andn2_b32 s6, s96, exec_lo
	s_and_b32 s9, vcc_hi, exec_lo
	s_andn2_b32 s11, s99, exec_lo
	s_or_b32 s96, s6, s9
	s_and_b32 s6, s40, exec_lo
	s_andn2_b32 s9, s97, exec_lo
	s_and_b32 s12, s104, exec_lo
	s_or_b32 s99, s11, s6
	s_or_b32 s97, s9, s12
	s_andn2_b32 s6, s98, exec_lo
	s_and_b32 s9, s42, exec_lo
	s_andn2_b32 s11, s94, exec_lo
	s_and_b32 s12, s41, exec_lo
	s_or_b32 s98, s6, s9
	s_or_b32 s94, s11, s12
	s_andn2_b32 exec_lo, exec_lo, s92
	s_cbranch_execz .LBB207_490
.LBB207_12:                             ; =>This Loop Header: Depth=1
                                        ;     Child Loop BB207_17 Depth 2
                                        ;     Child Loop BB207_31 Depth 2
	;; [unrolled: 1-line block ×25, first 2 shown]
	ds_read_b128 v[4:7], v3 offset:5120
	s_waitcnt lgkmcnt(0)
	v_readfirstlane_b32 s65, v5
	v_readfirstlane_b32 s64, v4
	s_cmp_lg_u64 s[64:65], 0
	s_cbranch_scc1 .LBB207_44
; %bb.13:                               ;   in Loop: Header=BB207_12 Depth=1
	s_and_b32 vcc_lo, exec_lo, s79
	s_cbranch_vccz .LBB207_25
; %bb.14:                               ;   in Loop: Header=BB207_12 Depth=1
	v_cmp_gt_u64_e32 vcc_lo, 0x601, v[6:7]
	s_mov_b32 s11, 0
	s_mov_b32 s6, 0
	s_cbranch_vccz .LBB207_26
; %bb.15:                               ;   in Loop: Header=BB207_12 Depth=1
	global_load_ushort v2, v3, s[62:63]
	global_load_ushort v6, v[12:13], off
	v_mov_b32_e32 v5, v1
	v_mov_b32_e32 v4, v0
	s_mov_b32 s12, 0
	s_waitcnt vmcnt(1)
	v_and_b32_e32 v2, 0xffff, v2
	s_branch .LBB207_17
.LBB207_16:                             ;   in Loop: Header=BB207_17 Depth=2
	s_or_b32 exec_lo, exec_lo, s9
	v_mov_b32_e32 v6, v7
	s_andn2_b32 exec_lo, exec_lo, s12
	s_cbranch_execz .LBB207_99
.LBB207_17:                             ;   Parent Loop BB207_12 Depth=1
                                        ; =>  This Inner Loop Header: Depth=2
	v_add_co_u32 v4, vcc_lo, v4, v2
	v_add_co_ci_u32_e64 v5, null, 0, v5, vcc_lo
	s_waitcnt lgkmcnt(0)
	v_mov_b32_e32 v8, 0
	v_mov_b32_e32 v7, 0
	s_mov_b32 s9, exec_lo
	v_cmp_le_u64_e32 vcc_lo, s[36:37], v[4:5]
	v_cmpx_gt_u64_e64 s[36:37], v[4:5]
	s_cbranch_execz .LBB207_19
; %bb.18:                               ;   in Loop: Header=BB207_17 Depth=2
	v_mul_lo_u32 v7, v5, s30
	v_mul_lo_u32 v11, v4, s31
	v_mad_u64_u32 v[9:10], null, v4, s30, 0
	v_add3_u32 v10, v10, v11, v7
	v_lshlrev_b64 v[9:10], 1, v[9:10]
	v_add_co_u32 v9, s6, s33, v9
	v_add_co_ci_u32_e64 v10, null, s35, v10, s6
	global_load_ushort v7, v[9:10], off
.LBB207_19:                             ;   in Loop: Header=BB207_17 Depth=2
	s_or_b32 exec_lo, exec_lo, s9
	s_waitcnt vmcnt(0)
	v_cmp_lt_i16_e64 s6, -1, v6
	v_cndmask_b32_e64 v9, 0xffff, v31, s6
	v_cmp_o_f16_e64 s6, v6, v6
	v_xor_b32_sdwa v9, v9, v6 dst_sel:DWORD dst_unused:UNUSED_PAD src0_sel:DWORD src1_sel:WORD_0
	v_cndmask_b32_e64 v9, 0xffff, v9, s6
	v_and_b32_e32 v9, v9, v33
	v_cmp_eq_u32_e64 s6, v9, v28
	s_cmp_lg_u32 s6, 0
	s_cselect_b32 s9, -1, 0
	s_and_b32 s9, s0, s9
	s_and_saveexec_b32 s13, s9
	s_cbranch_execz .LBB207_23
; %bb.20:                               ;   in Loop: Header=BB207_17 Depth=2
	s_mov_b32 s16, exec_lo
	s_bcnt1_i32_b32 s14, s6
	v_mbcnt_lo_u32_b32 v8, s16, 0
	s_mov_b32 s15, exec_lo
                                        ; implicit-def: $vgpr9
	v_cmpx_eq_u32_e32 0, v8
; %bb.21:                               ;   in Loop: Header=BB207_17 Depth=2
	s_bcnt1_i32_b32 s9, s16
	s_mul_i32 s9, s14, s9
	v_mov_b32_e32 v9, s9
	ds_add_rtn_u32 v9, v3, v9 offset:5144
; %bb.22:                               ;   in Loop: Header=BB207_17 Depth=2
	s_or_b32 exec_lo, exec_lo, s15
	s_waitcnt lgkmcnt(0)
	v_readfirstlane_b32 s9, v9
	v_mad_u32_u24 v8, s14, v8, s9
.LBB207_23:                             ;   in Loop: Header=BB207_17 Depth=2
	s_or_b32 exec_lo, exec_lo, s13
	ds_bpermute_b32 v8, v3, v8
	s_and_b32 s9, exec_lo, vcc_lo
	s_or_b32 s12, s9, s12
	s_and_saveexec_b32 s9, s6
	s_cbranch_execz .LBB207_16
; %bb.24:                               ;   in Loop: Header=BB207_17 Depth=2
	v_and_b32_e32 v9, s6, v23
	v_bcnt_u32_b32 v9, v9, 0
	v_lshlrev_b32_e32 v9, 1, v9
	s_waitcnt lgkmcnt(0)
	v_lshl_add_u32 v8, v8, 1, v9
	ds_write_b16 v8, v6
	s_branch .LBB207_16
.LBB207_25:                             ;   in Loop: Header=BB207_12 Depth=1
	s_mov_b32 s11, -1
	s_mov_b32 s6, 0
.LBB207_26:                             ;   in Loop: Header=BB207_12 Depth=1
	s_and_b32 vcc_lo, exec_lo, s11
	s_cbranch_vccz .LBB207_42
.LBB207_27:                             ;   in Loop: Header=BB207_12 Depth=1
	s_and_saveexec_b32 s9, s2
	s_cbranch_execz .LBB207_39
; %bb.28:                               ;   in Loop: Header=BB207_12 Depth=1
	global_load_ushort v4, v3, s[62:63]
	global_load_ushort v10, v[12:13], off
	v_mov_b32_e32 v8, v0
	s_mov_b32 s11, exec_lo
	s_waitcnt vmcnt(1)
	v_add_nc_u32_sdwa v2, v4, v0 dst_sel:DWORD dst_unused:UNUSED_PAD src0_sel:WORD_0 src1_sel:DWORD
	v_readfirstlane_b32 s6, v4
	v_cmpx_gt_u64_e64 s[36:37], v[2:3]
	s_cbranch_execz .LBB207_38
; %bb.29:                               ;   in Loop: Header=BB207_12 Depth=1
	s_and_b32 s12, s6, 0xffff
	v_mov_b32_e32 v5, v1
	s_cmp_eq_u32 s12, 1
	v_mov_b32_e32 v7, v3
	v_mov_b32_e32 v4, v0
	;; [unrolled: 1-line block ×3, first 2 shown]
	s_cselect_b32 s6, -1, 0
                                        ; implicit-def: $vgpr8_vgpr9
	s_and_b32 s14, s7, s6
	s_mov_b32 s6, -1
	s_and_saveexec_b32 s13, s14
	s_cbranch_execz .LBB207_33
; %bb.30:                               ;   in Loop: Header=BB207_12 Depth=1
	v_add_co_u32 v4, s6, v2, 1
	v_add_co_ci_u32_e64 v5, null, 0, 0, s6
	v_mov_b32_e32 v8, v16
	s_waitcnt vmcnt(0)
	v_lshlrev_b32_e32 v21, 16, v10
	v_mov_b32_e32 v9, v17
	v_mov_b32_e32 v7, v5
	;; [unrolled: 1-line block ×6, first 2 shown]
	s_mov_b32 s14, 0
.LBB207_31:                             ;   Parent Loop BB207_12 Depth=1
                                        ; =>  This Inner Loop Header: Depth=2
	v_mul_lo_u32 v10, v5, s85
	v_mul_lo_u32 v22, v4, s87
	v_mad_u64_u32 v[35:36], null, v4, s85, 0
	v_mul_lo_u32 v39, v7, s30
	v_mul_lo_u32 v40, v6, s31
	v_mad_u64_u32 v[37:38], null, v6, s30, 0
	v_add3_u32 v36, v36, v22, v10
	v_add3_u32 v38, v38, v40, v39
	v_lshlrev_b64 v[35:36], 1, v[35:36]
	v_lshlrev_b64 v[37:38], 1, v[37:38]
	v_add_co_u32 v35, vcc_lo, s33, v35
	v_add_co_ci_u32_e64 v36, null, s35, v36, vcc_lo
	v_add_co_u32 v37, vcc_lo, s33, v37
	v_add_co_ci_u32_e64 v38, null, s35, v38, vcc_lo
	s_clause 0x1
	global_load_ushort v22, v[35:36], off
	global_load_ushort v10, v[37:38], off
	v_add_co_u32 v8, vcc_lo, v8, -2
	v_add_co_ci_u32_e64 v9, null, -1, v9, vcc_lo
	v_add_co_u32 v6, vcc_lo, v6, 2
	v_add_co_ci_u32_e64 v7, null, 0, v7, vcc_lo
	v_cmp_eq_u64_e64 s6, 0, v[8:9]
	v_add_co_u32 v4, vcc_lo, v4, 2
	v_add_co_ci_u32_e64 v5, null, 0, v5, vcc_lo
	s_or_b32 s14, s6, s14
	s_waitcnt vmcnt(1)
	v_alignbit_b32 v21, v22, v21, 16
	s_waitcnt vmcnt(0)
	v_perm_b32 v22, v10, v22, 0x5040100
	ds_write_b32 v11, v21
	v_add_nc_u32_e32 v11, 4, v11
	v_mov_b32_e32 v21, v22
	s_andn2_b32 exec_lo, exec_lo, s14
	s_cbranch_execnz .LBB207_31
; %bb.32:                               ;   in Loop: Header=BB207_12 Depth=1
	s_or_b32 exec_lo, exec_lo, s14
	v_add_co_u32 v6, vcc_lo, v2, v16
	v_add_co_ci_u32_e64 v7, null, 0, v17, vcc_lo
	v_mov_b32_e32 v4, v18
	v_add_co_u32 v8, vcc_lo, v6, -1
	s_orn2_b32 s6, s8, exec_lo
	v_add_co_ci_u32_e64 v2, null, -1, v7, vcc_lo
	v_mov_b32_e32 v5, v19
.LBB207_33:                             ;   in Loop: Header=BB207_12 Depth=1
	s_or_b32 exec_lo, exec_lo, s13
	s_and_saveexec_b32 s13, s6
	s_cbranch_execz .LBB207_37
; %bb.34:                               ;   in Loop: Header=BB207_12 Depth=1
	s_sub_u32 s14, 0, s12
	s_subb_u32 s16, 0, 0
	s_mov_b32 s15, 0
	s_inst_prefetch 0x1
	.p2align	6
.LBB207_35:                             ;   Parent Loop BB207_12 Depth=1
                                        ; =>  This Inner Loop Header: Depth=2
	v_mov_b32_e32 v9, v7
	v_mov_b32_e32 v8, v6
	v_lshlrev_b32_e32 v11, 1, v4
	v_mul_lo_u32 v2, v9, s30
	v_mul_lo_u32 v7, v8, s31
	v_mad_u64_u32 v[5:6], null, v8, s30, 0
	v_add3_u32 v6, v6, v7, v2
	s_waitcnt vmcnt(0)
	v_mov_b32_e32 v2, v10
	v_lshlrev_b64 v[5:6], 1, v[5:6]
	ds_write_b16 v11, v2
	v_add_co_u32 v5, vcc_lo, s33, v5
	v_add_co_ci_u32_e64 v6, null, s35, v6, vcc_lo
	global_load_ushort v10, v[5:6], off
	v_add_co_u32 v6, vcc_lo, v8, s12
	v_add_co_ci_u32_e64 v7, null, 0, v9, vcc_lo
	v_mov_b32_e32 v4, v8
	v_mov_b32_e32 v5, v9
	v_add_co_u32 v8, s6, s14, v6
	v_cmp_le_u64_e32 vcc_lo, s[36:37], v[6:7]
	v_add_co_ci_u32_e64 v5, null, s16, v7, s6
	s_or_b32 s15, vcc_lo, s15
	s_andn2_b32 exec_lo, exec_lo, s15
	s_cbranch_execnz .LBB207_35
; %bb.36:                               ;   in Loop: Header=BB207_12 Depth=1
	s_inst_prefetch 0x2
	s_or_b32 exec_lo, exec_lo, s15
.LBB207_37:                             ;   in Loop: Header=BB207_12 Depth=1
	s_or_b32 exec_lo, exec_lo, s13
.LBB207_38:                             ;   in Loop: Header=BB207_12 Depth=1
	s_or_b32 exec_lo, exec_lo, s11
	v_lshlrev_b32_e32 v2, 1, v8
	s_waitcnt vmcnt(0)
	ds_write_b16 v2, v10
.LBB207_39:                             ;   in Loop: Header=BB207_12 Depth=1
	s_or_b32 exec_lo, exec_lo, s9
	s_waitcnt lgkmcnt(0)
	s_barrier
	buffer_gl0_inv
	s_and_saveexec_b32 s6, s3
; %bb.40:                               ;   in Loop: Header=BB207_12 Depth=1
	v_mov_b32_e32 v4, s36
	v_mov_b32_e32 v5, s37
	ds_write_b64 v3, v[4:5] offset:5120
; %bb.41:                               ;   in Loop: Header=BB207_12 Depth=1
	s_or_b32 exec_lo, exec_lo, s6
	s_mov_b32 s6, -1
	s_waitcnt lgkmcnt(0)
	s_barrier
.LBB207_42:                             ;   in Loop: Header=BB207_12 Depth=1
	s_and_b32 vcc_lo, exec_lo, s6
	s_mov_b64 s[64:65], 0
	s_cbranch_vccz .LBB207_44
; %bb.43:                               ;   in Loop: Header=BB207_12 Depth=1
	buffer_gl0_inv
	ds_read_b64 v[4:5], v3 offset:5120
	s_waitcnt lgkmcnt(0)
	v_readfirstlane_b32 s64, v4
.LBB207_44:                             ;   in Loop: Header=BB207_12 Depth=1
	s_cmp_lt_i32 s64, 1
	s_mov_b32 s6, -1
                                        ; implicit-def: $vgpr4_vgpr5
                                        ; implicit-def: $vgpr8_vgpr9
	s_cbranch_scc1 .LBB207_54
; %bb.45:                               ;   in Loop: Header=BB207_12 Depth=1
	s_and_b32 vcc_lo, exec_lo, s6
	s_cbranch_vccnz .LBB207_68
.LBB207_46:                             ;   in Loop: Header=BB207_12 Depth=1
	s_lshl_b32 s6, s95, 7
	s_and_saveexec_b32 s9, s0
	s_cbranch_execz .LBB207_48
.LBB207_47:                             ;   in Loop: Header=BB207_12 Depth=1
	v_lshl_add_u32 v2, s6, 3, v27
	ds_write_b128 v2, v[4:7]
	ds_write_b128 v2, v[8:11] offset:16
.LBB207_48:                             ;   in Loop: Header=BB207_12 Depth=1
	s_or_b32 exec_lo, exec_lo, s9
	s_waitcnt lgkmcnt(0)
	s_barrier
	buffer_gl0_inv
	s_and_saveexec_b32 s9, s78
	s_cbranch_execz .LBB207_82
; %bb.49:                               ;   in Loop: Header=BB207_12 Depth=1
	v_mov_b32_e32 v4, 0
	v_mov_b32_e32 v5, 0
	s_andn2_b32 vcc_lo, exec_lo, s81
	s_cbranch_vccnz .LBB207_81
; %bb.50:                               ;   in Loop: Header=BB207_12 Depth=1
	v_mov_b32_e32 v4, 0
	v_mov_b32_e32 v5, 0
	s_andn2_b32 vcc_lo, exec_lo, s88
	s_cbranch_vccnz .LBB207_78
; %bb.51:                               ;   in Loop: Header=BB207_12 Depth=1
	v_lshl_add_u32 v2, s95, 10, v30
	s_mov_b32 s11, 0
	s_inst_prefetch 0x1
	.p2align	6
.LBB207_52:                             ;   Parent Loop BB207_12 Depth=1
                                        ; =>  This Inner Loop Header: Depth=2
	ds_read2_b64 v[6:9], v2 offset1:4
	ds_read2_b64 v[35:38], v2 offset0:8 offset1:12
	ds_read2_b64 v[39:42], v2 offset0:16 offset1:20
	s_add_i32 s11, s11, 8
	s_cmp_eq_u32 s80, s11
	s_waitcnt lgkmcnt(2)
	v_add_co_u32 v4, vcc_lo, v6, v4
	v_add_co_ci_u32_e64 v5, null, v7, v5, vcc_lo
	v_add_co_u32 v8, vcc_lo, v8, v4
	v_add_co_ci_u32_e64 v9, null, v9, v5, vcc_lo
	ds_read2_b64 v[4:7], v2 offset0:24 offset1:28
	s_waitcnt lgkmcnt(2)
	v_add_co_u32 v8, vcc_lo, v35, v8
	v_add_co_ci_u32_e64 v9, null, v36, v9, vcc_lo
	v_add_nc_u32_e32 v2, 0x100, v2
	v_add_co_u32 v8, vcc_lo, v37, v8
	v_add_co_ci_u32_e64 v9, null, v38, v9, vcc_lo
	s_waitcnt lgkmcnt(1)
	v_add_co_u32 v8, vcc_lo, v39, v8
	v_add_co_ci_u32_e64 v9, null, v40, v9, vcc_lo
	v_add_co_u32 v8, vcc_lo, v41, v8
	v_add_co_ci_u32_e64 v9, null, v42, v9, vcc_lo
	s_waitcnt lgkmcnt(0)
	v_add_co_u32 v4, vcc_lo, v4, v8
	v_add_co_ci_u32_e64 v5, null, v5, v9, vcc_lo
	v_add_co_u32 v4, vcc_lo, v6, v4
	v_add_co_ci_u32_e64 v5, null, v7, v5, vcc_lo
	s_cbranch_scc0 .LBB207_52
; %bb.53:                               ;   in Loop: Header=BB207_12 Depth=1
	s_inst_prefetch 0x2
	s_mov_b32 s11, s80
	s_andn2_b32 vcc_lo, exec_lo, s89
	s_cbranch_vccz .LBB207_79
	s_branch .LBB207_81
.LBB207_54:                             ;   in Loop: Header=BB207_12 Depth=1
	global_load_ushort v2, v3, s[62:63]
	s_mov_b32 s12, s59
	s_mov_b32 s13, s37
	s_waitcnt vmcnt(0)
	v_readfirstlane_b32 s6, v2
	s_and_b32 s6, 0xffff, s6
	s_lshl_b32 s27, s6, 2
	s_cmp_lg_u64 s[12:13], 0
	s_cbranch_scc0 .LBB207_77
; %bb.55:                               ;   in Loop: Header=BB207_12 Depth=1
	v_cvt_f32_u32_e32 v4, s27
	s_sub_u32 s11, 0, s27
	s_subb_u32 s12, 0, 0
	v_fmac_f32_e64 v4, 0x4f800000, 0
	v_rcp_f32_e32 v4, v4
	v_mul_f32_e32 v4, 0x5f7ffffc, v4
	v_mul_f32_e32 v5, 0x2f800000, v4
	v_trunc_f32_e32 v5, v5
	v_fmac_f32_e32 v4, 0xcf800000, v5
	v_cvt_u32_f32_e32 v5, v5
	v_cvt_u32_f32_e32 v4, v4
	v_readfirstlane_b32 s6, v5
	v_readfirstlane_b32 s9, v4
	s_mul_i32 s13, s11, s6
	s_mul_hi_u32 s15, s11, s9
	s_mul_i32 s14, s12, s9
	s_add_i32 s13, s15, s13
	s_mul_i32 s16, s11, s9
	s_add_i32 s13, s13, s14
	s_mul_hi_u32 s15, s9, s16
	s_mul_i32 s18, s9, s13
	s_mul_hi_u32 s17, s6, s16
	s_mul_i32 s14, s6, s16
	s_mul_hi_u32 s16, s9, s13
	s_add_u32 s15, s15, s18
	s_addc_u32 s16, 0, s16
	s_mul_hi_u32 s19, s6, s13
	s_add_u32 s14, s15, s14
	s_mul_i32 s13, s6, s13
	s_addc_u32 s14, s16, s17
	s_addc_u32 s15, s19, 0
	s_add_u32 s13, s14, s13
	s_addc_u32 s14, 0, s15
	s_add_u32 s9, s9, s13
	s_cselect_b32 s13, -1, 0
	s_mul_hi_u32 s15, s11, s9
	s_cmp_lg_u32 s13, 0
	s_mul_i32 s13, s11, s9
	s_addc_u32 s6, s6, s14
	s_mul_i32 s12, s12, s9
	s_mul_i32 s11, s11, s6
	s_mul_hi_u32 s14, s9, s13
	s_add_i32 s11, s15, s11
	s_mul_hi_u32 s15, s6, s13
	s_add_i32 s11, s11, s12
	s_mul_i32 s12, s6, s13
	s_mul_i32 s17, s9, s11
	s_mul_hi_u32 s16, s9, s11
	s_add_u32 s14, s14, s17
	s_addc_u32 s16, 0, s16
	s_mul_hi_u32 s13, s6, s11
	s_add_u32 s12, s14, s12
	s_mul_i32 s11, s6, s11
	s_addc_u32 s12, s16, s15
	s_addc_u32 s13, s13, 0
	s_add_u32 s11, s12, s11
	s_addc_u32 s12, 0, s13
	s_add_u32 s9, s9, s11
	s_cselect_b32 s11, -1, 0
	s_mul_hi_u32 s13, s36, s9
	s_cmp_lg_u32 s11, 0
	s_mul_hi_u32 s11, s37, s9
	s_addc_u32 s6, s6, s12
	s_mul_i32 s9, s37, s9
	s_mul_i32 s14, s36, s6
	s_mul_hi_u32 s12, s36, s6
	s_add_u32 s13, s13, s14
	s_addc_u32 s12, 0, s12
	s_mul_hi_u32 s15, s37, s6
	s_add_u32 s9, s13, s9
	s_mul_i32 s6, s37, s6
	s_addc_u32 s9, s12, s11
	s_addc_u32 s11, s15, 0
	s_add_u32 s6, s9, s6
	s_addc_u32 s9, 0, s11
	s_mul_hi_u32 s11, s27, s6
	s_mul_i32 s9, s27, s9
	s_mul_i32 s6, s27, s6
	s_add_i32 s11, s11, s9
	s_sub_u32 s6, s36, s6
	s_cselect_b32 s9, -1, 0
	s_cmp_lg_u32 s9, 0
	s_subb_u32 s9, s37, s11
	s_sub_u32 s11, s6, s27
	s_cselect_b32 s12, -1, 0
	s_cmp_lg_u32 s12, 0
	s_subb_u32 s12, s9, 0
	;; [unrolled: 4-line block ×3, first 2 shown]
	s_cmp_ge_u32 s11, s27
	s_cselect_b32 s15, -1, 0
	s_cmp_eq_u32 s12, 0
	s_cselect_b32 s15, s15, -1
	s_cmp_lg_u32 s15, 0
	s_cselect_b32 s12, s14, s12
	s_cselect_b32 s11, s13, s11
	s_cmp_ge_u32 s6, s27
	s_cselect_b32 s13, -1, 0
	s_cmp_eq_u32 s9, 0
	s_cselect_b32 s13, s13, -1
	s_cmp_lg_u32 s13, 0
	s_cselect_b32 s13, s12, s9
	s_cselect_b32 s12, s11, s6
	s_cbranch_execnz .LBB207_57
.LBB207_56:                             ;   in Loop: Header=BB207_12 Depth=1
	v_cvt_f32_u32_e32 v4, s27
	s_sub_i32 s9, 0, s27
	v_rcp_iflag_f32_e32 v4, v4
	v_mul_f32_e32 v4, 0x4f7ffffe, v4
	v_cvt_u32_f32_e32 v4, v4
	v_readfirstlane_b32 s6, v4
	s_mul_i32 s9, s9, s6
	s_mul_hi_u32 s9, s6, s9
	s_add_i32 s6, s6, s9
	s_mul_hi_u32 s6, s36, s6
	s_mul_i32 s6, s6, s27
	s_sub_i32 s6, s36, s6
	s_sub_i32 s9, s6, s27
	s_cmp_ge_u32 s6, s27
	s_cselect_b32 s6, s9, s6
	s_sub_i32 s9, s6, s27
	s_cmp_ge_u32 s6, s27
	s_cselect_b32 s58, s9, s6
	s_mov_b64 s[12:13], s[58:59]
.LBB207_57:                             ;   in Loop: Header=BB207_12 Depth=1
	v_mov_b32_e32 v4, 0
	v_mov_b32_e32 v6, 0
	v_mov_b32_e32 v8, 0
	v_mov_b32_e32 v10, 0
	v_mov_b32_e32 v5, 0
	v_mov_b32_e32 v7, 0
	v_mov_b32_e32 v9, 0
	v_mov_b32_e32 v11, 0
	s_sub_u32 s66, s36, s12
	s_subb_u32 s67, s37, s13
	s_mov_b32 s43, exec_lo
	v_cmpx_gt_u64_e64 s[66:67], v[14:15]
	s_cbranch_execz .LBB207_61
; %bb.58:                               ;   in Loop: Header=BB207_12 Depth=1
	v_mov_b32_e32 v22, v15
	v_mov_b32_e32 v21, v14
	s_mov_b64 s[68:69], 0
	s_mov_b32 s58, 0
	s_mov_b64 s[70:71], 0
	s_mov_b64 s[72:73], 0
	;; [unrolled: 1-line block ×3, first 2 shown]
.LBB207_59:                             ;   Parent Loop BB207_12 Depth=1
                                        ; =>  This Inner Loop Header: Depth=2
	v_mul_lo_u32 v6, v22, s30
	v_mul_lo_u32 v7, v21, s31
	v_mad_u64_u32 v[4:5], null, v21, s30, 0
	s_lshl_b64 s[12:13], s[30:31], 1
	v_add3_u32 v5, v5, v7, v6
	v_lshlrev_b64 v[4:5], 1, v[4:5]
	v_add_co_u32 v4, vcc_lo, s33, v4
	v_add_co_ci_u32_e64 v5, null, s35, v5, vcc_lo
	v_add_co_u32 v6, vcc_lo, v4, s12
	v_add_co_ci_u32_e64 v7, null, s13, v5, vcc_lo
	global_load_ushort v8, v[4:5], off
	v_add_co_u32 v4, vcc_lo, v6, s12
	v_add_co_ci_u32_e64 v5, null, s13, v7, vcc_lo
	s_clause 0x1
	global_load_ushort v6, v[6:7], off
	global_load_ushort v7, v[4:5], off
	v_add_co_u32 v4, vcc_lo, v4, s12
	v_add_co_ci_u32_e64 v5, null, s13, v5, vcc_lo
	v_add_co_u32 v21, vcc_lo, v21, s27
	v_add_co_ci_u32_e64 v22, null, 0, v22, vcc_lo
	global_load_ushort v4, v[4:5], off
	v_cmp_le_u64_e32 vcc_lo, s[66:67], v[21:22]
	s_waitcnt vmcnt(3)
	v_cmp_lt_i16_e64 s6, -1, v8
	v_cndmask_b32_e64 v5, 0xffff, v31, s6
	s_waitcnt vmcnt(2)
	v_cmp_lt_i16_e64 s6, -1, v6
	s_waitcnt vmcnt(1)
	v_cmp_lt_i16_e64 s9, -1, v7
	v_xor_b32_sdwa v5, v5, v8 dst_sel:DWORD dst_unused:UNUSED_PAD src0_sel:DWORD src1_sel:WORD_0
	v_cndmask_b32_e64 v9, 0xffff, v31, s6
	v_cmp_o_f16_e64 s6, v8, v8
	s_waitcnt vmcnt(0)
	v_cmp_o_f16_e64 s14, v4, v4
	v_xor_b32_sdwa v8, v9, v6 dst_sel:DWORD dst_unused:UNUSED_PAD src0_sel:DWORD src1_sel:WORD_0
	v_cndmask_b32_e64 v5, 0xffff, v5, s6
	v_cmp_o_f16_e64 s6, v6, v6
	v_cndmask_b32_e64 v9, 0xffff, v31, s9
	v_and_b32_e32 v10, v5, v33
	v_cndmask_b32_e64 v6, 0xffff, v8, s6
	v_cmp_lt_i16_e64 s6, -1, v4
	v_xor_b32_sdwa v8, v9, v7 dst_sel:DWORD dst_unused:UNUSED_PAD src0_sel:DWORD src1_sel:WORD_0
	v_bfe_u32 v5, v5, s91, 2
	v_cndmask_b32_e64 v9, 0xffff, v31, s6
	v_cmp_o_f16_e64 s6, v7, v7
	v_cmp_eq_u32_e64 s9, 0, v5
	v_cmp_eq_u32_e64 s11, 1, v5
	;; [unrolled: 1-line block ×4, first 2 shown]
	v_cndmask_b32_e64 v7, 0xffff, v8, s6
	v_xor_b32_sdwa v8, v9, v4 dst_sel:DWORD dst_unused:UNUSED_PAD src0_sel:DWORD src1_sel:WORD_0
	v_cmp_eq_u32_e64 s6, v10, v28
	v_and_b32_e32 v9, v6, v33
	v_bfe_u32 v6, v6, s91, 2
	v_and_b32_e32 v5, v7, v33
	v_cndmask_b32_e64 v4, 0xffff, v8, s14
	v_bfe_u32 v7, v7, s91, 2
	v_cmp_eq_u32_e64 s14, v9, v28
	v_cmp_eq_u32_e64 s15, 0, v6
	s_and_b32 s9, s6, s9
	v_cmp_eq_u32_e64 s18, v5, v28
	v_cndmask_b32_e64 v8, 0, 1, s9
	v_and_b32_e32 v5, v4, v33
	v_bfe_u32 v4, v4, s91, 2
	v_cmp_eq_u32_e64 s19, 0, v7
	s_and_b32 s15, s14, s15
	v_cmp_eq_u32_e64 s9, 1, v6
	v_cmp_eq_u32_e64 s16, 2, v6
	;; [unrolled: 1-line block ×3, first 2 shown]
	v_cmp_ne_u32_e64 s20, 0, v8
	v_cndmask_b32_e64 v6, 0, 1, s15
	v_cmp_eq_u32_e64 s23, v5, v28
	v_cmp_eq_u32_e64 s24, 0, v4
	s_and_b32 s19, s18, s19
	s_bcnt1_i32_b32 s54, s20
	v_cmp_ne_u32_e64 s20, 0, v6
	v_cndmask_b32_e64 v5, 0, 1, s19
	s_and_b32 s24, s23, s24
	v_cmp_eq_u32_e64 s19, 1, v4
	v_cmp_eq_u32_e64 s25, 2, v4
	;; [unrolled: 1-line block ×3, first 2 shown]
	v_cndmask_b32_e64 v4, 0, 1, s24
	s_bcnt1_i32_b32 s24, s20
	v_cmp_ne_u32_e64 s20, 0, v5
	s_add_i32 s54, s24, s54
	v_cmp_eq_u32_e64 s15, 1, v7
	v_cmp_ne_u32_e64 s24, 0, v4
	v_cmp_eq_u32_e64 s21, 2, v7
	s_bcnt1_i32_b32 s20, s20
	v_cmp_eq_u32_e64 s22, 3, v7
	s_add_i32 s20, s54, s20
	s_bcnt1_i32_b32 s24, s24
	s_add_i32 s20, s20, s24
	s_add_u32 s74, s74, s20
	s_addc_u32 s75, s75, 0
	s_and_b32 s11, s6, s11
	s_and_b32 s9, s14, s9
	v_cndmask_b32_e64 v4, 0, 1, s11
	v_cndmask_b32_e64 v5, 0, 1, s9
	s_and_b32 s9, s18, s15
	v_cndmask_b32_e64 v6, 0, 1, s9
	s_and_b32 s9, s23, s19
	v_cmp_ne_u32_e64 s11, 0, v5
	v_cndmask_b32_e64 v7, 0, 1, s9
	v_cmp_ne_u32_e64 s9, 0, v4
	v_cmp_ne_u32_e64 s15, 0, v6
	s_bcnt1_i32_b32 s11, s11
	v_cmp_ne_u32_e64 s19, 0, v7
	s_bcnt1_i32_b32 s9, s9
	s_bcnt1_i32_b32 s15, s15
	s_add_i32 s9, s11, s9
	s_bcnt1_i32_b32 s19, s19
	s_add_i32 s9, s9, s15
	s_add_i32 s9, s9, s19
	s_add_u32 s72, s72, s9
	s_addc_u32 s73, s73, 0
	s_and_b32 s9, s6, s12
	v_cndmask_b32_e64 v4, 0, 1, s9
	s_and_b32 s9, s14, s16
	v_cndmask_b32_e64 v5, 0, 1, s9
	;; [unrolled: 2-line block ×3, first 2 shown]
	s_and_b32 s9, s23, s25
	v_cmp_ne_u32_e64 s11, 0, v5
	v_cndmask_b32_e64 v7, 0, 1, s9
	v_cmp_ne_u32_e64 s9, 0, v4
	v_cmp_ne_u32_e64 s12, 0, v6
	s_bcnt1_i32_b32 s11, s11
	v_cmp_ne_u32_e64 s15, 0, v7
	s_bcnt1_i32_b32 s9, s9
	s_bcnt1_i32_b32 s12, s12
	s_add_i32 s9, s11, s9
	s_bcnt1_i32_b32 s15, s15
	s_add_i32 s9, s9, s12
	s_add_i32 s9, s9, s15
	s_add_u32 s70, s70, s9
	s_addc_u32 s71, s71, 0
	s_and_b32 s6, s6, s13
	v_mov_b32_e32 v8, s70
	v_cndmask_b32_e64 v4, 0, 1, s6
	s_and_b32 s6, s14, s17
	v_mov_b32_e32 v9, s71
	v_cndmask_b32_e64 v5, 0, 1, s6
	s_and_b32 s6, s18, s22
	v_cndmask_b32_e64 v6, 0, 1, s6
	s_and_b32 s6, s23, s26
	v_cmp_ne_u32_e64 s9, 0, v5
	v_cndmask_b32_e64 v7, 0, 1, s6
	v_cmp_ne_u32_e64 s6, 0, v4
	v_cmp_ne_u32_e64 s11, 0, v6
	v_mov_b32_e32 v4, s74
	s_bcnt1_i32_b32 s9, s9
	v_cmp_ne_u32_e64 s12, 0, v7
	s_bcnt1_i32_b32 s6, s6
	s_bcnt1_i32_b32 s11, s11
	s_add_i32 s6, s9, s6
	v_mov_b32_e32 v6, s72
	s_bcnt1_i32_b32 s9, s12
	s_add_i32 s6, s6, s11
	v_mov_b32_e32 v5, s75
	s_add_i32 s6, s6, s9
	v_mov_b32_e32 v7, s73
	s_add_u32 s68, s68, s6
	s_addc_u32 s69, s69, 0
	v_mov_b32_e32 v10, s68
	v_mov_b32_e32 v11, s69
	s_or_b32 s58, vcc_lo, s58
	s_andn2_b32 exec_lo, exec_lo, s58
	s_cbranch_execnz .LBB207_59
; %bb.60:                               ;   in Loop: Header=BB207_12 Depth=1
	s_or_b32 exec_lo, exec_lo, s58
.LBB207_61:                             ;   in Loop: Header=BB207_12 Depth=1
	s_or_b32 exec_lo, exec_lo, s43
	v_add_co_u32 v21, s6, s66, v0
	v_and_b32_e32 v2, 0xffff, v2
	v_add_co_ci_u32_e64 v22, null, s67, 0, s6
	s_mov_b32 s13, exec_lo
	v_cmpx_gt_u64_e64 s[36:37], v[21:22]
	s_cbranch_execz .LBB207_67
; %bb.62:                               ;   in Loop: Header=BB207_12 Depth=1
	v_mul_lo_u32 v37, v22, s30
	v_mul_lo_u32 v38, v21, s31
	v_mad_u64_u32 v[35:36], null, v21, s30, 0
	s_mov_b32 s14, 0
	v_add3_u32 v36, v36, v38, v37
	v_lshlrev_b64 v[35:36], 1, v[35:36]
	v_add_co_u32 v35, vcc_lo, s33, v35
	v_add_co_ci_u32_e64 v36, null, s35, v36, vcc_lo
	global_load_ushort v36, v[35:36], off
	s_branch .LBB207_64
.LBB207_63:                             ;   in Loop: Header=BB207_64 Depth=2
	s_or_b32 exec_lo, exec_lo, s9
	s_waitcnt vmcnt(0)
	v_cmp_lt_i16_e64 s6, -1, v36
	s_and_b32 s9, exec_lo, vcc_lo
	s_or_b32 s14, s9, s14
	v_cndmask_b32_e64 v37, 0xffff, v31, s6
	v_cmp_o_f16_e64 s6, v36, v36
	v_xor_b32_sdwa v37, v37, v36 dst_sel:DWORD dst_unused:UNUSED_PAD src0_sel:DWORD src1_sel:WORD_0
	v_cndmask_b32_e64 v36, 0xffff, v37, s6
	v_and_b32_e32 v37, v36, v33
	v_bfe_u32 v36, v36, s91, 2
	v_cmp_eq_u32_e32 vcc_lo, v37, v28
	v_cmp_eq_u32_e64 s6, 0, v36
	v_cmp_eq_u32_e64 s9, 1, v36
	;; [unrolled: 1-line block ×4, first 2 shown]
	s_and_b32 s6, vcc_lo, s6
	v_cndmask_b32_e64 v36, 0, 1, s6
	s_and_b32 s6, vcc_lo, s9
	v_cndmask_b32_e64 v37, 0, 1, s6
	;; [unrolled: 2-line block ×3, first 2 shown]
	s_and_b32 s6, vcc_lo, s12
	v_cmp_ne_u32_e32 vcc_lo, 0, v36
	v_cndmask_b32_e64 v39, 0, 1, s6
	v_cmp_ne_u32_e64 s6, 0, v37
	v_cmp_ne_u32_e64 s9, 0, v38
	v_mov_b32_e32 v36, v35
	s_bcnt1_i32_b32 s12, vcc_lo
	v_cmp_ne_u32_e64 s11, 0, v39
	s_bcnt1_i32_b32 s6, s6
	v_add_co_u32 v4, vcc_lo, v4, s12
	s_bcnt1_i32_b32 s9, s9
	v_add_co_ci_u32_e64 v5, null, 0, v5, vcc_lo
	v_add_co_u32 v6, vcc_lo, v6, s6
	v_add_co_ci_u32_e64 v7, null, 0, v7, vcc_lo
	v_add_co_u32 v8, vcc_lo, v8, s9
	s_bcnt1_i32_b32 s6, s11
	v_add_co_ci_u32_e64 v9, null, 0, v9, vcc_lo
	v_add_co_u32 v10, vcc_lo, v10, s6
	v_add_co_ci_u32_e64 v11, null, 0, v11, vcc_lo
	s_andn2_b32 exec_lo, exec_lo, s14
	s_cbranch_execz .LBB207_66
.LBB207_64:                             ;   Parent Loop BB207_12 Depth=1
                                        ; =>  This Inner Loop Header: Depth=2
	v_add_co_u32 v21, vcc_lo, v21, v2
	v_add_co_ci_u32_e64 v22, null, 0, v22, vcc_lo
	v_mov_b32_e32 v35, 0
	s_mov_b32 s9, exec_lo
	v_cmp_le_u64_e32 vcc_lo, s[36:37], v[21:22]
	v_cmpx_gt_u64_e64 s[36:37], v[21:22]
	s_cbranch_execz .LBB207_63
; %bb.65:                               ;   in Loop: Header=BB207_64 Depth=2
	v_mul_lo_u32 v35, v22, s30
	v_mul_lo_u32 v39, v21, s31
	v_mad_u64_u32 v[37:38], null, v21, s30, 0
	v_add3_u32 v38, v38, v39, v35
	v_lshlrev_b64 v[37:38], 1, v[37:38]
	v_add_co_u32 v37, s6, s33, v37
	v_add_co_ci_u32_e64 v38, null, s35, v38, s6
	global_load_ushort v35, v[37:38], off
	s_branch .LBB207_63
.LBB207_66:                             ;   in Loop: Header=BB207_12 Depth=1
	s_or_b32 exec_lo, exec_lo, s14
.LBB207_67:                             ;   in Loop: Header=BB207_12 Depth=1
	s_or_b32 exec_lo, exec_lo, s13
	s_branch .LBB207_46
.LBB207_68:                             ;   in Loop: Header=BB207_12 Depth=1
	global_load_ushort v2, v3, s[62:63]
	v_mov_b32_e32 v6, 0
	v_mov_b32_e32 v8, 0
	;; [unrolled: 1-line block ×6, first 2 shown]
	s_mov_b32 s60, exec_lo
	s_waitcnt vmcnt(0)
	v_readfirstlane_b32 s6, v2
	s_and_b32 s43, 0xffff, s6
	s_lshl_b32 s58, s43, 2
	v_cvt_f32_u32_e32 v4, s58
	s_sub_i32 s9, 0, s58
	v_rcp_iflag_f32_e32 v4, v4
	v_mul_f32_e32 v4, 0x4f7ffffe, v4
	v_cvt_u32_f32_e32 v4, v4
	v_readfirstlane_b32 s6, v4
	v_mov_b32_e32 v4, 0
	v_mov_b32_e32 v5, 0
	s_mul_i32 s9, s9, s6
	s_mul_hi_u32 s9, s6, s9
	s_add_i32 s6, s6, s9
	s_mul_hi_u32 s6, s64, s6
	s_mul_i32 s9, s6, s58
	s_add_i32 s11, s6, 1
	s_sub_i32 s9, s64, s9
	s_sub_i32 s12, s9, s58
	s_cmp_ge_u32 s9, s58
	s_cselect_b32 s6, s11, s6
	s_cselect_b32 s9, s12, s9
	s_add_i32 s11, s6, 1
	s_cmp_ge_u32 s9, s58
	s_cselect_b32 s6, s11, s6
	s_mul_hi_u32 s67, s43, s6
	s_mul_i32 s66, s43, s6
	s_lshl_b64 s[68:69], s[66:67], 2
	v_cmpx_gt_u64_e64 s[68:69], v[14:15]
	s_cbranch_execz .LBB207_72
; %bb.69:                               ;   in Loop: Header=BB207_12 Depth=1
	v_mov_b32_e32 v22, v15
	v_mov_b32_e32 v35, v29
	;; [unrolled: 1-line block ×3, first 2 shown]
	s_lshl_b32 s65, s43, 3
	s_mov_b64 s[70:71], 0
	s_mov_b32 s67, 0
	s_mov_b64 s[72:73], 0
	s_mov_b64 s[74:75], 0
	;; [unrolled: 1-line block ×3, first 2 shown]
.LBB207_70:                             ;   Parent Loop BB207_12 Depth=1
                                        ; =>  This Inner Loop Header: Depth=2
	ds_read_b64 v[4:5], v35
	v_add_nc_u32_e32 v35, s65, v35
	s_waitcnt lgkmcnt(0)
	v_cmp_lt_i16_e32 vcc_lo, -1, v4
	v_cmp_gt_i16_sdwa s6, v4, v32 src0_sel:WORD_1 src1_sel:DWORD
	v_cmp_lt_i16_e64 s9, -1, v5
	v_cmp_gt_i16_sdwa s11, v5, v32 src0_sel:WORD_1 src1_sel:DWORD
	v_cmp_o_f16_e64 s15, v4, v4
	v_cndmask_b32_e32 v6, 0xffff, v31, vcc_lo
	v_cndmask_b32_e64 v7, 0xffff, v31, s6
	v_cmp_o_f16_sdwa s12, v4, v4 src0_sel:WORD_1 src1_sel:WORD_1
	v_cndmask_b32_e64 v8, 0xffff, v31, s11
	v_cmp_o_f16_e64 s13, v5, v5
	v_xor_b32_sdwa v6, v6, v4 dst_sel:DWORD dst_unused:UNUSED_PAD src0_sel:DWORD src1_sel:WORD_0
	v_xor_b32_sdwa v4, v7, v4 dst_sel:DWORD dst_unused:UNUSED_PAD src0_sel:DWORD src1_sel:WORD_1
	v_cndmask_b32_e64 v7, 0xffff, v31, s9
	v_cmp_o_f16_sdwa s14, v5, v5 src0_sel:WORD_1 src1_sel:WORD_1
	v_cndmask_b32_e64 v6, 0xffff, v6, s15
	v_cndmask_b32_e64 v4, 0xffff, v4, s12
	v_xor_b32_sdwa v7, v7, v5 dst_sel:DWORD dst_unused:UNUSED_PAD src0_sel:DWORD src1_sel:WORD_0
	v_xor_b32_sdwa v5, v8, v5 dst_sel:DWORD dst_unused:UNUSED_PAD src0_sel:DWORD src1_sel:WORD_1
	v_and_b32_e32 v8, v6, v33
	v_bfe_u32 v6, v6, s91, 2
	v_cndmask_b32_e64 v7, 0xffff, v7, s13
	v_cndmask_b32_e64 v5, 0xffff, v5, s14
	v_cmp_eq_u32_e32 vcc_lo, v8, v28
	v_and_b32_e32 v8, v4, v33
	v_bfe_u32 v4, v4, s91, 2
	v_cmp_eq_u32_e64 s12, 0, v6
	v_cmp_eq_u32_e64 s13, 1, v6
	;; [unrolled: 1-line block ×8, first 2 shown]
	v_bfe_u32 v4, v7, s91, 2
	v_and_b32_e32 v8, v7, v33
	s_and_b32 s12, vcc_lo, s12
	s_and_b32 s16, s6, s16
	v_cmp_eq_u32_e64 s15, 3, v6
	v_cmp_eq_u32_e64 s20, 0, v4
	;; [unrolled: 1-line block ×5, first 2 shown]
	v_bfe_u32 v4, v5, s91, 2
	v_cmp_eq_u32_e64 s9, v8, v28
	v_and_b32_e32 v8, v5, v33
	v_cmp_eq_u32_e64 s24, 0, v4
	v_cmp_eq_u32_e64 s25, 1, v4
	;; [unrolled: 1-line block ×4, first 2 shown]
	v_cndmask_b32_e64 v4, 0, 1, s12
	v_cmp_eq_u32_e64 s11, v8, v28
	s_and_b32 s20, s9, s20
	v_cmp_ne_u32_e64 s12, 0, v4
	v_cndmask_b32_e64 v4, 0, 1, s16
	s_and_b32 s24, s11, s24
	s_bcnt1_i32_b32 s12, s12
	v_cmp_ne_u32_e64 s16, 0, v4
	v_cndmask_b32_e64 v4, 0, 1, s20
	s_bcnt1_i32_b32 s16, s16
	v_cmp_ne_u32_e64 s20, 0, v4
	v_cndmask_b32_e64 v4, 0, 1, s24
	s_add_i32 s12, s16, s12
	s_bcnt1_i32_b32 s20, s20
	v_cmp_ne_u32_e64 s24, 0, v4
	s_add_i32 s12, s12, s20
	s_bcnt1_i32_b32 s24, s24
	s_add_i32 s12, s12, s24
	s_add_u32 s76, s76, s12
	s_addc_u32 s77, s77, 0
	s_and_b32 s12, vcc_lo, s13
	s_and_b32 s13, s6, s17
	v_cndmask_b32_e64 v4, 0, 1, s12
	s_and_b32 s16, s9, s21
	s_and_b32 s17, s11, s25
	v_cmp_ne_u32_e64 s12, 0, v4
	v_cndmask_b32_e64 v4, 0, 1, s13
	s_bcnt1_i32_b32 s12, s12
	v_cmp_ne_u32_e64 s13, 0, v4
	v_cndmask_b32_e64 v4, 0, 1, s16
	s_bcnt1_i32_b32 s13, s13
	v_cmp_ne_u32_e64 s16, 0, v4
	v_cndmask_b32_e64 v4, 0, 1, s17
	s_add_i32 s12, s13, s12
	s_bcnt1_i32_b32 s16, s16
	v_cmp_ne_u32_e64 s17, 0, v4
	s_add_i32 s12, s12, s16
	s_bcnt1_i32_b32 s17, s17
	s_add_i32 s12, s12, s17
	s_add_u32 s74, s74, s12
	s_addc_u32 s75, s75, 0
	s_and_b32 s12, vcc_lo, s14
	s_and_b32 s13, s6, s18
	v_cndmask_b32_e64 v4, 0, 1, s12
	s_and_b32 s14, s9, s22
	s_and_b32 s16, s11, s26
	v_mov_b32_e32 v6, s74
	v_mov_b32_e32 v7, s75
	v_cmp_ne_u32_e64 s12, 0, v4
	v_cndmask_b32_e64 v4, 0, 1, s13
	s_bcnt1_i32_b32 s12, s12
	v_cmp_ne_u32_e64 s13, 0, v4
	v_cndmask_b32_e64 v4, 0, 1, s14
	s_bcnt1_i32_b32 s13, s13
	v_cmp_ne_u32_e64 s14, 0, v4
	v_cndmask_b32_e64 v4, 0, 1, s16
	s_add_i32 s12, s13, s12
	s_bcnt1_i32_b32 s14, s14
	v_cmp_ne_u32_e64 s16, 0, v4
	s_add_i32 s12, s12, s14
	s_bcnt1_i32_b32 s16, s16
	s_add_i32 s12, s12, s16
	s_add_u32 s72, s72, s12
	s_addc_u32 s73, s73, 0
	s_and_b32 s12, vcc_lo, s15
	s_and_b32 s6, s6, s19
	v_cndmask_b32_e64 v4, 0, 1, s12
	s_and_b32 s9, s9, s23
	s_and_b32 s11, s11, s27
	v_add_co_u32 v21, s12, v21, s58
	v_cmp_ne_u32_e32 vcc_lo, 0, v4
	v_cndmask_b32_e64 v4, 0, 1, s6
	v_add_co_ci_u32_e64 v22, null, 0, v22, s12
	v_mov_b32_e32 v8, s72
	s_bcnt1_i32_b32 s13, vcc_lo
	v_cmp_ne_u32_e64 s6, 0, v4
	v_cndmask_b32_e64 v4, 0, 1, s9
	v_cmp_le_u64_e64 s12, s[68:69], v[21:22]
	v_mov_b32_e32 v9, s73
	s_bcnt1_i32_b32 s6, s6
	v_cmp_ne_u32_e64 s9, 0, v4
	v_cndmask_b32_e64 v4, 0, 1, s11
	s_add_i32 s6, s6, s13
	s_bcnt1_i32_b32 s9, s9
	v_cmp_ne_u32_e64 s11, 0, v4
	s_add_i32 s6, s6, s9
	v_mov_b32_e32 v4, s76
	v_mov_b32_e32 v5, s77
	s_bcnt1_i32_b32 s11, s11
	s_add_i32 s6, s6, s11
	s_add_u32 s70, s70, s6
	s_addc_u32 s71, s71, 0
	v_mov_b32_e32 v10, s70
	v_mov_b32_e32 v11, s71
	s_or_b32 s67, s12, s67
	s_andn2_b32 exec_lo, exec_lo, s67
	s_cbranch_execnz .LBB207_70
; %bb.71:                               ;   in Loop: Header=BB207_12 Depth=1
	s_or_b32 exec_lo, exec_lo, s67
.LBB207_72:                             ;   in Loop: Header=BB207_12 Depth=1
	s_or_b32 exec_lo, exec_lo, s60
	v_add_co_u32 v21, s6, s68, v0
	v_and_b32_e32 v2, 0xffff, v2
	v_add_co_ci_u32_e64 v22, null, s69, 0, s6
	s_and_b32 s58, s64, 0x7fffffff
	s_mov_b32 s14, exec_lo
	v_cmpx_gt_u64_e64 s[58:59], v[21:22]
	s_cbranch_execz .LBB207_76
; %bb.73:                               ;   in Loop: Header=BB207_12 Depth=1
	v_lshl_add_u32 v35, s66, 3, v25
	s_lshl_b32 s16, s43, 1
	s_mov_b32 s15, 0
.LBB207_74:                             ;   Parent Loop BB207_12 Depth=1
                                        ; =>  This Inner Loop Header: Depth=2
	ds_read_u16 v36, v35
	v_add_co_u32 v21, vcc_lo, v21, v2
	v_add_co_ci_u32_e64 v22, null, 0, v22, vcc_lo
	v_add_nc_u32_e32 v35, s16, v35
	v_cmp_le_u64_e32 vcc_lo, s[58:59], v[21:22]
	s_waitcnt lgkmcnt(0)
	v_cmp_lt_i16_e64 s6, -1, v36
	v_cndmask_b32_e64 v37, 0xffff, v31, s6
	v_cmp_o_f16_e64 s6, v36, v36
	v_xor_b32_sdwa v37, v37, v36 dst_sel:DWORD dst_unused:UNUSED_PAD src0_sel:DWORD src1_sel:WORD_0
	v_cndmask_b32_e64 v36, 0xffff, v37, s6
	v_and_b32_e32 v37, v36, v33
	v_bfe_u32 v36, v36, s91, 2
	v_cmp_eq_u32_e64 s6, v37, v28
	v_cmp_eq_u32_e64 s9, 0, v36
	;; [unrolled: 1-line block ×5, first 2 shown]
	s_and_b32 s9, s6, s9
	v_cndmask_b32_e64 v36, 0, 1, s9
	s_and_b32 s9, s6, s11
	v_cndmask_b32_e64 v37, 0, 1, s9
	s_and_b32 s9, s6, s12
	s_and_b32 s6, s6, s13
	v_cndmask_b32_e64 v38, 0, 1, s9
	v_cndmask_b32_e64 v39, 0, 1, s6
	v_cmp_ne_u32_e64 s6, 0, v36
	v_cmp_ne_u32_e64 s9, 0, v37
	;; [unrolled: 1-line block ×4, first 2 shown]
	s_bcnt1_i32_b32 s6, s6
	s_bcnt1_i32_b32 s9, s9
	v_add_co_u32 v4, s6, v4, s6
	s_bcnt1_i32_b32 s11, s11
	v_add_co_ci_u32_e64 v5, null, 0, v5, s6
	v_add_co_u32 v6, s6, v6, s9
	s_bcnt1_i32_b32 s12, s12
	v_add_co_ci_u32_e64 v7, null, 0, v7, s6
	v_add_co_u32 v8, s6, v8, s11
	v_add_co_ci_u32_e64 v9, null, 0, v9, s6
	v_add_co_u32 v10, s6, v10, s12
	v_add_co_ci_u32_e64 v11, null, 0, v11, s6
	s_or_b32 s15, vcc_lo, s15
	s_andn2_b32 exec_lo, exec_lo, s15
	s_cbranch_execnz .LBB207_74
; %bb.75:                               ;   in Loop: Header=BB207_12 Depth=1
	s_or_b32 exec_lo, exec_lo, s15
.LBB207_76:                             ;   in Loop: Header=BB207_12 Depth=1
	s_or_b32 exec_lo, exec_lo, s14
	s_lshl_b32 s6, s95, 7
	s_and_saveexec_b32 s9, s0
	s_cbranch_execnz .LBB207_47
	s_branch .LBB207_48
.LBB207_77:                             ;   in Loop: Header=BB207_12 Depth=1
                                        ; implicit-def: $sgpr12_sgpr13
	s_branch .LBB207_56
.LBB207_78:                             ;   in Loop: Header=BB207_12 Depth=1
	s_mov_b32 s11, 0
	s_andn2_b32 vcc_lo, exec_lo, s89
	s_cbranch_vccnz .LBB207_81
.LBB207_79:                             ;   in Loop: Header=BB207_12 Depth=1
	s_lshl_b32 s12, s95, 10
	s_lshl_b32 s11, s11, 5
	v_add3_u32 v2, s12, s11, v30
	s_mov_b32 s11, s86
.LBB207_80:                             ;   Parent Loop BB207_12 Depth=1
                                        ; =>  This Inner Loop Header: Depth=2
	ds_read_b64 v[6:7], v2
	v_add_nc_u32_e32 v2, 32, v2
	s_add_i32 s11, s11, -1
	s_cmp_lg_u32 s11, 0
	s_waitcnt lgkmcnt(0)
	v_add_co_u32 v4, vcc_lo, v6, v4
	v_add_co_ci_u32_e64 v5, null, v7, v5, vcc_lo
	s_cbranch_scc1 .LBB207_80
.LBB207_81:                             ;   in Loop: Header=BB207_12 Depth=1
	v_add_lshl_u32 v2, s6, v24, 3
	ds_write_b64 v2, v[4:5] offset:3072
.LBB207_82:                             ;   in Loop: Header=BB207_12 Depth=1
	s_or_b32 exec_lo, exec_lo, s9
	s_lshl_b32 s6, s6, 3
	s_waitcnt lgkmcnt(0)
	v_mov_b32_e32 v2, s6
	s_barrier
	buffer_gl0_inv
	v_cmp_eq_u64_e64 s9, 1, v[19:20]
	s_lshl_b32 s11, 3, s91
	ds_read_b128 v[4:7], v2 offset:3072
	ds_read_b128 v[8:11], v2 offset:3088
	s_mov_b32 s67, -1
	s_not_b32 s26, s11
	s_mov_b32 s27, 0
	s_andn2_b32 vcc_lo, exec_lo, s53
	s_mov_b32 s64, 0
	s_mov_b32 s43, 0
                                        ; implicit-def: $sgpr65
                                        ; implicit-def: $sgpr66
                                        ; implicit-def: $vgpr2
	s_waitcnt lgkmcnt(1)
	v_readfirstlane_b32 s13, v5
	v_readfirstlane_b32 s12, v4
	;; [unrolled: 1-line block ×4, first 2 shown]
	s_waitcnt lgkmcnt(0)
	v_readfirstlane_b32 s17, v9
	v_readfirstlane_b32 s16, v8
	;; [unrolled: 1-line block ×4, first 2 shown]
                                        ; implicit-def: $vgpr4_vgpr5
                                        ; implicit-def: $vgpr8
                                        ; implicit-def: $vgpr9
                                        ; implicit-def: $vgpr10
	s_cbranch_vccnz .LBB207_285
; %bb.83:                               ;   in Loop: Header=BB207_12 Depth=1
	s_cmp_eq_u64 s[12:13], 1
	v_mov_b32_e32 v8, v28
	v_mov_b32_e32 v9, v33
	;; [unrolled: 1-line block ×3, first 2 shown]
	s_cselect_b32 s6, -1, 0
	s_mov_b32 s20, -1
	s_and_b32 s6, s6, s9
                                        ; implicit-def: $sgpr66
                                        ; implicit-def: $sgpr65
	s_and_saveexec_b32 s43, s6
	s_cbranch_execz .LBB207_120
; %bb.84:                               ;   in Loop: Header=BB207_12 Depth=1
	ds_read_b64 v[4:5], v3 offset:5120
	s_waitcnt lgkmcnt(0)
	s_barrier
	buffer_gl0_inv
	v_readfirstlane_b32 s20, v4
	v_readfirstlane_b32 s21, v5
	s_and_saveexec_b32 s22, s10
; %bb.85:                               ;   in Loop: Header=BB207_12 Depth=1
	ds_write_b16 v26, v3
; %bb.86:                               ;   in Loop: Header=BB207_12 Depth=1
	s_or_b32 exec_lo, exec_lo, s22
	v_and_b32_e32 v8, s26, v28
	v_or_b32_e32 v9, s11, v33
	s_mov_b32 s65, -1
	s_mov_b32 s66, 0
	s_cmp_eq_u64 s[20:21], 0
	s_mov_b32 s24, 0
	s_mov_b32 s25, -1
	s_waitcnt lgkmcnt(0)
	s_barrier
	buffer_gl0_inv
                                        ; implicit-def: $vgpr10
	s_cbranch_scc1 .LBB207_104
; %bb.87:                               ;   in Loop: Header=BB207_12 Depth=1
	s_add_u32 s54, s20, s82
	s_addc_u32 s23, s21, s83
	s_mov_b32 s22, s59
	s_cmp_lg_u64 s[22:23], 0
	s_cbranch_scc0 .LBB207_147
; %bb.88:                               ;   in Loop: Header=BB207_12 Depth=1
	v_cvt_f32_u32_e32 v2, s49
	s_sub_u32 s25, 0, s49
	s_subb_u32 s44, 0, 0
	v_fmac_f32_e64 v2, 0x4f800000, 0
	v_rcp_f32_e32 v2, v2
	v_mul_f32_e32 v2, 0x5f7ffffc, v2
	v_mul_f32_e32 v4, 0x2f800000, v2
	v_trunc_f32_e32 v4, v4
	v_fmac_f32_e32 v2, 0xcf800000, v4
	v_cvt_u32_f32_e32 v4, v4
	v_cvt_u32_f32_e32 v2, v2
	v_readfirstlane_b32 s22, v4
	v_readfirstlane_b32 s24, v2
	s_mul_i32 s45, s25, s22
	s_mul_hi_u32 s47, s25, s24
	s_mul_i32 s46, s44, s24
	s_add_i32 s45, s47, s45
	s_mul_i32 s55, s25, s24
	s_add_i32 s45, s45, s46
	s_mul_hi_u32 s47, s24, s55
	s_mul_i32 s57, s24, s45
	s_mul_hi_u32 s56, s22, s55
	s_mul_i32 s46, s22, s55
	s_mul_hi_u32 s55, s24, s45
	s_add_u32 s47, s47, s57
	s_addc_u32 s55, 0, s55
	s_mul_hi_u32 s58, s22, s45
	s_add_u32 s46, s47, s46
	s_mul_i32 s45, s22, s45
	s_addc_u32 s46, s55, s56
	s_addc_u32 s47, s58, 0
	s_add_u32 s45, s46, s45
	s_addc_u32 s46, 0, s47
	s_add_u32 s24, s24, s45
	s_cselect_b32 s45, -1, 0
	s_mul_hi_u32 s47, s25, s24
	s_cmp_lg_u32 s45, 0
	s_mul_i32 s45, s25, s24
	s_addc_u32 s22, s22, s46
	s_mul_i32 s44, s44, s24
	s_mul_i32 s25, s25, s22
	s_mul_hi_u32 s46, s24, s45
	s_add_i32 s25, s47, s25
	s_mul_hi_u32 s47, s22, s45
	s_add_i32 s25, s25, s44
	s_mul_i32 s44, s22, s45
	s_mul_i32 s56, s24, s25
	s_mul_hi_u32 s55, s24, s25
	s_add_u32 s46, s46, s56
	s_addc_u32 s55, 0, s55
	s_mul_hi_u32 s45, s22, s25
	s_add_u32 s44, s46, s44
	s_mul_i32 s25, s22, s25
	s_addc_u32 s44, s55, s47
	s_addc_u32 s45, s45, 0
	s_add_u32 s25, s44, s25
	s_addc_u32 s44, 0, s45
	s_add_u32 s24, s24, s25
	s_cselect_b32 s25, -1, 0
	s_mul_hi_u32 s45, s54, s24
	s_cmp_lg_u32 s25, 0
	s_mul_hi_u32 s25, s23, s24
	s_addc_u32 s22, s22, s44
	s_mul_i32 s24, s23, s24
	s_mul_i32 s46, s54, s22
	s_mul_hi_u32 s44, s54, s22
	s_add_u32 s45, s45, s46
	s_addc_u32 s44, 0, s44
	s_mul_hi_u32 s47, s23, s22
	s_add_u32 s24, s45, s24
	s_mul_i32 s22, s23, s22
	s_addc_u32 s24, s44, s25
	s_addc_u32 s25, s47, 0
	s_add_u32 s22, s24, s22
	s_addc_u32 s24, 0, s25
	s_mul_hi_u32 s25, s49, s22
	s_mul_i32 s24, s49, s24
	s_mul_i32 s22, s49, s22
	s_add_i32 s25, s25, s24
	s_sub_u32 s22, s54, s22
	s_cselect_b32 s24, -1, 0
	s_cmp_lg_u32 s24, 0
	s_subb_u32 s24, s23, s25
	s_sub_u32 s25, s22, s49
	s_cselect_b32 s44, -1, 0
	s_cmp_lg_u32 s44, 0
	s_subb_u32 s44, s24, 0
	;; [unrolled: 4-line block ×3, first 2 shown]
	s_cmp_ge_u32 s25, s49
	s_cselect_b32 s47, -1, 0
	s_cmp_eq_u32 s44, 0
	s_cselect_b32 s47, s47, -1
	s_cmp_lg_u32 s47, 0
	s_cselect_b32 s44, s46, s44
	s_cselect_b32 s45, s45, s25
	s_cmp_ge_u32 s22, s49
	s_cselect_b32 s25, -1, 0
	s_cmp_eq_u32 s24, 0
	s_cselect_b32 s25, s25, -1
	s_cmp_lg_u32 s25, 0
	s_cselect_b32 s25, s44, s24
	s_cselect_b32 s24, s45, s22
	s_cbranch_execnz .LBB207_90
.LBB207_89:                             ;   in Loop: Header=BB207_12 Depth=1
	v_cvt_f32_u32_e32 v2, s49
	s_sub_i32 s24, 0, s49
	v_rcp_iflag_f32_e32 v2, v2
	v_mul_f32_e32 v2, 0x4f7ffffe, v2
	v_cvt_u32_f32_e32 v2, v2
	v_readfirstlane_b32 s22, v2
	s_mul_i32 s24, s24, s22
	s_mul_hi_u32 s24, s22, s24
	s_add_i32 s22, s22, s24
	s_mul_hi_u32 s22, s54, s22
	s_mul_i32 s22, s22, s49
	s_sub_i32 s22, s54, s22
	s_sub_i32 s24, s22, s49
	s_cmp_ge_u32 s22, s49
	s_cselect_b32 s22, s24, s22
	s_sub_i32 s24, s22, s49
	s_cmp_ge_u32 s22, s49
	s_cselect_b32 s58, s24, s22
	s_mov_b64 s[24:25], s[58:59]
.LBB207_90:                             ;   in Loop: Header=BB207_12 Depth=1
	s_sub_u32 s22, s54, s24
	s_subb_u32 s23, s23, s25
	s_mov_b32 s25, 0
	s_mov_b32 s24, 0
	s_mov_b32 s54, exec_lo
                                        ; implicit-def: $vgpr10
	v_cmpx_gt_u64_e64 s[22:23], v[0:1]
	s_cbranch_execz .LBB207_103
; %bb.91:                               ;   in Loop: Header=BB207_12 Depth=1
	v_mov_b32_e32 v5, v1
	v_mov_b32_e32 v2, v25
	v_mov_b32_e32 v4, v0
                                        ; implicit-def: $sgpr55
	s_branch .LBB207_95
.LBB207_92:                             ;   in Loop: Header=BB207_95 Depth=2
	s_or_b32 exec_lo, exec_lo, s58
	s_waitcnt lgkmcnt(0)
	s_barrier
	buffer_gl0_inv
	ds_read_b32 v6, v3 offset:3072
	s_waitcnt lgkmcnt(0)
	s_barrier
	buffer_gl0_inv
	v_cmp_neq_f16_e32 vcc_lo, 0, v6
	s_cbranch_vccnz .LBB207_98
; %bb.93:                               ;   in Loop: Header=BB207_95 Depth=2
	v_add_co_u32 v4, vcc_lo, v4, s49
	v_add_co_ci_u32_e64 v5, null, 0, v5, vcc_lo
	v_add_nc_u32_e32 v2, s90, v2
	s_mov_b32 s58, 0
	v_cmp_le_u64_e32 vcc_lo, s[22:23], v[4:5]
	s_orn2_b32 s60, vcc_lo, exec_lo
.LBB207_94:                             ;   in Loop: Header=BB207_95 Depth=2
	s_and_b32 s44, exec_lo, s60
	s_or_b32 s24, s44, s24
	s_andn2_b32 s44, s55, exec_lo
	s_and_b32 s45, s58, exec_lo
	s_or_b32 s55, s44, s45
	s_andn2_b32 exec_lo, exec_lo, s24
	s_cbranch_execz .LBB207_102
.LBB207_95:                             ;   Parent Loop BB207_12 Depth=1
                                        ; =>  This Inner Loop Header: Depth=2
	s_mov_b32 s58, exec_lo
	v_cmpx_gt_u64_e64 s[20:21], v[4:5]
	s_cbranch_execz .LBB207_92
; %bb.96:                               ;   in Loop: Header=BB207_95 Depth=2
	ds_read_u16 v6, v2
	s_waitcnt lgkmcnt(0)
	v_cmp_lt_i16_e32 vcc_lo, -1, v6
	v_cndmask_b32_e32 v7, 0xffff, v31, vcc_lo
	v_cmp_o_f16_e32 vcc_lo, v6, v6
	v_xor_b32_sdwa v7, v7, v6 dst_sel:DWORD dst_unused:UNUSED_PAD src0_sel:DWORD src1_sel:WORD_0
	v_cndmask_b32_e32 v7, 0xffff, v7, vcc_lo
	v_and_b32_e32 v7, v7, v9
	v_cmp_eq_u32_e32 vcc_lo, v7, v8
	s_and_b32 exec_lo, exec_lo, vcc_lo
	s_cbranch_execz .LBB207_92
; %bb.97:                               ;   in Loop: Header=BB207_95 Depth=2
	v_perm_b32 v6, v6, s93, 0x5040100
	ds_write_b32 v3, v6 offset:3072
	s_branch .LBB207_92
.LBB207_98:                             ;   in Loop: Header=BB207_95 Depth=2
	s_mov_b32 s60, -1
	s_mov_b32 s58, -1
                                        ; implicit-def: $vgpr4_vgpr5
                                        ; implicit-def: $vgpr2
	s_branch .LBB207_94
.LBB207_99:                             ;   in Loop: Header=BB207_12 Depth=1
	s_or_b32 exec_lo, exec_lo, s12
	s_waitcnt lgkmcnt(0)
	s_barrier
	buffer_gl0_inv
	s_and_saveexec_b32 s6, s3
	s_cbranch_execz .LBB207_101
; %bb.100:                              ;   in Loop: Header=BB207_12 Depth=1
	ds_read_b32 v4, v3 offset:5144
	s_waitcnt lgkmcnt(0)
	v_ashrrev_i32_e32 v5, 31, v4
	ds_write_b64 v3, v[4:5] offset:5120
.LBB207_101:                            ;   in Loop: Header=BB207_12 Depth=1
	s_or_b32 exec_lo, exec_lo, s6
	s_waitcnt lgkmcnt(0)
	s_mov_b32 s6, -1
	s_barrier
	s_and_b32 vcc_lo, exec_lo, s11
	s_cbranch_vccnz .LBB207_27
	s_branch .LBB207_42
.LBB207_102:                            ;   in Loop: Header=BB207_12 Depth=1
	s_or_b32 exec_lo, exec_lo, s24
	v_lshrrev_b32_e32 v10, 16, v6
	s_and_b32 s24, s55, exec_lo
.LBB207_103:                            ;   in Loop: Header=BB207_12 Depth=1
	s_or_b32 exec_lo, exec_lo, s54
.LBB207_104:                            ;   in Loop: Header=BB207_12 Depth=1
	s_and_b32 vcc_lo, exec_lo, s25
	s_cbranch_vccz .LBB207_119
; %bb.105:                              ;   in Loop: Header=BB207_12 Depth=1
	s_mov_b32 s60, s59
	s_cmp_lg_u64 s[60:61], 0
	s_cbranch_scc0 .LBB207_148
; %bb.106:                              ;   in Loop: Header=BB207_12 Depth=1
	v_cvt_f32_u32_e32 v2, s49
	s_sub_u32 s22, 0, s49
	s_subb_u32 s23, 0, 0
	v_fmac_f32_e64 v2, 0x4f800000, 0
	v_rcp_f32_e32 v2, v2
	v_mul_f32_e32 v2, 0x5f7ffffc, v2
	v_mul_f32_e32 v4, 0x2f800000, v2
	v_trunc_f32_e32 v4, v4
	v_fmac_f32_e32 v2, 0xcf800000, v4
	v_cvt_u32_f32_e32 v4, v4
	v_cvt_u32_f32_e32 v2, v2
	v_readfirstlane_b32 s20, v4
	v_readfirstlane_b32 s21, v2
	s_mul_i32 s25, s22, s20
	s_mul_hi_u32 s45, s22, s21
	s_mul_i32 s44, s23, s21
	s_add_i32 s25, s45, s25
	s_mul_i32 s46, s22, s21
	s_add_i32 s25, s25, s44
	s_mul_hi_u32 s45, s21, s46
	s_mul_i32 s54, s21, s25
	s_mul_hi_u32 s47, s20, s46
	s_mul_i32 s44, s20, s46
	s_mul_hi_u32 s46, s21, s25
	s_add_u32 s45, s45, s54
	s_addc_u32 s46, 0, s46
	s_mul_hi_u32 s55, s20, s25
	s_add_u32 s44, s45, s44
	s_mul_i32 s25, s20, s25
	s_addc_u32 s44, s46, s47
	s_addc_u32 s45, s55, 0
	s_add_u32 s25, s44, s25
	s_addc_u32 s44, 0, s45
	s_add_u32 s21, s21, s25
	s_cselect_b32 s25, -1, 0
	s_mul_hi_u32 s45, s22, s21
	s_cmp_lg_u32 s25, 0
	s_mul_i32 s25, s22, s21
	s_addc_u32 s20, s20, s44
	s_mul_i32 s23, s23, s21
	s_mul_i32 s22, s22, s20
	s_mul_hi_u32 s44, s21, s25
	s_add_i32 s22, s45, s22
	s_mul_hi_u32 s45, s20, s25
	s_add_i32 s22, s22, s23
	s_mul_i32 s23, s20, s25
	s_mul_i32 s47, s21, s22
	s_mul_hi_u32 s46, s21, s22
	s_add_u32 s44, s44, s47
	s_addc_u32 s46, 0, s46
	s_mul_hi_u32 s25, s20, s22
	s_add_u32 s23, s44, s23
	s_mul_i32 s22, s20, s22
	s_addc_u32 s23, s46, s45
	s_addc_u32 s25, s25, 0
	s_add_u32 s22, s23, s22
	s_addc_u32 s23, 0, s25
	s_add_u32 s21, s21, s22
	s_cselect_b32 s22, -1, 0
	s_mul_hi_u32 s25, s84, s21
	s_cmp_lg_u32 s22, 0
	s_mul_hi_u32 s22, s61, s21
	s_addc_u32 s20, s20, s23
	s_mul_i32 s21, s61, s21
	s_mul_i32 s44, s84, s20
	s_mul_hi_u32 s23, s84, s20
	s_add_u32 s25, s25, s44
	s_addc_u32 s23, 0, s23
	s_mul_hi_u32 s45, s61, s20
	s_add_u32 s21, s25, s21
	s_mul_i32 s20, s61, s20
	s_addc_u32 s21, s23, s22
	s_addc_u32 s22, s45, 0
	s_add_u32 s20, s21, s20
	s_addc_u32 s21, 0, s22
	s_mul_hi_u32 s22, s49, s20
	s_mul_i32 s21, s49, s21
	s_mul_i32 s20, s49, s20
	s_add_i32 s22, s22, s21
	s_sub_u32 s20, s84, s20
	s_cselect_b32 s21, -1, 0
	s_cmp_lg_u32 s21, 0
	s_subb_u32 s21, s61, s22
	s_sub_u32 s22, s20, s49
	s_cselect_b32 s23, -1, 0
	s_cmp_lg_u32 s23, 0
	s_subb_u32 s23, s21, 0
	;; [unrolled: 4-line block ×3, first 2 shown]
	s_cmp_ge_u32 s22, s49
	s_cselect_b32 s45, -1, 0
	s_cmp_eq_u32 s23, 0
	s_cselect_b32 s45, s45, -1
	s_cmp_lg_u32 s45, 0
	s_cselect_b32 s23, s44, s23
	s_cselect_b32 s22, s25, s22
	s_cmp_ge_u32 s20, s49
	s_cselect_b32 s25, -1, 0
	s_cmp_eq_u32 s21, 0
	s_cselect_b32 s25, s25, -1
	s_cmp_lg_u32 s25, 0
	s_cselect_b32 s21, s23, s21
	s_cselect_b32 s20, s22, s20
	s_cbranch_execnz .LBB207_108
.LBB207_107:                            ;   in Loop: Header=BB207_12 Depth=1
	v_cvt_f32_u32_e32 v2, s49
	s_sub_i32 s21, 0, s49
	v_rcp_iflag_f32_e32 v2, v2
	v_mul_f32_e32 v2, 0x4f7ffffe, v2
	v_cvt_u32_f32_e32 v2, v2
	v_readfirstlane_b32 s20, v2
	s_mul_i32 s21, s21, s20
	s_mul_hi_u32 s21, s20, s21
	s_add_i32 s20, s20, s21
	s_mul_hi_u32 s20, s84, s20
	s_mul_i32 s20, s20, s49
	s_sub_i32 s20, s84, s20
	s_sub_i32 s21, s20, s49
	s_cmp_ge_u32 s20, s49
	s_cselect_b32 s20, s21, s20
	s_sub_i32 s21, s20, s49
	s_cmp_ge_u32 s20, s49
	s_cselect_b32 s58, s21, s20
	s_mov_b64 s[20:21], s[58:59]
.LBB207_108:                            ;   in Loop: Header=BB207_12 Depth=1
	s_sub_u32 s20, s84, s20
	s_subb_u32 s21, s61, s21
	s_mov_b32 s22, exec_lo
                                        ; implicit-def: $vgpr10
	v_cmpx_gt_u64_e64 s[20:21], v[0:1]
	s_cbranch_execz .LBB207_118
; %bb.109:                              ;   in Loop: Header=BB207_12 Depth=1
	v_mov_b32_e32 v5, v1
	v_mov_b32_e32 v4, v0
	s_mov_b32 s23, 0
                                        ; implicit-def: $sgpr25
	s_branch .LBB207_113
.LBB207_110:                            ;   in Loop: Header=BB207_113 Depth=2
	s_or_b32 exec_lo, exec_lo, s54
	s_waitcnt lgkmcnt(0)
	s_barrier
	buffer_gl0_inv
	ds_read_b32 v2, v3 offset:3072
	s_waitcnt lgkmcnt(0)
	s_barrier
	buffer_gl0_inv
	v_cmp_neq_f16_e32 vcc_lo, 0, v2
	s_cbranch_vccnz .LBB207_116
; %bb.111:                              ;   in Loop: Header=BB207_113 Depth=2
	v_add_co_u32 v4, vcc_lo, v4, s49
	v_add_co_ci_u32_e64 v5, null, 0, v5, vcc_lo
	s_mov_b32 s54, 0
	v_cmp_le_u64_e32 vcc_lo, s[20:21], v[4:5]
	s_orn2_b32 s55, vcc_lo, exec_lo
.LBB207_112:                            ;   in Loop: Header=BB207_113 Depth=2
	s_and_b32 s44, exec_lo, s55
	s_or_b32 s23, s44, s23
	s_andn2_b32 s25, s25, exec_lo
	s_and_b32 s44, s54, exec_lo
	s_or_b32 s25, s25, s44
	s_andn2_b32 exec_lo, exec_lo, s23
	s_cbranch_execz .LBB207_117
.LBB207_113:                            ;   Parent Loop BB207_12 Depth=1
                                        ; =>  This Inner Loop Header: Depth=2
	s_mov_b32 s54, exec_lo
	v_cmpx_gt_u64_e64 s[36:37], v[4:5]
	s_cbranch_execz .LBB207_110
; %bb.114:                              ;   in Loop: Header=BB207_113 Depth=2
	v_mul_lo_u32 v2, v5, s30
	v_mul_lo_u32 v10, v4, s31
	v_mad_u64_u32 v[6:7], null, v4, s30, 0
	v_add3_u32 v7, v7, v10, v2
	v_lshlrev_b64 v[6:7], 1, v[6:7]
	v_add_co_u32 v6, vcc_lo, s33, v6
	v_add_co_ci_u32_e64 v7, null, s35, v7, vcc_lo
	global_load_ushort v2, v[6:7], off
	s_waitcnt vmcnt(0)
	v_cmp_lt_i16_e32 vcc_lo, -1, v2
	v_cndmask_b32_e32 v6, 0xffff, v31, vcc_lo
	v_cmp_o_f16_e32 vcc_lo, v2, v2
	v_xor_b32_sdwa v6, v6, v2 dst_sel:DWORD dst_unused:UNUSED_PAD src0_sel:DWORD src1_sel:WORD_0
	v_cndmask_b32_e32 v6, 0xffff, v6, vcc_lo
	v_and_b32_e32 v6, v6, v9
	v_cmp_eq_u32_e32 vcc_lo, v6, v8
	s_and_b32 exec_lo, exec_lo, vcc_lo
	s_cbranch_execz .LBB207_110
; %bb.115:                              ;   in Loop: Header=BB207_113 Depth=2
	v_perm_b32 v2, v2, s93, 0x5040100
	ds_write_b32 v3, v2 offset:3072
	s_branch .LBB207_110
.LBB207_116:                            ;   in Loop: Header=BB207_113 Depth=2
	s_mov_b32 s55, -1
	s_mov_b32 s54, -1
                                        ; implicit-def: $vgpr4_vgpr5
	s_branch .LBB207_112
.LBB207_117:                            ;   in Loop: Header=BB207_12 Depth=1
	s_or_b32 exec_lo, exec_lo, s23
	v_lshrrev_b32_e32 v10, 16, v2
	s_andn2_b32 s20, s24, exec_lo
	s_and_b32 s21, s25, exec_lo
	s_or_b32 s24, s20, s21
.LBB207_118:                            ;   in Loop: Header=BB207_12 Depth=1
	s_or_b32 exec_lo, exec_lo, s22
	s_mov_b32 s65, 0
	s_mov_b32 s66, -1
.LBB207_119:                            ;   in Loop: Header=BB207_12 Depth=1
	s_orn2_b32 s20, s24, exec_lo
.LBB207_120:                            ;   in Loop: Header=BB207_12 Depth=1
	s_or_b32 exec_lo, exec_lo, s43
	s_mov_b32 s67, 0
	s_mov_b32 s64, 0
	;; [unrolled: 1-line block ×3, first 2 shown]
                                        ; implicit-def: $vgpr4_vgpr5
                                        ; implicit-def: $vgpr2
	s_and_saveexec_b32 s68, s20
	s_cbranch_execz .LBB207_284
; %bb.121:                              ;   in Loop: Header=BB207_12 Depth=1
	v_mov_b32_e32 v4, 1
	v_mov_b32_e32 v5, 0
	;; [unrolled: 1-line block ×3, first 2 shown]
	s_xor_b32 s20, s6, -1
	s_mov_b32 s21, 0
	s_and_saveexec_b32 s6, s20
	s_cbranch_execz .LBB207_130
; %bb.122:                              ;   in Loop: Header=BB207_12 Depth=1
	s_mov_b32 s20, exec_lo
	v_cmpx_ge_u64_e64 s[12:13], v[19:20]
	s_xor_b32 s20, exec_lo, s20
	s_cbranch_execz .LBB207_127
; %bb.123:                              ;   in Loop: Header=BB207_12 Depth=1
	ds_read_b64 v[4:5], v3 offset:5120
	v_and_b32_e32 v8, s26, v8
	v_or_b32_e32 v9, s11, v9
	s_waitcnt lgkmcnt(0)
	v_cmp_ne_u64_e32 vcc_lo, 0, v[4:5]
	s_cbranch_vccnz .LBB207_127
; %bb.124:                              ;   in Loop: Header=BB207_12 Depth=1
	s_and_saveexec_b32 s21, s3
; %bb.125:                              ;   in Loop: Header=BB207_12 Depth=1
	v_mov_b32_e32 v4, s12
	v_mov_b32_e32 v5, s13
	ds_write_b64 v3, v[4:5] offset:5128
; %bb.126:                              ;   in Loop: Header=BB207_12 Depth=1
	s_or_b32 exec_lo, exec_lo, s21
	s_waitcnt lgkmcnt(0)
	s_barrier
	buffer_gl0_inv
.LBB207_127:                            ;   in Loop: Header=BB207_12 Depth=1
	s_or_saveexec_b32 s20, s20
	v_mov_b32_e32 v4, v19
	v_mov_b32_e32 v2, 8
	v_mov_b32_e32 v5, v20
	s_mov_b32 s21, 0
	s_xor_b32 exec_lo, exec_lo, s20
; %bb.128:                              ;   in Loop: Header=BB207_12 Depth=1
	v_sub_co_u32 v4, vcc_lo, v19, s12
	v_subrev_co_ci_u32_e64 v5, null, s13, v20, vcc_lo
	v_mov_b32_e32 v2, 0
	s_mov_b32 s21, exec_lo
; %bb.129:                              ;   in Loop: Header=BB207_12 Depth=1
	s_or_b32 exec_lo, exec_lo, s20
	s_and_b32 s21, s21, exec_lo
.LBB207_130:                            ;   in Loop: Header=BB207_12 Depth=1
	s_or_b32 exec_lo, exec_lo, s6
	s_mov_b32 s20, -1
                                        ; implicit-def: $sgpr43
                                        ; implicit-def: $sgpr64
	s_and_saveexec_b32 s6, s21
	s_xor_b32 s6, exec_lo, s6
	s_cbranch_execz .LBB207_281
; %bb.131:                              ;   in Loop: Header=BB207_12 Depth=1
	v_cmp_eq_u64_e32 vcc_lo, 1, v[4:5]
	s_cmp_eq_u64 s[14:15], 1
                                        ; implicit-def: $sgpr64
                                        ; implicit-def: $sgpr43
	s_cselect_b32 s20, -1, 0
	s_and_b32 s70, s20, vcc_lo
	s_mov_b32 s20, -1
	s_and_saveexec_b32 s69, s70
	s_cbranch_execz .LBB207_167
; %bb.132:                              ;   in Loop: Header=BB207_12 Depth=1
	ds_read_b64 v[6:7], v3 offset:5120
	s_waitcnt lgkmcnt(0)
	s_barrier
	buffer_gl0_inv
	v_readfirstlane_b32 s20, v6
	v_readfirstlane_b32 s21, v7
	s_and_saveexec_b32 s22, s10
; %bb.133:                              ;   in Loop: Header=BB207_12 Depth=1
	ds_write_b16 v26, v3
; %bb.134:                              ;   in Loop: Header=BB207_12 Depth=1
	s_or_b32 exec_lo, exec_lo, s22
	s_lshl_b32 s22, 1, s91
	v_or_b32_e32 v9, s11, v9
	v_and_or_b32 v8, v8, s26, s22
	s_mov_b32 s43, -1
	s_mov_b32 s64, 0
	s_cmp_eq_u64 s[20:21], 0
	s_mov_b32 s24, 0
	s_mov_b32 s25, -1
	s_waitcnt lgkmcnt(0)
	s_barrier
	buffer_gl0_inv
                                        ; implicit-def: $vgpr10
	s_cbranch_scc1 .LBB207_151
; %bb.135:                              ;   in Loop: Header=BB207_12 Depth=1
	s_add_u32 s60, s20, s82
	s_addc_u32 s23, s21, s83
	s_mov_b32 s22, s59
	s_cmp_lg_u64 s[22:23], 0
	s_cbranch_scc0 .LBB207_194
; %bb.136:                              ;   in Loop: Header=BB207_12 Depth=1
	v_cvt_f32_u32_e32 v6, s49
	s_sub_u32 s25, 0, s49
	s_subb_u32 s54, 0, 0
	v_fmac_f32_e64 v6, 0x4f800000, 0
	v_rcp_f32_e32 v6, v6
	v_mul_f32_e32 v6, 0x5f7ffffc, v6
	v_mul_f32_e32 v7, 0x2f800000, v6
	v_trunc_f32_e32 v7, v7
	v_fmac_f32_e32 v6, 0xcf800000, v7
	v_cvt_u32_f32_e32 v7, v7
	v_cvt_u32_f32_e32 v6, v6
	v_readfirstlane_b32 s22, v7
	v_readfirstlane_b32 s24, v6
	s_mul_i32 s55, s25, s22
	s_mul_hi_u32 s71, s25, s24
	s_mul_i32 s58, s54, s24
	s_add_i32 s55, s71, s55
	s_mul_i32 s72, s25, s24
	s_add_i32 s55, s55, s58
	s_mul_hi_u32 s71, s24, s72
	s_mul_i32 s74, s24, s55
	s_mul_hi_u32 s73, s22, s72
	s_mul_i32 s58, s22, s72
	s_mul_hi_u32 s72, s24, s55
	s_add_u32 s71, s71, s74
	s_addc_u32 s72, 0, s72
	s_mul_hi_u32 s75, s22, s55
	s_add_u32 s58, s71, s58
	s_mul_i32 s55, s22, s55
	s_addc_u32 s58, s72, s73
	s_addc_u32 s71, s75, 0
	s_add_u32 s55, s58, s55
	s_addc_u32 s58, 0, s71
	s_add_u32 s24, s24, s55
	s_cselect_b32 s55, -1, 0
	s_mul_hi_u32 s71, s25, s24
	s_cmp_lg_u32 s55, 0
	s_mul_i32 s55, s25, s24
	s_addc_u32 s22, s22, s58
	s_mul_i32 s54, s54, s24
	s_mul_i32 s25, s25, s22
	s_mul_hi_u32 s58, s24, s55
	s_add_i32 s25, s71, s25
	s_mul_hi_u32 s71, s22, s55
	s_add_i32 s25, s25, s54
	s_mul_i32 s54, s22, s55
	s_mul_i32 s73, s24, s25
	s_mul_hi_u32 s72, s24, s25
	s_add_u32 s58, s58, s73
	s_addc_u32 s72, 0, s72
	s_mul_hi_u32 s55, s22, s25
	s_add_u32 s54, s58, s54
	s_mul_i32 s25, s22, s25
	s_addc_u32 s54, s72, s71
	s_addc_u32 s55, s55, 0
	s_add_u32 s25, s54, s25
	s_addc_u32 s54, 0, s55
	s_add_u32 s24, s24, s25
	s_cselect_b32 s25, -1, 0
	s_mul_hi_u32 s55, s60, s24
	s_cmp_lg_u32 s25, 0
	s_mul_hi_u32 s25, s23, s24
	s_addc_u32 s22, s22, s54
	s_mul_i32 s24, s23, s24
	s_mul_i32 s58, s60, s22
	s_mul_hi_u32 s54, s60, s22
	s_add_u32 s55, s55, s58
	s_addc_u32 s54, 0, s54
	s_mul_hi_u32 s71, s23, s22
	s_add_u32 s24, s55, s24
	s_mul_i32 s22, s23, s22
	s_addc_u32 s24, s54, s25
	s_addc_u32 s25, s71, 0
	s_add_u32 s22, s24, s22
	s_addc_u32 s24, 0, s25
	s_mul_hi_u32 s25, s49, s22
	s_mul_i32 s24, s49, s24
	s_mul_i32 s22, s49, s22
	s_add_i32 s25, s25, s24
	s_sub_u32 s22, s60, s22
	s_cselect_b32 s24, -1, 0
	s_cmp_lg_u32 s24, 0
	s_subb_u32 s24, s23, s25
	s_sub_u32 s25, s22, s49
	s_cselect_b32 s54, -1, 0
	s_cmp_lg_u32 s54, 0
	s_subb_u32 s54, s24, 0
	s_sub_u32 s55, s25, s49
	s_cselect_b32 s58, -1, 0
	s_cmp_lg_u32 s58, 0
	s_subb_u32 s58, s54, 0
	s_cmp_ge_u32 s25, s49
	s_cselect_b32 s71, -1, 0
	s_cmp_eq_u32 s54, 0
	s_cselect_b32 s71, s71, -1
	s_cmp_lg_u32 s71, 0
	s_cselect_b32 s54, s58, s54
	s_cselect_b32 s55, s55, s25
	s_cmp_ge_u32 s22, s49
	s_cselect_b32 s25, -1, 0
	s_cmp_eq_u32 s24, 0
	s_cselect_b32 s25, s25, -1
	s_cmp_lg_u32 s25, 0
	s_cselect_b32 s25, s54, s24
	s_cselect_b32 s24, s55, s22
	s_cbranch_execnz .LBB207_138
.LBB207_137:                            ;   in Loop: Header=BB207_12 Depth=1
	v_cvt_f32_u32_e32 v6, s49
	s_sub_i32 s24, 0, s49
	v_rcp_iflag_f32_e32 v6, v6
	v_mul_f32_e32 v6, 0x4f7ffffe, v6
	v_cvt_u32_f32_e32 v6, v6
	v_readfirstlane_b32 s22, v6
	s_mul_i32 s24, s24, s22
	s_mul_hi_u32 s24, s22, s24
	s_add_i32 s22, s22, s24
	s_mul_hi_u32 s22, s60, s22
	s_mul_i32 s22, s22, s49
	s_sub_i32 s22, s60, s22
	s_sub_i32 s24, s22, s49
	s_cmp_ge_u32 s22, s49
	s_cselect_b32 s22, s24, s22
	s_sub_i32 s24, s22, s49
	s_cmp_ge_u32 s22, s49
	s_cselect_b32 s58, s24, s22
	s_mov_b64 s[24:25], s[58:59]
.LBB207_138:                            ;   in Loop: Header=BB207_12 Depth=1
	s_sub_u32 s22, s60, s24
	s_subb_u32 s23, s23, s25
	s_mov_b32 s25, 0
	s_mov_b32 s24, 0
	s_mov_b32 s54, exec_lo
                                        ; implicit-def: $vgpr10
	v_cmpx_gt_u64_e64 s[22:23], v[0:1]
	s_cbranch_execz .LBB207_150
; %bb.139:                              ;   in Loop: Header=BB207_12 Depth=1
	v_mov_b32_e32 v7, v1
	v_mov_b32_e32 v10, v25
	;; [unrolled: 1-line block ×3, first 2 shown]
                                        ; implicit-def: $sgpr55
	s_branch .LBB207_143
.LBB207_140:                            ;   in Loop: Header=BB207_143 Depth=2
	s_or_b32 exec_lo, exec_lo, s58
	s_waitcnt lgkmcnt(0)
	s_barrier
	buffer_gl0_inv
	ds_read_b32 v11, v3 offset:3072
	s_waitcnt lgkmcnt(0)
	s_barrier
	buffer_gl0_inv
	v_cmp_neq_f16_e32 vcc_lo, 0, v11
	s_cbranch_vccnz .LBB207_146
; %bb.141:                              ;   in Loop: Header=BB207_143 Depth=2
	v_add_co_u32 v6, vcc_lo, v6, s49
	v_add_co_ci_u32_e64 v7, null, 0, v7, vcc_lo
	v_add_nc_u32_e32 v10, s90, v10
	s_mov_b32 s58, 0
	v_cmp_le_u64_e32 vcc_lo, s[22:23], v[6:7]
	s_orn2_b32 s60, vcc_lo, exec_lo
.LBB207_142:                            ;   in Loop: Header=BB207_143 Depth=2
	s_and_b32 s44, exec_lo, s60
	s_or_b32 s24, s44, s24
	s_andn2_b32 s44, s55, exec_lo
	s_and_b32 s45, s58, exec_lo
	s_or_b32 s55, s44, s45
	s_andn2_b32 exec_lo, exec_lo, s24
	s_cbranch_execz .LBB207_149
.LBB207_143:                            ;   Parent Loop BB207_12 Depth=1
                                        ; =>  This Inner Loop Header: Depth=2
	s_mov_b32 s58, exec_lo
	v_cmpx_gt_u64_e64 s[20:21], v[6:7]
	s_cbranch_execz .LBB207_140
; %bb.144:                              ;   in Loop: Header=BB207_143 Depth=2
	ds_read_u16 v11, v10
	s_waitcnt lgkmcnt(0)
	v_cmp_lt_i16_e32 vcc_lo, -1, v11
	v_cndmask_b32_e32 v21, 0xffff, v31, vcc_lo
	v_cmp_o_f16_e32 vcc_lo, v11, v11
	v_xor_b32_sdwa v21, v21, v11 dst_sel:DWORD dst_unused:UNUSED_PAD src0_sel:DWORD src1_sel:WORD_0
	v_cndmask_b32_e32 v21, 0xffff, v21, vcc_lo
	v_and_b32_e32 v21, v21, v9
	v_cmp_eq_u32_e32 vcc_lo, v21, v8
	s_and_b32 exec_lo, exec_lo, vcc_lo
	s_cbranch_execz .LBB207_140
; %bb.145:                              ;   in Loop: Header=BB207_143 Depth=2
	v_perm_b32 v11, v11, s93, 0x5040100
	ds_write_b32 v3, v11 offset:3072
	s_branch .LBB207_140
.LBB207_146:                            ;   in Loop: Header=BB207_143 Depth=2
	s_mov_b32 s60, -1
	s_mov_b32 s58, -1
                                        ; implicit-def: $vgpr6_vgpr7
                                        ; implicit-def: $vgpr10
	s_branch .LBB207_142
.LBB207_147:                            ;   in Loop: Header=BB207_12 Depth=1
                                        ; implicit-def: $sgpr24_sgpr25
	s_branch .LBB207_89
.LBB207_148:                            ;   in Loop: Header=BB207_12 Depth=1
                                        ; implicit-def: $sgpr20_sgpr21
	s_branch .LBB207_107
.LBB207_149:                            ;   in Loop: Header=BB207_12 Depth=1
	s_or_b32 exec_lo, exec_lo, s24
	v_lshrrev_b32_e32 v10, 16, v11
	s_and_b32 s24, s55, exec_lo
.LBB207_150:                            ;   in Loop: Header=BB207_12 Depth=1
	s_or_b32 exec_lo, exec_lo, s54
.LBB207_151:                            ;   in Loop: Header=BB207_12 Depth=1
	s_and_b32 vcc_lo, exec_lo, s25
	s_cbranch_vccz .LBB207_166
; %bb.152:                              ;   in Loop: Header=BB207_12 Depth=1
	s_mov_b32 s60, s59
	s_cmp_lg_u64 s[60:61], 0
	s_cbranch_scc0 .LBB207_195
; %bb.153:                              ;   in Loop: Header=BB207_12 Depth=1
	v_cvt_f32_u32_e32 v6, s49
	s_sub_u32 s22, 0, s49
	s_subb_u32 s23, 0, 0
	v_fmac_f32_e64 v6, 0x4f800000, 0
	v_rcp_f32_e32 v6, v6
	v_mul_f32_e32 v6, 0x5f7ffffc, v6
	v_mul_f32_e32 v7, 0x2f800000, v6
	v_trunc_f32_e32 v7, v7
	v_fmac_f32_e32 v6, 0xcf800000, v7
	v_cvt_u32_f32_e32 v7, v7
	v_cvt_u32_f32_e32 v6, v6
	v_readfirstlane_b32 s20, v7
	v_readfirstlane_b32 s21, v6
	s_mul_i32 s25, s22, s20
	s_mul_hi_u32 s54, s22, s21
	s_mul_i32 s43, s23, s21
	s_add_i32 s25, s54, s25
	s_mul_i32 s55, s22, s21
	s_add_i32 s25, s25, s43
	s_mul_hi_u32 s54, s21, s55
	s_mul_i32 s60, s21, s25
	s_mul_hi_u32 s58, s20, s55
	s_mul_i32 s43, s20, s55
	s_mul_hi_u32 s55, s21, s25
	s_add_u32 s54, s54, s60
	s_addc_u32 s55, 0, s55
	s_mul_hi_u32 s64, s20, s25
	s_add_u32 s43, s54, s43
	s_mul_i32 s25, s20, s25
	s_addc_u32 s43, s55, s58
	s_addc_u32 s54, s64, 0
	s_add_u32 s25, s43, s25
	s_addc_u32 s43, 0, s54
	s_add_u32 s21, s21, s25
	s_cselect_b32 s25, -1, 0
	s_mul_hi_u32 s54, s22, s21
	s_cmp_lg_u32 s25, 0
	s_mul_i32 s25, s22, s21
	s_addc_u32 s20, s20, s43
	s_mul_i32 s23, s23, s21
	s_mul_i32 s22, s22, s20
	s_mul_hi_u32 s43, s21, s25
	s_add_i32 s22, s54, s22
	s_mul_hi_u32 s54, s20, s25
	s_add_i32 s22, s22, s23
	s_mul_i32 s23, s20, s25
	s_mul_i32 s58, s21, s22
	s_mul_hi_u32 s55, s21, s22
	s_add_u32 s43, s43, s58
	s_addc_u32 s55, 0, s55
	s_mul_hi_u32 s25, s20, s22
	s_add_u32 s23, s43, s23
	s_mul_i32 s22, s20, s22
	s_addc_u32 s23, s55, s54
	s_addc_u32 s25, s25, 0
	s_add_u32 s22, s23, s22
	s_addc_u32 s23, 0, s25
	s_add_u32 s21, s21, s22
	s_cselect_b32 s22, -1, 0
	s_mul_hi_u32 s25, s84, s21
	s_cmp_lg_u32 s22, 0
	s_mul_hi_u32 s22, s61, s21
	s_addc_u32 s20, s20, s23
	s_mul_i32 s21, s61, s21
	s_mul_i32 s43, s84, s20
	s_mul_hi_u32 s23, s84, s20
	s_add_u32 s25, s25, s43
	s_addc_u32 s23, 0, s23
	s_mul_hi_u32 s54, s61, s20
	s_add_u32 s21, s25, s21
	s_mul_i32 s20, s61, s20
	s_addc_u32 s21, s23, s22
	s_addc_u32 s22, s54, 0
	s_add_u32 s20, s21, s20
	s_addc_u32 s21, 0, s22
	s_mul_hi_u32 s22, s49, s20
	s_mul_i32 s21, s49, s21
	s_mul_i32 s20, s49, s20
	s_add_i32 s22, s22, s21
	s_sub_u32 s20, s84, s20
	s_cselect_b32 s21, -1, 0
	s_cmp_lg_u32 s21, 0
	s_subb_u32 s21, s61, s22
	s_sub_u32 s22, s20, s49
	s_cselect_b32 s23, -1, 0
	s_cmp_lg_u32 s23, 0
	s_subb_u32 s23, s21, 0
	;; [unrolled: 4-line block ×3, first 2 shown]
	s_cmp_ge_u32 s22, s49
	s_cselect_b32 s54, -1, 0
	s_cmp_eq_u32 s23, 0
	s_cselect_b32 s54, s54, -1
	s_cmp_lg_u32 s54, 0
	s_cselect_b32 s23, s43, s23
	s_cselect_b32 s22, s25, s22
	s_cmp_ge_u32 s20, s49
	s_cselect_b32 s25, -1, 0
	s_cmp_eq_u32 s21, 0
	s_cselect_b32 s25, s25, -1
	s_cmp_lg_u32 s25, 0
	s_cselect_b32 s21, s23, s21
	s_cselect_b32 s20, s22, s20
	s_cbranch_execnz .LBB207_155
.LBB207_154:                            ;   in Loop: Header=BB207_12 Depth=1
	v_cvt_f32_u32_e32 v6, s49
	s_sub_i32 s21, 0, s49
	v_rcp_iflag_f32_e32 v6, v6
	v_mul_f32_e32 v6, 0x4f7ffffe, v6
	v_cvt_u32_f32_e32 v6, v6
	v_readfirstlane_b32 s20, v6
	s_mul_i32 s21, s21, s20
	s_mul_hi_u32 s21, s20, s21
	s_add_i32 s20, s20, s21
	s_mul_hi_u32 s20, s84, s20
	s_mul_i32 s20, s20, s49
	s_sub_i32 s20, s84, s20
	s_sub_i32 s21, s20, s49
	s_cmp_ge_u32 s20, s49
	s_cselect_b32 s20, s21, s20
	s_sub_i32 s21, s20, s49
	s_cmp_ge_u32 s20, s49
	s_cselect_b32 s58, s21, s20
	s_mov_b64 s[20:21], s[58:59]
.LBB207_155:                            ;   in Loop: Header=BB207_12 Depth=1
	s_sub_u32 s20, s84, s20
	s_subb_u32 s21, s61, s21
	s_mov_b32 s22, exec_lo
                                        ; implicit-def: $vgpr10
	v_cmpx_gt_u64_e64 s[20:21], v[0:1]
	s_cbranch_execz .LBB207_165
; %bb.156:                              ;   in Loop: Header=BB207_12 Depth=1
	v_mov_b32_e32 v7, v1
	v_mov_b32_e32 v6, v0
	s_mov_b32 s23, 0
                                        ; implicit-def: $sgpr25
	s_branch .LBB207_160
.LBB207_157:                            ;   in Loop: Header=BB207_160 Depth=2
	s_or_b32 exec_lo, exec_lo, s43
	s_waitcnt lgkmcnt(0)
	s_barrier
	buffer_gl0_inv
	ds_read_b32 v10, v3 offset:3072
	s_waitcnt lgkmcnt(0)
	s_barrier
	buffer_gl0_inv
	v_cmp_eq_f16_e32 vcc_lo, 0, v10
	s_cbranch_vccz .LBB207_163
; %bb.158:                              ;   in Loop: Header=BB207_160 Depth=2
	v_add_co_u32 v6, vcc_lo, v6, s49
	v_add_co_ci_u32_e64 v7, null, 0, v7, vcc_lo
	s_mov_b32 s43, 0
	v_cmp_le_u64_e32 vcc_lo, s[20:21], v[6:7]
	s_orn2_b32 s54, vcc_lo, exec_lo
.LBB207_159:                            ;   in Loop: Header=BB207_160 Depth=2
	s_and_b32 s44, exec_lo, s54
	s_or_b32 s23, s44, s23
	s_andn2_b32 s25, s25, exec_lo
	s_and_b32 s43, s43, exec_lo
	s_or_b32 s25, s25, s43
	s_andn2_b32 exec_lo, exec_lo, s23
	s_cbranch_execz .LBB207_164
.LBB207_160:                            ;   Parent Loop BB207_12 Depth=1
                                        ; =>  This Inner Loop Header: Depth=2
	s_mov_b32 s43, exec_lo
	v_cmpx_gt_u64_e64 s[36:37], v[6:7]
	s_cbranch_execz .LBB207_157
; %bb.161:                              ;   in Loop: Header=BB207_160 Depth=2
	v_mul_lo_u32 v21, v7, s30
	v_mul_lo_u32 v22, v6, s31
	v_mad_u64_u32 v[10:11], null, v6, s30, 0
	v_add3_u32 v11, v11, v22, v21
	v_lshlrev_b64 v[10:11], 1, v[10:11]
	v_add_co_u32 v10, vcc_lo, s33, v10
	v_add_co_ci_u32_e64 v11, null, s35, v11, vcc_lo
	global_load_ushort v10, v[10:11], off
	s_waitcnt vmcnt(0)
	v_cmp_lt_i16_e32 vcc_lo, -1, v10
	v_cndmask_b32_e32 v11, 0xffff, v31, vcc_lo
	v_cmp_o_f16_e32 vcc_lo, v10, v10
	v_xor_b32_sdwa v11, v11, v10 dst_sel:DWORD dst_unused:UNUSED_PAD src0_sel:DWORD src1_sel:WORD_0
	v_cndmask_b32_e32 v11, 0xffff, v11, vcc_lo
	v_and_b32_e32 v11, v11, v9
	v_cmp_eq_u32_e32 vcc_lo, v11, v8
	s_and_b32 exec_lo, exec_lo, vcc_lo
	s_cbranch_execz .LBB207_157
; %bb.162:                              ;   in Loop: Header=BB207_160 Depth=2
	v_perm_b32 v10, v10, s93, 0x5040100
	ds_write_b32 v3, v10 offset:3072
	s_branch .LBB207_157
.LBB207_163:                            ;   in Loop: Header=BB207_160 Depth=2
	s_mov_b32 s54, -1
	s_mov_b32 s43, -1
                                        ; implicit-def: $vgpr6_vgpr7
	s_branch .LBB207_159
.LBB207_164:                            ;   in Loop: Header=BB207_12 Depth=1
	s_or_b32 exec_lo, exec_lo, s23
	v_lshrrev_b32_e32 v10, 16, v10
	s_andn2_b32 s20, s24, exec_lo
	s_and_b32 s21, s25, exec_lo
	s_or_b32 s24, s20, s21
.LBB207_165:                            ;   in Loop: Header=BB207_12 Depth=1
	s_or_b32 exec_lo, exec_lo, s22
	s_mov_b32 s43, 0
	s_mov_b32 s64, -1
.LBB207_166:                            ;   in Loop: Header=BB207_12 Depth=1
	s_orn2_b32 s20, s24, exec_lo
.LBB207_167:                            ;   in Loop: Header=BB207_12 Depth=1
	s_or_b32 exec_lo, exec_lo, s69
	s_mov_b32 s21, 0
	s_and_saveexec_b32 s69, s20
	s_cbranch_execz .LBB207_280
; %bb.168:                              ;   in Loop: Header=BB207_12 Depth=1
	v_mov_b32_e32 v6, 1
	v_mov_b32_e32 v7, 0
	;; [unrolled: 1-line block ×3, first 2 shown]
	s_xor_b32 s22, s70, -1
	s_and_saveexec_b32 s20, s22
	s_cbranch_execz .LBB207_177
; %bb.169:                              ;   in Loop: Header=BB207_12 Depth=1
	s_mov_b32 s21, exec_lo
	v_cmpx_ge_u64_e64 s[14:15], v[4:5]
	s_xor_b32 s21, exec_lo, s21
	s_cbranch_execz .LBB207_174
; %bb.170:                              ;   in Loop: Header=BB207_12 Depth=1
	ds_read_b64 v[6:7], v3 offset:5120
	s_lshl_b32 s22, 1, s91
	v_or_b32_e32 v9, s11, v9
	v_and_or_b32 v8, v8, s26, s22
	s_waitcnt lgkmcnt(0)
	v_cmp_ne_u64_e32 vcc_lo, 0, v[6:7]
	s_cbranch_vccnz .LBB207_174
; %bb.171:                              ;   in Loop: Header=BB207_12 Depth=1
	s_and_saveexec_b32 s22, s3
; %bb.172:                              ;   in Loop: Header=BB207_12 Depth=1
	v_mov_b32_e32 v6, s14
	v_mov_b32_e32 v7, s15
	ds_write_b64 v3, v[6:7] offset:5128
; %bb.173:                              ;   in Loop: Header=BB207_12 Depth=1
	s_or_b32 exec_lo, exec_lo, s22
	s_waitcnt lgkmcnt(0)
	s_barrier
	buffer_gl0_inv
.LBB207_174:                            ;   in Loop: Header=BB207_12 Depth=1
	s_or_saveexec_b32 s21, s21
	v_mov_b32_e32 v2, 8
	s_mov_b32 s22, 0
	s_xor_b32 exec_lo, exec_lo, s21
; %bb.175:                              ;   in Loop: Header=BB207_12 Depth=1
	v_sub_co_u32 v4, vcc_lo, v4, s14
	v_subrev_co_ci_u32_e64 v5, null, s15, v5, vcc_lo
	v_mov_b32_e32 v2, 0
	s_mov_b32 s22, exec_lo
; %bb.176:                              ;   in Loop: Header=BB207_12 Depth=1
	s_or_b32 exec_lo, exec_lo, s21
	v_mov_b32_e32 v7, v5
	v_mov_b32_e32 v6, v4
	s_and_b32 s21, s22, exec_lo
.LBB207_177:                            ;   in Loop: Header=BB207_12 Depth=1
	s_or_b32 exec_lo, exec_lo, s20
	s_mov_b32 s20, -1
                                        ; implicit-def: $sgpr71
                                        ; implicit-def: $sgpr72
	s_and_saveexec_b32 s70, s21
	s_cbranch_execz .LBB207_279
; %bb.178:                              ;   in Loop: Header=BB207_12 Depth=1
	v_cmp_eq_u64_e32 vcc_lo, 1, v[6:7]
	s_cmp_eq_u64 s[16:17], 1
                                        ; implicit-def: $sgpr72
                                        ; implicit-def: $sgpr71
	s_cselect_b32 s20, -1, 0
	s_and_b32 s74, s20, vcc_lo
	s_mov_b32 s20, -1
	s_and_saveexec_b32 s73, s74
	s_cbranch_execz .LBB207_214
; %bb.179:                              ;   in Loop: Header=BB207_12 Depth=1
	ds_read_b64 v[4:5], v3 offset:5120
	s_waitcnt lgkmcnt(0)
	s_barrier
	buffer_gl0_inv
	v_readfirstlane_b32 s20, v4
	v_readfirstlane_b32 s21, v5
	s_and_saveexec_b32 s22, s10
; %bb.180:                              ;   in Loop: Header=BB207_12 Depth=1
	ds_write_b16 v26, v3
; %bb.181:                              ;   in Loop: Header=BB207_12 Depth=1
	s_or_b32 exec_lo, exec_lo, s22
	s_lshl_b32 s22, 2, s91
	v_or_b32_e32 v9, s11, v9
	v_and_or_b32 v8, v8, s26, s22
	s_mov_b32 s71, -1
	s_mov_b32 s72, 0
	s_cmp_eq_u64 s[20:21], 0
	s_mov_b32 s24, 0
	s_mov_b32 s25, -1
	s_waitcnt lgkmcnt(0)
	s_barrier
	buffer_gl0_inv
                                        ; implicit-def: $vgpr10
	s_cbranch_scc1 .LBB207_198
; %bb.182:                              ;   in Loop: Header=BB207_12 Depth=1
	s_add_u32 s60, s20, s82
	s_addc_u32 s23, s21, s83
	s_mov_b32 s22, s59
	s_cmp_lg_u64 s[22:23], 0
	s_cbranch_scc0 .LBB207_231
; %bb.183:                              ;   in Loop: Header=BB207_12 Depth=1
	v_cvt_f32_u32_e32 v4, s49
	s_sub_u32 s25, 0, s49
	s_subb_u32 s54, 0, 0
	v_fmac_f32_e64 v4, 0x4f800000, 0
	v_rcp_f32_e32 v4, v4
	v_mul_f32_e32 v4, 0x5f7ffffc, v4
	v_mul_f32_e32 v5, 0x2f800000, v4
	v_trunc_f32_e32 v5, v5
	v_fmac_f32_e32 v4, 0xcf800000, v5
	v_cvt_u32_f32_e32 v5, v5
	v_cvt_u32_f32_e32 v4, v4
	v_readfirstlane_b32 s22, v5
	v_readfirstlane_b32 s24, v4
	s_mul_i32 s55, s25, s22
	s_mul_hi_u32 s75, s25, s24
	s_mul_i32 s58, s54, s24
	s_add_i32 s55, s75, s55
	s_mul_i32 s76, s25, s24
	s_add_i32 s55, s55, s58
	s_mul_hi_u32 s75, s24, s76
	s_mul_i32 vcc_lo, s24, s55
	s_mul_hi_u32 s77, s22, s76
	s_mul_i32 s58, s22, s76
	s_mul_hi_u32 s76, s24, s55
	s_add_u32 s57, s75, vcc_lo
	s_addc_u32 s75, 0, s76
	s_mul_hi_u32 s56, s22, s55
	s_add_u32 s57, s57, s58
	s_mul_i32 s55, s22, s55
	s_addc_u32 s57, s75, s77
	s_addc_u32 s56, s56, 0
	s_add_u32 s55, s57, s55
	s_addc_u32 s56, 0, s56
	s_add_u32 s24, s24, s55
	s_cselect_b32 s55, -1, 0
	s_mul_hi_u32 s57, s25, s24
	s_cmp_lg_u32 s55, 0
	s_mul_i32 s55, s25, s24
	s_addc_u32 s22, s22, s56
	s_mul_i32 s54, s54, s24
	s_mul_i32 s25, s25, s22
	s_mul_hi_u32 s56, s24, s55
	s_add_i32 s25, s57, s25
	s_mul_hi_u32 s57, s22, s55
	s_add_i32 s25, s25, s54
	s_mul_i32 s54, s22, s55
	s_mul_i32 s75, s24, s25
	s_mul_hi_u32 s58, s24, s25
	s_add_u32 s56, s56, s75
	s_addc_u32 s58, 0, s58
	s_mul_hi_u32 s55, s22, s25
	s_add_u32 s54, s56, s54
	s_mul_i32 s25, s22, s25
	s_addc_u32 s54, s58, s57
	s_addc_u32 s55, s55, 0
	s_add_u32 s25, s54, s25
	s_addc_u32 s54, 0, s55
	s_add_u32 s24, s24, s25
	s_cselect_b32 s25, -1, 0
	s_mul_hi_u32 s55, s60, s24
	s_cmp_lg_u32 s25, 0
	s_mul_hi_u32 s25, s23, s24
	s_addc_u32 s22, s22, s54
	s_mul_i32 s24, s23, s24
	s_mul_i32 s56, s60, s22
	s_mul_hi_u32 s54, s60, s22
	s_add_u32 s55, s55, s56
	s_addc_u32 s54, 0, s54
	s_mul_hi_u32 s57, s23, s22
	s_add_u32 s24, s55, s24
	s_mul_i32 s22, s23, s22
	s_addc_u32 s24, s54, s25
	s_addc_u32 s25, s57, 0
	s_add_u32 s22, s24, s22
	s_addc_u32 s24, 0, s25
	s_mul_hi_u32 s25, s49, s22
	s_mul_i32 s24, s49, s24
	s_mul_i32 s22, s49, s22
	s_add_i32 s25, s25, s24
	s_sub_u32 s22, s60, s22
	s_cselect_b32 s24, -1, 0
	s_cmp_lg_u32 s24, 0
	s_subb_u32 s24, s23, s25
	s_sub_u32 s25, s22, s49
	s_cselect_b32 s54, -1, 0
	s_cmp_lg_u32 s54, 0
	s_subb_u32 s54, s24, 0
	;; [unrolled: 4-line block ×3, first 2 shown]
	s_cmp_ge_u32 s25, s49
	s_cselect_b32 s57, -1, 0
	s_cmp_eq_u32 s54, 0
	s_cselect_b32 s57, s57, -1
	s_cmp_lg_u32 s57, 0
	s_cselect_b32 s54, s56, s54
	s_cselect_b32 s55, s55, s25
	s_cmp_ge_u32 s22, s49
	s_cselect_b32 s25, -1, 0
	s_cmp_eq_u32 s24, 0
	s_cselect_b32 s25, s25, -1
	s_cmp_lg_u32 s25, 0
	s_cselect_b32 s25, s54, s24
	s_cselect_b32 s24, s55, s22
	s_cbranch_execnz .LBB207_185
.LBB207_184:                            ;   in Loop: Header=BB207_12 Depth=1
	v_cvt_f32_u32_e32 v4, s49
	s_sub_i32 s24, 0, s49
	v_rcp_iflag_f32_e32 v4, v4
	v_mul_f32_e32 v4, 0x4f7ffffe, v4
	v_cvt_u32_f32_e32 v4, v4
	v_readfirstlane_b32 s22, v4
	s_mul_i32 s24, s24, s22
	s_mul_hi_u32 s24, s22, s24
	s_add_i32 s22, s22, s24
	s_mul_hi_u32 s22, s60, s22
	s_mul_i32 s22, s22, s49
	s_sub_i32 s22, s60, s22
	s_sub_i32 s24, s22, s49
	s_cmp_ge_u32 s22, s49
	s_cselect_b32 s22, s24, s22
	s_sub_i32 s24, s22, s49
	s_cmp_ge_u32 s22, s49
	s_cselect_b32 s58, s24, s22
	s_mov_b64 s[24:25], s[58:59]
.LBB207_185:                            ;   in Loop: Header=BB207_12 Depth=1
	s_sub_u32 s22, s60, s24
	s_subb_u32 s23, s23, s25
	s_mov_b32 s25, 0
	s_mov_b32 s24, 0
	s_mov_b32 s54, exec_lo
                                        ; implicit-def: $vgpr10
	v_cmpx_gt_u64_e64 s[22:23], v[0:1]
	s_cbranch_execz .LBB207_197
; %bb.186:                              ;   in Loop: Header=BB207_12 Depth=1
	v_mov_b32_e32 v5, v1
	v_mov_b32_e32 v10, v25
	v_mov_b32_e32 v4, v0
                                        ; implicit-def: $sgpr55
	s_branch .LBB207_190
.LBB207_187:                            ;   in Loop: Header=BB207_190 Depth=2
	s_or_b32 exec_lo, exec_lo, s58
	s_waitcnt lgkmcnt(0)
	s_barrier
	buffer_gl0_inv
	ds_read_b32 v11, v3 offset:3072
	s_waitcnt lgkmcnt(0)
	s_barrier
	buffer_gl0_inv
	v_cmp_neq_f16_e32 vcc_lo, 0, v11
	s_cbranch_vccnz .LBB207_193
; %bb.188:                              ;   in Loop: Header=BB207_190 Depth=2
	v_add_co_u32 v4, vcc_lo, v4, s49
	v_add_co_ci_u32_e64 v5, null, 0, v5, vcc_lo
	v_add_nc_u32_e32 v10, s90, v10
	s_mov_b32 s58, 0
	v_cmp_le_u64_e32 vcc_lo, s[22:23], v[4:5]
	s_orn2_b32 s60, vcc_lo, exec_lo
.LBB207_189:                            ;   in Loop: Header=BB207_190 Depth=2
	s_and_b32 s44, exec_lo, s60
	s_or_b32 s24, s44, s24
	s_andn2_b32 s44, s55, exec_lo
	s_and_b32 s45, s58, exec_lo
	s_or_b32 s55, s44, s45
	s_andn2_b32 exec_lo, exec_lo, s24
	s_cbranch_execz .LBB207_196
.LBB207_190:                            ;   Parent Loop BB207_12 Depth=1
                                        ; =>  This Inner Loop Header: Depth=2
	s_mov_b32 s58, exec_lo
	v_cmpx_gt_u64_e64 s[20:21], v[4:5]
	s_cbranch_execz .LBB207_187
; %bb.191:                              ;   in Loop: Header=BB207_190 Depth=2
	ds_read_u16 v11, v10
	s_waitcnt lgkmcnt(0)
	v_cmp_lt_i16_e32 vcc_lo, -1, v11
	v_cndmask_b32_e32 v21, 0xffff, v31, vcc_lo
	v_cmp_o_f16_e32 vcc_lo, v11, v11
	v_xor_b32_sdwa v21, v21, v11 dst_sel:DWORD dst_unused:UNUSED_PAD src0_sel:DWORD src1_sel:WORD_0
	v_cndmask_b32_e32 v21, 0xffff, v21, vcc_lo
	v_and_b32_e32 v21, v21, v9
	v_cmp_eq_u32_e32 vcc_lo, v21, v8
	s_and_b32 exec_lo, exec_lo, vcc_lo
	s_cbranch_execz .LBB207_187
; %bb.192:                              ;   in Loop: Header=BB207_190 Depth=2
	v_perm_b32 v11, v11, s93, 0x5040100
	ds_write_b32 v3, v11 offset:3072
	s_branch .LBB207_187
.LBB207_193:                            ;   in Loop: Header=BB207_190 Depth=2
	s_mov_b32 s60, -1
	s_mov_b32 s58, -1
                                        ; implicit-def: $vgpr4_vgpr5
                                        ; implicit-def: $vgpr10
	s_branch .LBB207_189
.LBB207_194:                            ;   in Loop: Header=BB207_12 Depth=1
                                        ; implicit-def: $sgpr24_sgpr25
	s_branch .LBB207_137
.LBB207_195:                            ;   in Loop: Header=BB207_12 Depth=1
                                        ; implicit-def: $sgpr20_sgpr21
	s_branch .LBB207_154
.LBB207_196:                            ;   in Loop: Header=BB207_12 Depth=1
	s_or_b32 exec_lo, exec_lo, s24
	v_lshrrev_b32_e32 v10, 16, v11
	s_and_b32 s24, s55, exec_lo
.LBB207_197:                            ;   in Loop: Header=BB207_12 Depth=1
	s_or_b32 exec_lo, exec_lo, s54
.LBB207_198:                            ;   in Loop: Header=BB207_12 Depth=1
	s_and_b32 vcc_lo, exec_lo, s25
	s_cbranch_vccz .LBB207_213
; %bb.199:                              ;   in Loop: Header=BB207_12 Depth=1
	s_mov_b32 s60, s59
	s_cmp_lg_u64 s[60:61], 0
	s_cbranch_scc0 .LBB207_232
; %bb.200:                              ;   in Loop: Header=BB207_12 Depth=1
	v_cvt_f32_u32_e32 v4, s49
	s_sub_u32 s22, 0, s49
	s_subb_u32 s23, 0, 0
	v_fmac_f32_e64 v4, 0x4f800000, 0
	v_rcp_f32_e32 v4, v4
	v_mul_f32_e32 v4, 0x5f7ffffc, v4
	v_mul_f32_e32 v5, 0x2f800000, v4
	v_trunc_f32_e32 v5, v5
	v_fmac_f32_e32 v4, 0xcf800000, v5
	v_cvt_u32_f32_e32 v5, v5
	v_cvt_u32_f32_e32 v4, v4
	v_readfirstlane_b32 s20, v5
	v_readfirstlane_b32 s21, v4
	s_mul_i32 s25, s22, s20
	s_mul_hi_u32 s55, s22, s21
	s_mul_i32 s54, s23, s21
	s_add_i32 s25, s55, s25
	s_mul_i32 s56, s22, s21
	s_add_i32 s25, s25, s54
	s_mul_hi_u32 s55, s21, s56
	s_mul_i32 s58, s21, s25
	s_mul_hi_u32 s57, s20, s56
	s_mul_i32 s54, s20, s56
	s_mul_hi_u32 s56, s21, s25
	s_add_u32 s55, s55, s58
	s_addc_u32 s56, 0, s56
	s_mul_hi_u32 s60, s20, s25
	s_add_u32 s54, s55, s54
	s_mul_i32 s25, s20, s25
	s_addc_u32 s54, s56, s57
	s_addc_u32 s55, s60, 0
	s_add_u32 s25, s54, s25
	s_addc_u32 s54, 0, s55
	s_add_u32 s21, s21, s25
	s_cselect_b32 s25, -1, 0
	s_mul_hi_u32 s55, s22, s21
	s_cmp_lg_u32 s25, 0
	s_mul_i32 s25, s22, s21
	s_addc_u32 s20, s20, s54
	s_mul_i32 s23, s23, s21
	s_mul_i32 s22, s22, s20
	s_mul_hi_u32 s54, s21, s25
	s_add_i32 s22, s55, s22
	s_mul_hi_u32 s55, s20, s25
	s_add_i32 s22, s22, s23
	s_mul_i32 s23, s20, s25
	s_mul_i32 s57, s21, s22
	s_mul_hi_u32 s56, s21, s22
	s_add_u32 s54, s54, s57
	s_addc_u32 s56, 0, s56
	s_mul_hi_u32 s25, s20, s22
	s_add_u32 s23, s54, s23
	s_mul_i32 s22, s20, s22
	s_addc_u32 s23, s56, s55
	s_addc_u32 s25, s25, 0
	s_add_u32 s22, s23, s22
	s_addc_u32 s23, 0, s25
	s_add_u32 s21, s21, s22
	s_cselect_b32 s22, -1, 0
	s_mul_hi_u32 s25, s84, s21
	s_cmp_lg_u32 s22, 0
	s_mul_hi_u32 s22, s61, s21
	s_addc_u32 s20, s20, s23
	s_mul_i32 s21, s61, s21
	s_mul_i32 s54, s84, s20
	s_mul_hi_u32 s23, s84, s20
	s_add_u32 s25, s25, s54
	s_addc_u32 s23, 0, s23
	s_mul_hi_u32 s55, s61, s20
	s_add_u32 s21, s25, s21
	s_mul_i32 s20, s61, s20
	s_addc_u32 s21, s23, s22
	s_addc_u32 s22, s55, 0
	s_add_u32 s20, s21, s20
	s_addc_u32 s21, 0, s22
	s_mul_hi_u32 s22, s49, s20
	s_mul_i32 s21, s49, s21
	s_mul_i32 s20, s49, s20
	s_add_i32 s22, s22, s21
	s_sub_u32 s20, s84, s20
	s_cselect_b32 s21, -1, 0
	s_cmp_lg_u32 s21, 0
	s_subb_u32 s21, s61, s22
	s_sub_u32 s22, s20, s49
	s_cselect_b32 s23, -1, 0
	s_cmp_lg_u32 s23, 0
	s_subb_u32 s23, s21, 0
	;; [unrolled: 4-line block ×3, first 2 shown]
	s_cmp_ge_u32 s22, s49
	s_cselect_b32 s55, -1, 0
	s_cmp_eq_u32 s23, 0
	s_cselect_b32 s55, s55, -1
	s_cmp_lg_u32 s55, 0
	s_cselect_b32 s23, s54, s23
	s_cselect_b32 s22, s25, s22
	s_cmp_ge_u32 s20, s49
	s_cselect_b32 s25, -1, 0
	s_cmp_eq_u32 s21, 0
	s_cselect_b32 s25, s25, -1
	s_cmp_lg_u32 s25, 0
	s_cselect_b32 s21, s23, s21
	s_cselect_b32 s20, s22, s20
	s_cbranch_execnz .LBB207_202
.LBB207_201:                            ;   in Loop: Header=BB207_12 Depth=1
	v_cvt_f32_u32_e32 v4, s49
	s_sub_i32 s21, 0, s49
	v_rcp_iflag_f32_e32 v4, v4
	v_mul_f32_e32 v4, 0x4f7ffffe, v4
	v_cvt_u32_f32_e32 v4, v4
	v_readfirstlane_b32 s20, v4
	s_mul_i32 s21, s21, s20
	s_mul_hi_u32 s21, s20, s21
	s_add_i32 s20, s20, s21
	s_mul_hi_u32 s20, s84, s20
	s_mul_i32 s20, s20, s49
	s_sub_i32 s20, s84, s20
	s_sub_i32 s21, s20, s49
	s_cmp_ge_u32 s20, s49
	s_cselect_b32 s20, s21, s20
	s_sub_i32 s21, s20, s49
	s_cmp_ge_u32 s20, s49
	s_cselect_b32 s58, s21, s20
	s_mov_b64 s[20:21], s[58:59]
.LBB207_202:                            ;   in Loop: Header=BB207_12 Depth=1
	s_sub_u32 s20, s84, s20
	s_subb_u32 s21, s61, s21
	s_mov_b32 s22, exec_lo
                                        ; implicit-def: $vgpr10
	v_cmpx_gt_u64_e64 s[20:21], v[0:1]
	s_cbranch_execz .LBB207_212
; %bb.203:                              ;   in Loop: Header=BB207_12 Depth=1
	v_mov_b32_e32 v5, v1
	v_mov_b32_e32 v4, v0
	s_mov_b32 s23, 0
                                        ; implicit-def: $sgpr25
	s_branch .LBB207_207
.LBB207_204:                            ;   in Loop: Header=BB207_207 Depth=2
	s_or_b32 exec_lo, exec_lo, s54
	s_waitcnt lgkmcnt(0)
	s_barrier
	buffer_gl0_inv
	ds_read_b32 v10, v3 offset:3072
	s_waitcnt lgkmcnt(0)
	s_barrier
	buffer_gl0_inv
	v_cmp_eq_f16_e32 vcc_lo, 0, v10
	s_cbranch_vccz .LBB207_210
; %bb.205:                              ;   in Loop: Header=BB207_207 Depth=2
	v_add_co_u32 v4, vcc_lo, v4, s49
	v_add_co_ci_u32_e64 v5, null, 0, v5, vcc_lo
	s_mov_b32 s54, 0
	v_cmp_le_u64_e32 vcc_lo, s[20:21], v[4:5]
	s_orn2_b32 s55, vcc_lo, exec_lo
.LBB207_206:                            ;   in Loop: Header=BB207_207 Depth=2
	s_and_b32 s44, exec_lo, s55
	s_or_b32 s23, s44, s23
	s_andn2_b32 s25, s25, exec_lo
	s_and_b32 s44, s54, exec_lo
	s_or_b32 s25, s25, s44
	s_andn2_b32 exec_lo, exec_lo, s23
	s_cbranch_execz .LBB207_211
.LBB207_207:                            ;   Parent Loop BB207_12 Depth=1
                                        ; =>  This Inner Loop Header: Depth=2
	s_mov_b32 s54, exec_lo
	v_cmpx_gt_u64_e64 s[36:37], v[4:5]
	s_cbranch_execz .LBB207_204
; %bb.208:                              ;   in Loop: Header=BB207_207 Depth=2
	v_mul_lo_u32 v21, v5, s30
	v_mul_lo_u32 v22, v4, s31
	v_mad_u64_u32 v[10:11], null, v4, s30, 0
	v_add3_u32 v11, v11, v22, v21
	v_lshlrev_b64 v[10:11], 1, v[10:11]
	v_add_co_u32 v10, vcc_lo, s33, v10
	v_add_co_ci_u32_e64 v11, null, s35, v11, vcc_lo
	global_load_ushort v10, v[10:11], off
	s_waitcnt vmcnt(0)
	v_cmp_lt_i16_e32 vcc_lo, -1, v10
	v_cndmask_b32_e32 v11, 0xffff, v31, vcc_lo
	v_cmp_o_f16_e32 vcc_lo, v10, v10
	v_xor_b32_sdwa v11, v11, v10 dst_sel:DWORD dst_unused:UNUSED_PAD src0_sel:DWORD src1_sel:WORD_0
	v_cndmask_b32_e32 v11, 0xffff, v11, vcc_lo
	v_and_b32_e32 v11, v11, v9
	v_cmp_eq_u32_e32 vcc_lo, v11, v8
	s_and_b32 exec_lo, exec_lo, vcc_lo
	s_cbranch_execz .LBB207_204
; %bb.209:                              ;   in Loop: Header=BB207_207 Depth=2
	v_perm_b32 v10, v10, s93, 0x5040100
	ds_write_b32 v3, v10 offset:3072
	s_branch .LBB207_204
.LBB207_210:                            ;   in Loop: Header=BB207_207 Depth=2
	s_mov_b32 s55, -1
	s_mov_b32 s54, -1
                                        ; implicit-def: $vgpr4_vgpr5
	s_branch .LBB207_206
.LBB207_211:                            ;   in Loop: Header=BB207_12 Depth=1
	s_or_b32 exec_lo, exec_lo, s23
	v_lshrrev_b32_e32 v10, 16, v10
	s_andn2_b32 s20, s24, exec_lo
	s_and_b32 s21, s25, exec_lo
	s_or_b32 s24, s20, s21
.LBB207_212:                            ;   in Loop: Header=BB207_12 Depth=1
	s_or_b32 exec_lo, exec_lo, s22
	s_mov_b32 s71, 0
	s_mov_b32 s72, -1
.LBB207_213:                            ;   in Loop: Header=BB207_12 Depth=1
	s_orn2_b32 s20, s24, exec_lo
.LBB207_214:                            ;   in Loop: Header=BB207_12 Depth=1
	s_or_b32 exec_lo, exec_lo, s73
	s_mov_b32 s21, 0
	s_and_saveexec_b32 s73, s20
	s_cbranch_execz .LBB207_278
; %bb.215:                              ;   in Loop: Header=BB207_12 Depth=1
	v_mov_b32_e32 v4, 1
	v_mov_b32_e32 v5, 0
	;; [unrolled: 1-line block ×3, first 2 shown]
	s_xor_b32 s22, s74, -1
	s_and_saveexec_b32 s20, s22
	s_cbranch_execz .LBB207_224
; %bb.216:                              ;   in Loop: Header=BB207_12 Depth=1
	s_mov_b32 s21, exec_lo
	v_cmpx_ge_u64_e64 s[16:17], v[6:7]
	s_xor_b32 s21, exec_lo, s21
	s_cbranch_execz .LBB207_221
; %bb.217:                              ;   in Loop: Header=BB207_12 Depth=1
	ds_read_b64 v[4:5], v3 offset:5120
	s_lshl_b32 s22, 2, s91
	v_or_b32_e32 v9, s11, v9
	v_and_or_b32 v8, v8, s26, s22
	s_waitcnt lgkmcnt(0)
	v_cmp_ne_u64_e32 vcc_lo, 0, v[4:5]
	s_cbranch_vccnz .LBB207_221
; %bb.218:                              ;   in Loop: Header=BB207_12 Depth=1
	s_and_saveexec_b32 s22, s3
; %bb.219:                              ;   in Loop: Header=BB207_12 Depth=1
	v_mov_b32_e32 v4, s16
	v_mov_b32_e32 v5, s17
	ds_write_b64 v3, v[4:5] offset:5128
; %bb.220:                              ;   in Loop: Header=BB207_12 Depth=1
	s_or_b32 exec_lo, exec_lo, s22
	s_waitcnt lgkmcnt(0)
	s_barrier
	buffer_gl0_inv
.LBB207_221:                            ;   in Loop: Header=BB207_12 Depth=1
	s_or_saveexec_b32 s21, s21
	v_mov_b32_e32 v2, 8
	s_mov_b32 s22, 0
	s_xor_b32 exec_lo, exec_lo, s21
; %bb.222:                              ;   in Loop: Header=BB207_12 Depth=1
	v_sub_co_u32 v6, vcc_lo, v6, s16
	v_subrev_co_ci_u32_e64 v7, null, s17, v7, vcc_lo
	v_mov_b32_e32 v2, 0
	s_mov_b32 s22, exec_lo
; %bb.223:                              ;   in Loop: Header=BB207_12 Depth=1
	s_or_b32 exec_lo, exec_lo, s21
	v_mov_b32_e32 v4, v6
	v_mov_b32_e32 v5, v7
	s_and_b32 s21, s22, exec_lo
.LBB207_224:                            ;   in Loop: Header=BB207_12 Depth=1
	s_or_b32 exec_lo, exec_lo, s20
	s_mov_b32 s20, -1
                                        ; implicit-def: $sgpr77
                                        ; implicit-def: $sgpr60
	s_and_saveexec_b32 s74, s21
	s_cbranch_execz .LBB207_277
; %bb.225:                              ;   in Loop: Header=BB207_12 Depth=1
	v_cmp_eq_u64_e32 vcc_lo, 1, v[4:5]
	s_cmp_eq_u64 s[18:19], 1
	s_mov_b32 s21, -1
	s_cselect_b32 s20, -1, 0
                                        ; implicit-def: $sgpr77
                                        ; implicit-def: $sgpr60
	s_and_b32 s75, s20, vcc_lo
	s_and_saveexec_b32 s76, s75
	s_cbranch_execz .LBB207_265
; %bb.226:                              ;   in Loop: Header=BB207_12 Depth=1
	ds_read_b64 v[6:7], v3 offset:5120
	s_waitcnt lgkmcnt(0)
	s_barrier
	buffer_gl0_inv
	v_readfirstlane_b32 s20, v6
	v_readfirstlane_b32 s21, v7
	s_and_saveexec_b32 s22, s10
; %bb.227:                              ;   in Loop: Header=BB207_12 Depth=1
	ds_write_b16 v26, v3
; %bb.228:                              ;   in Loop: Header=BB207_12 Depth=1
	s_or_b32 exec_lo, exec_lo, s22
	v_or_b32_e32 v8, s11, v8
	v_or_b32_e32 v9, s11, v9
	s_mov_b32 s60, -1
	s_mov_b32 s77, 0
	s_cmp_eq_u64 s[20:21], 0
	s_mov_b32 s24, 0
	s_mov_b32 s25, -1
	s_waitcnt lgkmcnt(0)
	s_barrier
	buffer_gl0_inv
                                        ; implicit-def: $vgpr10
	s_cbranch_scc1 .LBB207_247
; %bb.229:                              ;   in Loop: Header=BB207_12 Depth=1
	s_add_u32 s54, s20, s82
	s_addc_u32 s23, s21, s83
	s_mov_b32 s22, s59
	s_cmp_lg_u64 s[22:23], 0
	s_cbranch_scc0 .LBB207_233
; %bb.230:                              ;   in Loop: Header=BB207_12 Depth=1
	v_cvt_f32_u32_e32 v6, s49
	s_sub_u32 s25, 0, s49
	s_subb_u32 s55, 0, 0
	v_fmac_f32_e64 v6, 0x4f800000, 0
	v_rcp_f32_e32 v6, v6
	v_mul_f32_e32 v6, 0x5f7ffffc, v6
	v_mul_f32_e32 v7, 0x2f800000, v6
	v_trunc_f32_e32 v7, v7
	v_fmac_f32_e32 v6, 0xcf800000, v7
	v_cvt_u32_f32_e32 v7, v7
	v_cvt_u32_f32_e32 v6, v6
	v_readfirstlane_b32 s22, v7
	v_readfirstlane_b32 s24, v6
	s_mul_i32 s56, s25, s22
	s_mul_hi_u32 s58, s25, s24
	s_mul_i32 s57, s55, s24
	s_add_i32 s56, s58, s56
	s_mul_i32 vcc_lo, s25, s24
	s_add_i32 s56, s56, s57
	s_mul_hi_u32 s58, s24, vcc_lo
	s_mul_i32 s47, s24, s56
	s_mul_hi_u32 s46, s24, s56
	s_mul_i32 s45, s22, vcc_lo
	s_add_u32 s47, s58, s47
	s_mul_hi_u32 s44, s22, vcc_lo
	s_addc_u32 s46, 0, s46
	s_mul_hi_u32 s57, s22, s56
	s_add_u32 s45, s47, s45
	s_mul_i32 s56, s22, s56
	s_addc_u32 s44, s46, s44
	s_addc_u32 s45, s57, 0
	s_add_u32 s44, s44, s56
	s_addc_u32 s45, 0, s45
	s_add_u32 s24, s24, s44
	s_cselect_b32 s44, -1, 0
	s_mul_hi_u32 s46, s25, s24
	s_cmp_lg_u32 s44, 0
	s_mul_i32 s44, s25, s24
	s_addc_u32 s22, s22, s45
	s_mul_i32 s55, s55, s24
	s_mul_i32 s25, s25, s22
	s_mul_hi_u32 s45, s24, s44
	s_add_i32 s25, s46, s25
	s_mul_hi_u32 s46, s22, s44
	s_add_i32 s25, s25, s55
	s_mul_i32 s44, s22, s44
	s_mul_i32 s56, s24, s25
	s_mul_hi_u32 s55, s24, s25
	s_add_u32 s45, s45, s56
	s_addc_u32 s55, 0, s55
	s_mul_hi_u32 s47, s22, s25
	s_add_u32 s44, s45, s44
	s_mul_i32 s25, s22, s25
	s_addc_u32 s44, s55, s46
	s_addc_u32 s45, s47, 0
	s_add_u32 s25, s44, s25
	s_addc_u32 s44, 0, s45
	s_add_u32 s24, s24, s25
	s_cselect_b32 s25, -1, 0
	s_mul_hi_u32 s45, s54, s24
	s_cmp_lg_u32 s25, 0
	s_mul_hi_u32 s25, s23, s24
	s_addc_u32 s22, s22, s44
	s_mul_i32 s24, s23, s24
	s_mul_i32 s46, s54, s22
	s_mul_hi_u32 s44, s54, s22
	s_add_u32 s45, s45, s46
	s_addc_u32 s44, 0, s44
	s_mul_hi_u32 s47, s23, s22
	s_add_u32 s24, s45, s24
	s_mul_i32 s22, s23, s22
	s_addc_u32 s24, s44, s25
	s_addc_u32 s25, s47, 0
	s_add_u32 s22, s24, s22
	s_addc_u32 s24, 0, s25
	s_mul_hi_u32 s25, s49, s22
	s_mul_i32 s24, s49, s24
	s_mul_i32 s22, s49, s22
	s_add_i32 s25, s25, s24
	s_sub_u32 s22, s54, s22
	s_cselect_b32 s24, -1, 0
	s_cmp_lg_u32 s24, 0
	s_subb_u32 s24, s23, s25
	s_sub_u32 s25, s22, s49
	s_cselect_b32 s44, -1, 0
	s_cmp_lg_u32 s44, 0
	s_subb_u32 s44, s24, 0
	;; [unrolled: 4-line block ×3, first 2 shown]
	s_cmp_ge_u32 s25, s49
	s_cselect_b32 s47, -1, 0
	s_cmp_eq_u32 s44, 0
	s_cselect_b32 s47, s47, -1
	s_cmp_lg_u32 s47, 0
	s_cselect_b32 s44, s46, s44
	s_cselect_b32 s45, s45, s25
	s_cmp_ge_u32 s22, s49
	s_cselect_b32 s25, -1, 0
	s_cmp_eq_u32 s24, 0
	s_cselect_b32 s25, s25, -1
	s_cmp_lg_u32 s25, 0
	s_cselect_b32 s25, s44, s24
	s_cselect_b32 s24, s45, s22
	s_mov_b32 s22, 0
	s_branch .LBB207_234
.LBB207_231:                            ;   in Loop: Header=BB207_12 Depth=1
                                        ; implicit-def: $sgpr24_sgpr25
	s_branch .LBB207_184
.LBB207_232:                            ;   in Loop: Header=BB207_12 Depth=1
                                        ; implicit-def: $sgpr20_sgpr21
	s_branch .LBB207_201
.LBB207_233:                            ;   in Loop: Header=BB207_12 Depth=1
	s_mov_b32 s22, -1
                                        ; implicit-def: $sgpr24_sgpr25
.LBB207_234:                            ;   in Loop: Header=BB207_12 Depth=1
	s_andn2_b32 vcc_lo, exec_lo, s22
	s_cbranch_vccnz .LBB207_236
; %bb.235:                              ;   in Loop: Header=BB207_12 Depth=1
	v_cvt_f32_u32_e32 v6, s49
	s_sub_i32 s24, 0, s49
	v_rcp_iflag_f32_e32 v6, v6
	v_mul_f32_e32 v6, 0x4f7ffffe, v6
	v_cvt_u32_f32_e32 v6, v6
	v_readfirstlane_b32 s22, v6
	s_mul_i32 s24, s24, s22
	s_mul_hi_u32 s24, s22, s24
	s_add_i32 s22, s22, s24
	s_mul_hi_u32 s22, s54, s22
	s_mul_i32 s22, s22, s49
	s_sub_i32 s22, s54, s22
	s_sub_i32 s24, s22, s49
	s_cmp_ge_u32 s22, s49
	s_cselect_b32 s22, s24, s22
	s_sub_i32 s24, s22, s49
	s_cmp_ge_u32 s22, s49
	s_cselect_b32 s58, s24, s22
	s_mov_b64 s[24:25], s[58:59]
.LBB207_236:                            ;   in Loop: Header=BB207_12 Depth=1
	s_sub_u32 s22, s54, s24
	s_subb_u32 s23, s23, s25
	s_mov_b32 s25, 0
	s_mov_b32 s24, 0
	s_mov_b32 s54, exec_lo
                                        ; implicit-def: $vgpr10
	v_cmpx_gt_u64_e64 s[22:23], v[0:1]
	s_cbranch_execz .LBB207_246
; %bb.237:                              ;   in Loop: Header=BB207_12 Depth=1
	v_mov_b32_e32 v7, v1
	v_mov_b32_e32 v10, v25
	;; [unrolled: 1-line block ×3, first 2 shown]
                                        ; implicit-def: $sgpr55
	s_branch .LBB207_241
.LBB207_238:                            ;   in Loop: Header=BB207_241 Depth=2
	s_or_b32 exec_lo, exec_lo, s58
	s_waitcnt lgkmcnt(0)
	s_barrier
	buffer_gl0_inv
	ds_read_b32 v11, v3 offset:3072
	s_waitcnt lgkmcnt(0)
	s_barrier
	buffer_gl0_inv
	v_cmp_neq_f16_e32 vcc_lo, 0, v11
	s_cbranch_vccnz .LBB207_244
; %bb.239:                              ;   in Loop: Header=BB207_241 Depth=2
	v_add_co_u32 v6, vcc_lo, v6, s49
	v_add_co_ci_u32_e64 v7, null, 0, v7, vcc_lo
	v_add_nc_u32_e32 v10, s90, v10
	s_mov_b32 s58, 0
	v_cmp_le_u64_e32 vcc_lo, s[22:23], v[6:7]
	s_orn2_b32 vcc_lo, vcc_lo, exec_lo
.LBB207_240:                            ;   in Loop: Header=BB207_241 Depth=2
	s_and_b32 s44, exec_lo, vcc_lo
	s_or_b32 s24, s44, s24
	s_andn2_b32 s44, s55, exec_lo
	s_and_b32 s45, s58, exec_lo
	s_or_b32 s55, s44, s45
	s_andn2_b32 exec_lo, exec_lo, s24
	s_cbranch_execz .LBB207_245
.LBB207_241:                            ;   Parent Loop BB207_12 Depth=1
                                        ; =>  This Inner Loop Header: Depth=2
	s_mov_b32 s58, exec_lo
	v_cmpx_gt_u64_e64 s[20:21], v[6:7]
	s_cbranch_execz .LBB207_238
; %bb.242:                              ;   in Loop: Header=BB207_241 Depth=2
	ds_read_u16 v11, v10
	s_waitcnt lgkmcnt(0)
	v_cmp_lt_i16_e32 vcc_lo, -1, v11
	v_cndmask_b32_e32 v21, 0xffff, v31, vcc_lo
	v_cmp_o_f16_e32 vcc_lo, v11, v11
	v_xor_b32_sdwa v21, v21, v11 dst_sel:DWORD dst_unused:UNUSED_PAD src0_sel:DWORD src1_sel:WORD_0
	v_cndmask_b32_e32 v21, 0xffff, v21, vcc_lo
	v_and_b32_e32 v21, v21, v9
	v_cmp_eq_u32_e32 vcc_lo, v21, v8
	s_and_b32 exec_lo, exec_lo, vcc_lo
	s_cbranch_execz .LBB207_238
; %bb.243:                              ;   in Loop: Header=BB207_241 Depth=2
	v_perm_b32 v11, v11, s93, 0x5040100
	ds_write_b32 v3, v11 offset:3072
	s_branch .LBB207_238
.LBB207_244:                            ;   in Loop: Header=BB207_241 Depth=2
	s_mov_b32 vcc_lo, -1
	s_mov_b32 s58, -1
                                        ; implicit-def: $vgpr6_vgpr7
                                        ; implicit-def: $vgpr10
	s_branch .LBB207_240
.LBB207_245:                            ;   in Loop: Header=BB207_12 Depth=1
	s_or_b32 exec_lo, exec_lo, s24
	v_lshrrev_b32_e32 v10, 16, v11
	s_and_b32 s24, s55, exec_lo
.LBB207_246:                            ;   in Loop: Header=BB207_12 Depth=1
	s_or_b32 exec_lo, exec_lo, s54
.LBB207_247:                            ;   in Loop: Header=BB207_12 Depth=1
	s_and_b32 vcc_lo, exec_lo, s25
	s_cbranch_vccz .LBB207_264
; %bb.248:                              ;   in Loop: Header=BB207_12 Depth=1
	s_mov_b32 s60, s59
	s_cmp_lg_u64 s[60:61], 0
	s_cbranch_scc0 .LBB207_250
; %bb.249:                              ;   in Loop: Header=BB207_12 Depth=1
	v_cvt_f32_u32_e32 v6, s49
	s_sub_u32 s22, 0, s49
	s_subb_u32 s23, 0, 0
	v_fmac_f32_e64 v6, 0x4f800000, 0
	v_rcp_f32_e32 v6, v6
	v_mul_f32_e32 v6, 0x5f7ffffc, v6
	v_mul_f32_e32 v7, 0x2f800000, v6
	v_trunc_f32_e32 v7, v7
	v_fmac_f32_e32 v6, 0xcf800000, v7
	v_cvt_u32_f32_e32 v7, v7
	v_cvt_u32_f32_e32 v6, v6
	v_readfirstlane_b32 s20, v7
	v_readfirstlane_b32 s21, v6
	s_mul_i32 s25, s22, s20
	s_mul_hi_u32 s45, s22, s21
	s_mul_i32 s44, s23, s21
	s_add_i32 s25, s45, s25
	s_mul_i32 s46, s22, s21
	s_add_i32 s25, s25, s44
	s_mul_hi_u32 s45, s21, s46
	s_mul_i32 s54, s21, s25
	s_mul_hi_u32 s47, s20, s46
	s_mul_i32 s44, s20, s46
	s_mul_hi_u32 s46, s21, s25
	s_add_u32 s45, s45, s54
	s_addc_u32 s46, 0, s46
	s_mul_hi_u32 s55, s20, s25
	s_add_u32 s44, s45, s44
	s_mul_i32 s25, s20, s25
	s_addc_u32 s44, s46, s47
	s_addc_u32 s45, s55, 0
	s_add_u32 s25, s44, s25
	s_addc_u32 s44, 0, s45
	s_add_u32 s21, s21, s25
	s_cselect_b32 s25, -1, 0
	s_mul_hi_u32 s45, s22, s21
	s_cmp_lg_u32 s25, 0
	s_mul_i32 s25, s22, s21
	s_addc_u32 s20, s20, s44
	s_mul_i32 s23, s23, s21
	s_mul_i32 s22, s22, s20
	s_mul_hi_u32 s44, s21, s25
	s_add_i32 s22, s45, s22
	s_mul_hi_u32 s45, s20, s25
	s_add_i32 s22, s22, s23
	s_mul_i32 s23, s20, s25
	s_mul_i32 s47, s21, s22
	s_mul_hi_u32 s46, s21, s22
	s_add_u32 s44, s44, s47
	s_addc_u32 s46, 0, s46
	s_mul_hi_u32 s25, s20, s22
	s_add_u32 s23, s44, s23
	s_mul_i32 s22, s20, s22
	s_addc_u32 s23, s46, s45
	s_addc_u32 s25, s25, 0
	s_add_u32 s22, s23, s22
	s_addc_u32 s23, 0, s25
	s_add_u32 s21, s21, s22
	s_cselect_b32 s22, -1, 0
	s_mul_hi_u32 s25, s84, s21
	s_cmp_lg_u32 s22, 0
	s_mul_hi_u32 s22, s61, s21
	s_addc_u32 s20, s20, s23
	s_mul_i32 s21, s61, s21
	s_mul_i32 s44, s84, s20
	s_mul_hi_u32 s23, s84, s20
	s_add_u32 s25, s25, s44
	s_addc_u32 s23, 0, s23
	s_mul_hi_u32 s45, s61, s20
	s_add_u32 s21, s25, s21
	s_mul_i32 s20, s61, s20
	s_addc_u32 s21, s23, s22
	s_addc_u32 s22, s45, 0
	s_add_u32 s20, s21, s20
	s_addc_u32 s21, 0, s22
	s_mul_hi_u32 s22, s49, s20
	s_mul_i32 s21, s49, s21
	s_mul_i32 s20, s49, s20
	s_add_i32 s22, s22, s21
	s_sub_u32 s20, s84, s20
	s_cselect_b32 s21, -1, 0
	s_cmp_lg_u32 s21, 0
	s_subb_u32 s21, s61, s22
	s_sub_u32 s22, s20, s49
	s_cselect_b32 s23, -1, 0
	s_cmp_lg_u32 s23, 0
	s_subb_u32 s23, s21, 0
	s_sub_u32 s25, s22, s49
	s_cselect_b32 s44, -1, 0
	s_cmp_lg_u32 s44, 0
	s_subb_u32 s44, s23, 0
	s_cmp_ge_u32 s22, s49
	s_cselect_b32 s45, -1, 0
	s_cmp_eq_u32 s23, 0
	s_cselect_b32 s45, s45, -1
	s_cmp_lg_u32 s45, 0
	s_cselect_b32 s23, s44, s23
	s_cselect_b32 s22, s25, s22
	s_cmp_ge_u32 s20, s49
	s_cselect_b32 s25, -1, 0
	s_cmp_eq_u32 s21, 0
	s_cselect_b32 s25, s25, -1
	s_cmp_lg_u32 s25, 0
	s_cselect_b32 s21, s23, s21
	s_cselect_b32 s20, s22, s20
	s_mov_b32 s22, 0
	s_branch .LBB207_251
.LBB207_250:                            ;   in Loop: Header=BB207_12 Depth=1
	s_mov_b32 s22, -1
                                        ; implicit-def: $sgpr20_sgpr21
.LBB207_251:                            ;   in Loop: Header=BB207_12 Depth=1
	s_andn2_b32 vcc_lo, exec_lo, s22
	s_cbranch_vccnz .LBB207_253
; %bb.252:                              ;   in Loop: Header=BB207_12 Depth=1
	v_cvt_f32_u32_e32 v6, s49
	s_sub_i32 s21, 0, s49
	v_rcp_iflag_f32_e32 v6, v6
	v_mul_f32_e32 v6, 0x4f7ffffe, v6
	v_cvt_u32_f32_e32 v6, v6
	v_readfirstlane_b32 s20, v6
	s_mul_i32 s21, s21, s20
	s_mul_hi_u32 s21, s20, s21
	s_add_i32 s20, s20, s21
	s_mul_hi_u32 s20, s84, s20
	s_mul_i32 s20, s20, s49
	s_sub_i32 s20, s84, s20
	s_sub_i32 s21, s20, s49
	s_cmp_ge_u32 s20, s49
	s_cselect_b32 s20, s21, s20
	s_sub_i32 s21, s20, s49
	s_cmp_ge_u32 s20, s49
	s_cselect_b32 s58, s21, s20
	s_mov_b64 s[20:21], s[58:59]
.LBB207_253:                            ;   in Loop: Header=BB207_12 Depth=1
	s_sub_u32 s20, s84, s20
	s_subb_u32 s21, s61, s21
	s_mov_b32 s22, exec_lo
                                        ; implicit-def: $vgpr10
	v_cmpx_gt_u64_e64 s[20:21], v[0:1]
	s_cbranch_execz .LBB207_263
; %bb.254:                              ;   in Loop: Header=BB207_12 Depth=1
	v_mov_b32_e32 v7, v1
	v_mov_b32_e32 v6, v0
	s_mov_b32 s23, 0
                                        ; implicit-def: $sgpr25
	s_branch .LBB207_258
.LBB207_255:                            ;   in Loop: Header=BB207_258 Depth=2
	s_or_b32 exec_lo, exec_lo, s54
	s_waitcnt lgkmcnt(0)
	s_barrier
	buffer_gl0_inv
	ds_read_b32 v10, v3 offset:3072
	s_waitcnt lgkmcnt(0)
	s_barrier
	buffer_gl0_inv
	v_cmp_eq_f16_e32 vcc_lo, 0, v10
	s_cbranch_vccz .LBB207_261
; %bb.256:                              ;   in Loop: Header=BB207_258 Depth=2
	v_add_co_u32 v6, vcc_lo, v6, s49
	v_add_co_ci_u32_e64 v7, null, 0, v7, vcc_lo
	s_mov_b32 s54, 0
	v_cmp_le_u64_e32 vcc_lo, s[20:21], v[6:7]
	s_orn2_b32 s55, vcc_lo, exec_lo
.LBB207_257:                            ;   in Loop: Header=BB207_258 Depth=2
	s_and_b32 s44, exec_lo, s55
	s_or_b32 s23, s44, s23
	s_andn2_b32 s25, s25, exec_lo
	s_and_b32 s44, s54, exec_lo
	s_or_b32 s25, s25, s44
	s_andn2_b32 exec_lo, exec_lo, s23
	s_cbranch_execz .LBB207_262
.LBB207_258:                            ;   Parent Loop BB207_12 Depth=1
                                        ; =>  This Inner Loop Header: Depth=2
	s_mov_b32 s54, exec_lo
	v_cmpx_gt_u64_e64 s[36:37], v[6:7]
	s_cbranch_execz .LBB207_255
; %bb.259:                              ;   in Loop: Header=BB207_258 Depth=2
	v_mul_lo_u32 v21, v7, s30
	v_mul_lo_u32 v22, v6, s31
	v_mad_u64_u32 v[10:11], null, v6, s30, 0
	v_add3_u32 v11, v11, v22, v21
	v_lshlrev_b64 v[10:11], 1, v[10:11]
	v_add_co_u32 v10, vcc_lo, s33, v10
	v_add_co_ci_u32_e64 v11, null, s35, v11, vcc_lo
	global_load_ushort v10, v[10:11], off
	s_waitcnt vmcnt(0)
	v_cmp_lt_i16_e32 vcc_lo, -1, v10
	v_cndmask_b32_e32 v11, 0xffff, v31, vcc_lo
	v_cmp_o_f16_e32 vcc_lo, v10, v10
	v_xor_b32_sdwa v11, v11, v10 dst_sel:DWORD dst_unused:UNUSED_PAD src0_sel:DWORD src1_sel:WORD_0
	v_cndmask_b32_e32 v11, 0xffff, v11, vcc_lo
	v_and_b32_e32 v11, v11, v9
	v_cmp_eq_u32_e32 vcc_lo, v11, v8
	s_and_b32 exec_lo, exec_lo, vcc_lo
	s_cbranch_execz .LBB207_255
; %bb.260:                              ;   in Loop: Header=BB207_258 Depth=2
	v_perm_b32 v10, v10, s93, 0x5040100
	ds_write_b32 v3, v10 offset:3072
	s_branch .LBB207_255
.LBB207_261:                            ;   in Loop: Header=BB207_258 Depth=2
	s_mov_b32 s55, -1
	s_mov_b32 s54, -1
                                        ; implicit-def: $vgpr6_vgpr7
	s_branch .LBB207_257
.LBB207_262:                            ;   in Loop: Header=BB207_12 Depth=1
	s_or_b32 exec_lo, exec_lo, s23
	v_lshrrev_b32_e32 v10, 16, v10
	s_andn2_b32 s20, s24, exec_lo
	s_and_b32 s21, s25, exec_lo
	s_or_b32 s24, s20, s21
.LBB207_263:                            ;   in Loop: Header=BB207_12 Depth=1
	s_or_b32 exec_lo, exec_lo, s22
	s_mov_b32 s60, 0
	s_mov_b32 s77, -1
.LBB207_264:                            ;   in Loop: Header=BB207_12 Depth=1
	s_orn2_b32 s21, s24, exec_lo
.LBB207_265:                            ;   in Loop: Header=BB207_12 Depth=1
	s_or_b32 exec_lo, exec_lo, s76
	s_mov_b32 s22, 0
	s_and_saveexec_b32 s20, s21
	s_cbranch_execz .LBB207_276
; %bb.266:                              ;   in Loop: Header=BB207_12 Depth=1
	v_mov_b32_e32 v6, 1
	v_mov_b32_e32 v7, 0
	;; [unrolled: 1-line block ×3, first 2 shown]
	s_xor_b32 s22, s75, -1
	s_and_saveexec_b32 s21, s22
	s_cbranch_execz .LBB207_275
; %bb.267:                              ;   in Loop: Header=BB207_12 Depth=1
	s_mov_b32 s22, exec_lo
	v_cmpx_ge_u64_e64 s[18:19], v[4:5]
	s_xor_b32 s22, exec_lo, s22
	s_cbranch_execz .LBB207_272
; %bb.268:                              ;   in Loop: Header=BB207_12 Depth=1
	ds_read_b64 v[6:7], v3 offset:5120
	v_or_b32_e32 v8, s11, v8
	v_or_b32_e32 v9, s11, v9
	s_waitcnt lgkmcnt(0)
	v_cmp_ne_u64_e32 vcc_lo, 0, v[6:7]
	s_cbranch_vccnz .LBB207_272
; %bb.269:                              ;   in Loop: Header=BB207_12 Depth=1
	s_and_saveexec_b32 s23, s3
; %bb.270:                              ;   in Loop: Header=BB207_12 Depth=1
	v_mov_b32_e32 v6, s18
	v_mov_b32_e32 v7, s19
	ds_write_b64 v3, v[6:7] offset:5128
; %bb.271:                              ;   in Loop: Header=BB207_12 Depth=1
	s_or_b32 exec_lo, exec_lo, s23
	s_waitcnt lgkmcnt(0)
	s_barrier
	buffer_gl0_inv
.LBB207_272:                            ;   in Loop: Header=BB207_12 Depth=1
	s_andn2_saveexec_b32 s22, s22
; %bb.273:                              ;   in Loop: Header=BB207_12 Depth=1
	v_sub_co_u32 v4, vcc_lo, v4, s18
	v_subrev_co_ci_u32_e64 v5, null, s19, v5, vcc_lo
; %bb.274:                              ;   in Loop: Header=BB207_12 Depth=1
	s_or_b32 exec_lo, exec_lo, s22
	v_mov_b32_e32 v7, v5
	v_mov_b32_e32 v2, 8
	;; [unrolled: 1-line block ×3, first 2 shown]
.LBB207_275:                            ;   in Loop: Header=BB207_12 Depth=1
	s_or_b32 exec_lo, exec_lo, s21
	v_mov_b32_e32 v4, v6
	v_mov_b32_e32 v5, v7
	s_mov_b32 s22, exec_lo
.LBB207_276:                            ;   in Loop: Header=BB207_12 Depth=1
	s_or_b32 exec_lo, exec_lo, s20
	s_orn2_b32 s20, s22, exec_lo
.LBB207_277:                            ;   in Loop: Header=BB207_12 Depth=1
	s_or_b32 exec_lo, exec_lo, s74
	v_mov_b32_e32 v7, v5
	v_mov_b32_e32 v6, v4
	s_andn2_b32 s21, s72, exec_lo
	s_and_b32 s22, s77, exec_lo
	s_andn2_b32 s23, s71, exec_lo
	s_and_b32 s24, s60, exec_lo
	s_or_b32 s72, s21, s22
	s_or_b32 s71, s23, s24
	s_and_b32 s21, s20, exec_lo
.LBB207_278:                            ;   in Loop: Header=BB207_12 Depth=1
	s_or_b32 exec_lo, exec_lo, s73
	s_orn2_b32 s20, s21, exec_lo
.LBB207_279:                            ;   in Loop: Header=BB207_12 Depth=1
	s_or_b32 exec_lo, exec_lo, s70
	v_mov_b32_e32 v4, v6
	v_mov_b32_e32 v5, v7
	s_andn2_b32 s21, s64, exec_lo
	s_and_b32 s22, s72, exec_lo
	s_andn2_b32 s23, s43, exec_lo
	s_and_b32 s24, s71, exec_lo
	s_or_b32 s64, s21, s22
	s_or_b32 s43, s23, s24
	s_and_b32 s21, s20, exec_lo
.LBB207_280:                            ;   in Loop: Header=BB207_12 Depth=1
	s_or_b32 exec_lo, exec_lo, s69
	s_orn2_b32 s20, s21, exec_lo
.LBB207_281:                            ;   in Loop: Header=BB207_12 Depth=1
	s_or_b32 exec_lo, exec_lo, s6
	s_mov_b32 s6, 0
	s_mov_b32 s21, 0
	s_and_saveexec_b32 s22, s20
	s_xor_b32 s20, exec_lo, s22
; %bb.282:                              ;   in Loop: Header=BB207_12 Depth=1
	v_cmp_ne_u32_e32 vcc_lo, 8, v2
	v_cmp_eq_u32_e64 s6, 8, v2
	s_and_b32 s21, vcc_lo, exec_lo
	s_and_b32 s6, s6, exec_lo
; %bb.283:                              ;   in Loop: Header=BB207_12 Depth=1
	s_or_b32 exec_lo, exec_lo, s20
	s_andn2_b32 s20, s66, exec_lo
	s_and_b32 s22, s64, exec_lo
	s_andn2_b32 s23, s65, exec_lo
	s_and_b32 s24, s43, exec_lo
	s_or_b32 s66, s20, s22
	s_or_b32 s65, s23, s24
	s_and_b32 s43, s21, exec_lo
	s_and_b32 s64, s6, exec_lo
.LBB207_284:                            ;   in Loop: Header=BB207_12 Depth=1
	s_or_b32 exec_lo, exec_lo, s68
.LBB207_285:                            ;   in Loop: Header=BB207_12 Depth=1
	s_and_b32 vcc_lo, exec_lo, s67
	s_cbranch_vccz .LBB207_302
; %bb.286:                              ;   in Loop: Header=BB207_12 Depth=1
	s_cmp_eq_u64 s[18:19], 1
	s_mov_b32 s20, -1
	s_cselect_b32 s6, -1, 0
                                        ; implicit-def: $sgpr27
	s_and_b32 s6, s6, s9
                                        ; implicit-def: $sgpr9
	s_and_saveexec_b32 s65, s6
	s_cbranch_execz .LBB207_321
; %bb.287:                              ;   in Loop: Header=BB207_12 Depth=1
	ds_read_b64 v[4:5], v3 offset:5120
	s_waitcnt lgkmcnt(0)
	s_barrier
	buffer_gl0_inv
	v_readfirstlane_b32 s20, v4
	v_readfirstlane_b32 s21, v5
	s_and_saveexec_b32 s9, s10
; %bb.288:                              ;   in Loop: Header=BB207_12 Depth=1
	ds_write_b16 v26, v3
; %bb.289:                              ;   in Loop: Header=BB207_12 Depth=1
	s_or_b32 exec_lo, exec_lo, s9
	v_or_b32_e32 v28, s11, v28
	v_or_b32_e32 v33, s11, v33
	s_mov_b32 s27, -1
	s_mov_b32 s9, 0
	s_cmp_eq_u64 s[20:21], 0
	s_mov_b32 s24, 0
	s_mov_b32 s25, -1
	s_waitcnt lgkmcnt(0)
	s_barrier
	buffer_gl0_inv
                                        ; implicit-def: $vgpr34
	s_cbranch_scc1 .LBB207_305
; %bb.290:                              ;   in Loop: Header=BB207_12 Depth=1
	s_add_u32 s60, s20, s82
	s_addc_u32 s23, s21, s83
	s_mov_b32 s22, s59
	s_cmp_lg_u64 s[22:23], 0
	s_cbranch_scc0 .LBB207_348
; %bb.291:                              ;   in Loop: Header=BB207_12 Depth=1
	v_cvt_f32_u32_e32 v2, s49
	s_sub_u32 s25, 0, s49
	s_subb_u32 s54, 0, 0
	v_fmac_f32_e64 v2, 0x4f800000, 0
	v_rcp_f32_e32 v2, v2
	v_mul_f32_e32 v2, 0x5f7ffffc, v2
	v_mul_f32_e32 v4, 0x2f800000, v2
	v_trunc_f32_e32 v4, v4
	v_fmac_f32_e32 v2, 0xcf800000, v4
	v_cvt_u32_f32_e32 v4, v4
	v_cvt_u32_f32_e32 v2, v2
	v_readfirstlane_b32 s22, v4
	v_readfirstlane_b32 s24, v2
	s_mul_i32 s55, s25, s22
	s_mul_hi_u32 s66, s25, s24
	s_mul_i32 s58, s54, s24
	s_add_i32 s55, s66, s55
	s_mul_i32 s67, s25, s24
	s_add_i32 s55, s55, s58
	s_mul_hi_u32 s66, s24, s67
	s_mul_i32 s69, s24, s55
	s_mul_hi_u32 s68, s22, s67
	s_mul_i32 s58, s22, s67
	s_mul_hi_u32 s67, s24, s55
	s_add_u32 s66, s66, s69
	s_addc_u32 s67, 0, s67
	s_mul_hi_u32 s70, s22, s55
	s_add_u32 s58, s66, s58
	s_mul_i32 s55, s22, s55
	s_addc_u32 s58, s67, s68
	s_addc_u32 s66, s70, 0
	s_add_u32 s55, s58, s55
	s_addc_u32 s58, 0, s66
	s_add_u32 s24, s24, s55
	s_cselect_b32 s55, -1, 0
	s_mul_hi_u32 s66, s25, s24
	s_cmp_lg_u32 s55, 0
	s_mul_i32 s55, s25, s24
	s_addc_u32 s22, s22, s58
	s_mul_i32 s54, s54, s24
	s_mul_i32 s25, s25, s22
	s_mul_hi_u32 s58, s24, s55
	s_add_i32 s25, s66, s25
	s_mul_hi_u32 s66, s22, s55
	s_add_i32 s25, s25, s54
	s_mul_i32 s54, s22, s55
	s_mul_i32 s68, s24, s25
	s_mul_hi_u32 s67, s24, s25
	s_add_u32 s58, s58, s68
	s_addc_u32 s67, 0, s67
	s_mul_hi_u32 s55, s22, s25
	s_add_u32 s54, s58, s54
	s_mul_i32 s25, s22, s25
	s_addc_u32 s54, s67, s66
	s_addc_u32 s55, s55, 0
	s_add_u32 s25, s54, s25
	s_addc_u32 s54, 0, s55
	s_add_u32 s24, s24, s25
	s_cselect_b32 s25, -1, 0
	s_mul_hi_u32 s55, s60, s24
	s_cmp_lg_u32 s25, 0
	s_mul_hi_u32 s25, s23, s24
	s_addc_u32 s22, s22, s54
	s_mul_i32 s24, s23, s24
	s_mul_i32 s58, s60, s22
	s_mul_hi_u32 s54, s60, s22
	s_add_u32 s55, s55, s58
	s_addc_u32 s54, 0, s54
	s_mul_hi_u32 s66, s23, s22
	s_add_u32 s24, s55, s24
	s_mul_i32 s22, s23, s22
	s_addc_u32 s24, s54, s25
	s_addc_u32 s25, s66, 0
	s_add_u32 s22, s24, s22
	s_addc_u32 s24, 0, s25
	s_mul_hi_u32 s25, s49, s22
	s_mul_i32 s24, s49, s24
	s_mul_i32 s22, s49, s22
	s_add_i32 s25, s25, s24
	s_sub_u32 s22, s60, s22
	s_cselect_b32 s24, -1, 0
	s_cmp_lg_u32 s24, 0
	s_subb_u32 s24, s23, s25
	s_sub_u32 s25, s22, s49
	s_cselect_b32 s54, -1, 0
	s_cmp_lg_u32 s54, 0
	s_subb_u32 s54, s24, 0
	;; [unrolled: 4-line block ×3, first 2 shown]
	s_cmp_ge_u32 s25, s49
	s_cselect_b32 s66, -1, 0
	s_cmp_eq_u32 s54, 0
	s_cselect_b32 s66, s66, -1
	s_cmp_lg_u32 s66, 0
	s_cselect_b32 s54, s58, s54
	s_cselect_b32 s55, s55, s25
	s_cmp_ge_u32 s22, s49
	s_cselect_b32 s25, -1, 0
	s_cmp_eq_u32 s24, 0
	s_cselect_b32 s25, s25, -1
	s_cmp_lg_u32 s25, 0
	s_cselect_b32 s25, s54, s24
	s_cselect_b32 s24, s55, s22
	s_cbranch_execnz .LBB207_293
.LBB207_292:                            ;   in Loop: Header=BB207_12 Depth=1
	v_cvt_f32_u32_e32 v2, s49
	s_sub_i32 s24, 0, s49
	v_rcp_iflag_f32_e32 v2, v2
	v_mul_f32_e32 v2, 0x4f7ffffe, v2
	v_cvt_u32_f32_e32 v2, v2
	v_readfirstlane_b32 s22, v2
	s_mul_i32 s24, s24, s22
	s_mul_hi_u32 s24, s22, s24
	s_add_i32 s22, s22, s24
	s_mul_hi_u32 s22, s60, s22
	s_mul_i32 s22, s22, s49
	s_sub_i32 s22, s60, s22
	s_sub_i32 s24, s22, s49
	s_cmp_ge_u32 s22, s49
	s_cselect_b32 s22, s24, s22
	s_sub_i32 s24, s22, s49
	s_cmp_ge_u32 s22, s49
	s_cselect_b32 s58, s24, s22
	s_mov_b64 s[24:25], s[58:59]
.LBB207_293:                            ;   in Loop: Header=BB207_12 Depth=1
	s_sub_u32 s22, s60, s24
	s_subb_u32 s23, s23, s25
	s_mov_b32 s25, 0
	s_mov_b32 s24, 0
	s_mov_b32 s54, exec_lo
                                        ; implicit-def: $vgpr34
	v_cmpx_gt_u64_e64 s[22:23], v[0:1]
	s_cbranch_execz .LBB207_304
; %bb.294:                              ;   in Loop: Header=BB207_12 Depth=1
	v_mov_b32_e32 v5, v1
	v_mov_b32_e32 v2, v25
	;; [unrolled: 1-line block ×3, first 2 shown]
                                        ; implicit-def: $sgpr55
	s_branch .LBB207_298
.LBB207_295:                            ;   in Loop: Header=BB207_298 Depth=2
	s_or_b32 exec_lo, exec_lo, s58
	s_waitcnt lgkmcnt(0)
	s_barrier
	buffer_gl0_inv
	ds_read_b32 v6, v3 offset:3072
	s_waitcnt lgkmcnt(0)
	s_barrier
	buffer_gl0_inv
	v_cmp_neq_f16_e32 vcc_lo, 0, v6
	s_cbranch_vccnz .LBB207_301
; %bb.296:                              ;   in Loop: Header=BB207_298 Depth=2
	v_add_co_u32 v4, vcc_lo, v4, s49
	v_add_co_ci_u32_e64 v5, null, 0, v5, vcc_lo
	v_add_nc_u32_e32 v2, s90, v2
	s_mov_b32 s58, 0
	v_cmp_le_u64_e32 vcc_lo, s[22:23], v[4:5]
	s_orn2_b32 s60, vcc_lo, exec_lo
.LBB207_297:                            ;   in Loop: Header=BB207_298 Depth=2
	s_and_b32 s44, exec_lo, s60
	s_or_b32 s24, s44, s24
	s_andn2_b32 s44, s55, exec_lo
	s_and_b32 s45, s58, exec_lo
	s_or_b32 s55, s44, s45
	s_andn2_b32 exec_lo, exec_lo, s24
	s_cbranch_execz .LBB207_303
.LBB207_298:                            ;   Parent Loop BB207_12 Depth=1
                                        ; =>  This Inner Loop Header: Depth=2
	s_mov_b32 s58, exec_lo
	v_cmpx_gt_u64_e64 s[20:21], v[4:5]
	s_cbranch_execz .LBB207_295
; %bb.299:                              ;   in Loop: Header=BB207_298 Depth=2
	ds_read_u16 v6, v2
	s_waitcnt lgkmcnt(0)
	v_cmp_lt_i16_e32 vcc_lo, -1, v6
	v_cndmask_b32_e32 v7, 0xffff, v31, vcc_lo
	v_cmp_o_f16_e32 vcc_lo, v6, v6
	v_xor_b32_sdwa v7, v7, v6 dst_sel:DWORD dst_unused:UNUSED_PAD src0_sel:DWORD src1_sel:WORD_0
	v_cndmask_b32_e32 v7, 0xffff, v7, vcc_lo
	v_and_b32_e32 v7, v7, v33
	v_cmp_eq_u32_e32 vcc_lo, v7, v28
	s_and_b32 exec_lo, exec_lo, vcc_lo
	s_cbranch_execz .LBB207_295
; %bb.300:                              ;   in Loop: Header=BB207_298 Depth=2
	v_perm_b32 v6, v6, s93, 0x5040100
	ds_write_b32 v3, v6 offset:3072
	s_branch .LBB207_295
.LBB207_301:                            ;   in Loop: Header=BB207_298 Depth=2
	s_mov_b32 s60, -1
	s_mov_b32 s58, -1
                                        ; implicit-def: $vgpr4_vgpr5
                                        ; implicit-def: $vgpr2
	s_branch .LBB207_297
.LBB207_302:                            ;   in Loop: Header=BB207_12 Depth=1
	v_mov_b32_e32 v28, v8
	v_mov_b32_e32 v33, v9
	;; [unrolled: 1-line block ×3, first 2 shown]
	s_mov_b32 s9, 0
	s_and_saveexec_b32 s6, s64
	s_cbranch_execnz .LBB207_486
	s_branch .LBB207_487
.LBB207_303:                            ;   in Loop: Header=BB207_12 Depth=1
	s_or_b32 exec_lo, exec_lo, s24
	v_lshrrev_b32_e32 v34, 16, v6
	s_and_b32 s24, s55, exec_lo
.LBB207_304:                            ;   in Loop: Header=BB207_12 Depth=1
	s_or_b32 exec_lo, exec_lo, s54
.LBB207_305:                            ;   in Loop: Header=BB207_12 Depth=1
	s_and_b32 vcc_lo, exec_lo, s25
	s_cbranch_vccz .LBB207_320
; %bb.306:                              ;   in Loop: Header=BB207_12 Depth=1
	s_mov_b32 s60, s59
	s_cmp_lg_u64 s[60:61], 0
	s_cbranch_scc0 .LBB207_349
; %bb.307:                              ;   in Loop: Header=BB207_12 Depth=1
	v_cvt_f32_u32_e32 v2, s49
	s_sub_u32 s21, 0, s49
	s_subb_u32 s22, 0, 0
	v_fmac_f32_e64 v2, 0x4f800000, 0
	v_rcp_f32_e32 v2, v2
	v_mul_f32_e32 v2, 0x5f7ffffc, v2
	v_mul_f32_e32 v4, 0x2f800000, v2
	v_trunc_f32_e32 v4, v4
	v_fmac_f32_e32 v2, 0xcf800000, v4
	v_cvt_u32_f32_e32 v4, v4
	v_cvt_u32_f32_e32 v2, v2
	v_readfirstlane_b32 s9, v4
	v_readfirstlane_b32 s20, v2
	s_mul_i32 s23, s21, s9
	s_mul_hi_u32 s27, s21, s20
	s_mul_i32 s25, s22, s20
	s_add_i32 s23, s27, s23
	s_mul_i32 s54, s21, s20
	s_add_i32 s23, s23, s25
	s_mul_hi_u32 s27, s20, s54
	s_mul_i32 s58, s20, s23
	s_mul_hi_u32 s55, s9, s54
	s_mul_i32 s25, s9, s54
	s_mul_hi_u32 s54, s20, s23
	s_add_u32 s27, s27, s58
	s_addc_u32 s54, 0, s54
	s_mul_hi_u32 s60, s9, s23
	s_add_u32 s25, s27, s25
	s_mul_i32 s23, s9, s23
	s_addc_u32 s25, s54, s55
	s_addc_u32 s27, s60, 0
	s_add_u32 s23, s25, s23
	s_addc_u32 s25, 0, s27
	s_add_u32 s20, s20, s23
	s_cselect_b32 s23, -1, 0
	s_mul_hi_u32 s27, s21, s20
	s_cmp_lg_u32 s23, 0
	s_mul_i32 s23, s21, s20
	s_addc_u32 s9, s9, s25
	s_mul_i32 s22, s22, s20
	s_mul_i32 s21, s21, s9
	s_mul_hi_u32 s25, s20, s23
	s_add_i32 s21, s27, s21
	s_mul_hi_u32 s27, s9, s23
	s_add_i32 s21, s21, s22
	s_mul_i32 s22, s9, s23
	s_mul_i32 s55, s20, s21
	s_mul_hi_u32 s54, s20, s21
	s_add_u32 s25, s25, s55
	s_addc_u32 s54, 0, s54
	s_mul_hi_u32 s23, s9, s21
	s_add_u32 s22, s25, s22
	s_mul_i32 s21, s9, s21
	s_addc_u32 s22, s54, s27
	s_addc_u32 s23, s23, 0
	s_add_u32 s21, s22, s21
	s_addc_u32 s22, 0, s23
	s_add_u32 s20, s20, s21
	s_cselect_b32 s21, -1, 0
	s_mul_hi_u32 s23, s84, s20
	s_cmp_lg_u32 s21, 0
	s_mul_hi_u32 s21, s61, s20
	s_addc_u32 s9, s9, s22
	s_mul_i32 s20, s61, s20
	s_mul_i32 s25, s84, s9
	s_mul_hi_u32 s22, s84, s9
	s_add_u32 s23, s23, s25
	s_addc_u32 s22, 0, s22
	s_mul_hi_u32 s27, s61, s9
	s_add_u32 s20, s23, s20
	s_mul_i32 s9, s61, s9
	s_addc_u32 s20, s22, s21
	s_addc_u32 s21, s27, 0
	s_add_u32 s9, s20, s9
	s_addc_u32 s20, 0, s21
	s_mul_hi_u32 s21, s49, s9
	s_mul_i32 s20, s49, s20
	s_mul_i32 s9, s49, s9
	s_add_i32 s21, s21, s20
	s_sub_u32 s9, s84, s9
	s_cselect_b32 s20, -1, 0
	s_cmp_lg_u32 s20, 0
	s_subb_u32 s20, s61, s21
	s_sub_u32 s21, s9, s49
	s_cselect_b32 s22, -1, 0
	s_cmp_lg_u32 s22, 0
	s_subb_u32 s22, s20, 0
	;; [unrolled: 4-line block ×3, first 2 shown]
	s_cmp_ge_u32 s21, s49
	s_cselect_b32 s27, -1, 0
	s_cmp_eq_u32 s22, 0
	s_cselect_b32 s27, s27, -1
	s_cmp_lg_u32 s27, 0
	s_cselect_b32 s22, s25, s22
	s_cselect_b32 s23, s23, s21
	s_cmp_ge_u32 s9, s49
	s_cselect_b32 s21, -1, 0
	s_cmp_eq_u32 s20, 0
	s_cselect_b32 s21, s21, -1
	s_cmp_lg_u32 s21, 0
	s_cselect_b32 s21, s22, s20
	s_cselect_b32 s20, s23, s9
	s_cbranch_execnz .LBB207_309
.LBB207_308:                            ;   in Loop: Header=BB207_12 Depth=1
	v_cvt_f32_u32_e32 v2, s49
	s_sub_i32 s20, 0, s49
	v_rcp_iflag_f32_e32 v2, v2
	v_mul_f32_e32 v2, 0x4f7ffffe, v2
	v_cvt_u32_f32_e32 v2, v2
	v_readfirstlane_b32 s9, v2
	s_mul_i32 s20, s20, s9
	s_mul_hi_u32 s20, s9, s20
	s_add_i32 s9, s9, s20
	s_mul_hi_u32 s9, s84, s9
	s_mul_i32 s9, s9, s49
	s_sub_i32 s9, s84, s9
	s_sub_i32 s20, s9, s49
	s_cmp_ge_u32 s9, s49
	s_cselect_b32 s9, s20, s9
	s_sub_i32 s20, s9, s49
	s_cmp_ge_u32 s9, s49
	s_cselect_b32 s58, s20, s9
	s_mov_b64 s[20:21], s[58:59]
.LBB207_309:                            ;   in Loop: Header=BB207_12 Depth=1
	s_sub_u32 s20, s84, s20
	s_subb_u32 s21, s61, s21
	s_mov_b32 s9, exec_lo
                                        ; implicit-def: $vgpr34
	v_cmpx_gt_u64_e64 s[20:21], v[0:1]
	s_cbranch_execz .LBB207_319
; %bb.310:                              ;   in Loop: Header=BB207_12 Depth=1
	v_mov_b32_e32 v5, v1
	v_mov_b32_e32 v4, v0
	s_mov_b32 s22, 0
                                        ; implicit-def: $sgpr23
	s_branch .LBB207_314
.LBB207_311:                            ;   in Loop: Header=BB207_314 Depth=2
	s_or_b32 exec_lo, exec_lo, s25
	s_waitcnt lgkmcnt(0)
	s_barrier
	buffer_gl0_inv
	ds_read_b32 v2, v3 offset:3072
	s_waitcnt lgkmcnt(0)
	s_barrier
	buffer_gl0_inv
	v_cmp_neq_f16_e32 vcc_lo, 0, v2
	s_cbranch_vccnz .LBB207_317
; %bb.312:                              ;   in Loop: Header=BB207_314 Depth=2
	v_add_co_u32 v4, vcc_lo, v4, s49
	v_add_co_ci_u32_e64 v5, null, 0, v5, vcc_lo
	s_mov_b32 s25, 0
	v_cmp_le_u64_e32 vcc_lo, s[20:21], v[4:5]
	s_orn2_b32 s27, vcc_lo, exec_lo
.LBB207_313:                            ;   in Loop: Header=BB207_314 Depth=2
	s_and_b32 s27, exec_lo, s27
	s_or_b32 s22, s27, s22
	s_andn2_b32 s23, s23, exec_lo
	s_and_b32 s25, s25, exec_lo
	s_or_b32 s23, s23, s25
	s_andn2_b32 exec_lo, exec_lo, s22
	s_cbranch_execz .LBB207_318
.LBB207_314:                            ;   Parent Loop BB207_12 Depth=1
                                        ; =>  This Inner Loop Header: Depth=2
	s_mov_b32 s25, exec_lo
	v_cmpx_gt_u64_e64 s[36:37], v[4:5]
	s_cbranch_execz .LBB207_311
; %bb.315:                              ;   in Loop: Header=BB207_314 Depth=2
	v_mul_lo_u32 v2, v5, s30
	v_mul_lo_u32 v8, v4, s31
	v_mad_u64_u32 v[6:7], null, v4, s30, 0
	v_add3_u32 v7, v7, v8, v2
	v_lshlrev_b64 v[6:7], 1, v[6:7]
	v_add_co_u32 v6, vcc_lo, s33, v6
	v_add_co_ci_u32_e64 v7, null, s35, v7, vcc_lo
	global_load_ushort v2, v[6:7], off
	s_waitcnt vmcnt(0)
	v_cmp_lt_i16_e32 vcc_lo, -1, v2
	v_cndmask_b32_e32 v6, 0xffff, v31, vcc_lo
	v_cmp_o_f16_e32 vcc_lo, v2, v2
	v_xor_b32_sdwa v6, v6, v2 dst_sel:DWORD dst_unused:UNUSED_PAD src0_sel:DWORD src1_sel:WORD_0
	v_cndmask_b32_e32 v6, 0xffff, v6, vcc_lo
	v_and_b32_e32 v6, v6, v33
	v_cmp_eq_u32_e32 vcc_lo, v6, v28
	s_and_b32 exec_lo, exec_lo, vcc_lo
	s_cbranch_execz .LBB207_311
; %bb.316:                              ;   in Loop: Header=BB207_314 Depth=2
	v_perm_b32 v2, v2, s93, 0x5040100
	ds_write_b32 v3, v2 offset:3072
	s_branch .LBB207_311
.LBB207_317:                            ;   in Loop: Header=BB207_314 Depth=2
	s_mov_b32 s27, -1
	s_mov_b32 s25, -1
                                        ; implicit-def: $vgpr4_vgpr5
	s_branch .LBB207_313
.LBB207_318:                            ;   in Loop: Header=BB207_12 Depth=1
	s_or_b32 exec_lo, exec_lo, s22
	s_andn2_b32 s20, s24, exec_lo
	s_and_b32 s21, s23, exec_lo
	v_lshrrev_b32_e32 v34, 16, v2
	s_or_b32 s24, s20, s21
.LBB207_319:                            ;   in Loop: Header=BB207_12 Depth=1
	s_or_b32 exec_lo, exec_lo, s9
	s_mov_b32 s27, 0
	s_mov_b32 s9, -1
.LBB207_320:                            ;   in Loop: Header=BB207_12 Depth=1
	s_orn2_b32 s20, s24, exec_lo
.LBB207_321:                            ;   in Loop: Header=BB207_12 Depth=1
	s_or_b32 exec_lo, exec_lo, s65
                                        ; implicit-def: $vgpr4_vgpr5
                                        ; implicit-def: $vgpr2
	s_and_saveexec_b32 s24, s20
	s_cbranch_execz .LBB207_485
; %bb.322:                              ;   in Loop: Header=BB207_12 Depth=1
	v_mov_b32_e32 v4, 1
	v_mov_b32_e32 v5, 0
	;; [unrolled: 1-line block ×3, first 2 shown]
	s_xor_b32 s21, s6, -1
	s_mov_b32 s20, 0
	s_and_saveexec_b32 s6, s21
	s_cbranch_execz .LBB207_331
; %bb.323:                              ;   in Loop: Header=BB207_12 Depth=1
	s_mov_b32 s20, exec_lo
	v_cmpx_ge_u64_e64 s[18:19], v[19:20]
	s_xor_b32 s20, exec_lo, s20
	s_cbranch_execz .LBB207_328
; %bb.324:                              ;   in Loop: Header=BB207_12 Depth=1
	ds_read_b64 v[4:5], v3 offset:5120
	v_or_b32_e32 v28, s11, v28
	v_or_b32_e32 v33, s11, v33
	s_waitcnt lgkmcnt(0)
	v_cmp_ne_u64_e32 vcc_lo, 0, v[4:5]
	s_cbranch_vccnz .LBB207_328
; %bb.325:                              ;   in Loop: Header=BB207_12 Depth=1
	s_and_saveexec_b32 s21, s3
; %bb.326:                              ;   in Loop: Header=BB207_12 Depth=1
	v_mov_b32_e32 v4, s18
	v_mov_b32_e32 v5, s19
	ds_write_b64 v3, v[4:5] offset:5128
; %bb.327:                              ;   in Loop: Header=BB207_12 Depth=1
	s_or_b32 exec_lo, exec_lo, s21
	s_waitcnt lgkmcnt(0)
	s_barrier
	buffer_gl0_inv
.LBB207_328:                            ;   in Loop: Header=BB207_12 Depth=1
	s_or_saveexec_b32 s20, s20
	v_mov_b32_e32 v2, 5
	s_mov_b32 s21, 0
	s_xor_b32 exec_lo, exec_lo, s20
; %bb.329:                              ;   in Loop: Header=BB207_12 Depth=1
	v_sub_co_u32 v19, vcc_lo, v19, s18
	v_subrev_co_ci_u32_e64 v20, null, s19, v20, vcc_lo
	v_mov_b32_e32 v2, 0
	s_mov_b32 s21, exec_lo
; %bb.330:                              ;   in Loop: Header=BB207_12 Depth=1
	s_or_b32 exec_lo, exec_lo, s20
	v_mov_b32_e32 v4, v19
	v_mov_b32_e32 v5, v20
	s_and_b32 s20, s21, exec_lo
.LBB207_331:                            ;   in Loop: Header=BB207_12 Depth=1
	s_or_b32 exec_lo, exec_lo, s6
	s_mov_b32 s18, -1
                                        ; implicit-def: $sgpr25
                                        ; implicit-def: $sgpr65
	s_and_saveexec_b32 s6, s20
	s_xor_b32 s6, exec_lo, s6
	s_cbranch_execz .LBB207_482
; %bb.332:                              ;   in Loop: Header=BB207_12 Depth=1
	v_cmp_eq_u64_e32 vcc_lo, 1, v[4:5]
	s_cmp_eq_u64 s[16:17], 1
                                        ; implicit-def: $sgpr65
                                        ; implicit-def: $sgpr25
	s_cselect_b32 s18, -1, 0
	s_and_b32 s66, s18, vcc_lo
	s_mov_b32 s18, -1
	s_and_saveexec_b32 s67, s66
	s_cbranch_execz .LBB207_368
; %bb.333:                              ;   in Loop: Header=BB207_12 Depth=1
	ds_read_b64 v[6:7], v3 offset:5120
	s_waitcnt lgkmcnt(0)
	s_barrier
	buffer_gl0_inv
	v_readfirstlane_b32 s18, v6
	v_readfirstlane_b32 s19, v7
	s_and_saveexec_b32 s20, s10
; %bb.334:                              ;   in Loop: Header=BB207_12 Depth=1
	ds_write_b16 v26, v3
; %bb.335:                              ;   in Loop: Header=BB207_12 Depth=1
	s_or_b32 exec_lo, exec_lo, s20
	s_lshl_b32 s20, 2, s91
	v_or_b32_e32 v33, s11, v33
	v_and_or_b32 v28, v28, s26, s20
	s_mov_b32 s25, -1
	s_mov_b32 s65, 0
	s_cmp_eq_u64 s[18:19], 0
	s_mov_b32 s22, 0
	s_mov_b32 s23, -1
	s_waitcnt lgkmcnt(0)
	s_barrier
	buffer_gl0_inv
                                        ; implicit-def: $vgpr34
	s_cbranch_scc1 .LBB207_352
; %bb.336:                              ;   in Loop: Header=BB207_12 Depth=1
	s_add_u32 s60, s18, s82
	s_addc_u32 s21, s19, s83
	s_mov_b32 s20, s59
	s_cmp_lg_u64 s[20:21], 0
	s_cbranch_scc0 .LBB207_395
; %bb.337:                              ;   in Loop: Header=BB207_12 Depth=1
	v_cvt_f32_u32_e32 v6, s49
	s_sub_u32 s23, 0, s49
	s_subb_u32 s54, 0, 0
	v_fmac_f32_e64 v6, 0x4f800000, 0
	v_rcp_f32_e32 v6, v6
	v_mul_f32_e32 v6, 0x5f7ffffc, v6
	v_mul_f32_e32 v7, 0x2f800000, v6
	v_trunc_f32_e32 v7, v7
	v_fmac_f32_e32 v6, 0xcf800000, v7
	v_cvt_u32_f32_e32 v7, v7
	v_cvt_u32_f32_e32 v6, v6
	v_readfirstlane_b32 s20, v7
	v_readfirstlane_b32 s22, v6
	s_mul_i32 s55, s23, s20
	s_mul_hi_u32 s68, s23, s22
	s_mul_i32 s58, s54, s22
	s_add_i32 s55, s68, s55
	s_mul_i32 s69, s23, s22
	s_add_i32 s55, s55, s58
	s_mul_hi_u32 s68, s22, s69
	s_mul_i32 s71, s22, s55
	s_mul_hi_u32 s70, s20, s69
	s_mul_i32 s58, s20, s69
	s_mul_hi_u32 s69, s22, s55
	s_add_u32 s68, s68, s71
	s_addc_u32 s69, 0, s69
	s_mul_hi_u32 s72, s20, s55
	s_add_u32 s58, s68, s58
	s_mul_i32 s55, s20, s55
	s_addc_u32 s58, s69, s70
	s_addc_u32 s68, s72, 0
	s_add_u32 s55, s58, s55
	s_addc_u32 s58, 0, s68
	s_add_u32 s22, s22, s55
	s_cselect_b32 s55, -1, 0
	s_mul_hi_u32 s68, s23, s22
	s_cmp_lg_u32 s55, 0
	s_mul_i32 s55, s23, s22
	s_addc_u32 s20, s20, s58
	s_mul_i32 s54, s54, s22
	s_mul_i32 s23, s23, s20
	s_mul_hi_u32 s58, s22, s55
	s_add_i32 s23, s68, s23
	s_mul_hi_u32 s68, s20, s55
	s_add_i32 s23, s23, s54
	s_mul_i32 s54, s20, s55
	s_mul_i32 s70, s22, s23
	s_mul_hi_u32 s69, s22, s23
	s_add_u32 s58, s58, s70
	s_addc_u32 s69, 0, s69
	s_mul_hi_u32 s55, s20, s23
	s_add_u32 s54, s58, s54
	s_mul_i32 s23, s20, s23
	s_addc_u32 s54, s69, s68
	s_addc_u32 s55, s55, 0
	s_add_u32 s23, s54, s23
	s_addc_u32 s54, 0, s55
	s_add_u32 s22, s22, s23
	s_cselect_b32 s23, -1, 0
	s_mul_hi_u32 s55, s60, s22
	s_cmp_lg_u32 s23, 0
	s_mul_hi_u32 s23, s21, s22
	s_addc_u32 s20, s20, s54
	s_mul_i32 s22, s21, s22
	s_mul_i32 s58, s60, s20
	s_mul_hi_u32 s54, s60, s20
	s_add_u32 s55, s55, s58
	s_addc_u32 s54, 0, s54
	s_mul_hi_u32 s68, s21, s20
	s_add_u32 s22, s55, s22
	s_mul_i32 s20, s21, s20
	s_addc_u32 s22, s54, s23
	s_addc_u32 s23, s68, 0
	s_add_u32 s20, s22, s20
	s_addc_u32 s22, 0, s23
	s_mul_hi_u32 s23, s49, s20
	s_mul_i32 s22, s49, s22
	s_mul_i32 s20, s49, s20
	s_add_i32 s23, s23, s22
	s_sub_u32 s20, s60, s20
	s_cselect_b32 s22, -1, 0
	s_cmp_lg_u32 s22, 0
	s_subb_u32 s22, s21, s23
	s_sub_u32 s23, s20, s49
	s_cselect_b32 s54, -1, 0
	s_cmp_lg_u32 s54, 0
	s_subb_u32 s54, s22, 0
	;; [unrolled: 4-line block ×3, first 2 shown]
	s_cmp_ge_u32 s23, s49
	s_cselect_b32 s68, -1, 0
	s_cmp_eq_u32 s54, 0
	s_cselect_b32 s68, s68, -1
	s_cmp_lg_u32 s68, 0
	s_cselect_b32 s54, s58, s54
	s_cselect_b32 s55, s55, s23
	s_cmp_ge_u32 s20, s49
	s_cselect_b32 s23, -1, 0
	s_cmp_eq_u32 s22, 0
	s_cselect_b32 s23, s23, -1
	s_cmp_lg_u32 s23, 0
	s_cselect_b32 s23, s54, s22
	s_cselect_b32 s22, s55, s20
	s_cbranch_execnz .LBB207_339
.LBB207_338:                            ;   in Loop: Header=BB207_12 Depth=1
	v_cvt_f32_u32_e32 v6, s49
	s_sub_i32 s22, 0, s49
	v_rcp_iflag_f32_e32 v6, v6
	v_mul_f32_e32 v6, 0x4f7ffffe, v6
	v_cvt_u32_f32_e32 v6, v6
	v_readfirstlane_b32 s20, v6
	s_mul_i32 s22, s22, s20
	s_mul_hi_u32 s22, s20, s22
	s_add_i32 s20, s20, s22
	s_mul_hi_u32 s20, s60, s20
	s_mul_i32 s20, s20, s49
	s_sub_i32 s20, s60, s20
	s_sub_i32 s22, s20, s49
	s_cmp_ge_u32 s20, s49
	s_cselect_b32 s20, s22, s20
	s_sub_i32 s22, s20, s49
	s_cmp_ge_u32 s20, s49
	s_cselect_b32 s58, s22, s20
	s_mov_b64 s[22:23], s[58:59]
.LBB207_339:                            ;   in Loop: Header=BB207_12 Depth=1
	s_sub_u32 s20, s60, s22
	s_subb_u32 s21, s21, s23
	s_mov_b32 s23, 0
	s_mov_b32 s22, 0
	s_mov_b32 s54, exec_lo
                                        ; implicit-def: $vgpr34
	v_cmpx_gt_u64_e64 s[20:21], v[0:1]
	s_cbranch_execz .LBB207_351
; %bb.340:                              ;   in Loop: Header=BB207_12 Depth=1
	v_mov_b32_e32 v7, v1
	v_mov_b32_e32 v8, v25
	;; [unrolled: 1-line block ×3, first 2 shown]
                                        ; implicit-def: $sgpr55
	s_branch .LBB207_344
.LBB207_341:                            ;   in Loop: Header=BB207_344 Depth=2
	s_or_b32 exec_lo, exec_lo, s58
	s_waitcnt lgkmcnt(0)
	s_barrier
	buffer_gl0_inv
	ds_read_b32 v9, v3 offset:3072
	s_waitcnt lgkmcnt(0)
	s_barrier
	buffer_gl0_inv
	v_cmp_neq_f16_e32 vcc_lo, 0, v9
	s_cbranch_vccnz .LBB207_347
; %bb.342:                              ;   in Loop: Header=BB207_344 Depth=2
	v_add_co_u32 v6, vcc_lo, v6, s49
	v_add_co_ci_u32_e64 v7, null, 0, v7, vcc_lo
	v_add_nc_u32_e32 v8, s90, v8
	s_mov_b32 s58, 0
	v_cmp_le_u64_e32 vcc_lo, s[20:21], v[6:7]
	s_orn2_b32 s60, vcc_lo, exec_lo
.LBB207_343:                            ;   in Loop: Header=BB207_344 Depth=2
	s_and_b32 s44, exec_lo, s60
	s_or_b32 s22, s44, s22
	s_andn2_b32 s44, s55, exec_lo
	s_and_b32 s45, s58, exec_lo
	s_or_b32 s55, s44, s45
	s_andn2_b32 exec_lo, exec_lo, s22
	s_cbranch_execz .LBB207_350
.LBB207_344:                            ;   Parent Loop BB207_12 Depth=1
                                        ; =>  This Inner Loop Header: Depth=2
	s_mov_b32 s58, exec_lo
	v_cmpx_gt_u64_e64 s[18:19], v[6:7]
	s_cbranch_execz .LBB207_341
; %bb.345:                              ;   in Loop: Header=BB207_344 Depth=2
	ds_read_u16 v9, v8
	s_waitcnt lgkmcnt(0)
	v_cmp_lt_i16_e32 vcc_lo, -1, v9
	v_cndmask_b32_e32 v10, 0xffff, v31, vcc_lo
	v_cmp_o_f16_e32 vcc_lo, v9, v9
	v_xor_b32_sdwa v10, v10, v9 dst_sel:DWORD dst_unused:UNUSED_PAD src0_sel:DWORD src1_sel:WORD_0
	v_cndmask_b32_e32 v10, 0xffff, v10, vcc_lo
	v_and_b32_e32 v10, v10, v33
	v_cmp_eq_u32_e32 vcc_lo, v10, v28
	s_and_b32 exec_lo, exec_lo, vcc_lo
	s_cbranch_execz .LBB207_341
; %bb.346:                              ;   in Loop: Header=BB207_344 Depth=2
	v_perm_b32 v9, v9, s93, 0x5040100
	ds_write_b32 v3, v9 offset:3072
	s_branch .LBB207_341
.LBB207_347:                            ;   in Loop: Header=BB207_344 Depth=2
	s_mov_b32 s60, -1
	s_mov_b32 s58, -1
                                        ; implicit-def: $vgpr6_vgpr7
                                        ; implicit-def: $vgpr8
	s_branch .LBB207_343
.LBB207_348:                            ;   in Loop: Header=BB207_12 Depth=1
                                        ; implicit-def: $sgpr24_sgpr25
	s_branch .LBB207_292
.LBB207_349:                            ;   in Loop: Header=BB207_12 Depth=1
                                        ; implicit-def: $sgpr20_sgpr21
	s_branch .LBB207_308
.LBB207_350:                            ;   in Loop: Header=BB207_12 Depth=1
	s_or_b32 exec_lo, exec_lo, s22
	v_lshrrev_b32_e32 v34, 16, v9
	s_and_b32 s22, s55, exec_lo
.LBB207_351:                            ;   in Loop: Header=BB207_12 Depth=1
	s_or_b32 exec_lo, exec_lo, s54
.LBB207_352:                            ;   in Loop: Header=BB207_12 Depth=1
	s_and_b32 vcc_lo, exec_lo, s23
	s_cbranch_vccz .LBB207_367
; %bb.353:                              ;   in Loop: Header=BB207_12 Depth=1
	s_mov_b32 s60, s59
	s_cmp_lg_u64 s[60:61], 0
	s_cbranch_scc0 .LBB207_396
; %bb.354:                              ;   in Loop: Header=BB207_12 Depth=1
	v_cvt_f32_u32_e32 v6, s49
	s_sub_u32 s20, 0, s49
	s_subb_u32 s21, 0, 0
	v_fmac_f32_e64 v6, 0x4f800000, 0
	v_rcp_f32_e32 v6, v6
	v_mul_f32_e32 v6, 0x5f7ffffc, v6
	v_mul_f32_e32 v7, 0x2f800000, v6
	v_trunc_f32_e32 v7, v7
	v_fmac_f32_e32 v6, 0xcf800000, v7
	v_cvt_u32_f32_e32 v7, v7
	v_cvt_u32_f32_e32 v6, v6
	v_readfirstlane_b32 s18, v7
	v_readfirstlane_b32 s19, v6
	s_mul_i32 s23, s20, s18
	s_mul_hi_u32 s54, s20, s19
	s_mul_i32 s25, s21, s19
	s_add_i32 s23, s54, s23
	s_mul_i32 s55, s20, s19
	s_add_i32 s23, s23, s25
	s_mul_hi_u32 s54, s19, s55
	s_mul_i32 s60, s19, s23
	s_mul_hi_u32 s58, s18, s55
	s_mul_i32 s25, s18, s55
	s_mul_hi_u32 s55, s19, s23
	s_add_u32 s54, s54, s60
	s_addc_u32 s55, 0, s55
	s_mul_hi_u32 s65, s18, s23
	s_add_u32 s25, s54, s25
	s_mul_i32 s23, s18, s23
	s_addc_u32 s25, s55, s58
	s_addc_u32 s54, s65, 0
	s_add_u32 s23, s25, s23
	s_addc_u32 s25, 0, s54
	s_add_u32 s19, s19, s23
	s_cselect_b32 s23, -1, 0
	s_mul_hi_u32 s54, s20, s19
	s_cmp_lg_u32 s23, 0
	s_mul_i32 s23, s20, s19
	s_addc_u32 s18, s18, s25
	s_mul_i32 s21, s21, s19
	s_mul_i32 s20, s20, s18
	s_mul_hi_u32 s25, s19, s23
	s_add_i32 s20, s54, s20
	s_mul_hi_u32 s54, s18, s23
	s_add_i32 s20, s20, s21
	s_mul_i32 s21, s18, s23
	s_mul_i32 s58, s19, s20
	s_mul_hi_u32 s55, s19, s20
	s_add_u32 s25, s25, s58
	s_addc_u32 s55, 0, s55
	s_mul_hi_u32 s23, s18, s20
	s_add_u32 s21, s25, s21
	s_mul_i32 s20, s18, s20
	s_addc_u32 s21, s55, s54
	s_addc_u32 s23, s23, 0
	s_add_u32 s20, s21, s20
	s_addc_u32 s21, 0, s23
	s_add_u32 s19, s19, s20
	s_cselect_b32 s20, -1, 0
	s_mul_hi_u32 s23, s84, s19
	s_cmp_lg_u32 s20, 0
	s_mul_hi_u32 s20, s61, s19
	s_addc_u32 s18, s18, s21
	s_mul_i32 s19, s61, s19
	s_mul_i32 s25, s84, s18
	s_mul_hi_u32 s21, s84, s18
	s_add_u32 s23, s23, s25
	s_addc_u32 s21, 0, s21
	s_mul_hi_u32 s54, s61, s18
	s_add_u32 s19, s23, s19
	s_mul_i32 s18, s61, s18
	s_addc_u32 s19, s21, s20
	s_addc_u32 s20, s54, 0
	s_add_u32 s18, s19, s18
	s_addc_u32 s19, 0, s20
	s_mul_hi_u32 s20, s49, s18
	s_mul_i32 s19, s49, s19
	s_mul_i32 s18, s49, s18
	s_add_i32 s20, s20, s19
	s_sub_u32 s18, s84, s18
	s_cselect_b32 s19, -1, 0
	s_cmp_lg_u32 s19, 0
	s_subb_u32 s19, s61, s20
	s_sub_u32 s20, s18, s49
	s_cselect_b32 s21, -1, 0
	s_cmp_lg_u32 s21, 0
	s_subb_u32 s21, s19, 0
	;; [unrolled: 4-line block ×3, first 2 shown]
	s_cmp_ge_u32 s20, s49
	s_cselect_b32 s54, -1, 0
	s_cmp_eq_u32 s21, 0
	s_cselect_b32 s54, s54, -1
	s_cmp_lg_u32 s54, 0
	s_cselect_b32 s21, s25, s21
	s_cselect_b32 s20, s23, s20
	s_cmp_ge_u32 s18, s49
	s_cselect_b32 s23, -1, 0
	s_cmp_eq_u32 s19, 0
	s_cselect_b32 s23, s23, -1
	s_cmp_lg_u32 s23, 0
	s_cselect_b32 s19, s21, s19
	s_cselect_b32 s18, s20, s18
	s_cbranch_execnz .LBB207_356
.LBB207_355:                            ;   in Loop: Header=BB207_12 Depth=1
	v_cvt_f32_u32_e32 v6, s49
	s_sub_i32 s19, 0, s49
	v_rcp_iflag_f32_e32 v6, v6
	v_mul_f32_e32 v6, 0x4f7ffffe, v6
	v_cvt_u32_f32_e32 v6, v6
	v_readfirstlane_b32 s18, v6
	s_mul_i32 s19, s19, s18
	s_mul_hi_u32 s19, s18, s19
	s_add_i32 s18, s18, s19
	s_mul_hi_u32 s18, s84, s18
	s_mul_i32 s18, s18, s49
	s_sub_i32 s18, s84, s18
	s_sub_i32 s19, s18, s49
	s_cmp_ge_u32 s18, s49
	s_cselect_b32 s18, s19, s18
	s_sub_i32 s19, s18, s49
	s_cmp_ge_u32 s18, s49
	s_cselect_b32 s58, s19, s18
	s_mov_b64 s[18:19], s[58:59]
.LBB207_356:                            ;   in Loop: Header=BB207_12 Depth=1
	s_sub_u32 s18, s84, s18
	s_subb_u32 s19, s61, s19
	s_mov_b32 s20, exec_lo
                                        ; implicit-def: $vgpr34
	v_cmpx_gt_u64_e64 s[18:19], v[0:1]
	s_cbranch_execz .LBB207_366
; %bb.357:                              ;   in Loop: Header=BB207_12 Depth=1
	v_mov_b32_e32 v7, v1
	v_mov_b32_e32 v6, v0
	s_mov_b32 s21, 0
                                        ; implicit-def: $sgpr23
	s_branch .LBB207_361
.LBB207_358:                            ;   in Loop: Header=BB207_361 Depth=2
	s_or_b32 exec_lo, exec_lo, s25
	s_waitcnt lgkmcnt(0)
	s_barrier
	buffer_gl0_inv
	ds_read_b32 v8, v3 offset:3072
	s_waitcnt lgkmcnt(0)
	s_barrier
	buffer_gl0_inv
	v_cmp_eq_f16_e32 vcc_lo, 0, v8
	s_cbranch_vccz .LBB207_364
; %bb.359:                              ;   in Loop: Header=BB207_361 Depth=2
	v_add_co_u32 v6, vcc_lo, v6, s49
	v_add_co_ci_u32_e64 v7, null, 0, v7, vcc_lo
	s_mov_b32 s25, 0
	v_cmp_le_u64_e32 vcc_lo, s[18:19], v[6:7]
	s_orn2_b32 s54, vcc_lo, exec_lo
.LBB207_360:                            ;   in Loop: Header=BB207_361 Depth=2
	s_and_b32 s44, exec_lo, s54
	s_or_b32 s21, s44, s21
	s_andn2_b32 s23, s23, exec_lo
	s_and_b32 s25, s25, exec_lo
	s_or_b32 s23, s23, s25
	s_andn2_b32 exec_lo, exec_lo, s21
	s_cbranch_execz .LBB207_365
.LBB207_361:                            ;   Parent Loop BB207_12 Depth=1
                                        ; =>  This Inner Loop Header: Depth=2
	s_mov_b32 s25, exec_lo
	v_cmpx_gt_u64_e64 s[36:37], v[6:7]
	s_cbranch_execz .LBB207_358
; %bb.362:                              ;   in Loop: Header=BB207_361 Depth=2
	v_mul_lo_u32 v10, v7, s30
	v_mul_lo_u32 v11, v6, s31
	v_mad_u64_u32 v[8:9], null, v6, s30, 0
	v_add3_u32 v9, v9, v11, v10
	v_lshlrev_b64 v[8:9], 1, v[8:9]
	v_add_co_u32 v8, vcc_lo, s33, v8
	v_add_co_ci_u32_e64 v9, null, s35, v9, vcc_lo
	global_load_ushort v8, v[8:9], off
	s_waitcnt vmcnt(0)
	v_cmp_lt_i16_e32 vcc_lo, -1, v8
	v_cndmask_b32_e32 v9, 0xffff, v31, vcc_lo
	v_cmp_o_f16_e32 vcc_lo, v8, v8
	v_xor_b32_sdwa v9, v9, v8 dst_sel:DWORD dst_unused:UNUSED_PAD src0_sel:DWORD src1_sel:WORD_0
	v_cndmask_b32_e32 v9, 0xffff, v9, vcc_lo
	v_and_b32_e32 v9, v9, v33
	v_cmp_eq_u32_e32 vcc_lo, v9, v28
	s_and_b32 exec_lo, exec_lo, vcc_lo
	s_cbranch_execz .LBB207_358
; %bb.363:                              ;   in Loop: Header=BB207_361 Depth=2
	v_perm_b32 v8, v8, s93, 0x5040100
	ds_write_b32 v3, v8 offset:3072
	s_branch .LBB207_358
.LBB207_364:                            ;   in Loop: Header=BB207_361 Depth=2
	s_mov_b32 s54, -1
	s_mov_b32 s25, -1
                                        ; implicit-def: $vgpr6_vgpr7
	s_branch .LBB207_360
.LBB207_365:                            ;   in Loop: Header=BB207_12 Depth=1
	s_or_b32 exec_lo, exec_lo, s21
	v_lshrrev_b32_e32 v34, 16, v8
	s_andn2_b32 s18, s22, exec_lo
	s_and_b32 s19, s23, exec_lo
	s_or_b32 s22, s18, s19
.LBB207_366:                            ;   in Loop: Header=BB207_12 Depth=1
	s_or_b32 exec_lo, exec_lo, s20
	s_mov_b32 s25, 0
	s_mov_b32 s65, -1
.LBB207_367:                            ;   in Loop: Header=BB207_12 Depth=1
	s_orn2_b32 s18, s22, exec_lo
.LBB207_368:                            ;   in Loop: Header=BB207_12 Depth=1
	s_or_b32 exec_lo, exec_lo, s67
	s_mov_b32 s19, 0
	s_and_saveexec_b32 s22, s18
	s_cbranch_execz .LBB207_481
; %bb.369:                              ;   in Loop: Header=BB207_12 Depth=1
	v_mov_b32_e32 v6, 1
	v_mov_b32_e32 v7, 0
	;; [unrolled: 1-line block ×3, first 2 shown]
	s_xor_b32 s20, s66, -1
	s_and_saveexec_b32 s18, s20
	s_cbranch_execz .LBB207_378
; %bb.370:                              ;   in Loop: Header=BB207_12 Depth=1
	s_mov_b32 s19, exec_lo
	v_cmpx_ge_u64_e64 s[16:17], v[4:5]
	s_xor_b32 s19, exec_lo, s19
	s_cbranch_execz .LBB207_375
; %bb.371:                              ;   in Loop: Header=BB207_12 Depth=1
	ds_read_b64 v[6:7], v3 offset:5120
	s_lshl_b32 s20, 2, s91
	v_or_b32_e32 v33, s11, v33
	v_and_or_b32 v28, v28, s26, s20
	s_waitcnt lgkmcnt(0)
	v_cmp_ne_u64_e32 vcc_lo, 0, v[6:7]
	s_cbranch_vccnz .LBB207_375
; %bb.372:                              ;   in Loop: Header=BB207_12 Depth=1
	s_and_saveexec_b32 s20, s3
; %bb.373:                              ;   in Loop: Header=BB207_12 Depth=1
	v_mov_b32_e32 v6, s16
	v_mov_b32_e32 v7, s17
	ds_write_b64 v3, v[6:7] offset:5128
; %bb.374:                              ;   in Loop: Header=BB207_12 Depth=1
	s_or_b32 exec_lo, exec_lo, s20
	s_waitcnt lgkmcnt(0)
	s_barrier
	buffer_gl0_inv
.LBB207_375:                            ;   in Loop: Header=BB207_12 Depth=1
	s_or_saveexec_b32 s19, s19
	v_mov_b32_e32 v2, 5
	s_mov_b32 s20, 0
	s_xor_b32 exec_lo, exec_lo, s19
; %bb.376:                              ;   in Loop: Header=BB207_12 Depth=1
	v_sub_co_u32 v4, vcc_lo, v4, s16
	v_subrev_co_ci_u32_e64 v5, null, s17, v5, vcc_lo
	v_mov_b32_e32 v2, 0
	s_mov_b32 s20, exec_lo
; %bb.377:                              ;   in Loop: Header=BB207_12 Depth=1
	s_or_b32 exec_lo, exec_lo, s19
	v_mov_b32_e32 v7, v5
	v_mov_b32_e32 v6, v4
	s_and_b32 s19, s20, exec_lo
.LBB207_378:                            ;   in Loop: Header=BB207_12 Depth=1
	s_or_b32 exec_lo, exec_lo, s18
	s_mov_b32 s16, -1
                                        ; implicit-def: $sgpr66
                                        ; implicit-def: $sgpr67
	s_and_saveexec_b32 s23, s19
	s_cbranch_execz .LBB207_480
; %bb.379:                              ;   in Loop: Header=BB207_12 Depth=1
	v_cmp_eq_u64_e32 vcc_lo, 1, v[6:7]
	s_cmp_eq_u64 s[14:15], 1
                                        ; implicit-def: $sgpr67
                                        ; implicit-def: $sgpr66
	s_cselect_b32 s16, -1, 0
	s_and_b32 s68, s16, vcc_lo
	s_mov_b32 s16, -1
	s_and_saveexec_b32 s69, s68
	s_cbranch_execz .LBB207_415
; %bb.380:                              ;   in Loop: Header=BB207_12 Depth=1
	ds_read_b64 v[4:5], v3 offset:5120
	s_waitcnt lgkmcnt(0)
	s_barrier
	buffer_gl0_inv
	v_readfirstlane_b32 s16, v4
	v_readfirstlane_b32 s17, v5
	s_and_saveexec_b32 s18, s10
; %bb.381:                              ;   in Loop: Header=BB207_12 Depth=1
	ds_write_b16 v26, v3
; %bb.382:                              ;   in Loop: Header=BB207_12 Depth=1
	s_or_b32 exec_lo, exec_lo, s18
	s_lshl_b32 s18, 1, s91
	v_or_b32_e32 v33, s11, v33
	v_and_or_b32 v28, v28, s26, s18
	s_mov_b32 s66, -1
	s_mov_b32 s67, 0
	s_cmp_eq_u64 s[16:17], 0
	s_mov_b32 s20, 0
	s_mov_b32 s21, -1
	s_waitcnt lgkmcnt(0)
	s_barrier
	buffer_gl0_inv
                                        ; implicit-def: $vgpr34
	s_cbranch_scc1 .LBB207_399
; %bb.383:                              ;   in Loop: Header=BB207_12 Depth=1
	s_add_u32 s60, s16, s82
	s_addc_u32 s19, s17, s83
	s_mov_b32 s18, s59
	s_cmp_lg_u64 s[18:19], 0
	s_cbranch_scc0 .LBB207_432
; %bb.384:                              ;   in Loop: Header=BB207_12 Depth=1
	v_cvt_f32_u32_e32 v4, s49
	s_sub_u32 s21, 0, s49
	s_subb_u32 s54, 0, 0
	v_fmac_f32_e64 v4, 0x4f800000, 0
	v_rcp_f32_e32 v4, v4
	v_mul_f32_e32 v4, 0x5f7ffffc, v4
	v_mul_f32_e32 v5, 0x2f800000, v4
	v_trunc_f32_e32 v5, v5
	v_fmac_f32_e32 v4, 0xcf800000, v5
	v_cvt_u32_f32_e32 v5, v5
	v_cvt_u32_f32_e32 v4, v4
	v_readfirstlane_b32 s18, v5
	v_readfirstlane_b32 s20, v4
	s_mul_i32 s55, s21, s18
	s_mul_hi_u32 s70, s21, s20
	s_mul_i32 s58, s54, s20
	s_add_i32 s55, s70, s55
	s_mul_i32 s71, s21, s20
	s_add_i32 s55, s55, s58
	s_mul_hi_u32 s70, s20, s71
	s_mul_i32 s73, s20, s55
	s_mul_hi_u32 s72, s18, s71
	s_mul_i32 s58, s18, s71
	s_mul_hi_u32 s71, s20, s55
	s_add_u32 s70, s70, s73
	s_addc_u32 s71, 0, s71
	s_mul_hi_u32 s74, s18, s55
	s_add_u32 s58, s70, s58
	s_mul_i32 s55, s18, s55
	s_addc_u32 s58, s71, s72
	s_addc_u32 s70, s74, 0
	s_add_u32 s55, s58, s55
	s_addc_u32 s58, 0, s70
	s_add_u32 s20, s20, s55
	s_cselect_b32 s55, -1, 0
	s_mul_hi_u32 s70, s21, s20
	s_cmp_lg_u32 s55, 0
	s_mul_i32 s55, s21, s20
	s_addc_u32 s18, s18, s58
	s_mul_i32 s54, s54, s20
	s_mul_i32 s21, s21, s18
	s_mul_hi_u32 s58, s20, s55
	s_add_i32 s21, s70, s21
	s_mul_hi_u32 s70, s18, s55
	s_add_i32 s21, s21, s54
	s_mul_i32 s54, s18, s55
	s_mul_i32 s72, s20, s21
	s_mul_hi_u32 s71, s20, s21
	s_add_u32 s58, s58, s72
	s_addc_u32 s71, 0, s71
	s_mul_hi_u32 s55, s18, s21
	s_add_u32 s54, s58, s54
	s_mul_i32 s21, s18, s21
	s_addc_u32 s54, s71, s70
	s_addc_u32 s55, s55, 0
	s_add_u32 s21, s54, s21
	s_addc_u32 s54, 0, s55
	s_add_u32 s20, s20, s21
	s_cselect_b32 s21, -1, 0
	s_mul_hi_u32 s55, s60, s20
	s_cmp_lg_u32 s21, 0
	s_mul_hi_u32 s21, s19, s20
	s_addc_u32 s18, s18, s54
	s_mul_i32 s20, s19, s20
	s_mul_i32 s58, s60, s18
	s_mul_hi_u32 s54, s60, s18
	s_add_u32 s55, s55, s58
	s_addc_u32 s54, 0, s54
	s_mul_hi_u32 s70, s19, s18
	s_add_u32 s20, s55, s20
	s_mul_i32 s18, s19, s18
	s_addc_u32 s20, s54, s21
	s_addc_u32 s21, s70, 0
	s_add_u32 s18, s20, s18
	s_addc_u32 s20, 0, s21
	s_mul_hi_u32 s21, s49, s18
	s_mul_i32 s20, s49, s20
	s_mul_i32 s18, s49, s18
	s_add_i32 s21, s21, s20
	s_sub_u32 s18, s60, s18
	s_cselect_b32 s20, -1, 0
	s_cmp_lg_u32 s20, 0
	s_subb_u32 s20, s19, s21
	s_sub_u32 s21, s18, s49
	s_cselect_b32 s54, -1, 0
	s_cmp_lg_u32 s54, 0
	s_subb_u32 s54, s20, 0
	;; [unrolled: 4-line block ×3, first 2 shown]
	s_cmp_ge_u32 s21, s49
	s_cselect_b32 s70, -1, 0
	s_cmp_eq_u32 s54, 0
	s_cselect_b32 s70, s70, -1
	s_cmp_lg_u32 s70, 0
	s_cselect_b32 s54, s58, s54
	s_cselect_b32 s55, s55, s21
	s_cmp_ge_u32 s18, s49
	s_cselect_b32 s21, -1, 0
	s_cmp_eq_u32 s20, 0
	s_cselect_b32 s21, s21, -1
	s_cmp_lg_u32 s21, 0
	s_cselect_b32 s21, s54, s20
	s_cselect_b32 s20, s55, s18
	s_cbranch_execnz .LBB207_386
.LBB207_385:                            ;   in Loop: Header=BB207_12 Depth=1
	v_cvt_f32_u32_e32 v4, s49
	s_sub_i32 s20, 0, s49
	v_rcp_iflag_f32_e32 v4, v4
	v_mul_f32_e32 v4, 0x4f7ffffe, v4
	v_cvt_u32_f32_e32 v4, v4
	v_readfirstlane_b32 s18, v4
	s_mul_i32 s20, s20, s18
	s_mul_hi_u32 s20, s18, s20
	s_add_i32 s18, s18, s20
	s_mul_hi_u32 s18, s60, s18
	s_mul_i32 s18, s18, s49
	s_sub_i32 s18, s60, s18
	s_sub_i32 s20, s18, s49
	s_cmp_ge_u32 s18, s49
	s_cselect_b32 s18, s20, s18
	s_sub_i32 s20, s18, s49
	s_cmp_ge_u32 s18, s49
	s_cselect_b32 s58, s20, s18
	s_mov_b64 s[20:21], s[58:59]
.LBB207_386:                            ;   in Loop: Header=BB207_12 Depth=1
	s_sub_u32 s18, s60, s20
	s_subb_u32 s19, s19, s21
	s_mov_b32 s21, 0
	s_mov_b32 s20, 0
	s_mov_b32 s54, exec_lo
                                        ; implicit-def: $vgpr34
	v_cmpx_gt_u64_e64 s[18:19], v[0:1]
	s_cbranch_execz .LBB207_398
; %bb.387:                              ;   in Loop: Header=BB207_12 Depth=1
	v_mov_b32_e32 v5, v1
	v_mov_b32_e32 v8, v25
	;; [unrolled: 1-line block ×3, first 2 shown]
                                        ; implicit-def: $sgpr55
	s_branch .LBB207_391
.LBB207_388:                            ;   in Loop: Header=BB207_391 Depth=2
	s_or_b32 exec_lo, exec_lo, s58
	s_waitcnt lgkmcnt(0)
	s_barrier
	buffer_gl0_inv
	ds_read_b32 v9, v3 offset:3072
	s_waitcnt lgkmcnt(0)
	s_barrier
	buffer_gl0_inv
	v_cmp_neq_f16_e32 vcc_lo, 0, v9
	s_cbranch_vccnz .LBB207_394
; %bb.389:                              ;   in Loop: Header=BB207_391 Depth=2
	v_add_co_u32 v4, vcc_lo, v4, s49
	v_add_co_ci_u32_e64 v5, null, 0, v5, vcc_lo
	v_add_nc_u32_e32 v8, s90, v8
	s_mov_b32 s58, 0
	v_cmp_le_u64_e32 vcc_lo, s[18:19], v[4:5]
	s_orn2_b32 s60, vcc_lo, exec_lo
.LBB207_390:                            ;   in Loop: Header=BB207_391 Depth=2
	s_and_b32 s44, exec_lo, s60
	s_or_b32 s20, s44, s20
	s_andn2_b32 s44, s55, exec_lo
	s_and_b32 s45, s58, exec_lo
	s_or_b32 s55, s44, s45
	s_andn2_b32 exec_lo, exec_lo, s20
	s_cbranch_execz .LBB207_397
.LBB207_391:                            ;   Parent Loop BB207_12 Depth=1
                                        ; =>  This Inner Loop Header: Depth=2
	s_mov_b32 s58, exec_lo
	v_cmpx_gt_u64_e64 s[16:17], v[4:5]
	s_cbranch_execz .LBB207_388
; %bb.392:                              ;   in Loop: Header=BB207_391 Depth=2
	ds_read_u16 v9, v8
	s_waitcnt lgkmcnt(0)
	v_cmp_lt_i16_e32 vcc_lo, -1, v9
	v_cndmask_b32_e32 v10, 0xffff, v31, vcc_lo
	v_cmp_o_f16_e32 vcc_lo, v9, v9
	v_xor_b32_sdwa v10, v10, v9 dst_sel:DWORD dst_unused:UNUSED_PAD src0_sel:DWORD src1_sel:WORD_0
	v_cndmask_b32_e32 v10, 0xffff, v10, vcc_lo
	v_and_b32_e32 v10, v10, v33
	v_cmp_eq_u32_e32 vcc_lo, v10, v28
	s_and_b32 exec_lo, exec_lo, vcc_lo
	s_cbranch_execz .LBB207_388
; %bb.393:                              ;   in Loop: Header=BB207_391 Depth=2
	v_perm_b32 v9, v9, s93, 0x5040100
	ds_write_b32 v3, v9 offset:3072
	s_branch .LBB207_388
.LBB207_394:                            ;   in Loop: Header=BB207_391 Depth=2
	s_mov_b32 s60, -1
	s_mov_b32 s58, -1
                                        ; implicit-def: $vgpr4_vgpr5
                                        ; implicit-def: $vgpr8
	s_branch .LBB207_390
.LBB207_395:                            ;   in Loop: Header=BB207_12 Depth=1
                                        ; implicit-def: $sgpr22_sgpr23
	s_branch .LBB207_338
.LBB207_396:                            ;   in Loop: Header=BB207_12 Depth=1
                                        ; implicit-def: $sgpr18_sgpr19
	s_branch .LBB207_355
.LBB207_397:                            ;   in Loop: Header=BB207_12 Depth=1
	s_or_b32 exec_lo, exec_lo, s20
	v_lshrrev_b32_e32 v34, 16, v9
	s_and_b32 s20, s55, exec_lo
.LBB207_398:                            ;   in Loop: Header=BB207_12 Depth=1
	s_or_b32 exec_lo, exec_lo, s54
.LBB207_399:                            ;   in Loop: Header=BB207_12 Depth=1
	s_and_b32 vcc_lo, exec_lo, s21
	s_cbranch_vccz .LBB207_414
; %bb.400:                              ;   in Loop: Header=BB207_12 Depth=1
	s_mov_b32 s60, s59
	s_cmp_lg_u64 s[60:61], 0
	s_cbranch_scc0 .LBB207_433
; %bb.401:                              ;   in Loop: Header=BB207_12 Depth=1
	v_cvt_f32_u32_e32 v4, s49
	s_sub_u32 s18, 0, s49
	s_subb_u32 s19, 0, 0
	v_fmac_f32_e64 v4, 0x4f800000, 0
	v_rcp_f32_e32 v4, v4
	v_mul_f32_e32 v4, 0x5f7ffffc, v4
	v_mul_f32_e32 v5, 0x2f800000, v4
	v_trunc_f32_e32 v5, v5
	v_fmac_f32_e32 v4, 0xcf800000, v5
	v_cvt_u32_f32_e32 v5, v5
	v_cvt_u32_f32_e32 v4, v4
	v_readfirstlane_b32 s16, v5
	v_readfirstlane_b32 s17, v4
	s_mul_i32 s21, s18, s16
	s_mul_hi_u32 s55, s18, s17
	s_mul_i32 s54, s19, s17
	s_add_i32 s21, s55, s21
	s_mul_i32 s58, s18, s17
	s_add_i32 s21, s21, s54
	s_mul_hi_u32 s55, s17, s58
	s_mul_i32 s66, s17, s21
	s_mul_hi_u32 s60, s16, s58
	s_mul_i32 s54, s16, s58
	s_mul_hi_u32 s58, s17, s21
	s_add_u32 s55, s55, s66
	s_addc_u32 s58, 0, s58
	s_mul_hi_u32 s67, s16, s21
	s_add_u32 s54, s55, s54
	s_mul_i32 s21, s16, s21
	s_addc_u32 s54, s58, s60
	s_addc_u32 s55, s67, 0
	s_add_u32 s21, s54, s21
	s_addc_u32 s54, 0, s55
	s_add_u32 s17, s17, s21
	s_cselect_b32 s21, -1, 0
	s_mul_hi_u32 s55, s18, s17
	s_cmp_lg_u32 s21, 0
	s_mul_i32 s21, s18, s17
	s_addc_u32 s16, s16, s54
	s_mul_i32 s19, s19, s17
	s_mul_i32 s18, s18, s16
	s_mul_hi_u32 s54, s17, s21
	s_add_i32 s18, s55, s18
	s_mul_hi_u32 s55, s16, s21
	s_add_i32 s18, s18, s19
	s_mul_i32 s19, s16, s21
	s_mul_i32 s60, s17, s18
	s_mul_hi_u32 s58, s17, s18
	s_add_u32 s54, s54, s60
	s_addc_u32 s58, 0, s58
	s_mul_hi_u32 s21, s16, s18
	s_add_u32 s19, s54, s19
	s_mul_i32 s18, s16, s18
	s_addc_u32 s19, s58, s55
	s_addc_u32 s21, s21, 0
	s_add_u32 s18, s19, s18
	s_addc_u32 s19, 0, s21
	s_add_u32 s17, s17, s18
	s_cselect_b32 s18, -1, 0
	s_mul_hi_u32 s21, s84, s17
	s_cmp_lg_u32 s18, 0
	s_mul_hi_u32 s18, s61, s17
	s_addc_u32 s16, s16, s19
	s_mul_i32 s17, s61, s17
	s_mul_i32 s54, s84, s16
	s_mul_hi_u32 s19, s84, s16
	s_add_u32 s21, s21, s54
	s_addc_u32 s19, 0, s19
	s_mul_hi_u32 s55, s61, s16
	s_add_u32 s17, s21, s17
	s_mul_i32 s16, s61, s16
	s_addc_u32 s17, s19, s18
	s_addc_u32 s18, s55, 0
	s_add_u32 s16, s17, s16
	s_addc_u32 s17, 0, s18
	s_mul_hi_u32 s18, s49, s16
	s_mul_i32 s17, s49, s17
	s_mul_i32 s16, s49, s16
	s_add_i32 s18, s18, s17
	s_sub_u32 s16, s84, s16
	s_cselect_b32 s17, -1, 0
	s_cmp_lg_u32 s17, 0
	s_subb_u32 s17, s61, s18
	s_sub_u32 s18, s16, s49
	s_cselect_b32 s19, -1, 0
	s_cmp_lg_u32 s19, 0
	s_subb_u32 s19, s17, 0
	;; [unrolled: 4-line block ×3, first 2 shown]
	s_cmp_ge_u32 s18, s49
	s_cselect_b32 s55, -1, 0
	s_cmp_eq_u32 s19, 0
	s_cselect_b32 s55, s55, -1
	s_cmp_lg_u32 s55, 0
	s_cselect_b32 s19, s54, s19
	s_cselect_b32 s18, s21, s18
	s_cmp_ge_u32 s16, s49
	s_cselect_b32 s21, -1, 0
	s_cmp_eq_u32 s17, 0
	s_cselect_b32 s21, s21, -1
	s_cmp_lg_u32 s21, 0
	s_cselect_b32 s17, s19, s17
	s_cselect_b32 s16, s18, s16
	s_cbranch_execnz .LBB207_403
.LBB207_402:                            ;   in Loop: Header=BB207_12 Depth=1
	v_cvt_f32_u32_e32 v4, s49
	s_sub_i32 s17, 0, s49
	v_rcp_iflag_f32_e32 v4, v4
	v_mul_f32_e32 v4, 0x4f7ffffe, v4
	v_cvt_u32_f32_e32 v4, v4
	v_readfirstlane_b32 s16, v4
	s_mul_i32 s17, s17, s16
	s_mul_hi_u32 s17, s16, s17
	s_add_i32 s16, s16, s17
	s_mul_hi_u32 s16, s84, s16
	s_mul_i32 s16, s16, s49
	s_sub_i32 s16, s84, s16
	s_sub_i32 s17, s16, s49
	s_cmp_ge_u32 s16, s49
	s_cselect_b32 s16, s17, s16
	s_sub_i32 s17, s16, s49
	s_cmp_ge_u32 s16, s49
	s_cselect_b32 s58, s17, s16
	s_mov_b64 s[16:17], s[58:59]
.LBB207_403:                            ;   in Loop: Header=BB207_12 Depth=1
	s_sub_u32 s16, s84, s16
	s_subb_u32 s17, s61, s17
	s_mov_b32 s18, exec_lo
                                        ; implicit-def: $vgpr34
	v_cmpx_gt_u64_e64 s[16:17], v[0:1]
	s_cbranch_execz .LBB207_413
; %bb.404:                              ;   in Loop: Header=BB207_12 Depth=1
	v_mov_b32_e32 v5, v1
	v_mov_b32_e32 v4, v0
	s_mov_b32 s19, 0
                                        ; implicit-def: $sgpr21
	s_branch .LBB207_408
.LBB207_405:                            ;   in Loop: Header=BB207_408 Depth=2
	s_or_b32 exec_lo, exec_lo, s54
	s_waitcnt lgkmcnt(0)
	s_barrier
	buffer_gl0_inv
	ds_read_b32 v8, v3 offset:3072
	s_waitcnt lgkmcnt(0)
	s_barrier
	buffer_gl0_inv
	v_cmp_eq_f16_e32 vcc_lo, 0, v8
	s_cbranch_vccz .LBB207_411
; %bb.406:                              ;   in Loop: Header=BB207_408 Depth=2
	v_add_co_u32 v4, vcc_lo, v4, s49
	v_add_co_ci_u32_e64 v5, null, 0, v5, vcc_lo
	s_mov_b32 s54, 0
	v_cmp_le_u64_e32 vcc_lo, s[16:17], v[4:5]
	s_orn2_b32 s55, vcc_lo, exec_lo
.LBB207_407:                            ;   in Loop: Header=BB207_408 Depth=2
	s_and_b32 s44, exec_lo, s55
	s_or_b32 s19, s44, s19
	s_andn2_b32 s21, s21, exec_lo
	s_and_b32 s44, s54, exec_lo
	s_or_b32 s21, s21, s44
	s_andn2_b32 exec_lo, exec_lo, s19
	s_cbranch_execz .LBB207_412
.LBB207_408:                            ;   Parent Loop BB207_12 Depth=1
                                        ; =>  This Inner Loop Header: Depth=2
	s_mov_b32 s54, exec_lo
	v_cmpx_gt_u64_e64 s[36:37], v[4:5]
	s_cbranch_execz .LBB207_405
; %bb.409:                              ;   in Loop: Header=BB207_408 Depth=2
	v_mul_lo_u32 v10, v5, s30
	v_mul_lo_u32 v11, v4, s31
	v_mad_u64_u32 v[8:9], null, v4, s30, 0
	v_add3_u32 v9, v9, v11, v10
	v_lshlrev_b64 v[8:9], 1, v[8:9]
	v_add_co_u32 v8, vcc_lo, s33, v8
	v_add_co_ci_u32_e64 v9, null, s35, v9, vcc_lo
	global_load_ushort v8, v[8:9], off
	s_waitcnt vmcnt(0)
	v_cmp_lt_i16_e32 vcc_lo, -1, v8
	v_cndmask_b32_e32 v9, 0xffff, v31, vcc_lo
	v_cmp_o_f16_e32 vcc_lo, v8, v8
	v_xor_b32_sdwa v9, v9, v8 dst_sel:DWORD dst_unused:UNUSED_PAD src0_sel:DWORD src1_sel:WORD_0
	v_cndmask_b32_e32 v9, 0xffff, v9, vcc_lo
	v_and_b32_e32 v9, v9, v33
	v_cmp_eq_u32_e32 vcc_lo, v9, v28
	s_and_b32 exec_lo, exec_lo, vcc_lo
	s_cbranch_execz .LBB207_405
; %bb.410:                              ;   in Loop: Header=BB207_408 Depth=2
	v_perm_b32 v8, v8, s93, 0x5040100
	ds_write_b32 v3, v8 offset:3072
	s_branch .LBB207_405
.LBB207_411:                            ;   in Loop: Header=BB207_408 Depth=2
	s_mov_b32 s55, -1
	s_mov_b32 s54, -1
                                        ; implicit-def: $vgpr4_vgpr5
	s_branch .LBB207_407
.LBB207_412:                            ;   in Loop: Header=BB207_12 Depth=1
	s_or_b32 exec_lo, exec_lo, s19
	v_lshrrev_b32_e32 v34, 16, v8
	s_andn2_b32 s16, s20, exec_lo
	s_and_b32 s17, s21, exec_lo
	s_or_b32 s20, s16, s17
.LBB207_413:                            ;   in Loop: Header=BB207_12 Depth=1
	s_or_b32 exec_lo, exec_lo, s18
	s_mov_b32 s66, 0
	s_mov_b32 s67, -1
.LBB207_414:                            ;   in Loop: Header=BB207_12 Depth=1
	s_orn2_b32 s16, s20, exec_lo
.LBB207_415:                            ;   in Loop: Header=BB207_12 Depth=1
	s_or_b32 exec_lo, exec_lo, s69
	s_mov_b32 s17, 0
	s_and_saveexec_b32 s20, s16
	s_cbranch_execz .LBB207_479
; %bb.416:                              ;   in Loop: Header=BB207_12 Depth=1
	v_mov_b32_e32 v4, 1
	v_mov_b32_e32 v5, 0
	;; [unrolled: 1-line block ×3, first 2 shown]
	s_xor_b32 s18, s68, -1
	s_and_saveexec_b32 s16, s18
	s_cbranch_execz .LBB207_425
; %bb.417:                              ;   in Loop: Header=BB207_12 Depth=1
	s_mov_b32 s17, exec_lo
	v_cmpx_ge_u64_e64 s[14:15], v[6:7]
	s_xor_b32 s17, exec_lo, s17
	s_cbranch_execz .LBB207_422
; %bb.418:                              ;   in Loop: Header=BB207_12 Depth=1
	ds_read_b64 v[4:5], v3 offset:5120
	s_lshl_b32 s18, 1, s91
	v_or_b32_e32 v33, s11, v33
	v_and_or_b32 v28, v28, s26, s18
	s_waitcnt lgkmcnt(0)
	v_cmp_ne_u64_e32 vcc_lo, 0, v[4:5]
	s_cbranch_vccnz .LBB207_422
; %bb.419:                              ;   in Loop: Header=BB207_12 Depth=1
	s_and_saveexec_b32 s18, s3
; %bb.420:                              ;   in Loop: Header=BB207_12 Depth=1
	v_mov_b32_e32 v4, s14
	v_mov_b32_e32 v5, s15
	ds_write_b64 v3, v[4:5] offset:5128
; %bb.421:                              ;   in Loop: Header=BB207_12 Depth=1
	s_or_b32 exec_lo, exec_lo, s18
	s_waitcnt lgkmcnt(0)
	s_barrier
	buffer_gl0_inv
.LBB207_422:                            ;   in Loop: Header=BB207_12 Depth=1
	s_or_saveexec_b32 s17, s17
	v_mov_b32_e32 v2, 5
	s_mov_b32 s18, 0
	s_xor_b32 exec_lo, exec_lo, s17
; %bb.423:                              ;   in Loop: Header=BB207_12 Depth=1
	v_sub_co_u32 v6, vcc_lo, v6, s14
	v_subrev_co_ci_u32_e64 v7, null, s15, v7, vcc_lo
	v_mov_b32_e32 v2, 0
	s_mov_b32 s18, exec_lo
; %bb.424:                              ;   in Loop: Header=BB207_12 Depth=1
	s_or_b32 exec_lo, exec_lo, s17
	v_mov_b32_e32 v4, v6
	v_mov_b32_e32 v5, v7
	s_and_b32 s17, s18, exec_lo
.LBB207_425:                            ;   in Loop: Header=BB207_12 Depth=1
	s_or_b32 exec_lo, exec_lo, s16
	s_mov_b32 s14, -1
                                        ; implicit-def: $sgpr70
                                        ; implicit-def: $sgpr60
	s_and_saveexec_b32 s21, s17
	s_cbranch_execz .LBB207_478
; %bb.426:                              ;   in Loop: Header=BB207_12 Depth=1
	v_cmp_eq_u64_e32 vcc_lo, 1, v[4:5]
	s_cmp_eq_u64 s[12:13], 1
	s_mov_b32 s15, -1
	s_cselect_b32 s14, -1, 0
                                        ; implicit-def: $sgpr70
                                        ; implicit-def: $sgpr60
	s_and_b32 s68, s14, vcc_lo
	s_and_saveexec_b32 s69, s68
	s_cbranch_execz .LBB207_466
; %bb.427:                              ;   in Loop: Header=BB207_12 Depth=1
	ds_read_b64 v[6:7], v3 offset:5120
	s_waitcnt lgkmcnt(0)
	s_barrier
	buffer_gl0_inv
	v_readfirstlane_b32 s14, v6
	v_readfirstlane_b32 s15, v7
	s_and_saveexec_b32 s16, s10
; %bb.428:                              ;   in Loop: Header=BB207_12 Depth=1
	ds_write_b16 v26, v3
; %bb.429:                              ;   in Loop: Header=BB207_12 Depth=1
	s_or_b32 exec_lo, exec_lo, s16
	v_and_b32_e32 v28, s26, v28
	v_or_b32_e32 v33, s11, v33
	s_mov_b32 s60, -1
	s_mov_b32 s70, 0
	s_cmp_eq_u64 s[14:15], 0
	s_mov_b32 s18, 0
	s_mov_b32 s19, -1
	s_waitcnt lgkmcnt(0)
	s_barrier
	buffer_gl0_inv
                                        ; implicit-def: $vgpr34
	s_cbranch_scc1 .LBB207_448
; %bb.430:                              ;   in Loop: Header=BB207_12 Depth=1
	s_add_u32 s71, s14, s82
	s_addc_u32 s17, s15, s83
	s_mov_b32 s16, s59
	s_cmp_lg_u64 s[16:17], 0
	s_cbranch_scc0 .LBB207_434
; %bb.431:                              ;   in Loop: Header=BB207_12 Depth=1
	v_cvt_f32_u32_e32 v6, s49
	s_sub_u32 s19, 0, s49
	s_subb_u32 s54, 0, 0
	v_fmac_f32_e64 v6, 0x4f800000, 0
	v_rcp_f32_e32 v6, v6
	v_mul_f32_e32 v6, 0x5f7ffffc, v6
	v_mul_f32_e32 v7, 0x2f800000, v6
	v_trunc_f32_e32 v7, v7
	v_fmac_f32_e32 v6, 0xcf800000, v7
	v_cvt_u32_f32_e32 v7, v7
	v_cvt_u32_f32_e32 v6, v6
	v_readfirstlane_b32 s16, v7
	v_readfirstlane_b32 s18, v6
	s_mul_i32 s55, s19, s16
	s_mul_hi_u32 s72, s19, s18
	s_mul_i32 s58, s54, s18
	s_add_i32 s55, s72, s55
	s_mul_i32 s73, s19, s18
	s_add_i32 s55, s55, s58
	s_mul_hi_u32 s72, s18, s73
	s_mul_i32 s75, s18, s55
	s_mul_hi_u32 s74, s16, s73
	s_mul_i32 s58, s16, s73
	s_mul_hi_u32 s73, s18, s55
	s_add_u32 s72, s72, s75
	s_addc_u32 s73, 0, s73
	s_mul_hi_u32 s76, s16, s55
	s_add_u32 s58, s72, s58
	s_mul_i32 s55, s16, s55
	s_addc_u32 s58, s73, s74
	s_addc_u32 s72, s76, 0
	s_add_u32 s55, s58, s55
	s_addc_u32 s58, 0, s72
	s_add_u32 s18, s18, s55
	s_cselect_b32 s55, -1, 0
	s_mul_hi_u32 s72, s19, s18
	s_cmp_lg_u32 s55, 0
	s_mul_i32 s55, s19, s18
	s_addc_u32 s16, s16, s58
	s_mul_i32 s54, s54, s18
	s_mul_i32 s19, s19, s16
	s_mul_hi_u32 s58, s18, s55
	s_add_i32 s19, s72, s19
	s_mul_hi_u32 s72, s16, s55
	s_add_i32 s19, s19, s54
	s_mul_i32 s54, s16, s55
	s_mul_i32 s74, s18, s19
	s_mul_hi_u32 s73, s18, s19
	s_add_u32 s58, s58, s74
	s_addc_u32 s73, 0, s73
	s_mul_hi_u32 s55, s16, s19
	s_add_u32 s54, s58, s54
	s_mul_i32 s19, s16, s19
	s_addc_u32 s54, s73, s72
	s_addc_u32 s55, s55, 0
	s_add_u32 s19, s54, s19
	s_addc_u32 s54, 0, s55
	s_add_u32 s18, s18, s19
	s_cselect_b32 s19, -1, 0
	s_mul_hi_u32 s55, s71, s18
	s_cmp_lg_u32 s19, 0
	s_mul_hi_u32 s19, s17, s18
	s_addc_u32 s16, s16, s54
	s_mul_i32 s18, s17, s18
	s_mul_i32 s58, s71, s16
	s_mul_hi_u32 s54, s71, s16
	s_add_u32 s55, s55, s58
	s_addc_u32 s54, 0, s54
	s_mul_hi_u32 s72, s17, s16
	s_add_u32 s18, s55, s18
	s_mul_i32 s16, s17, s16
	s_addc_u32 s18, s54, s19
	s_addc_u32 s19, s72, 0
	s_add_u32 s16, s18, s16
	s_addc_u32 s18, 0, s19
	s_mul_hi_u32 s19, s49, s16
	s_mul_i32 s18, s49, s18
	s_mul_i32 s16, s49, s16
	s_add_i32 s19, s19, s18
	s_sub_u32 s16, s71, s16
	s_cselect_b32 s18, -1, 0
	s_cmp_lg_u32 s18, 0
	s_subb_u32 s18, s17, s19
	s_sub_u32 s19, s16, s49
	s_cselect_b32 s54, -1, 0
	s_cmp_lg_u32 s54, 0
	s_subb_u32 s54, s18, 0
	;; [unrolled: 4-line block ×3, first 2 shown]
	s_cmp_ge_u32 s19, s49
	s_cselect_b32 s72, -1, 0
	s_cmp_eq_u32 s54, 0
	s_cselect_b32 s72, s72, -1
	s_cmp_lg_u32 s72, 0
	s_cselect_b32 s54, s58, s54
	s_cselect_b32 s55, s55, s19
	s_cmp_ge_u32 s16, s49
	s_cselect_b32 s19, -1, 0
	s_cmp_eq_u32 s18, 0
	s_cselect_b32 s19, s19, -1
	s_cmp_lg_u32 s19, 0
	s_cselect_b32 s19, s54, s18
	s_cselect_b32 s18, s55, s16
	s_mov_b32 s16, 0
	s_branch .LBB207_435
.LBB207_432:                            ;   in Loop: Header=BB207_12 Depth=1
                                        ; implicit-def: $sgpr20_sgpr21
	s_branch .LBB207_385
.LBB207_433:                            ;   in Loop: Header=BB207_12 Depth=1
                                        ; implicit-def: $sgpr16_sgpr17
	s_branch .LBB207_402
.LBB207_434:                            ;   in Loop: Header=BB207_12 Depth=1
	s_mov_b32 s16, -1
                                        ; implicit-def: $sgpr18_sgpr19
.LBB207_435:                            ;   in Loop: Header=BB207_12 Depth=1
	s_andn2_b32 vcc_lo, exec_lo, s16
	s_cbranch_vccnz .LBB207_437
; %bb.436:                              ;   in Loop: Header=BB207_12 Depth=1
	v_cvt_f32_u32_e32 v6, s49
	s_sub_i32 s18, 0, s49
	v_rcp_iflag_f32_e32 v6, v6
	v_mul_f32_e32 v6, 0x4f7ffffe, v6
	v_cvt_u32_f32_e32 v6, v6
	v_readfirstlane_b32 s16, v6
	s_mul_i32 s18, s18, s16
	s_mul_hi_u32 s18, s16, s18
	s_add_i32 s16, s16, s18
	s_mul_hi_u32 s16, s71, s16
	s_mul_i32 s16, s16, s49
	s_sub_i32 s16, s71, s16
	s_sub_i32 s18, s16, s49
	s_cmp_ge_u32 s16, s49
	s_cselect_b32 s16, s18, s16
	s_sub_i32 s18, s16, s49
	s_cmp_ge_u32 s16, s49
	s_cselect_b32 s58, s18, s16
	s_mov_b64 s[18:19], s[58:59]
.LBB207_437:                            ;   in Loop: Header=BB207_12 Depth=1
	s_sub_u32 s16, s71, s18
	s_subb_u32 s17, s17, s19
	s_mov_b32 s19, 0
	s_mov_b32 s18, 0
	s_mov_b32 s54, exec_lo
                                        ; implicit-def: $vgpr34
	v_cmpx_gt_u64_e64 s[16:17], v[0:1]
	s_cbranch_execz .LBB207_447
; %bb.438:                              ;   in Loop: Header=BB207_12 Depth=1
	v_mov_b32_e32 v7, v1
	v_mov_b32_e32 v8, v25
	v_mov_b32_e32 v6, v0
                                        ; implicit-def: $sgpr55
	s_branch .LBB207_442
.LBB207_439:                            ;   in Loop: Header=BB207_442 Depth=2
	s_or_b32 exec_lo, exec_lo, s58
	s_waitcnt lgkmcnt(0)
	s_barrier
	buffer_gl0_inv
	ds_read_b32 v9, v3 offset:3072
	s_waitcnt lgkmcnt(0)
	s_barrier
	buffer_gl0_inv
	v_cmp_neq_f16_e32 vcc_lo, 0, v9
	s_cbranch_vccnz .LBB207_445
; %bb.440:                              ;   in Loop: Header=BB207_442 Depth=2
	v_add_co_u32 v6, vcc_lo, v6, s49
	v_add_co_ci_u32_e64 v7, null, 0, v7, vcc_lo
	v_add_nc_u32_e32 v8, s90, v8
	s_mov_b32 s58, 0
	v_cmp_le_u64_e32 vcc_lo, s[16:17], v[6:7]
	s_orn2_b32 s71, vcc_lo, exec_lo
.LBB207_441:                            ;   in Loop: Header=BB207_442 Depth=2
	s_and_b32 s44, exec_lo, s71
	s_or_b32 s18, s44, s18
	s_andn2_b32 s44, s55, exec_lo
	s_and_b32 s45, s58, exec_lo
	s_or_b32 s55, s44, s45
	s_andn2_b32 exec_lo, exec_lo, s18
	s_cbranch_execz .LBB207_446
.LBB207_442:                            ;   Parent Loop BB207_12 Depth=1
                                        ; =>  This Inner Loop Header: Depth=2
	s_mov_b32 s58, exec_lo
	v_cmpx_gt_u64_e64 s[14:15], v[6:7]
	s_cbranch_execz .LBB207_439
; %bb.443:                              ;   in Loop: Header=BB207_442 Depth=2
	ds_read_u16 v9, v8
	s_waitcnt lgkmcnt(0)
	v_cmp_lt_i16_e32 vcc_lo, -1, v9
	v_cndmask_b32_e32 v10, 0xffff, v31, vcc_lo
	v_cmp_o_f16_e32 vcc_lo, v9, v9
	v_xor_b32_sdwa v10, v10, v9 dst_sel:DWORD dst_unused:UNUSED_PAD src0_sel:DWORD src1_sel:WORD_0
	v_cndmask_b32_e32 v10, 0xffff, v10, vcc_lo
	v_and_b32_e32 v10, v10, v33
	v_cmp_eq_u32_e32 vcc_lo, v10, v28
	s_and_b32 exec_lo, exec_lo, vcc_lo
	s_cbranch_execz .LBB207_439
; %bb.444:                              ;   in Loop: Header=BB207_442 Depth=2
	v_perm_b32 v9, v9, s93, 0x5040100
	ds_write_b32 v3, v9 offset:3072
	s_branch .LBB207_439
.LBB207_445:                            ;   in Loop: Header=BB207_442 Depth=2
	s_mov_b32 s71, -1
	s_mov_b32 s58, -1
                                        ; implicit-def: $vgpr6_vgpr7
                                        ; implicit-def: $vgpr8
	s_branch .LBB207_441
.LBB207_446:                            ;   in Loop: Header=BB207_12 Depth=1
	s_or_b32 exec_lo, exec_lo, s18
	v_lshrrev_b32_e32 v34, 16, v9
	s_and_b32 s18, s55, exec_lo
.LBB207_447:                            ;   in Loop: Header=BB207_12 Depth=1
	s_or_b32 exec_lo, exec_lo, s54
.LBB207_448:                            ;   in Loop: Header=BB207_12 Depth=1
	s_and_b32 vcc_lo, exec_lo, s19
	s_cbranch_vccz .LBB207_465
; %bb.449:                              ;   in Loop: Header=BB207_12 Depth=1
	s_mov_b32 s60, s59
	s_cmp_lg_u64 s[60:61], 0
	s_cbranch_scc0 .LBB207_451
; %bb.450:                              ;   in Loop: Header=BB207_12 Depth=1
	v_cvt_f32_u32_e32 v6, s49
	s_sub_u32 s16, 0, s49
	s_subb_u32 s17, 0, 0
	v_fmac_f32_e64 v6, 0x4f800000, 0
	v_rcp_f32_e32 v6, v6
	v_mul_f32_e32 v6, 0x5f7ffffc, v6
	v_mul_f32_e32 v7, 0x2f800000, v6
	v_trunc_f32_e32 v7, v7
	v_fmac_f32_e32 v6, 0xcf800000, v7
	v_cvt_u32_f32_e32 v7, v7
	v_cvt_u32_f32_e32 v6, v6
	v_readfirstlane_b32 s14, v7
	v_readfirstlane_b32 s15, v6
	s_mul_i32 s19, s16, s14
	s_mul_hi_u32 s55, s16, s15
	s_mul_i32 s54, s17, s15
	s_add_i32 s19, s55, s19
	s_mul_i32 s58, s16, s15
	s_add_i32 s19, s19, s54
	s_mul_hi_u32 s55, s15, s58
	s_mul_i32 s70, s15, s19
	s_mul_hi_u32 s60, s14, s58
	s_mul_i32 s54, s14, s58
	s_mul_hi_u32 s58, s15, s19
	s_add_u32 s55, s55, s70
	s_addc_u32 s58, 0, s58
	s_mul_hi_u32 s71, s14, s19
	s_add_u32 s54, s55, s54
	s_mul_i32 s19, s14, s19
	s_addc_u32 s54, s58, s60
	s_addc_u32 s55, s71, 0
	s_add_u32 s19, s54, s19
	s_addc_u32 s54, 0, s55
	s_add_u32 s15, s15, s19
	s_cselect_b32 s19, -1, 0
	s_mul_hi_u32 s55, s16, s15
	s_cmp_lg_u32 s19, 0
	s_mul_i32 s19, s16, s15
	s_addc_u32 s14, s14, s54
	s_mul_i32 s17, s17, s15
	s_mul_i32 s16, s16, s14
	s_mul_hi_u32 s54, s15, s19
	s_add_i32 s16, s55, s16
	s_mul_hi_u32 s55, s14, s19
	s_add_i32 s16, s16, s17
	s_mul_i32 s17, s14, s19
	s_mul_i32 s60, s15, s16
	s_mul_hi_u32 s58, s15, s16
	s_add_u32 s54, s54, s60
	s_addc_u32 s58, 0, s58
	s_mul_hi_u32 s19, s14, s16
	s_add_u32 s17, s54, s17
	s_mul_i32 s16, s14, s16
	s_addc_u32 s17, s58, s55
	s_addc_u32 s19, s19, 0
	s_add_u32 s16, s17, s16
	s_addc_u32 s17, 0, s19
	s_add_u32 s15, s15, s16
	s_cselect_b32 s16, -1, 0
	s_mul_hi_u32 s19, s84, s15
	s_cmp_lg_u32 s16, 0
	s_mul_hi_u32 s16, s61, s15
	s_addc_u32 s14, s14, s17
	s_mul_i32 s15, s61, s15
	s_mul_i32 s54, s84, s14
	s_mul_hi_u32 s17, s84, s14
	s_add_u32 s19, s19, s54
	s_addc_u32 s17, 0, s17
	s_mul_hi_u32 s55, s61, s14
	s_add_u32 s15, s19, s15
	s_mul_i32 s14, s61, s14
	s_addc_u32 s15, s17, s16
	s_addc_u32 s16, s55, 0
	s_add_u32 s14, s15, s14
	s_addc_u32 s15, 0, s16
	s_mul_hi_u32 s16, s49, s14
	s_mul_i32 s15, s49, s15
	s_mul_i32 s14, s49, s14
	s_add_i32 s16, s16, s15
	s_sub_u32 s14, s84, s14
	s_cselect_b32 s15, -1, 0
	s_cmp_lg_u32 s15, 0
	s_subb_u32 s15, s61, s16
	s_sub_u32 s16, s14, s49
	s_cselect_b32 s17, -1, 0
	s_cmp_lg_u32 s17, 0
	s_subb_u32 s17, s15, 0
	;; [unrolled: 4-line block ×3, first 2 shown]
	s_cmp_ge_u32 s16, s49
	s_cselect_b32 s55, -1, 0
	s_cmp_eq_u32 s17, 0
	s_cselect_b32 s55, s55, -1
	s_cmp_lg_u32 s55, 0
	s_cselect_b32 s17, s54, s17
	s_cselect_b32 s16, s19, s16
	s_cmp_ge_u32 s14, s49
	s_cselect_b32 s19, -1, 0
	s_cmp_eq_u32 s15, 0
	s_cselect_b32 s19, s19, -1
	s_cmp_lg_u32 s19, 0
	s_cselect_b32 s15, s17, s15
	s_cselect_b32 s14, s16, s14
	s_mov_b32 s16, 0
	s_branch .LBB207_452
.LBB207_451:                            ;   in Loop: Header=BB207_12 Depth=1
	s_mov_b32 s16, -1
                                        ; implicit-def: $sgpr14_sgpr15
.LBB207_452:                            ;   in Loop: Header=BB207_12 Depth=1
	s_andn2_b32 vcc_lo, exec_lo, s16
	s_cbranch_vccnz .LBB207_454
; %bb.453:                              ;   in Loop: Header=BB207_12 Depth=1
	v_cvt_f32_u32_e32 v6, s49
	s_sub_i32 s15, 0, s49
	v_rcp_iflag_f32_e32 v6, v6
	v_mul_f32_e32 v6, 0x4f7ffffe, v6
	v_cvt_u32_f32_e32 v6, v6
	v_readfirstlane_b32 s14, v6
	s_mul_i32 s15, s15, s14
	s_mul_hi_u32 s15, s14, s15
	s_add_i32 s14, s14, s15
	s_mul_hi_u32 s14, s84, s14
	s_mul_i32 s14, s14, s49
	s_sub_i32 s14, s84, s14
	s_sub_i32 s15, s14, s49
	s_cmp_ge_u32 s14, s49
	s_cselect_b32 s14, s15, s14
	s_sub_i32 s15, s14, s49
	s_cmp_ge_u32 s14, s49
	s_cselect_b32 s58, s15, s14
	s_mov_b64 s[14:15], s[58:59]
.LBB207_454:                            ;   in Loop: Header=BB207_12 Depth=1
	s_sub_u32 s14, s84, s14
	s_subb_u32 s15, s61, s15
	s_mov_b32 s16, exec_lo
                                        ; implicit-def: $vgpr34
	v_cmpx_gt_u64_e64 s[14:15], v[0:1]
	s_cbranch_execz .LBB207_464
; %bb.455:                              ;   in Loop: Header=BB207_12 Depth=1
	v_mov_b32_e32 v7, v1
	v_mov_b32_e32 v6, v0
	s_mov_b32 s17, 0
                                        ; implicit-def: $sgpr19
	s_branch .LBB207_459
.LBB207_456:                            ;   in Loop: Header=BB207_459 Depth=2
	s_or_b32 exec_lo, exec_lo, s54
	s_waitcnt lgkmcnt(0)
	s_barrier
	buffer_gl0_inv
	ds_read_b32 v8, v3 offset:3072
	s_waitcnt lgkmcnt(0)
	s_barrier
	buffer_gl0_inv
	v_cmp_eq_f16_e32 vcc_lo, 0, v8
	s_cbranch_vccz .LBB207_462
; %bb.457:                              ;   in Loop: Header=BB207_459 Depth=2
	v_add_co_u32 v6, vcc_lo, v6, s49
	v_add_co_ci_u32_e64 v7, null, 0, v7, vcc_lo
	s_mov_b32 s54, 0
	v_cmp_le_u64_e32 vcc_lo, s[14:15], v[6:7]
	s_orn2_b32 s55, vcc_lo, exec_lo
.LBB207_458:                            ;   in Loop: Header=BB207_459 Depth=2
	s_and_b32 s44, exec_lo, s55
	s_or_b32 s17, s44, s17
	s_andn2_b32 s19, s19, exec_lo
	s_and_b32 s44, s54, exec_lo
	s_or_b32 s19, s19, s44
	s_andn2_b32 exec_lo, exec_lo, s17
	s_cbranch_execz .LBB207_463
.LBB207_459:                            ;   Parent Loop BB207_12 Depth=1
                                        ; =>  This Inner Loop Header: Depth=2
	s_mov_b32 s54, exec_lo
	v_cmpx_gt_u64_e64 s[36:37], v[6:7]
	s_cbranch_execz .LBB207_456
; %bb.460:                              ;   in Loop: Header=BB207_459 Depth=2
	v_mul_lo_u32 v10, v7, s30
	v_mul_lo_u32 v11, v6, s31
	v_mad_u64_u32 v[8:9], null, v6, s30, 0
	v_add3_u32 v9, v9, v11, v10
	v_lshlrev_b64 v[8:9], 1, v[8:9]
	v_add_co_u32 v8, vcc_lo, s33, v8
	v_add_co_ci_u32_e64 v9, null, s35, v9, vcc_lo
	global_load_ushort v8, v[8:9], off
	s_waitcnt vmcnt(0)
	v_cmp_lt_i16_e32 vcc_lo, -1, v8
	v_cndmask_b32_e32 v9, 0xffff, v31, vcc_lo
	v_cmp_o_f16_e32 vcc_lo, v8, v8
	v_xor_b32_sdwa v9, v9, v8 dst_sel:DWORD dst_unused:UNUSED_PAD src0_sel:DWORD src1_sel:WORD_0
	v_cndmask_b32_e32 v9, 0xffff, v9, vcc_lo
	v_and_b32_e32 v9, v9, v33
	v_cmp_eq_u32_e32 vcc_lo, v9, v28
	s_and_b32 exec_lo, exec_lo, vcc_lo
	s_cbranch_execz .LBB207_456
; %bb.461:                              ;   in Loop: Header=BB207_459 Depth=2
	v_perm_b32 v8, v8, s93, 0x5040100
	ds_write_b32 v3, v8 offset:3072
	s_branch .LBB207_456
.LBB207_462:                            ;   in Loop: Header=BB207_459 Depth=2
	s_mov_b32 s55, -1
	s_mov_b32 s54, -1
                                        ; implicit-def: $vgpr6_vgpr7
	s_branch .LBB207_458
.LBB207_463:                            ;   in Loop: Header=BB207_12 Depth=1
	s_or_b32 exec_lo, exec_lo, s17
	v_lshrrev_b32_e32 v34, 16, v8
	s_andn2_b32 s14, s18, exec_lo
	s_and_b32 s15, s19, exec_lo
	s_or_b32 s18, s14, s15
.LBB207_464:                            ;   in Loop: Header=BB207_12 Depth=1
	s_or_b32 exec_lo, exec_lo, s16
	s_mov_b32 s60, 0
	s_mov_b32 s70, -1
.LBB207_465:                            ;   in Loop: Header=BB207_12 Depth=1
	s_orn2_b32 s15, s18, exec_lo
.LBB207_466:                            ;   in Loop: Header=BB207_12 Depth=1
	s_or_b32 exec_lo, exec_lo, s69
	s_mov_b32 s16, 0
	s_and_saveexec_b32 s14, s15
	s_cbranch_execz .LBB207_477
; %bb.467:                              ;   in Loop: Header=BB207_12 Depth=1
	v_mov_b32_e32 v6, 1
	v_mov_b32_e32 v7, 0
	;; [unrolled: 1-line block ×3, first 2 shown]
	s_xor_b32 s16, s68, -1
	s_and_saveexec_b32 s15, s16
	s_cbranch_execz .LBB207_476
; %bb.468:                              ;   in Loop: Header=BB207_12 Depth=1
	s_mov_b32 s16, exec_lo
	v_cmpx_ge_u64_e64 s[12:13], v[4:5]
	s_xor_b32 s16, exec_lo, s16
	s_cbranch_execz .LBB207_473
; %bb.469:                              ;   in Loop: Header=BB207_12 Depth=1
	ds_read_b64 v[6:7], v3 offset:5120
	v_and_b32_e32 v28, s26, v28
	v_or_b32_e32 v33, s11, v33
	s_waitcnt lgkmcnt(0)
	v_cmp_ne_u64_e32 vcc_lo, 0, v[6:7]
	s_cbranch_vccnz .LBB207_473
; %bb.470:                              ;   in Loop: Header=BB207_12 Depth=1
	s_and_saveexec_b32 s11, s3
; %bb.471:                              ;   in Loop: Header=BB207_12 Depth=1
	v_mov_b32_e32 v6, s12
	v_mov_b32_e32 v7, s13
	ds_write_b64 v3, v[6:7] offset:5128
; %bb.472:                              ;   in Loop: Header=BB207_12 Depth=1
	s_or_b32 exec_lo, exec_lo, s11
	s_waitcnt lgkmcnt(0)
	s_barrier
	buffer_gl0_inv
.LBB207_473:                            ;   in Loop: Header=BB207_12 Depth=1
	s_andn2_saveexec_b32 s11, s16
; %bb.474:                              ;   in Loop: Header=BB207_12 Depth=1
	v_sub_co_u32 v4, vcc_lo, v4, s12
	v_subrev_co_ci_u32_e64 v5, null, s13, v5, vcc_lo
; %bb.475:                              ;   in Loop: Header=BB207_12 Depth=1
	s_or_b32 exec_lo, exec_lo, s11
	v_mov_b32_e32 v7, v5
	v_mov_b32_e32 v2, 5
	v_mov_b32_e32 v6, v4
.LBB207_476:                            ;   in Loop: Header=BB207_12 Depth=1
	s_or_b32 exec_lo, exec_lo, s15
	v_mov_b32_e32 v4, v6
	v_mov_b32_e32 v5, v7
	s_mov_b32 s16, exec_lo
.LBB207_477:                            ;   in Loop: Header=BB207_12 Depth=1
	s_or_b32 exec_lo, exec_lo, s14
	s_orn2_b32 s14, s16, exec_lo
.LBB207_478:                            ;   in Loop: Header=BB207_12 Depth=1
	s_or_b32 exec_lo, exec_lo, s21
	s_andn2_b32 s11, s67, exec_lo
	s_and_b32 s12, s70, exec_lo
	s_andn2_b32 s13, s66, exec_lo
	s_and_b32 s15, s60, exec_lo
	v_mov_b32_e32 v7, v5
	v_mov_b32_e32 v6, v4
	s_or_b32 s67, s11, s12
	s_or_b32 s66, s13, s15
	s_and_b32 s17, s14, exec_lo
.LBB207_479:                            ;   in Loop: Header=BB207_12 Depth=1
	s_or_b32 exec_lo, exec_lo, s20
	s_orn2_b32 s16, s17, exec_lo
.LBB207_480:                            ;   in Loop: Header=BB207_12 Depth=1
	s_or_b32 exec_lo, exec_lo, s23
	s_andn2_b32 s11, s65, exec_lo
	s_and_b32 s12, s67, exec_lo
	s_andn2_b32 s13, s25, exec_lo
	s_and_b32 s14, s66, exec_lo
	v_mov_b32_e32 v4, v6
	v_mov_b32_e32 v5, v7
	s_or_b32 s65, s11, s12
	s_or_b32 s25, s13, s14
	s_and_b32 s19, s16, exec_lo
.LBB207_481:                            ;   in Loop: Header=BB207_12 Depth=1
	s_or_b32 exec_lo, exec_lo, s22
	s_orn2_b32 s18, s19, exec_lo
.LBB207_482:                            ;   in Loop: Header=BB207_12 Depth=1
	s_or_b32 exec_lo, exec_lo, s6
	s_mov_b32 s6, s64
	s_mov_b32 s11, s43
	s_and_saveexec_b32 s12, s18
; %bb.483:                              ;   in Loop: Header=BB207_12 Depth=1
	v_cmp_ne_u32_e32 vcc_lo, 5, v2
	v_cmp_eq_u32_e64 s6, 5, v2
	s_andn2_b32 s11, s43, exec_lo
	s_andn2_b32 s13, s64, exec_lo
	s_and_b32 s14, vcc_lo, exec_lo
	s_and_b32 s6, s6, exec_lo
	s_or_b32 s11, s11, s14
	s_or_b32 s6, s13, s6
; %bb.484:                              ;   in Loop: Header=BB207_12 Depth=1
	s_or_b32 exec_lo, exec_lo, s12
	s_andn2_b32 s9, s9, exec_lo
	s_and_b32 s12, s65, exec_lo
	s_andn2_b32 s13, s27, exec_lo
	s_and_b32 s14, s25, exec_lo
	s_or_b32 s9, s9, s12
	s_or_b32 s27, s13, s14
	s_andn2_b32 s12, s43, exec_lo
	s_and_b32 s11, s11, exec_lo
	s_andn2_b32 s13, s64, exec_lo
	s_and_b32 s6, s6, exec_lo
	s_or_b32 s43, s12, s11
	s_or_b32 s64, s13, s6
.LBB207_485:                            ;   in Loop: Header=BB207_12 Depth=1
	s_or_b32 exec_lo, exec_lo, s24
	s_mov_b32 s65, 0
	s_mov_b32 s66, 0
	s_and_saveexec_b32 s6, s64
.LBB207_486:                            ;   in Loop: Header=BB207_12 Depth=1
	v_mov_b32_e32 v2, 0
	s_or_b32 s43, s43, exec_lo
.LBB207_487:                            ;   in Loop: Header=BB207_12 Depth=1
	s_or_b32 exec_lo, exec_lo, s6
	s_andn2_b32 s6, s40, exec_lo
	s_and_b32 s9, s9, exec_lo
	s_andn2_b32 s12, s104, exec_lo
	s_and_b32 s13, s27, exec_lo
	v_mov_b32_e32 v20, v5
	v_mov_b32_e32 v19, v4
	s_or_b32 s40, s6, s9
	s_or_b32 s104, s12, s13
	s_andn2_b32 s6, s42, exec_lo
	s_and_b32 s9, s66, exec_lo
	s_andn2_b32 s12, s41, exec_lo
	s_and_b32 s13, s65, exec_lo
	s_mov_b32 s11, -1
	s_andn2_b32 vcc_hi, vcc_hi, exec_lo
	s_or_b32 s42, s6, s9
	s_or_b32 s41, s12, s13
	s_and_saveexec_b32 s6, s43
	s_xor_b32 s6, exec_lo, s6
	s_cbranch_execz .LBB207_11
; %bb.488:                              ;   in Loop: Header=BB207_12 Depth=1
	s_mov_b32 s9, -1
	s_mov_b32 s12, exec_lo
	v_cmpx_eq_u32_e32 0, v2
	s_cbranch_execz .LBB207_10
; %bb.489:                              ;   in Loop: Header=BB207_12 Depth=1
	s_xor_b32 s95, s95, 1
	s_add_i32 s13, s91, -2
	s_cmp_eq_u32 s91, 0
	s_mov_b32 s91, s13
	s_cselect_b32 s9, -1, 0
	s_xor_b32 s11, exec_lo, -1
	s_orn2_b32 s9, s9, exec_lo
	s_branch .LBB207_10
.LBB207_490:
	s_or_b32 exec_lo, exec_lo, s92
	s_xor_b32 s7, s99, -1
	s_xor_b32 s9, s97, -1
	;; [unrolled: 1-line block ×5, first 2 shown]
	s_mov_b32 s8, 0
	s_and_saveexec_b32 s12, s11
	s_xor_b32 s12, exec_lo, s12
	s_cbranch_execnz .LBB207_495
; %bb.491:
	s_andn2_saveexec_b32 s0, s12
	s_cbranch_execnz .LBB207_514
.LBB207_492:
	s_or_b32 exec_lo, exec_lo, s0
	s_and_saveexec_b32 s0, s8
.LBB207_493:
	; divergent unreachable
.LBB207_494:
	s_endpgm
.LBB207_495:
	s_and_saveexec_b32 s11, s10
	s_xor_b32 s13, exec_lo, s11
	s_cbranch_execz .LBB207_512
; %bb.496:
	s_and_saveexec_b32 s10, s9
	s_xor_b32 s14, exec_lo, s10
	s_cbranch_execz .LBB207_510
; %bb.497:
	;; [unrolled: 4-line block ×3, first 2 shown]
	s_and_saveexec_b32 s7, s6
	s_xor_b32 s6, exec_lo, s7
; %bb.499:
	v_and_b32_e32 v2, 0x8000, v28
	v_mov_b32_e32 v3, 0xffff
	v_cmp_eq_u32_e32 vcc_lo, 0, v2
	v_cndmask_b32_e32 v2, 0x8000, v3, vcc_lo
	v_xor_b32_e32 v34, v2, v28
; %bb.500:
	s_or_b32 exec_lo, exec_lo, s6
	s_and_saveexec_b32 s6, s3
; %bb.501:
	v_mov_b32_e32 v2, 0
	v_mov_b32_e32 v3, v2
	ds_write_b64 v2, v[2:3] offset:5136
; %bb.502:
	s_or_b32 exec_lo, exec_lo, s6
	v_mov_b32_e32 v16, 0
	s_waitcnt lgkmcnt(0)
	s_barrier
	buffer_gl0_inv
	s_and_saveexec_b32 s3, s2
	s_cbranch_execz .LBB207_504
; %bb.503:
	global_load_ushort v16, v[12:13], off
.LBB207_504:
	s_or_b32 exec_lo, exec_lo, s3
	s_clause 0x1
	s_load_dwordx4 s[24:27], s[4:5], 0x298
	s_load_dwordx4 s[40:43], s[4:5], 0x440
	s_add_u32 s3, s36, 31
	s_mul_i32 s8, s48, s51
	s_mul_hi_u32 s9, s48, s50
	s_mul_i32 s10, s48, s50
	s_addc_u32 s7, s37, 0
	s_and_b32 s6, s3, 0xffffffe0
	s_add_i32 s9, s9, s8
	s_sub_u32 s3, s34, s10
	s_subb_u32 s9, 0, s9
	v_mov_b32_e32 v15, 0x8000
	v_cmp_lt_i16_e32 vcc_lo, -1, v34
	s_mov_b32 s21, -1
	v_cndmask_b32_e32 v2, 0xffff, v15, vcc_lo
	v_cmp_o_f16_e32 vcc_lo, v34, v34
	s_waitcnt lgkmcnt(0)
	s_mul_i32 s8, s3, s27
	s_mul_hi_u32 s10, s3, s26
	s_mul_i32 s9, s9, s26
	s_add_i32 s8, s10, s8
	s_mul_i32 s10, s48, s25
	s_mul_hi_u32 s11, s48, s24
	s_add_i32 s17, s8, s9
	s_mul_i32 s8, s52, s29
	s_mul_hi_u32 s9, s52, s28
	s_add_i32 s19, s11, s10
	s_mul_i32 s10, s52, s28
	s_add_i32 s9, s9, s8
	s_sub_u32 s20, s34, s10
	s_mul_i32 s16, s3, s26
	s_mul_i32 s3, s20, s43
	s_mul_hi_u32 s8, s20, s42
	s_subb_u32 s9, 0, s9
	s_add_i32 s3, s8, s3
	s_mul_i32 s9, s9, s42
	s_mul_i32 s18, s48, s24
	s_add_i32 s23, s3, s9
	s_clause 0x1
	s_load_dwordx2 s[8:9], s[4:5], 0x368
	s_load_dwordx2 s[10:11], s[4:5], 0x510
	v_readlane_b32 s24, v43, 2
	v_readlane_b32 s25, v43, 3
	s_mul_i32 s3, s52, s41
	s_mul_hi_u32 s22, s52, s40
	s_lshl_b64 s[4:5], s[18:19], 1
	s_add_i32 s19, s22, s3
	s_add_u32 s3, s24, s4
	v_xor_b32_sdwa v2, v2, v34 dst_sel:DWORD dst_unused:UNUSED_PAD src0_sel:DWORD src1_sel:WORD_0
	s_addc_u32 s4, s25, s5
	s_lshl_b64 s[16:17], s[16:17], 1
	v_readlane_b32 s24, v43, 0
	s_mul_i32 s18, s52, s40
	v_readlane_b32 s25, v43, 1
	s_add_u32 s5, s3, s16
	s_addc_u32 s16, s4, s17
	s_lshl_b64 s[18:19], s[18:19], 3
	s_mul_i32 s22, s20, s42
	v_cndmask_b32_e32 v14, 0xffff, v2, vcc_lo
	s_add_u32 s3, s24, s18
	v_cmp_gt_u64_e32 vcc_lo, s[6:7], v[0:1]
	s_addc_u32 s4, s25, s19
	s_lshl_b64 s[18:19], s[22:23], 3
	s_add_u32 s17, s3, s18
	s_addc_u32 s18, s4, s19
	s_mov_b32 s19, 0
	s_mov_b32 s3, 0
	s_and_saveexec_b32 s20, vcc_lo
	s_cbranch_execnz .LBB207_515
; %bb.505:
	s_or_b32 exec_lo, exec_lo, s20
	s_and_saveexec_b32 s4, s21
	s_cbranch_execnz .LBB207_532
.LBB207_506:
	s_or_b32 exec_lo, exec_lo, s4
	s_and_saveexec_b32 s0, s3
	s_xor_b32 s0, exec_lo, s0
	s_cbranch_execnz .LBB207_555
.LBB207_507:
	s_or_b32 exec_lo, exec_lo, s0
	s_waitcnt lgkmcnt(0)
	s_and_b32 s8, s19, exec_lo
.LBB207_508:
	s_andn2_saveexec_b32 s0, s15
	s_cbranch_execnz .LBB207_557
.LBB207_509:
	s_or_b32 exec_lo, exec_lo, s0
	s_and_b32 s8, s8, exec_lo
.LBB207_510:
	s_andn2_saveexec_b32 s0, s14
	s_cbranch_execnz .LBB207_556
.LBB207_511:
	s_or_b32 exec_lo, exec_lo, s0
	s_and_b32 s8, s8, exec_lo
.LBB207_512:
	s_andn2_saveexec_b32 s0, s13
	s_cbranch_execnz .LBB207_551
.LBB207_513:
	s_or_b32 exec_lo, exec_lo, s0
	s_and_b32 s8, s8, exec_lo
	s_andn2_saveexec_b32 s0, s12
	s_cbranch_execz .LBB207_492
.LBB207_514:
	s_or_b32 s8, s8, exec_lo
	s_trap 2
	s_or_b32 exec_lo, exec_lo, s0
	s_and_saveexec_b32 s0, s8
	s_cbranch_execnz .LBB207_493
	s_branch .LBB207_494
.LBB207_515:
	v_mov_b32_e32 v9, v1
	v_mov_b32_e32 v3, 0
	;; [unrolled: 1-line block ×3, first 2 shown]
	s_mov_b32 s21, 0
                                        ; implicit-def: $sgpr22
                                        ; implicit-def: $vgpr6_vgpr7
	s_branch .LBB207_517
.LBB207_516:                            ;   in Loop: Header=BB207_517 Depth=1
	s_or_b32 exec_lo, exec_lo, s24
	s_xor_b32 s3, s23, -1
	s_and_b32 s4, exec_lo, s4
	v_mov_b32_e32 v9, v5
	v_mov_b32_e32 v8, v4
	s_or_b32 s21, s4, s21
	s_waitcnt vmcnt(0)
	v_mov_b32_e32 v16, v17
	s_andn2_b32 s4, s22, exec_lo
	s_and_b32 s3, s3, exec_lo
	s_or_b32 s22, s4, s3
	s_andn2_b32 exec_lo, exec_lo, s21
	s_cbranch_execz .LBB207_531
.LBB207_517:                            ; =>This Inner Loop Header: Depth=1
	v_add_co_u32 v4, s3, v8, s49
	v_add_co_ci_u32_e64 v5, null, 0, v9, s3
	v_mov_b32_e32 v17, 0
	s_mov_b32 s4, exec_lo
	v_cmpx_gt_u64_e64 s[36:37], v[4:5]
	s_cbranch_execz .LBB207_519
; %bb.518:                              ;   in Loop: Header=BB207_517 Depth=1
	v_mul_lo_u32 v2, v5, s30
	v_mul_lo_u32 v17, v4, s31
	v_mad_u64_u32 v[10:11], null, v4, s30, 0
	v_add3_u32 v11, v11, v17, v2
	v_lshlrev_b64 v[10:11], 1, v[10:11]
	v_add_co_u32 v10, s3, s33, v10
	v_add_co_ci_u32_e64 v11, null, s35, v11, s3
	global_load_ushort v17, v[10:11], off
.LBB207_519:                            ;   in Loop: Header=BB207_517 Depth=1
	s_or_b32 exec_lo, exec_lo, s4
	s_mov_b32 s23, 0
	s_mov_b32 s4, exec_lo
	v_cmpx_gt_u64_e64 s[36:37], v[8:9]
	s_cbranch_execz .LBB207_521
; %bb.520:                              ;   in Loop: Header=BB207_517 Depth=1
	s_waitcnt vmcnt(0)
	v_cmp_lt_i16_e64 s3, -1, v16
	v_cndmask_b32_e64 v2, 0xffff, v15, s3
	v_cmp_o_f16_e64 s3, v16, v16
	v_xor_b32_sdwa v2, v2, v16 dst_sel:DWORD dst_unused:UNUSED_PAD src0_sel:DWORD src1_sel:WORD_0
	v_cndmask_b32_e64 v2, 0xffff, v2, s3
	v_cmp_gt_u32_e64 s3, v2, v14
	v_cndmask_b32_e64 v10, 0, 1, s3
	v_cmp_lt_u32_e64 s3, v2, v14
	v_cndmask_b32_e64 v2, 0, 1, s3
	v_cndmask_b32_e64 v2, v2, v10, s1
	v_and_b32_e32 v2, 1, v2
	v_cmp_eq_u32_e64 s3, 1, v2
	s_and_b32 s23, s3, exec_lo
.LBB207_521:                            ;   in Loop: Header=BB207_517 Depth=1
	s_or_b32 exec_lo, exec_lo, s4
	v_cndmask_b32_e64 v2, 0, 1, s23
	v_cmp_ne_u32_e64 s3, 0, v2
	s_cmp_lg_u32 s3, 0
	s_cselect_b32 s4, -1, 0
	s_and_b32 s4, s0, s4
	s_and_saveexec_b32 s24, s4
	s_cbranch_execz .LBB207_525
; %bb.522:                              ;   in Loop: Header=BB207_517 Depth=1
	s_mov_b32 s27, exec_lo
	s_bcnt1_i32_b32 s25, s3
	v_mbcnt_lo_u32_b32 v10, s27, 0
	s_mov_b32 s26, exec_lo
                                        ; implicit-def: $vgpr6_vgpr7
	v_cmpx_eq_u32_e32 0, v10
	s_cbranch_execz .LBB207_524
; %bb.523:                              ;   in Loop: Header=BB207_517 Depth=1
	s_bcnt1_i32_b32 s4, s27
	s_mul_i32 s4, s25, s4
	v_mov_b32_e32 v2, s4
	s_waitcnt lgkmcnt(0)
	ds_add_rtn_u64 v[6:7], v3, v[2:3] offset:5136
.LBB207_524:                            ;   in Loop: Header=BB207_517 Depth=1
	s_or_b32 exec_lo, exec_lo, s26
	s_waitcnt lgkmcnt(0)
	v_readfirstlane_b32 s27, v7
	v_readfirstlane_b32 s26, v6
	v_mad_u64_u32 v[6:7], null, s25, v10, s[26:27]
.LBB207_525:                            ;   in Loop: Header=BB207_517 Depth=1
	s_or_b32 exec_lo, exec_lo, s24
	s_waitcnt lgkmcnt(0)
	ds_bpermute_b32 v6, v3, v6
	ds_bpermute_b32 v7, v3, v7
	s_mov_b32 s4, -1
	s_mov_b32 s25, -1
	s_and_saveexec_b32 s24, s23
	s_cbranch_execz .LBB207_529
; %bb.526:                              ;   in Loop: Header=BB207_517 Depth=1
	v_and_b32_e32 v2, s3, v23
	s_mov_b32 s23, 0
	s_mov_b32 s25, exec_lo
	v_bcnt_u32_b32 v2, v2, 0
	s_waitcnt lgkmcnt(0)
	v_add_co_u32 v10, s3, v6, v2
	v_add_co_ci_u32_e64 v11, null, 0, v7, s3
	v_cmpx_gt_u64_e64 s[38:39], v[10:11]
	s_cbranch_execz .LBB207_528
; %bb.527:                              ;   in Loop: Header=BB207_517 Depth=1
	v_mul_lo_u32 v2, v11, s8
	v_mul_lo_u32 v20, v10, s9
	v_mad_u64_u32 v[18:19], null, v10, s8, 0
	v_mul_lo_u32 v21, v11, s10
	v_mul_lo_u32 v22, v10, s11
	v_mad_u64_u32 v[10:11], null, v10, s10, 0
	s_mov_b32 s23, exec_lo
	v_add3_u32 v19, v19, v20, v2
	v_add3_u32 v11, v11, v22, v21
	v_lshlrev_b64 v[18:19], 1, v[18:19]
	v_lshlrev_b64 v[10:11], 3, v[10:11]
	v_add_co_u32 v18, s3, s5, v18
	v_add_co_ci_u32_e64 v19, null, s16, v19, s3
	v_add_co_u32 v10, s3, s17, v10
	v_add_co_ci_u32_e64 v11, null, s18, v11, s3
	s_waitcnt vmcnt(0)
	global_store_short v[18:19], v16, off
	global_store_dwordx2 v[10:11], v[8:9], off
.LBB207_528:                            ;   in Loop: Header=BB207_517 Depth=1
	s_or_b32 exec_lo, exec_lo, s25
	s_orn2_b32 s25, s23, exec_lo
.LBB207_529:                            ;   in Loop: Header=BB207_517 Depth=1
	s_or_b32 exec_lo, exec_lo, s24
	s_mov_b32 s23, -1
	s_and_saveexec_b32 s24, s25
	s_cbranch_execz .LBB207_516
; %bb.530:                              ;   in Loop: Header=BB207_517 Depth=1
	v_cmp_le_u64_e64 s3, s[6:7], v[4:5]
	s_xor_b32 s23, exec_lo, -1
	s_orn2_b32 s4, s3, exec_lo
	s_branch .LBB207_516
.LBB207_531:
	s_or_b32 exec_lo, exec_lo, s21
	s_mov_b32 s3, exec_lo
	s_orn2_b32 s21, s22, exec_lo
	s_or_b32 exec_lo, exec_lo, s20
	s_and_saveexec_b32 s4, s21
	s_cbranch_execz .LBB207_506
.LBB207_532:
	v_mov_b32_e32 v11, 0
	s_waitcnt vmcnt(0) lgkmcnt(0)
	s_waitcnt_vscnt null, 0x0
	s_barrier
	buffer_gl0_inv
	s_and_saveexec_b32 s1, s2
	s_cbranch_execz .LBB207_534
; %bb.533:
	global_load_ushort v11, v[12:13], off
.LBB207_534:
	s_or_b32 exec_lo, exec_lo, s1
	s_mov_b32 s1, 0
	s_and_saveexec_b32 s2, vcc_lo
	s_cbranch_execz .LBB207_554
; %bb.535:
	v_mov_b32_e32 v10, 0x8000
	v_mov_b32_e32 v3, 0
	s_mov_b32 s19, 0
                                        ; implicit-def: $sgpr20
                                        ; implicit-def: $vgpr6_vgpr7
	s_branch .LBB207_538
.LBB207_536:                            ;   in Loop: Header=BB207_538 Depth=1
	s_or_b32 exec_lo, exec_lo, s21
	s_orn2_b32 s23, s24, exec_lo
	s_orn2_b32 s22, s22, exec_lo
.LBB207_537:                            ;   in Loop: Header=BB207_538 Depth=1
	s_or_b32 exec_lo, exec_lo, s1
	s_xor_b32 s1, s23, -1
	s_and_b32 s21, exec_lo, s22
	v_mov_b32_e32 v0, v4
	v_mov_b32_e32 v1, v5
	s_or_b32 s19, s21, s19
	v_mov_b32_e32 v11, v12
	s_andn2_b32 s20, s20, exec_lo
	s_and_b32 s1, s1, exec_lo
	s_or_b32 s20, s20, s1
	s_andn2_b32 exec_lo, exec_lo, s19
	s_cbranch_execz .LBB207_552
.LBB207_538:                            ; =>This Inner Loop Header: Depth=1
	v_add_co_u32 v4, vcc_lo, v0, s49
	v_add_co_ci_u32_e64 v5, null, 0, v1, vcc_lo
	v_mov_b32_e32 v12, 0
	s_mov_b32 s1, exec_lo
	v_cmpx_gt_u64_e64 s[36:37], v[4:5]
	s_cbranch_execz .LBB207_540
; %bb.539:                              ;   in Loop: Header=BB207_538 Depth=1
	v_mul_lo_u32 v2, v5, s30
	v_mul_lo_u32 v12, v4, s31
	v_mad_u64_u32 v[8:9], null, v4, s30, 0
	v_add3_u32 v9, v9, v12, v2
	v_lshlrev_b64 v[8:9], 1, v[8:9]
	v_add_co_u32 v8, vcc_lo, s33, v8
	v_add_co_ci_u32_e64 v9, null, s35, v9, vcc_lo
	global_load_ushort v12, v[8:9], off
.LBB207_540:                            ;   in Loop: Header=BB207_538 Depth=1
	s_or_b32 exec_lo, exec_lo, s1
	s_waitcnt vmcnt(0)
	v_cmp_lt_i16_e32 vcc_lo, -1, v11
	v_cndmask_b32_e32 v2, 0xffff, v10, vcc_lo
	v_cmp_o_f16_e32 vcc_lo, v11, v11
	v_xor_b32_sdwa v2, v2, v11 dst_sel:DWORD dst_unused:UNUSED_PAD src0_sel:DWORD src1_sel:WORD_0
	v_cndmask_b32_e32 v2, 0xffff, v2, vcc_lo
	v_cmp_gt_u64_e32 vcc_lo, s[36:37], v[0:1]
	v_cmp_eq_u32_e64 s1, v2, v14
	s_and_b32 s21, vcc_lo, s1
	v_cndmask_b32_e64 v2, 0, 1, s21
	v_cmp_ne_u32_e32 vcc_lo, 0, v2
	s_cmp_lg_u32 vcc_lo, 0
	s_cselect_b32 s1, -1, 0
	s_and_b32 s1, s0, s1
	s_and_saveexec_b32 s22, s1
	s_cbranch_execz .LBB207_544
; %bb.541:                              ;   in Loop: Header=BB207_538 Depth=1
	s_mov_b32 s25, exec_lo
	s_bcnt1_i32_b32 s23, vcc_lo
	v_mbcnt_lo_u32_b32 v8, s25, 0
	s_mov_b32 s24, exec_lo
                                        ; implicit-def: $vgpr6_vgpr7
	v_cmpx_eq_u32_e32 0, v8
; %bb.542:                              ;   in Loop: Header=BB207_538 Depth=1
	s_bcnt1_i32_b32 s1, s25
	s_mul_i32 s1, s23, s1
	v_mov_b32_e32 v2, s1
	ds_add_rtn_u64 v[6:7], v3, v[2:3] offset:5136
; %bb.543:                              ;   in Loop: Header=BB207_538 Depth=1
	s_or_b32 exec_lo, exec_lo, s24
	s_waitcnt lgkmcnt(0)
	v_readfirstlane_b32 s25, v7
	v_readfirstlane_b32 s24, v6
	v_mad_u64_u32 v[6:7], null, s23, v8, s[24:25]
.LBB207_544:                            ;   in Loop: Header=BB207_538 Depth=1
	s_or_b32 exec_lo, exec_lo, s22
	ds_bpermute_b32 v6, v3, v6
	ds_bpermute_b32 v7, v3, v7
	s_cmp_eq_u32 vcc_lo, 0
	s_mov_b32 s22, -1
	s_cselect_b32 s23, -1, 0
	s_waitcnt lgkmcnt(0)
	v_cmp_gt_u64_e64 s1, s[38:39], v[6:7]
	s_or_b32 s24, s23, s1
	s_mov_b32 s23, -1
	s_and_saveexec_b32 s1, s24
	s_cbranch_execz .LBB207_537
; %bb.545:                              ;   in Loop: Header=BB207_538 Depth=1
	v_and_b32_e32 v2, vcc_lo, v23
	v_sub_co_u32 v8, vcc_lo, s38, v6
	v_sub_co_ci_u32_e64 v9, null, s39, v7, vcc_lo
	v_bcnt_u32_b32 v2, v2, 0
	s_mov_b32 s24, -1
	v_bcnt_u32_b32 v2, 0, v2
	v_cmp_gt_u64_e32 vcc_lo, v[8:9], v[2:3]
	s_and_b32 s25, s21, vcc_lo
	s_and_saveexec_b32 s21, s25
	s_cbranch_execz .LBB207_549
; %bb.546:                              ;   in Loop: Header=BB207_538 Depth=1
	v_add_co_u32 v8, vcc_lo, v6, v2
	v_add_co_ci_u32_e64 v9, null, 0, v7, vcc_lo
	s_mov_b32 s23, 0
	s_mov_b32 s24, exec_lo
	v_cmpx_gt_u64_e64 s[38:39], v[8:9]
; %bb.547:                              ;   in Loop: Header=BB207_538 Depth=1
	v_mul_lo_u32 v2, v9, s8
	v_mul_lo_u32 v13, v8, s9
	v_mad_u64_u32 v[15:16], null, v8, s8, 0
	v_mul_lo_u32 v17, v9, s10
	v_mul_lo_u32 v18, v8, s11
	v_mad_u64_u32 v[8:9], null, v8, s10, 0
	s_mov_b32 s23, exec_lo
	v_add3_u32 v16, v16, v13, v2
	v_add3_u32 v9, v9, v18, v17
	v_lshlrev_b64 v[15:16], 1, v[15:16]
	v_lshlrev_b64 v[8:9], 3, v[8:9]
	v_add_co_u32 v15, vcc_lo, s5, v15
	v_add_co_ci_u32_e64 v16, null, s16, v16, vcc_lo
	v_add_co_u32 v8, vcc_lo, s17, v8
	v_add_co_ci_u32_e64 v9, null, s18, v9, vcc_lo
	global_store_short v[15:16], v11, off
	global_store_dwordx2 v[8:9], v[0:1], off
; %bb.548:                              ;   in Loop: Header=BB207_538 Depth=1
	s_or_b32 exec_lo, exec_lo, s24
	s_xor_b32 s24, exec_lo, -1
	s_orn2_b32 s23, s23, exec_lo
.LBB207_549:                            ;   in Loop: Header=BB207_538 Depth=1
	s_or_b32 exec_lo, exec_lo, s21
	s_and_saveexec_b32 s21, s23
	s_cbranch_execz .LBB207_536
; %bb.550:                              ;   in Loop: Header=BB207_538 Depth=1
	v_cmp_le_u64_e32 vcc_lo, s[6:7], v[4:5]
	s_or_b32 s24, s24, exec_lo
	s_orn2_b32 s22, vcc_lo, exec_lo
	s_branch .LBB207_536
.LBB207_551:
	s_or_b32 s8, s8, exec_lo
	s_trap 2
	s_branch .LBB207_513
.LBB207_552:
	s_or_b32 exec_lo, exec_lo, s19
	s_mov_b32 s0, 0
	s_and_saveexec_b32 s1, s20
	s_xor_b32 s1, exec_lo, s1
	s_cbranch_execnz .LBB207_558
.LBB207_553:
	s_or_b32 exec_lo, exec_lo, s1
	s_and_b32 s1, s0, exec_lo
.LBB207_554:
	s_or_b32 exec_lo, exec_lo, s2
	s_and_b32 s19, s1, exec_lo
	s_andn2_b32 s3, s3, exec_lo
	s_or_b32 exec_lo, exec_lo, s4
	s_and_saveexec_b32 s0, s3
	s_xor_b32 s0, exec_lo, s0
	s_cbranch_execz .LBB207_507
.LBB207_555:
	s_or_b32 s19, s19, exec_lo
	s_trap 2
	s_branch .LBB207_507
.LBB207_556:
	s_or_b32 s8, s8, exec_lo
	s_trap 2
	s_branch .LBB207_511
.LBB207_557:
	s_or_b32 s8, s8, exec_lo
	s_trap 2
	s_branch .LBB207_509
.LBB207_558:
	s_mov_b32 s0, exec_lo
	s_trap 2
	s_branch .LBB207_553
	.section	.rodata,"a",@progbits
	.p2align	6, 0x0
	.amdhsa_kernel _ZN2at6native6sbtopk10gatherTopKIN3c104HalfEmLi2ELb0EEEvNS_4cuda6detail10TensorInfoIKT_T0_EESA_SA_bSA_SA_NS7_IS8_SA_EESA_NS7_IlSA_EESA_PS8_
		.amdhsa_group_segment_fixed_size 5152
		.amdhsa_private_segment_fixed_size 0
		.amdhsa_kernarg_size 1568
		.amdhsa_user_sgpr_count 6
		.amdhsa_user_sgpr_private_segment_buffer 1
		.amdhsa_user_sgpr_dispatch_ptr 0
		.amdhsa_user_sgpr_queue_ptr 0
		.amdhsa_user_sgpr_kernarg_segment_ptr 1
		.amdhsa_user_sgpr_dispatch_id 0
		.amdhsa_user_sgpr_flat_scratch_init 0
		.amdhsa_user_sgpr_private_segment_size 0
		.amdhsa_wavefront_size32 1
		.amdhsa_uses_dynamic_stack 0
		.amdhsa_system_sgpr_private_segment_wavefront_offset 0
		.amdhsa_system_sgpr_workgroup_id_x 1
		.amdhsa_system_sgpr_workgroup_id_y 1
		.amdhsa_system_sgpr_workgroup_id_z 1
		.amdhsa_system_sgpr_workgroup_info 0
		.amdhsa_system_vgpr_workitem_id 0
		.amdhsa_next_free_vgpr 44
		.amdhsa_next_free_sgpr 105
		.amdhsa_reserve_vcc 1
		.amdhsa_reserve_flat_scratch 0
		.amdhsa_float_round_mode_32 0
		.amdhsa_float_round_mode_16_64 0
		.amdhsa_float_denorm_mode_32 3
		.amdhsa_float_denorm_mode_16_64 3
		.amdhsa_dx10_clamp 1
		.amdhsa_ieee_mode 1
		.amdhsa_fp16_overflow 0
		.amdhsa_workgroup_processor_mode 1
		.amdhsa_memory_ordered 1
		.amdhsa_forward_progress 1
		.amdhsa_shared_vgpr_count 0
		.amdhsa_exception_fp_ieee_invalid_op 0
		.amdhsa_exception_fp_denorm_src 0
		.amdhsa_exception_fp_ieee_div_zero 0
		.amdhsa_exception_fp_ieee_overflow 0
		.amdhsa_exception_fp_ieee_underflow 0
		.amdhsa_exception_fp_ieee_inexact 0
		.amdhsa_exception_int_div_zero 0
	.end_amdhsa_kernel
	.section	.text._ZN2at6native6sbtopk10gatherTopKIN3c104HalfEmLi2ELb0EEEvNS_4cuda6detail10TensorInfoIKT_T0_EESA_SA_bSA_SA_NS7_IS8_SA_EESA_NS7_IlSA_EESA_PS8_,"axG",@progbits,_ZN2at6native6sbtopk10gatherTopKIN3c104HalfEmLi2ELb0EEEvNS_4cuda6detail10TensorInfoIKT_T0_EESA_SA_bSA_SA_NS7_IS8_SA_EESA_NS7_IlSA_EESA_PS8_,comdat
.Lfunc_end207:
	.size	_ZN2at6native6sbtopk10gatherTopKIN3c104HalfEmLi2ELb0EEEvNS_4cuda6detail10TensorInfoIKT_T0_EESA_SA_bSA_SA_NS7_IS8_SA_EESA_NS7_IlSA_EESA_PS8_, .Lfunc_end207-_ZN2at6native6sbtopk10gatherTopKIN3c104HalfEmLi2ELb0EEEvNS_4cuda6detail10TensorInfoIKT_T0_EESA_SA_bSA_SA_NS7_IS8_SA_EESA_NS7_IlSA_EESA_PS8_
                                        ; -- End function
	.set _ZN2at6native6sbtopk10gatherTopKIN3c104HalfEmLi2ELb0EEEvNS_4cuda6detail10TensorInfoIKT_T0_EESA_SA_bSA_SA_NS7_IS8_SA_EESA_NS7_IlSA_EESA_PS8_.num_vgpr, 44
	.set _ZN2at6native6sbtopk10gatherTopKIN3c104HalfEmLi2ELb0EEEvNS_4cuda6detail10TensorInfoIKT_T0_EESA_SA_bSA_SA_NS7_IS8_SA_EESA_NS7_IlSA_EESA_PS8_.num_agpr, 0
	.set _ZN2at6native6sbtopk10gatherTopKIN3c104HalfEmLi2ELb0EEEvNS_4cuda6detail10TensorInfoIKT_T0_EESA_SA_bSA_SA_NS7_IS8_SA_EESA_NS7_IlSA_EESA_PS8_.numbered_sgpr, 105
	.set _ZN2at6native6sbtopk10gatherTopKIN3c104HalfEmLi2ELb0EEEvNS_4cuda6detail10TensorInfoIKT_T0_EESA_SA_bSA_SA_NS7_IS8_SA_EESA_NS7_IlSA_EESA_PS8_.num_named_barrier, 0
	.set _ZN2at6native6sbtopk10gatherTopKIN3c104HalfEmLi2ELb0EEEvNS_4cuda6detail10TensorInfoIKT_T0_EESA_SA_bSA_SA_NS7_IS8_SA_EESA_NS7_IlSA_EESA_PS8_.private_seg_size, 0
	.set _ZN2at6native6sbtopk10gatherTopKIN3c104HalfEmLi2ELb0EEEvNS_4cuda6detail10TensorInfoIKT_T0_EESA_SA_bSA_SA_NS7_IS8_SA_EESA_NS7_IlSA_EESA_PS8_.uses_vcc, 1
	.set _ZN2at6native6sbtopk10gatherTopKIN3c104HalfEmLi2ELb0EEEvNS_4cuda6detail10TensorInfoIKT_T0_EESA_SA_bSA_SA_NS7_IS8_SA_EESA_NS7_IlSA_EESA_PS8_.uses_flat_scratch, 0
	.set _ZN2at6native6sbtopk10gatherTopKIN3c104HalfEmLi2ELb0EEEvNS_4cuda6detail10TensorInfoIKT_T0_EESA_SA_bSA_SA_NS7_IS8_SA_EESA_NS7_IlSA_EESA_PS8_.has_dyn_sized_stack, 0
	.set _ZN2at6native6sbtopk10gatherTopKIN3c104HalfEmLi2ELb0EEEvNS_4cuda6detail10TensorInfoIKT_T0_EESA_SA_bSA_SA_NS7_IS8_SA_EESA_NS7_IlSA_EESA_PS8_.has_recursion, 0
	.set _ZN2at6native6sbtopk10gatherTopKIN3c104HalfEmLi2ELb0EEEvNS_4cuda6detail10TensorInfoIKT_T0_EESA_SA_bSA_SA_NS7_IS8_SA_EESA_NS7_IlSA_EESA_PS8_.has_indirect_call, 0
	.section	.AMDGPU.csdata,"",@progbits
; Kernel info:
; codeLenInByte = 26364
; TotalNumSgprs: 107
; NumVgprs: 44
; ScratchSize: 0
; MemoryBound: 0
; FloatMode: 240
; IeeeMode: 1
; LDSByteSize: 5152 bytes/workgroup (compile time only)
; SGPRBlocks: 0
; VGPRBlocks: 5
; NumSGPRsForWavesPerEU: 107
; NumVGPRsForWavesPerEU: 44
; Occupancy: 16
; WaveLimiterHint : 1
; COMPUTE_PGM_RSRC2:SCRATCH_EN: 0
; COMPUTE_PGM_RSRC2:USER_SGPR: 6
; COMPUTE_PGM_RSRC2:TRAP_HANDLER: 0
; COMPUTE_PGM_RSRC2:TGID_X_EN: 1
; COMPUTE_PGM_RSRC2:TGID_Y_EN: 1
; COMPUTE_PGM_RSRC2:TGID_Z_EN: 1
; COMPUTE_PGM_RSRC2:TIDIG_COMP_CNT: 0
	.section	.text._ZN2at6native6mbtopk23computeBlockDigitCountsIN3c104HalfEmjLi3EEEvNS_4cuda6detail10TensorInfoIKT_T0_EEjPjjSA_iijT1_PSD_Ps,"axG",@progbits,_ZN2at6native6mbtopk23computeBlockDigitCountsIN3c104HalfEmjLi3EEEvNS_4cuda6detail10TensorInfoIKT_T0_EEjPjjSA_iijT1_PSD_Ps,comdat
	.protected	_ZN2at6native6mbtopk23computeBlockDigitCountsIN3c104HalfEmjLi3EEEvNS_4cuda6detail10TensorInfoIKT_T0_EEjPjjSA_iijT1_PSD_Ps ; -- Begin function _ZN2at6native6mbtopk23computeBlockDigitCountsIN3c104HalfEmjLi3EEEvNS_4cuda6detail10TensorInfoIKT_T0_EEjPjjSA_iijT1_PSD_Ps
	.globl	_ZN2at6native6mbtopk23computeBlockDigitCountsIN3c104HalfEmjLi3EEEvNS_4cuda6detail10TensorInfoIKT_T0_EEjPjjSA_iijT1_PSD_Ps
	.p2align	8
	.type	_ZN2at6native6mbtopk23computeBlockDigitCountsIN3c104HalfEmjLi3EEEvNS_4cuda6detail10TensorInfoIKT_T0_EEjPjjSA_iijT1_PSD_Ps,@function
_ZN2at6native6mbtopk23computeBlockDigitCountsIN3c104HalfEmjLi3EEEvNS_4cuda6detail10TensorInfoIKT_T0_EEjPjjSA_iijT1_PSD_Ps: ; @_ZN2at6native6mbtopk23computeBlockDigitCountsIN3c104HalfEmjLi3EEEvNS_4cuda6detail10TensorInfoIKT_T0_EEjPjjSA_iijT1_PSD_Ps
; %bb.0:
	s_clause 0x2
	s_load_dwordx4 s[0:3], s[4:5], 0x1c0
	s_load_dword s12, s[4:5], 0x1b0
	s_load_dwordx2 s[10:11], s[4:5], 0x1e0
	s_waitcnt lgkmcnt(0)
	v_cvt_f32_u32_e32 v1, s2
	s_mul_i32 s8, s11, s8
	s_sub_i32 s11, 0, s2
	s_add_i32 s7, s8, s7
	v_rcp_iflag_f32_e32 v1, v1
	s_mul_i32 s24, s7, s10
	s_add_i32 s24, s24, s6
	v_mul_f32_e32 v1, 0x4f7ffffe, v1
	v_cvt_u32_f32_e32 v1, v1
	v_readfirstlane_b32 s9, v1
	s_mul_i32 s11, s11, s9
	s_mul_hi_u32 s7, s9, s11
	s_add_i32 s9, s9, s7
	s_mul_hi_u32 s6, s24, s9
	s_mul_i32 s7, s6, s2
	s_add_i32 s8, s6, 1
	s_sub_i32 s7, s24, s7
	s_sub_i32 s9, s7, s2
	s_cmp_ge_u32 s7, s2
	s_cselect_b32 s6, s8, s6
	s_cselect_b32 s7, s9, s7
	s_add_i32 s8, s6, 1
	s_cmp_ge_u32 s7, s2
	s_mov_b32 s7, 0
	s_cselect_b32 s6, s8, s6
	s_cmp_ge_u32 s6, s12
	s_cbranch_scc1 .LBB208_25
; %bb.1:
	s_clause 0x1
	s_load_dwordx4 s[12:15], s[4:5], 0x10
	s_load_dwordx4 s[8:11], s[4:5], 0x1d0
	s_lshl_b64 s[16:17], s[6:7], 2
	s_mov_b64 s[20:21], 0
	s_waitcnt lgkmcnt(0)
	v_cmp_lt_u64_e64 s18, s[6:7], s[14:15]
	s_add_u32 s22, s8, s16
	s_addc_u32 s23, s9, s17
	s_mov_b64 s[8:9], 0
	s_and_b32 vcc_lo, exec_lo, s18
	s_cbranch_vccz .LBB208_15
; %bb.2:
	v_cmp_lt_u64_e64 s7, s[20:21], s[12:13]
	s_and_b32 vcc_lo, exec_lo, s7
	s_cbranch_vccz .LBB208_16
.LBB208_3:
	v_cmp_gt_u32_e32 vcc_lo, 0x100, v0
	v_lshlrev_b32_e32 v1, 2, v0
	s_and_saveexec_b32 s7, vcc_lo
.LBB208_4:
	v_mov_b32_e32 v2, 0
	ds_write_b32 v1, v2
.LBB208_5:
	s_or_b32 exec_lo, exec_lo, s7
	s_load_dword s7, s[4:5], 0x1a0
	s_mul_i32 s9, s6, s2
	s_mov_b32 s25, 0
	s_sub_i32 s9, s24, s9
	s_waitcnt lgkmcnt(0)
	s_mul_i32 s16, s1, s9
	s_add_i32 s9, s9, 1
	s_lshl_b32 s26, s16, 8
	s_barrier
	buffer_gl0_inv
	s_sub_i32 s16, s7, s26
	s_add_u32 s16, s16, 0xff
	s_addc_u32 s17, 0, 0
	s_lshr_b64 s[16:17], s[16:17], 8
	s_cmp_lt_u32 s9, s2
	s_cselect_b32 s2, s1, s16
	s_cmp_lt_i32 s2, 1
	s_cbranch_scc1 .LBB208_23
; %bb.6:
	s_clause 0x2
	s_load_dwordx2 s[28:29], s[4:5], 0xe0
	s_load_dwordx4 s[16:19], s[4:5], 0xd0
	s_load_dwordx2 s[30:31], s[4:5], 0x0
	s_load_dword s1, s[22:23], 0x0
	s_mul_i32 s9, s20, s15
	s_mul_hi_u32 s15, s20, s14
	s_mul_i32 s14, s20, s14
	s_add_i32 s15, s15, s9
	s_mul_i32 s13, s8, s13
	s_mul_hi_u32 s22, s8, s12
	s_sub_u32 s6, s6, s14
	s_subb_u32 s9, 0, s15
	s_add_i32 s22, s22, s13
	s_load_dwordx2 s[4:5], s[4:5], 0x1b8
	s_mul_i32 s12, s8, s12
	v_add_nc_u32_e32 v2, s26, v0
	s_waitcnt lgkmcnt(0)
	s_mul_i32 s13, s6, s29
	s_mul_hi_u32 s14, s6, s28
	s_mul_i32 s9, s9, s28
	s_add_i32 s13, s14, s13
	s_mul_i32 s15, s8, s17
	s_add_i32 s13, s13, s9
	s_mul_hi_u32 s17, s8, s16
	s_sub_u32 s12, s20, s12
	s_mul_i32 s8, s8, s16
	s_subb_u32 s14, s21, s22
	s_add_i32 s9, s17, s15
	s_mul_i32 s15, s12, s19
	s_mul_hi_u32 s16, s12, s18
	s_mul_i32 s14, s14, s18
	s_add_i32 s15, s16, s15
	s_lshl_b64 s[8:9], s[8:9], 1
	s_add_i32 s15, s15, s14
	s_mul_i32 s14, s12, s18
	s_add_u32 s16, s30, s8
	s_addc_u32 s17, s31, s9
	s_lshl_b64 s[8:9], s[14:15], 1
	s_mul_i32 s12, s6, s28
	s_add_u32 s6, s16, s8
	s_addc_u32 s14, s17, s9
	s_lshl_b64 s[8:9], s[12:13], 1
	s_add_u32 s8, s6, s8
	s_addc_u32 s9, s14, s9
	s_and_b32 s6, s0, 0xff
	s_cmp_eq_u32 s2, 1
	s_cbranch_scc1 .LBB208_18
; %bb.7:
	v_mov_b32_e32 v3, 1
	v_mov_b32_e32 v4, 0x8000
	;; [unrolled: 1-line block ×3, first 2 shown]
	s_and_b32 s12, s2, 0x7ffffffe
	s_mov_b32 s13, 0
	s_branch .LBB208_9
.LBB208_8:                              ;   in Loop: Header=BB208_9 Depth=1
	s_or_b32 exec_lo, exec_lo, s14
	v_add_nc_u32_e32 v5, 0x200, v5
	s_add_i32 s13, s13, 2
	s_cmp_eq_u32 s12, s13
	s_cbranch_scc1 .LBB208_17
.LBB208_9:                              ; =>This Inner Loop Header: Depth=1
	s_mov_b32 s14, exec_lo
	v_cmpx_gt_u32_e64 s7, v5
	s_cbranch_execz .LBB208_12
; %bb.10:                               ;   in Loop: Header=BB208_9 Depth=1
	v_mad_u64_u32 v[6:7], null, s4, v5, 0
	v_mad_u64_u32 v[7:8], null, s5, v5, v[7:8]
	v_lshlrev_b64 v[6:7], 1, v[6:7]
	v_add_co_u32 v6, s0, s8, v6
	v_add_co_ci_u32_e64 v7, null, s9, v7, s0
	global_load_ushort v6, v[6:7], off
	s_waitcnt vmcnt(0)
	v_cmp_lt_i16_e64 s0, -1, v6
	v_cndmask_b32_e64 v7, 0xffff, v4, s0
	v_cmp_o_f16_e64 s0, v6, v6
	v_xor_b32_sdwa v7, v7, v6 dst_sel:DWORD dst_unused:UNUSED_PAD src0_sel:DWORD src1_sel:WORD_0
	v_cndmask_b32_e64 v6, 0xffff, v7, s0
	v_xor_b32_e32 v7, s1, v6
	v_and_b32_e32 v7, s3, v7
	v_cmp_eq_u32_e64 s0, 0, v7
	s_and_b32 exec_lo, exec_lo, s0
; %bb.11:                               ;   in Loop: Header=BB208_9 Depth=1
	v_bfe_u32 v6, v6, s6, 8
	v_lshlrev_b32_e32 v6, 2, v6
	ds_add_u32 v6, v3
.LBB208_12:                             ;   in Loop: Header=BB208_9 Depth=1
	s_or_b32 exec_lo, exec_lo, s14
	v_add_nc_u32_e32 v6, 0x100, v5
	s_mov_b32 s14, exec_lo
	v_cmpx_gt_u32_e64 s7, v6
	s_cbranch_execz .LBB208_8
; %bb.13:                               ;   in Loop: Header=BB208_9 Depth=1
	v_mad_u64_u32 v[7:8], null, s4, v6, 0
	v_mad_u64_u32 v[8:9], null, s5, v6, v[8:9]
	v_lshlrev_b64 v[6:7], 1, v[7:8]
	v_add_co_u32 v6, s0, s8, v6
	v_add_co_ci_u32_e64 v7, null, s9, v7, s0
	global_load_ushort v6, v[6:7], off
	s_waitcnt vmcnt(0)
	v_cmp_lt_i16_e64 s0, -1, v6
	v_cndmask_b32_e64 v7, 0xffff, v4, s0
	v_cmp_o_f16_e64 s0, v6, v6
	v_xor_b32_sdwa v7, v7, v6 dst_sel:DWORD dst_unused:UNUSED_PAD src0_sel:DWORD src1_sel:WORD_0
	v_cndmask_b32_e64 v6, 0xffff, v7, s0
	v_xor_b32_e32 v7, s1, v6
	v_and_b32_e32 v7, s3, v7
	v_cmp_eq_u32_e64 s0, 0, v7
	s_and_b32 exec_lo, exec_lo, s0
	s_cbranch_execz .LBB208_8
; %bb.14:                               ;   in Loop: Header=BB208_9 Depth=1
	v_bfe_u32 v6, v6, s6, 8
	v_lshlrev_b32_e32 v6, 2, v6
	ds_add_u32 v6, v3
	s_branch .LBB208_8
.LBB208_15:
	v_cvt_f32_u32_e32 v1, s14
	s_sub_i32 s9, 0, s14
	s_mov_b32 s21, 0
	v_rcp_iflag_f32_e32 v1, v1
	v_mul_f32_e32 v1, 0x4f7ffffe, v1
	v_cvt_u32_f32_e32 v1, v1
	v_readfirstlane_b32 s7, v1
	s_mul_i32 s9, s9, s7
	s_mul_hi_u32 s9, s7, s9
	s_add_i32 s7, s7, s9
	s_mul_hi_u32 s7, s6, s7
	s_mul_i32 s9, s7, s14
	s_add_i32 s16, s7, 1
	s_sub_i32 s9, s6, s9
	s_sub_i32 s17, s9, s14
	s_cmp_ge_u32 s9, s14
	s_cselect_b32 s7, s16, s7
	s_cselect_b32 s9, s17, s9
	s_add_i32 s16, s7, 1
	s_cmp_ge_u32 s9, s14
	s_cselect_b32 s20, s16, s7
	v_cmp_lt_u64_e64 s7, s[20:21], s[12:13]
	s_and_b32 vcc_lo, exec_lo, s7
	s_cbranch_vccnz .LBB208_3
.LBB208_16:
	v_cvt_f32_u32_e32 v1, s12
	s_sub_i32 s8, 0, s12
	v_rcp_iflag_f32_e32 v1, v1
	v_mul_f32_e32 v1, 0x4f7ffffe, v1
	v_cvt_u32_f32_e32 v1, v1
	v_readfirstlane_b32 s7, v1
	s_mul_i32 s8, s8, s7
	s_mul_hi_u32 s8, s7, s8
	s_add_i32 s7, s7, s8
	s_mul_hi_u32 s7, s20, s7
	s_mul_i32 s8, s7, s12
	s_add_i32 s9, s7, 1
	s_sub_i32 s8, s20, s8
	s_sub_i32 s16, s8, s12
	s_cmp_ge_u32 s8, s12
	s_cselect_b32 s7, s9, s7
	s_cselect_b32 s8, s16, s8
	s_add_i32 s9, s7, 1
	s_cmp_ge_u32 s8, s12
	s_cselect_b32 s8, s9, s7
	v_cmp_gt_u32_e32 vcc_lo, 0x100, v0
	v_lshlrev_b32_e32 v1, 2, v0
	s_and_saveexec_b32 s7, vcc_lo
	s_cbranch_execnz .LBB208_4
	s_branch .LBB208_5
.LBB208_17:
	s_lshl_b32 s25, s12, 8
.LBB208_18:
	s_bitcmp0_b32 s2, 0
	s_cbranch_scc1 .LBB208_23
; %bb.19:
	v_add_nc_u32_e32 v2, s25, v2
	s_mov_b32 s2, exec_lo
	v_cmpx_gt_u32_e64 s7, v2
	s_cbranch_execz .LBB208_22
; %bb.20:
	v_mad_u64_u32 v[3:4], null, s4, v2, 0
	v_mad_u64_u32 v[4:5], null, s5, v2, v[4:5]
	v_lshlrev_b64 v[2:3], 1, v[3:4]
	v_add_co_u32 v2, s0, s8, v2
	v_add_co_ci_u32_e64 v3, null, s9, v3, s0
	global_load_ushort v2, v[2:3], off
	v_mov_b32_e32 v3, 0x8000
	s_waitcnt vmcnt(0)
	v_cmp_lt_i16_e64 s0, -1, v2
	v_cndmask_b32_e64 v3, 0xffff, v3, s0
	v_cmp_o_f16_e64 s0, v2, v2
	v_xor_b32_sdwa v3, v3, v2 dst_sel:DWORD dst_unused:UNUSED_PAD src0_sel:DWORD src1_sel:WORD_0
	v_cndmask_b32_e64 v2, 0xffff, v3, s0
	v_xor_b32_e32 v3, s1, v2
	v_and_b32_e32 v3, s3, v3
	v_cmp_eq_u32_e64 s0, 0, v3
	s_and_b32 exec_lo, exec_lo, s0
	s_cbranch_execz .LBB208_22
; %bb.21:
	v_bfe_u32 v2, v2, s6, 8
	v_mov_b32_e32 v3, 1
	v_lshlrev_b32_e32 v2, 2, v2
	ds_add_u32 v2, v3
.LBB208_22:
	s_or_b32 exec_lo, exec_lo, s2
.LBB208_23:
	s_waitcnt lgkmcnt(0)
	s_barrier
	buffer_gl0_inv
	s_and_saveexec_b32 s0, vcc_lo
	s_cbranch_execz .LBB208_25
; %bb.24:
	ds_read_b32 v2, v1
	v_lshl_or_b32 v0, s24, 8, v0
	v_mov_b32_e32 v1, 0
	v_lshlrev_b64 v[0:1], 1, v[0:1]
	v_add_co_u32 v0, vcc_lo, s10, v0
	v_add_co_ci_u32_e64 v1, null, s11, v1, vcc_lo
	s_waitcnt lgkmcnt(0)
	global_store_short v[0:1], v2, off
.LBB208_25:
	s_endpgm
	.section	.rodata,"a",@progbits
	.p2align	6, 0x0
	.amdhsa_kernel _ZN2at6native6mbtopk23computeBlockDigitCountsIN3c104HalfEmjLi3EEEvNS_4cuda6detail10TensorInfoIKT_T0_EEjPjjSA_iijT1_PSD_Ps
		.amdhsa_group_segment_fixed_size 1024
		.amdhsa_private_segment_fixed_size 0
		.amdhsa_kernarg_size 736
		.amdhsa_user_sgpr_count 6
		.amdhsa_user_sgpr_private_segment_buffer 1
		.amdhsa_user_sgpr_dispatch_ptr 0
		.amdhsa_user_sgpr_queue_ptr 0
		.amdhsa_user_sgpr_kernarg_segment_ptr 1
		.amdhsa_user_sgpr_dispatch_id 0
		.amdhsa_user_sgpr_flat_scratch_init 0
		.amdhsa_user_sgpr_private_segment_size 0
		.amdhsa_wavefront_size32 1
		.amdhsa_uses_dynamic_stack 0
		.amdhsa_system_sgpr_private_segment_wavefront_offset 0
		.amdhsa_system_sgpr_workgroup_id_x 1
		.amdhsa_system_sgpr_workgroup_id_y 1
		.amdhsa_system_sgpr_workgroup_id_z 1
		.amdhsa_system_sgpr_workgroup_info 0
		.amdhsa_system_vgpr_workitem_id 0
		.amdhsa_next_free_vgpr 10
		.amdhsa_next_free_sgpr 32
		.amdhsa_reserve_vcc 1
		.amdhsa_reserve_flat_scratch 0
		.amdhsa_float_round_mode_32 0
		.amdhsa_float_round_mode_16_64 0
		.amdhsa_float_denorm_mode_32 3
		.amdhsa_float_denorm_mode_16_64 3
		.amdhsa_dx10_clamp 1
		.amdhsa_ieee_mode 1
		.amdhsa_fp16_overflow 0
		.amdhsa_workgroup_processor_mode 1
		.amdhsa_memory_ordered 1
		.amdhsa_forward_progress 1
		.amdhsa_shared_vgpr_count 0
		.amdhsa_exception_fp_ieee_invalid_op 0
		.amdhsa_exception_fp_denorm_src 0
		.amdhsa_exception_fp_ieee_div_zero 0
		.amdhsa_exception_fp_ieee_overflow 0
		.amdhsa_exception_fp_ieee_underflow 0
		.amdhsa_exception_fp_ieee_inexact 0
		.amdhsa_exception_int_div_zero 0
	.end_amdhsa_kernel
	.section	.text._ZN2at6native6mbtopk23computeBlockDigitCountsIN3c104HalfEmjLi3EEEvNS_4cuda6detail10TensorInfoIKT_T0_EEjPjjSA_iijT1_PSD_Ps,"axG",@progbits,_ZN2at6native6mbtopk23computeBlockDigitCountsIN3c104HalfEmjLi3EEEvNS_4cuda6detail10TensorInfoIKT_T0_EEjPjjSA_iijT1_PSD_Ps,comdat
.Lfunc_end208:
	.size	_ZN2at6native6mbtopk23computeBlockDigitCountsIN3c104HalfEmjLi3EEEvNS_4cuda6detail10TensorInfoIKT_T0_EEjPjjSA_iijT1_PSD_Ps, .Lfunc_end208-_ZN2at6native6mbtopk23computeBlockDigitCountsIN3c104HalfEmjLi3EEEvNS_4cuda6detail10TensorInfoIKT_T0_EEjPjjSA_iijT1_PSD_Ps
                                        ; -- End function
	.set _ZN2at6native6mbtopk23computeBlockDigitCountsIN3c104HalfEmjLi3EEEvNS_4cuda6detail10TensorInfoIKT_T0_EEjPjjSA_iijT1_PSD_Ps.num_vgpr, 10
	.set _ZN2at6native6mbtopk23computeBlockDigitCountsIN3c104HalfEmjLi3EEEvNS_4cuda6detail10TensorInfoIKT_T0_EEjPjjSA_iijT1_PSD_Ps.num_agpr, 0
	.set _ZN2at6native6mbtopk23computeBlockDigitCountsIN3c104HalfEmjLi3EEEvNS_4cuda6detail10TensorInfoIKT_T0_EEjPjjSA_iijT1_PSD_Ps.numbered_sgpr, 32
	.set _ZN2at6native6mbtopk23computeBlockDigitCountsIN3c104HalfEmjLi3EEEvNS_4cuda6detail10TensorInfoIKT_T0_EEjPjjSA_iijT1_PSD_Ps.num_named_barrier, 0
	.set _ZN2at6native6mbtopk23computeBlockDigitCountsIN3c104HalfEmjLi3EEEvNS_4cuda6detail10TensorInfoIKT_T0_EEjPjjSA_iijT1_PSD_Ps.private_seg_size, 0
	.set _ZN2at6native6mbtopk23computeBlockDigitCountsIN3c104HalfEmjLi3EEEvNS_4cuda6detail10TensorInfoIKT_T0_EEjPjjSA_iijT1_PSD_Ps.uses_vcc, 1
	.set _ZN2at6native6mbtopk23computeBlockDigitCountsIN3c104HalfEmjLi3EEEvNS_4cuda6detail10TensorInfoIKT_T0_EEjPjjSA_iijT1_PSD_Ps.uses_flat_scratch, 0
	.set _ZN2at6native6mbtopk23computeBlockDigitCountsIN3c104HalfEmjLi3EEEvNS_4cuda6detail10TensorInfoIKT_T0_EEjPjjSA_iijT1_PSD_Ps.has_dyn_sized_stack, 0
	.set _ZN2at6native6mbtopk23computeBlockDigitCountsIN3c104HalfEmjLi3EEEvNS_4cuda6detail10TensorInfoIKT_T0_EEjPjjSA_iijT1_PSD_Ps.has_recursion, 0
	.set _ZN2at6native6mbtopk23computeBlockDigitCountsIN3c104HalfEmjLi3EEEvNS_4cuda6detail10TensorInfoIKT_T0_EEjPjjSA_iijT1_PSD_Ps.has_indirect_call, 0
	.section	.AMDGPU.csdata,"",@progbits
; Kernel info:
; codeLenInByte = 1428
; TotalNumSgprs: 34
; NumVgprs: 10
; ScratchSize: 0
; MemoryBound: 0
; FloatMode: 240
; IeeeMode: 1
; LDSByteSize: 1024 bytes/workgroup (compile time only)
; SGPRBlocks: 0
; VGPRBlocks: 1
; NumSGPRsForWavesPerEU: 34
; NumVGPRsForWavesPerEU: 10
; Occupancy: 16
; WaveLimiterHint : 1
; COMPUTE_PGM_RSRC2:SCRATCH_EN: 0
; COMPUTE_PGM_RSRC2:USER_SGPR: 6
; COMPUTE_PGM_RSRC2:TRAP_HANDLER: 0
; COMPUTE_PGM_RSRC2:TGID_X_EN: 1
; COMPUTE_PGM_RSRC2:TGID_Y_EN: 1
; COMPUTE_PGM_RSRC2:TGID_Z_EN: 1
; COMPUTE_PGM_RSRC2:TIDIG_COMP_CNT: 0
	.section	.text._ZN2at6native6mbtopk10gatherTopKIN3c104HalfEmLi3EEEvNS_4cuda6detail10TensorInfoIKT_T0_EESA_SA_bjSA_NS7_IS8_SA_EESA_NS7_IlSA_EESA_jjPS8_PjSF_j,"axG",@progbits,_ZN2at6native6mbtopk10gatherTopKIN3c104HalfEmLi3EEEvNS_4cuda6detail10TensorInfoIKT_T0_EESA_SA_bjSA_NS7_IS8_SA_EESA_NS7_IlSA_EESA_jjPS8_PjSF_j,comdat
	.protected	_ZN2at6native6mbtopk10gatherTopKIN3c104HalfEmLi3EEEvNS_4cuda6detail10TensorInfoIKT_T0_EESA_SA_bjSA_NS7_IS8_SA_EESA_NS7_IlSA_EESA_jjPS8_PjSF_j ; -- Begin function _ZN2at6native6mbtopk10gatherTopKIN3c104HalfEmLi3EEEvNS_4cuda6detail10TensorInfoIKT_T0_EESA_SA_bjSA_NS7_IS8_SA_EESA_NS7_IlSA_EESA_jjPS8_PjSF_j
	.globl	_ZN2at6native6mbtopk10gatherTopKIN3c104HalfEmLi3EEEvNS_4cuda6detail10TensorInfoIKT_T0_EESA_SA_bjSA_NS7_IS8_SA_EESA_NS7_IlSA_EESA_jjPS8_PjSF_j
	.p2align	8
	.type	_ZN2at6native6mbtopk10gatherTopKIN3c104HalfEmLi3EEEvNS_4cuda6detail10TensorInfoIKT_T0_EESA_SA_bjSA_NS7_IS8_SA_EESA_NS7_IlSA_EESA_jjPS8_PjSF_j,@function
_ZN2at6native6mbtopk10gatherTopKIN3c104HalfEmLi3EEEvNS_4cuda6detail10TensorInfoIKT_T0_EESA_SA_bjSA_NS7_IS8_SA_EESA_NS7_IlSA_EESA_jjPS8_PjSF_j: ; @_ZN2at6native6mbtopk10gatherTopKIN3c104HalfEmLi3EEEvNS_4cuda6detail10TensorInfoIKT_T0_EESA_SA_bjSA_NS7_IS8_SA_EESA_NS7_IlSA_EESA_jjPS8_PjSF_j
; %bb.0:
	s_clause 0x1
	s_load_dwordx2 s[0:1], s[4:5], 0x538
	s_load_dword s2, s[4:5], 0x530
	s_waitcnt lgkmcnt(0)
	s_mul_i32 s1, s1, s8
	s_add_i32 s1, s1, s7
	s_mul_i32 s0, s1, s0
	s_add_i32 s0, s0, s6
	s_cmp_ge_u32 s0, s2
	s_cbranch_scc1 .LBB209_54
; %bb.1:
	s_clause 0x2
	s_load_dwordx2 s[6:7], s[4:5], 0x510
	s_load_dwordx4 s[8:11], s[4:5], 0x1a0
	s_load_dwordx4 s[12:15], s[4:5], 0x10
	s_mov_b32 s35, 0
	s_waitcnt lgkmcnt(0)
	v_cvt_f32_u32_e32 v1, s7
	s_sub_i32 s2, 0, s7
	s_lshl_b32 s33, s6, 8
	v_rcp_iflag_f32_e32 v1, v1
	v_mul_f32_e32 v1, 0x4f7ffffe, v1
	v_cvt_u32_f32_e32 v1, v1
	v_readfirstlane_b32 s1, v1
	s_mul_i32 s2, s2, s1
	s_mul_hi_u32 s2, s1, s2
	s_add_i32 s1, s1, s2
	s_mul_hi_u32 s1, s0, s1
	s_mul_i32 s2, s1, s7
	s_add_i32 s3, s1, 1
	s_sub_i32 s2, s0, s2
	s_sub_i32 s16, s2, s7
	s_cmp_ge_u32 s2, s7
	s_cselect_b32 s1, s3, s1
	s_cselect_b32 s2, s16, s2
	s_add_i32 s3, s1, 1
	s_cmp_ge_u32 s2, s7
	s_cselect_b32 s34, s3, s1
	s_mul_i32 s20, s34, s7
	s_sub_i32 s72, s0, s20
	s_add_i32 s0, s72, 1
	s_cmp_lt_u32 s0, s7
	s_cbranch_scc1 .LBB209_3
; %bb.2:
	s_mul_i32 s0, s72, s33
	s_sub_u32 s0, s8, s0
	s_subb_u32 s1, s9, 0
	s_add_u32 s0, s0, 0xff
	s_addc_u32 s1, s1, 0
	s_ashr_i32 s2, s1, 31
	s_lshr_b32 s2, s2, 24
	s_add_u32 s0, s0, s2
	s_addc_u32 s1, s1, 0
	s_lshr_b64 s[0:1], s[0:1], 8
	s_mov_b32 s6, s0
.LBB209_3:
	v_cmp_lt_u64_e64 s0, s[34:35], s[14:15]
	s_mov_b64 s[48:49], 0
	s_mov_b64 s[50:51], 0
	s_and_b32 vcc_lo, exec_lo, s0
	s_cbranch_vccnz .LBB209_5
; %bb.4:
	v_cvt_f32_u32_e32 v1, s14
	s_sub_i32 s1, 0, s14
	s_mov_b32 s51, 0
	v_rcp_iflag_f32_e32 v1, v1
	v_mul_f32_e32 v1, 0x4f7ffffe, v1
	v_cvt_u32_f32_e32 v1, v1
	v_readfirstlane_b32 s0, v1
	s_mul_i32 s1, s1, s0
	s_mul_hi_u32 s1, s0, s1
	s_add_i32 s0, s0, s1
	s_mul_hi_u32 s0, s34, s0
	s_mul_i32 s1, s0, s14
	s_add_i32 s2, s0, 1
	s_sub_i32 s1, s34, s1
	s_sub_i32 s3, s1, s14
	s_cmp_ge_u32 s1, s14
	s_cselect_b32 s0, s2, s0
	s_cselect_b32 s1, s3, s1
	s_add_i32 s2, s0, 1
	s_cmp_ge_u32 s1, s14
	s_cselect_b32 s50, s2, s0
.LBB209_5:
	s_load_dwordx4 s[24:27], s[4:5], 0x1d0
	v_cmp_lt_u64_e64 s0, s[50:51], s[12:13]
	s_and_b32 vcc_lo, exec_lo, s0
	s_cbranch_vccnz .LBB209_7
; %bb.6:
	v_cvt_f32_u32_e32 v1, s12
	s_sub_i32 s1, 0, s12
	v_rcp_iflag_f32_e32 v1, v1
	v_mul_f32_e32 v1, 0x4f7ffffe, v1
	v_cvt_u32_f32_e32 v1, v1
	v_readfirstlane_b32 s0, v1
	s_mul_i32 s1, s1, s0
	s_mul_hi_u32 s1, s0, s1
	s_add_i32 s0, s0, s1
	s_mul_hi_u32 s0, s50, s0
	s_mul_i32 s1, s0, s12
	s_add_i32 s2, s0, 1
	s_sub_i32 s1, s50, s1
	s_sub_i32 s3, s1, s12
	s_cmp_ge_u32 s1, s12
	s_cselect_b32 s0, s2, s0
	s_cselect_b32 s1, s3, s1
	s_add_i32 s2, s0, 1
	s_cmp_ge_u32 s1, s12
	s_cselect_b32 s48, s2, s0
.LBB209_7:
	s_waitcnt lgkmcnt(0)
	v_cmp_lt_u64_e64 s0, s[34:35], s[26:27]
	s_mov_b64 s[52:53], 0
	s_mov_b64 s[60:61], 0
	s_and_b32 vcc_lo, exec_lo, s0
	s_cbranch_vccnz .LBB209_9
; %bb.8:
	v_cvt_f32_u32_e32 v1, s26
	s_sub_i32 s1, 0, s26
	s_mov_b32 s61, 0
	v_rcp_iflag_f32_e32 v1, v1
	v_mul_f32_e32 v1, 0x4f7ffffe, v1
	v_cvt_u32_f32_e32 v1, v1
	v_readfirstlane_b32 s0, v1
	s_mul_i32 s1, s1, s0
	s_mul_hi_u32 s1, s0, s1
	s_add_i32 s0, s0, s1
	s_mul_hi_u32 s0, s34, s0
	s_mul_i32 s1, s0, s26
	s_add_i32 s2, s0, 1
	s_sub_i32 s1, s34, s1
	s_sub_i32 s3, s1, s26
	s_cmp_ge_u32 s1, s26
	s_cselect_b32 s0, s2, s0
	s_cselect_b32 s1, s3, s1
	s_add_i32 s2, s0, 1
	s_cmp_ge_u32 s1, s26
	s_cselect_b32 s60, s2, s0
.LBB209_9:
	s_load_dwordx4 s[28:31], s[4:5], 0x378
	v_cmp_lt_u64_e64 s0, s[60:61], s[24:25]
	s_and_b32 vcc_lo, exec_lo, s0
	s_cbranch_vccnz .LBB209_11
; %bb.10:
	v_cvt_f32_u32_e32 v1, s24
	s_sub_i32 s1, 0, s24
	v_rcp_iflag_f32_e32 v1, v1
	v_mul_f32_e32 v1, 0x4f7ffffe, v1
	v_cvt_u32_f32_e32 v1, v1
	v_readfirstlane_b32 s0, v1
	s_mul_i32 s1, s1, s0
	s_mul_hi_u32 s1, s0, s1
	s_add_i32 s0, s0, s1
	s_mul_hi_u32 s0, s60, s0
	s_mul_i32 s1, s0, s24
	s_add_i32 s2, s0, 1
	s_sub_i32 s1, s60, s1
	s_sub_i32 s3, s1, s24
	s_cmp_ge_u32 s1, s24
	s_cselect_b32 s0, s2, s0
	s_cselect_b32 s1, s3, s1
	s_add_i32 s2, s0, 1
	s_cmp_ge_u32 s1, s24
	s_cselect_b32 s52, s2, s0
.LBB209_11:
	s_waitcnt lgkmcnt(0)
	v_cmp_lt_u64_e64 s0, s[34:35], s[30:31]
	s_mov_b64 s[56:57], 0
	s_mov_b64 s[64:65], 0
	s_and_b32 vcc_lo, exec_lo, s0
	s_cbranch_vccnz .LBB209_13
; %bb.12:
	v_cvt_f32_u32_e32 v1, s30
	s_sub_i32 s1, 0, s30
	s_mov_b32 s65, 0
	v_rcp_iflag_f32_e32 v1, v1
	v_mul_f32_e32 v1, 0x4f7ffffe, v1
	v_cvt_u32_f32_e32 v1, v1
	v_readfirstlane_b32 s0, v1
	s_mul_i32 s1, s1, s0
	s_mul_hi_u32 s1, s0, s1
	s_add_i32 s0, s0, s1
	s_mul_hi_u32 s0, s34, s0
	s_mul_i32 s1, s0, s30
	s_add_i32 s2, s0, 1
	s_sub_i32 s1, s34, s1
	s_sub_i32 s3, s1, s30
	s_cmp_ge_u32 s1, s30
	s_cselect_b32 s0, s2, s0
	s_cselect_b32 s1, s3, s1
	s_add_i32 s2, s0, 1
	s_cmp_ge_u32 s1, s30
	s_cselect_b32 s64, s2, s0
.LBB209_13:
	s_clause 0x5
	s_load_dwordx2 s[62:63], s[4:5], 0xe0
	s_load_dwordx4 s[44:47], s[4:5], 0xd0
	s_load_dwordx2 s[58:59], s[4:5], 0x2a0
	s_load_dwordx4 s[40:43], s[4:5], 0x290
	;; [unrolled: 2-line block ×3, first 2 shown]
	v_cmp_lt_u64_e64 s0, s[64:65], s[28:29]
	s_and_b32 vcc_lo, exec_lo, s0
	s_cbranch_vccnz .LBB209_15
; %bb.14:
	v_cvt_f32_u32_e32 v1, s28
	s_sub_i32 s1, 0, s28
	v_rcp_iflag_f32_e32 v1, v1
	v_mul_f32_e32 v1, 0x4f7ffffe, v1
	v_cvt_u32_f32_e32 v1, v1
	v_readfirstlane_b32 s0, v1
	s_mul_i32 s1, s1, s0
	s_mul_hi_u32 s1, s0, s1
	s_add_i32 s0, s0, s1
	s_mul_hi_u32 s0, s64, s0
	s_mul_i32 s1, s0, s28
	s_add_i32 s2, s0, 1
	s_sub_i32 s1, s64, s1
	s_sub_i32 s3, s1, s28
	s_cmp_ge_u32 s1, s28
	s_cselect_b32 s0, s2, s0
	s_cselect_b32 s1, s3, s1
	s_add_i32 s2, s0, 1
	s_cmp_ge_u32 s1, s28
	s_cselect_b32 s56, s2, s0
.LBB209_15:
	s_clause 0x1
	s_load_dwordx4 s[0:3], s[4:5], 0x518
	s_load_dwordx2 s[66:67], s[4:5], 0x0
	s_lshl_b64 s[16:17], s[34:35], 1
	v_mov_b32_e32 v1, 0
	s_mov_b32 s21, 0
	s_waitcnt lgkmcnt(0)
	s_add_u32 s0, s0, s16
	s_addc_u32 s1, s1, s17
	global_load_ushort v1, v1, s[0:1]
	v_cmp_ne_u32_e64 s0, 0, v0
	v_cmp_eq_u32_e64 s1, 0, v0
	s_waitcnt vmcnt(0)
	v_readfirstlane_b32 s35, v1
	s_and_saveexec_b32 s49, s1
	s_cbranch_execz .LBB209_31
; %bb.16:
	s_load_dwordx2 s[22:23], s[4:5], 0x528
	s_lshl_b64 s[68:69], s[20:21], 2
	s_mov_b32 s20, 0
	s_add_u32 s16, s2, s68
	s_addc_u32 s17, s3, s69
	s_mov_b32 s53, 0
	s_waitcnt lgkmcnt(0)
	s_add_u32 s18, s22, s68
	s_addc_u32 s19, s23, s69
	s_cmp_lt_u32 s7, 4
	s_cbranch_scc1 .LBB209_28
; %bb.17:
	s_mov_b32 s57, 0
.LBB209_18:                             ; =>This Inner Loop Header: Depth=1
	s_add_u32 s16, s2, s68
	s_addc_u32 s17, s3, s69
	s_add_u32 s70, s22, s68
	s_load_dwordx4 s[16:19], s[16:17], 0x0
	s_addc_u32 s71, s23, s69
	s_cmp_ge_u32 s57, s72
	s_cbranch_scc0 .LBB209_25
; %bb.19:                               ;   in Loop: Header=BB209_18 Depth=1
	s_add_i32 s73, s57, 1
	s_cmp_ge_u32 s73, s72
	s_cbranch_scc0 .LBB209_26
.LBB209_20:                             ;   in Loop: Header=BB209_18 Depth=1
	s_add_i32 s73, s73, 1
	s_cmp_ge_u32 s73, s72
	s_cbranch_scc0 .LBB209_27
.LBB209_21:                             ;   in Loop: Header=BB209_18 Depth=1
	s_add_i32 s73, s73, 1
	s_cmp_ge_u32 s73, s72
	s_cbranch_scc1 .LBB209_23
.LBB209_22:                             ;   in Loop: Header=BB209_18 Depth=1
	s_load_dword s70, s[70:71], 0xc
	s_waitcnt lgkmcnt(0)
	s_add_i32 s21, s21, s19
	s_add_i32 s20, s70, s20
.LBB209_23:                             ;   in Loop: Header=BB209_18 Depth=1
	s_waitcnt lgkmcnt(0)
	s_add_i32 s16, s16, s53
	s_add_i32 s16, s16, s17
	;; [unrolled: 1-line block ×4, first 2 shown]
	s_add_u32 s2, s2, 16
	s_addc_u32 s3, s3, 0
	s_add_u32 s22, s22, 16
	s_addc_u32 s23, s23, 0
	s_add_i32 s71, s73, 4
	s_add_u32 s18, s22, s68
	s_addc_u32 s19, s23, s69
	s_add_u32 s16, s2, s68
	s_addc_u32 s17, s3, s69
	s_add_i32 s70, s73, 1
	s_cmp_ge_u32 s71, s7
	s_cbranch_scc1 .LBB209_29
; %bb.24:                               ;   in Loop: Header=BB209_18 Depth=1
	s_mov_b32 s57, s70
	s_branch .LBB209_18
.LBB209_25:                             ;   in Loop: Header=BB209_18 Depth=1
	s_load_dword s73, s[70:71], 0x0
	s_waitcnt lgkmcnt(0)
	s_add_i32 s21, s16, s21
	s_add_i32 s20, s73, s20
	;; [unrolled: 1-line block ×3, first 2 shown]
	s_cmp_ge_u32 s73, s72
	s_cbranch_scc1 .LBB209_20
.LBB209_26:                             ;   in Loop: Header=BB209_18 Depth=1
	s_load_dword s74, s[70:71], 0x4
	s_waitcnt lgkmcnt(0)
	s_add_i32 s21, s21, s17
	s_add_i32 s20, s74, s20
	;; [unrolled: 1-line block ×3, first 2 shown]
	s_cmp_ge_u32 s73, s72
	s_cbranch_scc1 .LBB209_21
.LBB209_27:                             ;   in Loop: Header=BB209_18 Depth=1
	s_load_dword s74, s[70:71], 0x8
	s_waitcnt lgkmcnt(0)
	s_add_i32 s21, s21, s18
	s_add_i32 s20, s74, s20
	;; [unrolled: 1-line block ×3, first 2 shown]
	s_cmp_ge_u32 s73, s72
	s_cbranch_scc0 .LBB209_22
	s_branch .LBB209_23
.LBB209_28:
	s_mov_b32 s2, 0
	s_cmp_ge_u32 s2, s7
	s_cbranch_scc0 .LBB209_52
	s_branch .LBB209_30
.LBB209_29:
	s_add_i32 s2, s57, 4
	s_cmp_ge_u32 s2, s7
	s_cbranch_scc0 .LBB209_52
.LBB209_30:
	v_mov_b32_e32 v1, s20
	v_mov_b32_e32 v2, s53
	;; [unrolled: 1-line block ×4, first 2 shown]
	ds_write_b96 v4, v[1:3] offset:1056
.LBB209_31:
	s_or_b32 exec_lo, exec_lo, s49
	s_clause 0x1
	s_load_dwordx4 s[16:19], s[4:5], 0x1b8
	s_load_dwordx4 s[20:23], s[4:5], 0x360
	s_cmp_eq_u32 s6, 0
	s_waitcnt lgkmcnt(0)
	s_barrier
	buffer_gl0_inv
	s_cbranch_scc1 .LBB209_54
; %bb.32:
	s_mul_i32 s2, s64, s31
	s_mul_hi_u32 s3, s64, s30
	s_mul_i32 s7, s64, s30
	s_add_i32 s3, s3, s2
	s_sub_u32 s2, s34, s7
	s_subb_u32 s3, 0, s3
	s_mul_i32 s7, s2, s55
	s_mul_hi_u32 s30, s2, s54
	s_mul_i32 s3, s3, s54
	s_add_i32 s7, s30, s7
	s_mul_hi_u32 s31, s52, s40
	s_add_i32 s3, s7, s3
	s_mul_i32 s7, s52, s25
	s_mul_hi_u32 s25, s52, s24
	s_mul_i32 s24, s52, s24
	s_add_i32 s25, s25, s7
	s_sub_u32 s24, s60, s24
	s_subb_u32 s25, s61, s25
	s_mul_i32 s7, s24, s43
	s_mul_hi_u32 s30, s24, s42
	s_mul_i32 s25, s25, s42
	s_add_i32 s7, s30, s7
	s_mul_i32 s30, s52, s41
	s_add_i32 s25, s7, s25
	s_mul_i32 s7, s60, s27
	s_mul_hi_u32 s27, s60, s26
	s_mul_i32 s26, s60, s26
	s_add_i32 s31, s31, s30
	s_add_i32 s27, s27, s7
	s_sub_u32 s26, s34, s26
	s_subb_u32 s27, 0, s27
	s_mul_i32 s7, s26, s59
	s_mul_hi_u32 s30, s26, s58
	s_mul_i32 s27, s27, s58
	s_add_i32 s7, s30, s7
	s_mul_hi_u32 s41, s48, s44
	s_add_i32 s27, s7, s27
	s_mul_i32 s7, s48, s13
	s_mul_hi_u32 s13, s48, s12
	s_mul_i32 s12, s48, s12
	s_add_i32 s13, s13, s7
	s_sub_u32 s7, s50, s12
	s_subb_u32 s13, s51, s13
	s_mul_i32 s12, s7, s47
	s_mul_hi_u32 s30, s7, s46
	s_mul_i32 s13, s13, s46
	s_add_i32 s12, s30, s12
	s_mul_i32 s30, s48, s45
	s_add_i32 s13, s12, s13
	s_mul_i32 s12, s50, s15
	s_mul_hi_u32 s15, s50, s14
	s_mul_i32 s14, s50, s14
	s_add_i32 s45, s41, s30
	s_add_i32 s15, s15, s12
	s_sub_u32 s14, s34, s14
	s_subb_u32 s15, 0, s15
	s_mul_i32 s12, s14, s63
	s_mul_hi_u32 s30, s14, s62
	s_mul_i32 s15, s15, s62
	s_add_i32 s12, s30, s12
	s_mul_i32 s44, s48, s44
	s_add_i32 s15, s12, s15
	s_mul_i32 s12, s56, s29
	s_mul_hi_u32 s29, s56, s28
	s_mul_i32 s28, s56, s28
	s_add_i32 s29, s29, s12
	s_sub_u32 s28, s64, s28
	s_mul_i32 s12, s7, s46
	s_mul_i32 s7, s28, s39
	s_mul_hi_u32 s30, s28, s38
	s_subb_u32 s29, s65, s29
	s_add_i32 s7, s30, s7
	s_mul_i32 s29, s29, s38
	s_mul_hi_u32 s30, s56, s36
	s_add_i32 s29, s7, s29
	s_mul_i32 s7, s56, s37
	s_lshl_b64 s[44:45], s[44:45], 1
	s_add_i32 s37, s30, s7
	s_add_u32 s7, s66, s44
	s_addc_u32 s30, s67, s45
	s_lshl_b64 s[12:13], s[12:13], 1
	s_mul_i32 s14, s14, s62
	s_add_u32 s7, s7, s12
	s_addc_u32 s34, s30, s13
	s_lshl_b64 s[12:13], s[14:15], 1
	s_mul_i32 s30, s52, s40
	;; [unrolled: 4-line block ×4, first 2 shown]
	s_add_u32 s13, s13, s14
	s_addc_u32 s18, s18, s15
	s_lshl_b64 s[14:15], s[26:27], 1
	v_mov_b32_e32 v5, 0
	s_mul_i32 s36, s56, s36
	s_add_u32 s13, s13, s14
	s_addc_u32 s14, s18, s15
	s_lshl_b64 s[18:19], s[36:37], 3
	s_mul_i32 s28, s28, s38
	s_add_u32 s15, s22, s18
	ds_read_b96 v[1:3], v5 offset:1056
	s_addc_u32 s22, s23, s19
	s_lshl_b64 s[18:19], s[28:29], 3
	s_mul_i32 s2, s2, s54
	s_add_u32 s15, s15, s18
	s_addc_u32 s18, s22, s19
	s_lshl_b64 s[2:3], s[2:3], 3
	v_cmp_o_f16_e64 s19, s35, s35
	s_add_u32 s15, s15, s2
	s_sext_i32_i16 s2, s35
	s_addc_u32 s18, s18, s3
	s_and_b32 s3, 0xffff, s35
	s_cmp_gt_i32 s2, -1
	s_mov_b32 s2, 0x8000
	v_add_nc_u32_e32 v10, -1, v0
	s_cselect_b32 s2, s2, 0xffff
	v_lshrrev_b32_e32 v4, 3, v0
	s_xor_b32 s2, s2, s3
	s_and_b32 s3, s19, exec_lo
	s_clause 0x1
	s_load_dword s3, s[4:5], 0x1b0
	s_load_dwordx2 s[4:5], s[4:5], 0x508
	v_lshrrev_b32_e32 v6, 3, v10
	s_waitcnt lgkmcnt(0)
	v_add_nc_u32_e32 v1, v1, v2
	v_and_b32_e32 v4, 28, v4
	v_and_b32_e32 v2, 0xfc, v0
	v_mbcnt_lo_u32_b32 v9, -1, 0
	v_and_b32_e32 v11, 0x1ffffffc, v6
	v_mad_u64_u32 v[6:7], null, s72, s33, v[0:1]
	v_lshl_add_u32 v8, v0, 2, v4
	v_lshlrev_b32_e32 v4, 5, v0
	s_cselect_b32 s19, s2, 0xffff
	v_cmp_gt_u32_e64 s2, 32, v0
	v_lshl_add_u32 v0, v10, 2, v11
	v_and_b32_e32 v11, 15, v9
	v_add_nc_u32_e32 v10, v2, v4
	v_bfe_i32 v12, v9, 4, 1
	v_add_nc_u32_e32 v13, -1, v9
	v_mov_b32_e32 v14, 0x8000
	v_mov_b32_e32 v4, v6
	s_bitcmp1_b32 s3, 0
                                        ; implicit-def: $vgpr15
	s_cselect_b32 s3, -1, 0
	s_branch .LBB209_35
.LBB209_33:                             ;   in Loop: Header=BB209_35 Depth=1
	s_or_b32 exec_lo, exec_lo, s22
	v_add_nc_u32_e32 v1, v2, v1
.LBB209_34:                             ;   in Loop: Header=BB209_35 Depth=1
	v_add_nc_u32_e32 v3, v16, v3
	v_add_nc_u32_e32 v4, 0x100, v4
	s_add_i32 s6, s6, -1
	s_cmp_lg_u32 s6, 0
	s_cbranch_scc0 .LBB209_54
.LBB209_35:                             ; =>This Inner Loop Header: Depth=1
	v_mov_b32_e32 v2, v5
	v_mov_b32_e32 v6, v5
	s_mov_b32 s22, exec_lo
	v_cmpx_gt_u64_e64 s[8:9], v[4:5]
	s_cbranch_execz .LBB209_37
; %bb.36:                               ;   in Loop: Header=BB209_35 Depth=1
	v_mad_u64_u32 v[6:7], null, s16, v4, 0
	v_mov_b32_e32 v2, v7
	v_mad_u64_u32 v[15:16], null, s17, v4, v[2:3]
	v_mov_b32_e32 v7, v15
	v_lshlrev_b64 v[6:7], 1, v[6:7]
	v_add_co_u32 v6, vcc_lo, s7, v6
	v_add_co_ci_u32_e64 v7, null, s12, v7, vcc_lo
	global_load_ushort v15, v[6:7], off
	s_waitcnt vmcnt(0)
	v_cmp_lt_i16_e32 vcc_lo, -1, v15
	v_cndmask_b32_e32 v2, 0xffff, v14, vcc_lo
	v_cmp_o_f16_e32 vcc_lo, v15, v15
	v_xor_b32_sdwa v2, v2, v15 dst_sel:DWORD dst_unused:UNUSED_PAD src0_sel:DWORD src1_sel:WORD_0
	v_cndmask_b32_e32 v6, 0xffff, v2, vcc_lo
	v_cmp_lt_u32_e32 vcc_lo, s19, v6
	v_cndmask_b32_e64 v2, 0, 1, vcc_lo
	v_cmp_gt_u32_e32 vcc_lo, s19, v6
	v_cndmask_b32_e64 v7, 0, 1, vcc_lo
	v_cmp_eq_u32_e32 vcc_lo, s19, v6
	v_cndmask_b32_e64 v2, v7, v2, s3
	v_cndmask_b32_e64 v6, 0, 1, vcc_lo
	v_and_b32_e32 v2, 1, v2
.LBB209_37:                             ;   in Loop: Header=BB209_35 Depth=1
	s_or_b32 exec_lo, exec_lo, s22
	ds_write_b32 v8, v2
	s_waitcnt lgkmcnt(0)
	s_barrier
	buffer_gl0_inv
	s_and_saveexec_b32 s22, s2
	s_cbranch_execz .LBB209_39
; %bb.38:                               ;   in Loop: Header=BB209_35 Depth=1
	ds_read2_b32 v[16:17], v10 offset1:1
	ds_read2_b32 v[18:19], v10 offset0:2 offset1:3
	ds_read2_b32 v[20:21], v10 offset0:4 offset1:5
	;; [unrolled: 1-line block ×3, first 2 shown]
	v_cmp_ne_u32_e32 vcc_lo, 0, v11
	; wave barrier
	s_waitcnt lgkmcnt(3)
	v_add_nc_u32_e32 v7, v17, v16
	s_waitcnt lgkmcnt(2)
	v_add3_u32 v7, v7, v18, v19
	s_waitcnt lgkmcnt(1)
	v_add3_u32 v7, v7, v20, v21
	;; [unrolled: 2-line block ×3, first 2 shown]
	v_mov_b32_dpp v17, v7 row_shr:1 row_mask:0xf bank_mask:0xf
	v_cndmask_b32_e32 v17, 0, v17, vcc_lo
	v_cmp_lt_u32_e32 vcc_lo, 1, v11
	v_add_nc_u32_e32 v7, v17, v7
	v_mov_b32_dpp v17, v7 row_shr:2 row_mask:0xf bank_mask:0xf
	v_cndmask_b32_e32 v17, 0, v17, vcc_lo
	v_cmp_lt_u32_e32 vcc_lo, 3, v11
	v_add_nc_u32_e32 v7, v7, v17
	;; [unrolled: 4-line block ×3, first 2 shown]
	v_mov_b32_dpp v17, v7 row_shr:8 row_mask:0xf bank_mask:0xf
	v_cndmask_b32_e32 v17, 0, v17, vcc_lo
	v_cmp_gt_i32_e32 vcc_lo, 0, v13
	v_add_nc_u32_e32 v7, v7, v17
	v_cndmask_b32_e32 v18, v13, v9, vcc_lo
	ds_swizzle_b32 v17, v7 offset:swizzle(BROADCAST,32,15)
	v_lshlrev_b32_e32 v18, 2, v18
	s_waitcnt lgkmcnt(0)
	v_and_b32_e32 v17, v12, v17
	v_add_nc_u32_e32 v7, v7, v17
	ds_bpermute_b32 v7, v18, v7
	s_waitcnt lgkmcnt(0)
	v_add_nc_u32_e32 v7, v7, v16
	v_cndmask_b32_e64 v7, v7, v2, s1
	ds_write_b32 v10, v7
	; wave barrier
	ds_read2_b32 v[16:17], v10 offset0:1 offset1:2
	ds_read2_b32 v[18:19], v10 offset0:3 offset1:4
	;; [unrolled: 1-line block ×3, first 2 shown]
	ds_read_b32 v22, v10 offset:28
	s_waitcnt lgkmcnt(3)
	v_add_nc_u32_e32 v7, v16, v7
	v_add_nc_u32_e32 v16, v17, v7
	s_waitcnt lgkmcnt(2)
	v_add_nc_u32_e32 v17, v18, v16
	v_add_nc_u32_e32 v18, v19, v17
	;; [unrolled: 3-line block ×3, first 2 shown]
	s_waitcnt lgkmcnt(0)
	v_add_nc_u32_e32 v21, v22, v20
	ds_write2_b32 v10, v7, v16 offset0:1 offset1:2
	ds_write2_b32 v10, v17, v18 offset0:3 offset1:4
	;; [unrolled: 1-line block ×3, first 2 shown]
	ds_write_b32 v10, v21 offset:28
.LBB209_39:                             ;   in Loop: Header=BB209_35 Depth=1
	s_or_b32 exec_lo, exec_lo, s22
	v_mov_b32_e32 v7, 0
	s_waitcnt lgkmcnt(0)
	s_barrier
	buffer_gl0_inv
	s_and_saveexec_b32 s22, s0
; %bb.40:                               ;   in Loop: Header=BB209_35 Depth=1
	ds_read_b32 v7, v0
; %bb.41:                               ;   in Loop: Header=BB209_35 Depth=1
	s_or_b32 exec_lo, exec_lo, s22
	ds_read_b32 v16, v5 offset:1048
	s_mov_b32 s22, exec_lo
	s_waitcnt lgkmcnt(0)
	s_barrier
	buffer_gl0_inv
	v_cmpx_ne_u32_e32 0, v2
	s_cbranch_execz .LBB209_43
; %bb.42:                               ;   in Loop: Header=BB209_35 Depth=1
	v_add_nc_u32_e32 v22, v7, v3
	v_mad_u64_u32 v[17:18], null, s20, v22, 0
	v_mad_u64_u32 v[19:20], null, s4, v22, 0
	v_mov_b32_e32 v2, v18
	v_mov_b32_e32 v7, v20
	v_mad_u64_u32 v[20:21], null, s21, v22, v[2:3]
	v_mad_u64_u32 v[21:22], null, s5, v22, v[7:8]
	v_mov_b32_e32 v18, v20
	v_mov_b32_e32 v20, v21
	v_lshlrev_b64 v[17:18], 1, v[17:18]
	v_lshlrev_b64 v[19:20], 3, v[19:20]
	v_add_co_u32 v17, vcc_lo, s13, v17
	v_add_co_ci_u32_e64 v18, null, s14, v18, vcc_lo
	v_add_co_u32 v19, vcc_lo, s15, v19
	v_add_co_ci_u32_e64 v20, null, s18, v20, vcc_lo
	global_store_short v[17:18], v15, off
	global_store_dwordx2 v[19:20], v[4:5], off
.LBB209_43:                             ;   in Loop: Header=BB209_35 Depth=1
	s_or_b32 exec_lo, exec_lo, s22
	v_mov_b32_e32 v2, v5
	v_cmp_le_u64_e32 vcc_lo, s[10:11], v[1:2]
	s_cbranch_vccnz .LBB209_34
; %bb.44:                               ;   in Loop: Header=BB209_35 Depth=1
	ds_write_b32 v8, v6
	s_waitcnt lgkmcnt(0)
	s_waitcnt_vscnt null, 0x0
	s_barrier
	buffer_gl0_inv
	s_and_saveexec_b32 s22, s2
	s_cbranch_execz .LBB209_46
; %bb.45:                               ;   in Loop: Header=BB209_35 Depth=1
	ds_read2_b32 v[17:18], v10 offset1:1
	ds_read2_b32 v[19:20], v10 offset0:2 offset1:3
	ds_read2_b32 v[21:22], v10 offset0:4 offset1:5
	;; [unrolled: 1-line block ×3, first 2 shown]
	v_cmp_ne_u32_e32 vcc_lo, 0, v11
	; wave barrier
	s_waitcnt lgkmcnt(3)
	v_add_nc_u32_e32 v2, v18, v17
	s_waitcnt lgkmcnt(2)
	v_add3_u32 v2, v2, v19, v20
	s_waitcnt lgkmcnt(1)
	v_add3_u32 v2, v2, v21, v22
	;; [unrolled: 2-line block ×3, first 2 shown]
	v_mov_b32_dpp v7, v2 row_shr:1 row_mask:0xf bank_mask:0xf
	v_cndmask_b32_e32 v7, 0, v7, vcc_lo
	v_cmp_lt_u32_e32 vcc_lo, 1, v11
	v_add_nc_u32_e32 v2, v7, v2
	v_mov_b32_dpp v7, v2 row_shr:2 row_mask:0xf bank_mask:0xf
	v_cndmask_b32_e32 v7, 0, v7, vcc_lo
	v_cmp_lt_u32_e32 vcc_lo, 3, v11
	v_add_nc_u32_e32 v2, v2, v7
	;; [unrolled: 4-line block ×3, first 2 shown]
	v_mov_b32_dpp v7, v2 row_shr:8 row_mask:0xf bank_mask:0xf
	v_cndmask_b32_e32 v7, 0, v7, vcc_lo
	v_cmp_gt_i32_e32 vcc_lo, 0, v13
	v_add_nc_u32_e32 v2, v2, v7
	v_cndmask_b32_e32 v18, v13, v9, vcc_lo
	ds_swizzle_b32 v7, v2 offset:swizzle(BROADCAST,32,15)
	v_lshlrev_b32_e32 v18, 2, v18
	s_waitcnt lgkmcnt(0)
	v_and_b32_e32 v7, v12, v7
	v_add_nc_u32_e32 v2, v2, v7
	ds_bpermute_b32 v2, v18, v2
	s_waitcnt lgkmcnt(0)
	v_add_nc_u32_e32 v2, v2, v17
	v_cndmask_b32_e64 v2, v2, v6, s1
	ds_write_b32 v10, v2
	; wave barrier
	ds_read2_b32 v[17:18], v10 offset0:1 offset1:2
	ds_read2_b32 v[19:20], v10 offset0:3 offset1:4
	;; [unrolled: 1-line block ×3, first 2 shown]
	ds_read_b32 v7, v10 offset:28
	s_waitcnt lgkmcnt(3)
	v_add_nc_u32_e32 v2, v17, v2
	v_add_nc_u32_e32 v17, v18, v2
	s_waitcnt lgkmcnt(2)
	v_add_nc_u32_e32 v18, v19, v17
	v_add_nc_u32_e32 v19, v20, v18
	;; [unrolled: 3-line block ×3, first 2 shown]
	s_waitcnt lgkmcnt(0)
	v_add_nc_u32_e32 v7, v7, v21
	ds_write2_b32 v10, v2, v17 offset0:1 offset1:2
	ds_write2_b32 v10, v18, v19 offset0:3 offset1:4
	;; [unrolled: 1-line block ×3, first 2 shown]
	ds_write_b32 v10, v7 offset:28
.LBB209_46:                             ;   in Loop: Header=BB209_35 Depth=1
	s_or_b32 exec_lo, exec_lo, s22
	v_mov_b32_e32 v7, 0
	s_waitcnt lgkmcnt(0)
	s_barrier
	buffer_gl0_inv
	s_and_saveexec_b32 s22, s0
; %bb.47:                               ;   in Loop: Header=BB209_35 Depth=1
	ds_read_b32 v7, v0
; %bb.48:                               ;   in Loop: Header=BB209_35 Depth=1
	s_or_b32 exec_lo, exec_lo, s22
	ds_read_b32 v2, v5 offset:1048
	s_mov_b32 s22, exec_lo
	s_waitcnt lgkmcnt(0)
	s_barrier
	buffer_gl0_inv
	v_cmpx_ne_u32_e32 0, v6
	s_cbranch_execz .LBB209_33
; %bb.49:                               ;   in Loop: Header=BB209_35 Depth=1
	v_add_nc_u32_e32 v6, v7, v1
	v_mov_b32_e32 v7, v5
	v_cmp_gt_u64_e32 vcc_lo, s[10:11], v[6:7]
	s_and_b32 exec_lo, exec_lo, vcc_lo
	s_cbranch_execz .LBB209_33
; %bb.50:                               ;   in Loop: Header=BB209_35 Depth=1
	v_mad_u64_u32 v[17:18], null, s20, v6, 0
	v_mad_u64_u32 v[19:20], null, s4, v6, 0
	v_mov_b32_e32 v7, v18
	v_mov_b32_e32 v18, v20
	v_mad_u64_u32 v[20:21], null, s21, v6, v[7:8]
	v_mad_u64_u32 v[6:7], null, s5, v6, v[18:19]
	v_mov_b32_e32 v18, v20
	v_mov_b32_e32 v20, v6
	v_lshlrev_b64 v[6:7], 1, v[17:18]
	v_lshlrev_b64 v[17:18], 3, v[19:20]
	v_add_co_u32 v6, vcc_lo, s13, v6
	v_add_co_ci_u32_e64 v7, null, s14, v7, vcc_lo
	v_add_co_u32 v17, vcc_lo, s15, v17
	v_add_co_ci_u32_e64 v18, null, s18, v18, vcc_lo
	global_store_short v[6:7], v15, off
	global_store_dwordx2 v[17:18], v[4:5], off
	s_branch .LBB209_33
	.p2align	6
.LBB209_51:                             ;   in Loop: Header=BB209_52 Depth=1
	s_add_u32 s16, s16, 4
	s_addc_u32 s17, s17, 0
	s_waitcnt lgkmcnt(0)
	s_add_i32 s53, s3, s53
	s_add_u32 s18, s18, 4
	s_addc_u32 s19, s19, 0
	s_add_i32 s2, s2, 1
	s_cmp_lt_u32 s2, s7
	s_cbranch_scc0 .LBB209_30
.LBB209_52:                             ; =>This Inner Loop Header: Depth=1
	s_load_dword s3, s[16:17], 0x0
	s_cmp_ge_u32 s2, s72
	s_cbranch_scc1 .LBB209_51
; %bb.53:                               ;   in Loop: Header=BB209_52 Depth=1
	s_load_dword s22, s[18:19], 0x0
	s_waitcnt lgkmcnt(0)
	s_add_i32 s21, s3, s21
	s_add_i32 s20, s22, s20
	s_branch .LBB209_51
.LBB209_54:
	s_endpgm
	.section	.rodata,"a",@progbits
	.p2align	6, 0x0
	.amdhsa_kernel _ZN2at6native6mbtopk10gatherTopKIN3c104HalfEmLi3EEEvNS_4cuda6detail10TensorInfoIKT_T0_EESA_SA_bjSA_NS7_IS8_SA_EESA_NS7_IlSA_EESA_jjPS8_PjSF_j
		.amdhsa_group_segment_fixed_size 1068
		.amdhsa_private_segment_fixed_size 0
		.amdhsa_kernarg_size 1592
		.amdhsa_user_sgpr_count 6
		.amdhsa_user_sgpr_private_segment_buffer 1
		.amdhsa_user_sgpr_dispatch_ptr 0
		.amdhsa_user_sgpr_queue_ptr 0
		.amdhsa_user_sgpr_kernarg_segment_ptr 1
		.amdhsa_user_sgpr_dispatch_id 0
		.amdhsa_user_sgpr_flat_scratch_init 0
		.amdhsa_user_sgpr_private_segment_size 0
		.amdhsa_wavefront_size32 1
		.amdhsa_uses_dynamic_stack 0
		.amdhsa_system_sgpr_private_segment_wavefront_offset 0
		.amdhsa_system_sgpr_workgroup_id_x 1
		.amdhsa_system_sgpr_workgroup_id_y 1
		.amdhsa_system_sgpr_workgroup_id_z 1
		.amdhsa_system_sgpr_workgroup_info 0
		.amdhsa_system_vgpr_workitem_id 0
		.amdhsa_next_free_vgpr 25
		.amdhsa_next_free_sgpr 75
		.amdhsa_reserve_vcc 1
		.amdhsa_reserve_flat_scratch 0
		.amdhsa_float_round_mode_32 0
		.amdhsa_float_round_mode_16_64 0
		.amdhsa_float_denorm_mode_32 3
		.amdhsa_float_denorm_mode_16_64 3
		.amdhsa_dx10_clamp 1
		.amdhsa_ieee_mode 1
		.amdhsa_fp16_overflow 0
		.amdhsa_workgroup_processor_mode 1
		.amdhsa_memory_ordered 1
		.amdhsa_forward_progress 1
		.amdhsa_shared_vgpr_count 0
		.amdhsa_exception_fp_ieee_invalid_op 0
		.amdhsa_exception_fp_denorm_src 0
		.amdhsa_exception_fp_ieee_div_zero 0
		.amdhsa_exception_fp_ieee_overflow 0
		.amdhsa_exception_fp_ieee_underflow 0
		.amdhsa_exception_fp_ieee_inexact 0
		.amdhsa_exception_int_div_zero 0
	.end_amdhsa_kernel
	.section	.text._ZN2at6native6mbtopk10gatherTopKIN3c104HalfEmLi3EEEvNS_4cuda6detail10TensorInfoIKT_T0_EESA_SA_bjSA_NS7_IS8_SA_EESA_NS7_IlSA_EESA_jjPS8_PjSF_j,"axG",@progbits,_ZN2at6native6mbtopk10gatherTopKIN3c104HalfEmLi3EEEvNS_4cuda6detail10TensorInfoIKT_T0_EESA_SA_bjSA_NS7_IS8_SA_EESA_NS7_IlSA_EESA_jjPS8_PjSF_j,comdat
.Lfunc_end209:
	.size	_ZN2at6native6mbtopk10gatherTopKIN3c104HalfEmLi3EEEvNS_4cuda6detail10TensorInfoIKT_T0_EESA_SA_bjSA_NS7_IS8_SA_EESA_NS7_IlSA_EESA_jjPS8_PjSF_j, .Lfunc_end209-_ZN2at6native6mbtopk10gatherTopKIN3c104HalfEmLi3EEEvNS_4cuda6detail10TensorInfoIKT_T0_EESA_SA_bjSA_NS7_IS8_SA_EESA_NS7_IlSA_EESA_jjPS8_PjSF_j
                                        ; -- End function
	.set _ZN2at6native6mbtopk10gatherTopKIN3c104HalfEmLi3EEEvNS_4cuda6detail10TensorInfoIKT_T0_EESA_SA_bjSA_NS7_IS8_SA_EESA_NS7_IlSA_EESA_jjPS8_PjSF_j.num_vgpr, 25
	.set _ZN2at6native6mbtopk10gatherTopKIN3c104HalfEmLi3EEEvNS_4cuda6detail10TensorInfoIKT_T0_EESA_SA_bjSA_NS7_IS8_SA_EESA_NS7_IlSA_EESA_jjPS8_PjSF_j.num_agpr, 0
	.set _ZN2at6native6mbtopk10gatherTopKIN3c104HalfEmLi3EEEvNS_4cuda6detail10TensorInfoIKT_T0_EESA_SA_bjSA_NS7_IS8_SA_EESA_NS7_IlSA_EESA_jjPS8_PjSF_j.numbered_sgpr, 75
	.set _ZN2at6native6mbtopk10gatherTopKIN3c104HalfEmLi3EEEvNS_4cuda6detail10TensorInfoIKT_T0_EESA_SA_bjSA_NS7_IS8_SA_EESA_NS7_IlSA_EESA_jjPS8_PjSF_j.num_named_barrier, 0
	.set _ZN2at6native6mbtopk10gatherTopKIN3c104HalfEmLi3EEEvNS_4cuda6detail10TensorInfoIKT_T0_EESA_SA_bjSA_NS7_IS8_SA_EESA_NS7_IlSA_EESA_jjPS8_PjSF_j.private_seg_size, 0
	.set _ZN2at6native6mbtopk10gatherTopKIN3c104HalfEmLi3EEEvNS_4cuda6detail10TensorInfoIKT_T0_EESA_SA_bjSA_NS7_IS8_SA_EESA_NS7_IlSA_EESA_jjPS8_PjSF_j.uses_vcc, 1
	.set _ZN2at6native6mbtopk10gatherTopKIN3c104HalfEmLi3EEEvNS_4cuda6detail10TensorInfoIKT_T0_EESA_SA_bjSA_NS7_IS8_SA_EESA_NS7_IlSA_EESA_jjPS8_PjSF_j.uses_flat_scratch, 0
	.set _ZN2at6native6mbtopk10gatherTopKIN3c104HalfEmLi3EEEvNS_4cuda6detail10TensorInfoIKT_T0_EESA_SA_bjSA_NS7_IS8_SA_EESA_NS7_IlSA_EESA_jjPS8_PjSF_j.has_dyn_sized_stack, 0
	.set _ZN2at6native6mbtopk10gatherTopKIN3c104HalfEmLi3EEEvNS_4cuda6detail10TensorInfoIKT_T0_EESA_SA_bjSA_NS7_IS8_SA_EESA_NS7_IlSA_EESA_jjPS8_PjSF_j.has_recursion, 0
	.set _ZN2at6native6mbtopk10gatherTopKIN3c104HalfEmLi3EEEvNS_4cuda6detail10TensorInfoIKT_T0_EESA_SA_bjSA_NS7_IS8_SA_EESA_NS7_IlSA_EESA_jjPS8_PjSF_j.has_indirect_call, 0
	.section	.AMDGPU.csdata,"",@progbits
; Kernel info:
; codeLenInByte = 3536
; TotalNumSgprs: 77
; NumVgprs: 25
; ScratchSize: 0
; MemoryBound: 0
; FloatMode: 240
; IeeeMode: 1
; LDSByteSize: 1068 bytes/workgroup (compile time only)
; SGPRBlocks: 0
; VGPRBlocks: 3
; NumSGPRsForWavesPerEU: 77
; NumVGPRsForWavesPerEU: 25
; Occupancy: 16
; WaveLimiterHint : 1
; COMPUTE_PGM_RSRC2:SCRATCH_EN: 0
; COMPUTE_PGM_RSRC2:USER_SGPR: 6
; COMPUTE_PGM_RSRC2:TRAP_HANDLER: 0
; COMPUTE_PGM_RSRC2:TGID_X_EN: 1
; COMPUTE_PGM_RSRC2:TGID_Y_EN: 1
; COMPUTE_PGM_RSRC2:TGID_Z_EN: 1
; COMPUTE_PGM_RSRC2:TIDIG_COMP_CNT: 0
	.section	.text._ZN2at6native6sbtopk10gatherTopKIN3c104HalfEmLi3ELb0EEEvNS_4cuda6detail10TensorInfoIKT_T0_EESA_SA_bSA_SA_NS7_IS8_SA_EESA_NS7_IlSA_EESA_PS8_,"axG",@progbits,_ZN2at6native6sbtopk10gatherTopKIN3c104HalfEmLi3ELb0EEEvNS_4cuda6detail10TensorInfoIKT_T0_EESA_SA_bSA_SA_NS7_IS8_SA_EESA_NS7_IlSA_EESA_PS8_,comdat
	.protected	_ZN2at6native6sbtopk10gatherTopKIN3c104HalfEmLi3ELb0EEEvNS_4cuda6detail10TensorInfoIKT_T0_EESA_SA_bSA_SA_NS7_IS8_SA_EESA_NS7_IlSA_EESA_PS8_ ; -- Begin function _ZN2at6native6sbtopk10gatherTopKIN3c104HalfEmLi3ELb0EEEvNS_4cuda6detail10TensorInfoIKT_T0_EESA_SA_bSA_SA_NS7_IS8_SA_EESA_NS7_IlSA_EESA_PS8_
	.globl	_ZN2at6native6sbtopk10gatherTopKIN3c104HalfEmLi3ELb0EEEvNS_4cuda6detail10TensorInfoIKT_T0_EESA_SA_bSA_SA_NS7_IS8_SA_EESA_NS7_IlSA_EESA_PS8_
	.p2align	8
	.type	_ZN2at6native6sbtopk10gatherTopKIN3c104HalfEmLi3ELb0EEEvNS_4cuda6detail10TensorInfoIKT_T0_EESA_SA_bSA_SA_NS7_IS8_SA_EESA_NS7_IlSA_EESA_PS8_,@function
_ZN2at6native6sbtopk10gatherTopKIN3c104HalfEmLi3ELb0EEEvNS_4cuda6detail10TensorInfoIKT_T0_EESA_SA_bSA_SA_NS7_IS8_SA_EESA_NS7_IlSA_EESA_PS8_: ; @_ZN2at6native6sbtopk10gatherTopKIN3c104HalfEmLi3ELb0EEEvNS_4cuda6detail10TensorInfoIKT_T0_EESA_SA_bSA_SA_NS7_IS8_SA_EESA_NS7_IlSA_EESA_PS8_
; %bb.0:
	s_clause 0x1
	s_load_dwordx2 s[18:19], s[4:5], 0x520
	s_load_dwordx4 s[28:31], s[4:5], 0x1b8
	s_add_u32 s16, s4, 0x520
	s_addc_u32 s17, s5, 0
	s_mov_b32 s35, 0
	s_waitcnt lgkmcnt(0)
	s_mul_i32 s0, s19, s8
	s_add_i32 s0, s0, s7
	s_mul_i32 s0, s0, s18
	s_add_i32 s34, s0, s6
	v_cmp_le_u64_e64 s0, s[28:29], s[34:35]
	s_and_b32 vcc_lo, exec_lo, s0
	s_cbranch_vccnz .LBB210_500
; %bb.1:
	s_load_dwordx4 s[8:11], s[4:5], 0x10
	s_mov_b64 s[0:1], 0
	s_mov_b64 s[20:21], 0
	s_waitcnt lgkmcnt(0)
	v_cmp_lt_u64_e64 s2, s[34:35], s[10:11]
	s_and_b32 vcc_lo, exec_lo, s2
	s_cbranch_vccnz .LBB210_3
; %bb.2:
	v_cvt_f32_u32_e32 v1, s10
	s_sub_i32 s2, 0, s10
	s_mov_b32 s21, 0
	v_rcp_iflag_f32_e32 v1, v1
	v_mul_f32_e32 v1, 0x4f7ffffe, v1
	v_cvt_u32_f32_e32 v1, v1
	v_readfirstlane_b32 s1, v1
	s_mul_i32 s2, s2, s1
	s_mul_hi_u32 s2, s1, s2
	s_add_i32 s1, s1, s2
	s_mul_hi_u32 s1, s34, s1
	s_mul_i32 s2, s1, s10
	s_add_i32 s3, s1, 1
	s_sub_i32 s2, s34, s2
	s_sub_i32 s7, s2, s10
	s_cmp_ge_u32 s2, s10
	s_cselect_b32 s1, s3, s1
	s_cselect_b32 s2, s7, s2
	s_add_i32 s3, s1, 1
	s_cmp_ge_u32 s2, s10
	s_cselect_b32 s20, s3, s1
.LBB210_3:
	s_load_dwordx4 s[12:15], s[4:5], 0x1d8
	v_cmp_lt_u64_e64 s1, s[20:21], s[8:9]
	s_and_b32 vcc_lo, exec_lo, s1
	s_cbranch_vccnz .LBB210_5
; %bb.4:
	v_cvt_f32_u32_e32 v1, s8
	s_sub_i32 s1, 0, s8
	v_rcp_iflag_f32_e32 v1, v1
	v_mul_f32_e32 v1, 0x4f7ffffe, v1
	v_cvt_u32_f32_e32 v1, v1
	v_readfirstlane_b32 s0, v1
	s_mul_i32 s1, s1, s0
	s_mul_hi_u32 s1, s0, s1
	s_add_i32 s0, s0, s1
	s_mul_hi_u32 s0, s20, s0
	s_mul_i32 s1, s0, s8
	s_add_i32 s2, s0, 1
	s_sub_i32 s1, s20, s1
	s_sub_i32 s3, s1, s8
	s_cmp_ge_u32 s1, s8
	s_cselect_b32 s0, s2, s0
	s_cselect_b32 s1, s3, s1
	s_add_i32 s2, s0, 1
	s_cmp_ge_u32 s1, s8
	s_cselect_b32 s0, s2, s0
.LBB210_5:
	s_waitcnt lgkmcnt(0)
	v_cmp_lt_u64_e64 s1, s[34:35], s[14:15]
	s_mov_b64 s[22:23], 0
	s_mov_b64 s[56:57], 0
	s_and_b32 vcc_lo, exec_lo, s1
	s_cbranch_vccnz .LBB210_7
; %bb.6:
	v_cvt_f32_u32_e32 v1, s14
	s_sub_i32 s2, 0, s14
	s_mov_b32 s57, 0
	v_rcp_iflag_f32_e32 v1, v1
	v_mul_f32_e32 v1, 0x4f7ffffe, v1
	v_cvt_u32_f32_e32 v1, v1
	v_readfirstlane_b32 s1, v1
	s_mul_i32 s2, s2, s1
	s_mul_hi_u32 s2, s1, s2
	s_add_i32 s1, s1, s2
	s_mul_hi_u32 s1, s34, s1
	s_mul_i32 s2, s1, s14
	s_add_i32 s3, s1, 1
	s_sub_i32 s2, s34, s2
	s_sub_i32 s7, s2, s14
	s_cmp_ge_u32 s2, s14
	s_cselect_b32 s1, s3, s1
	s_cselect_b32 s2, s7, s2
	s_add_i32 s3, s1, 1
	s_cmp_ge_u32 s2, s14
	s_cselect_b32 s56, s3, s1
.LBB210_7:
	s_load_dwordx4 s[44:47], s[4:5], 0x380
	v_cmp_lt_u64_e64 s1, s[56:57], s[12:13]
	s_and_b32 vcc_lo, exec_lo, s1
	s_cbranch_vccnz .LBB210_9
; %bb.8:
	v_cvt_f32_u32_e32 v1, s12
	s_sub_i32 s2, 0, s12
	v_rcp_iflag_f32_e32 v1, v1
	v_mul_f32_e32 v1, 0x4f7ffffe, v1
	v_cvt_u32_f32_e32 v1, v1
	v_readfirstlane_b32 s1, v1
	s_mul_i32 s2, s2, s1
	s_mul_hi_u32 s2, s1, s2
	s_add_i32 s1, s1, s2
	s_mul_hi_u32 s1, s56, s1
	s_mul_i32 s2, s1, s12
	s_add_i32 s3, s1, 1
	s_sub_i32 s2, s56, s2
	s_sub_i32 s7, s2, s12
	s_cmp_ge_u32 s2, s12
	s_cselect_b32 s1, s3, s1
	s_cselect_b32 s2, s7, s2
	s_add_i32 s3, s1, 1
	s_cmp_ge_u32 s2, s12
	s_cselect_b32 s22, s3, s1
.LBB210_9:
                                        ; implicit-def: $vgpr43 : SGPR spill to VGPR lane
	s_waitcnt lgkmcnt(0)
	v_cmp_lt_u64_e64 s1, s[34:35], s[46:47]
	v_writelane_b32 v43, s22, 0
	s_mov_b64 s[26:27], 0
	s_mov_b64 s[64:65], 0
	v_writelane_b32 v43, s23, 1
	s_clause 0x1
	s_load_dwordx2 s[22:23], s[4:5], 0xe0
	s_load_dwordx4 s[12:15], s[4:5], 0xd0
	s_and_b32 vcc_lo, exec_lo, s1
	s_cbranch_vccnz .LBB210_11
; %bb.10:
	v_cvt_f32_u32_e32 v1, s46
	s_sub_i32 s2, 0, s46
	s_mov_b32 s65, 0
	v_rcp_iflag_f32_e32 v1, v1
	v_mul_f32_e32 v1, 0x4f7ffffe, v1
	v_cvt_u32_f32_e32 v1, v1
	v_readfirstlane_b32 s1, v1
	s_mul_i32 s2, s2, s1
	s_mul_hi_u32 s2, s1, s2
	s_add_i32 s1, s1, s2
	s_mul_hi_u32 s1, s34, s1
	s_mul_i32 s2, s1, s46
	s_add_i32 s3, s1, 1
	s_sub_i32 s2, s34, s2
	s_sub_i32 s7, s2, s46
	s_cmp_ge_u32 s2, s46
	s_cselect_b32 s1, s3, s1
	s_cselect_b32 s2, s7, s2
	s_add_i32 s3, s1, 1
	s_cmp_ge_u32 s2, s46
	s_cselect_b32 s64, s3, s1
.LBB210_11:
	s_load_dwordx2 s[24:25], s[4:5], 0x0
	v_cmp_lt_u64_e64 s1, s[64:65], s[44:45]
	s_and_b32 vcc_lo, exec_lo, s1
	s_cbranch_vccnz .LBB210_13
; %bb.12:
	v_cvt_f32_u32_e32 v1, s44
	s_sub_i32 s2, 0, s44
	v_rcp_iflag_f32_e32 v1, v1
	v_mul_f32_e32 v1, 0x4f7ffffe, v1
	v_cvt_u32_f32_e32 v1, v1
	v_readfirstlane_b32 s1, v1
	s_mul_i32 s2, s2, s1
	s_mul_hi_u32 s2, s1, s2
	s_add_i32 s1, s1, s2
	s_mul_hi_u32 s1, s64, s1
	s_mul_i32 s2, s1, s44
	s_add_i32 s3, s1, 1
	s_sub_i32 s2, s64, s2
	s_sub_i32 s7, s2, s44
	s_cmp_ge_u32 s2, s44
	s_cselect_b32 s1, s3, s1
	s_cselect_b32 s2, s7, s2
	s_add_i32 s3, s1, 1
	s_cmp_ge_u32 s2, s44
	s_cselect_b32 s26, s3, s1
.LBB210_13:
	s_clause 0x1
	s_load_dwordx2 s[2:3], s[4:5], 0x370
	s_load_dwordx4 s[36:39], s[4:5], 0x1a0
	v_writelane_b32 v43, s26, 2
	s_mov_b32 s71, 0
	v_writelane_b32 v43, s27, 3
	s_waitcnt lgkmcnt(0)
	v_writelane_b32 v43, s2, 4
	v_writelane_b32 v43, s3, 5
	v_cmp_eq_u32_e64 s3, 0, v0
	s_and_saveexec_b32 s1, s3
	s_cbranch_execz .LBB210_15
; %bb.14:
	v_mov_b32_e32 v1, 0
	v_mov_b32_e32 v3, s36
	;; [unrolled: 1-line block ×4, first 2 shown]
	ds_write_b32 v1, v1 offset:5144
	ds_write_b128 v1, v[1:4] offset:5120
.LBB210_15:
	s_or_b32 exec_lo, exec_lo, s1
	s_mul_i32 s1, s0, s9
	s_mul_hi_u32 s2, s0, s8
	s_mul_i32 s7, s0, s8
	s_add_i32 s2, s2, s1
	s_sub_u32 s7, s20, s7
	s_subb_u32 s2, s21, s2
	s_mul_i32 s1, s7, s15
	s_mul_hi_u32 s8, s7, s14
	s_mul_i32 s2, s2, s14
	s_add_i32 s1, s8, s1
	s_mul_i32 s8, s0, s13
	s_mul_hi_u32 s13, s0, s12
	s_add_i32 s9, s1, s2
	s_add_i32 s1, s13, s8
	s_mul_i32 s2, s20, s11
	s_mul_hi_u32 s8, s20, s10
	s_mul_i32 s10, s20, s10
	s_add_i32 s2, s8, s2
	s_sub_u32 s10, s34, s10
	s_mul_i32 s8, s7, s14
	s_mul_i32 s7, s10, s23
	s_mul_hi_u32 s11, s10, s22
	s_subb_u32 s2, 0, s2
	s_mul_i32 s0, s0, s12
	s_add_i32 s7, s11, s7
	s_mul_i32 s2, s2, s22
	s_lshl_b64 s[0:1], s[0:1], 1
	s_load_dword s13, s[4:5], 0x1b0
	s_add_i32 s11, s7, s2
	v_mad_u64_u32 v[1:2], null, s30, v0, 0
	s_add_u32 s2, s24, s0
	s_addc_u32 s7, s25, s1
	s_lshl_b64 s[0:1], s[8:9], 1
	s_mul_i32 s10, s10, s22
	s_add_u32 s2, s2, s0
	s_addc_u32 s7, s7, s1
	s_lshl_b64 s[0:1], s[10:11], 1
	v_mad_u64_u32 v[2:3], null, s31, v0, v[2:3]
	s_add_u32 s29, s2, s0
	s_addc_u32 s33, s7, s1
	s_waitcnt lgkmcnt(0)
	s_barrier
	buffer_gl0_inv
	s_load_dword s7, s[16:17], 0xc
	v_mbcnt_lo_u32_b32 v24, -1, 0
	v_lshlrev_b64 v[4:5], 1, v[1:2]
	v_cmp_gt_u32_e32 vcc_lo, 32, v0
	v_mov_b32_e32 v3, 0
	v_add_nc_u32_e32 v2, 2, v0
	v_cmp_gt_i32_e64 s2, 4, v24
	s_bitcmp1_b32 s13, 0
	v_lshlrev_b32_e32 v25, 1, v0
	s_cselect_b32 s0, -1, 0
	v_mov_b32_e32 v1, v3
	s_and_b32 s90, vcc_lo, s2
	v_add_co_u32 v12, vcc_lo, s29, v4
	v_add_co_ci_u32_e64 v13, null, s33, v5, vcc_lo
	v_lshlrev_b64 v[4:5], v24, -1
	v_cmp_gt_u64_e32 vcc_lo, s[36:37], v[2:3]
	s_xor_b32 s59, s0, -1
	v_writelane_b32 v43, s0, 6
	s_waitcnt lgkmcnt(0)
	s_and_b32 s35, s7, 0xffff
	v_cmp_lt_u64_e64 s91, 0x600, s[36:37]
	s_bfe_u32 s8, s35, 0x80008
	v_not_b32_e32 v23, v4
	v_cndmask_b32_e64 v2, v2, s36, vcc_lo
	v_not_b32_e32 v4, v0
	s_lshl_b32 s92, s8, 3
	s_bfe_u32 s8, s7, 0xb0005
	v_cndmask_b32_e64 v5, 0, s37, vcc_lo
	s_cmp_gt_u32 s35, 31
	v_add_co_u32 v4, vcc_lo, v2, v4
	s_cselect_b32 s93, -1, 0
	s_add_u32 s94, s35, -1
	s_addc_u32 s95, 0, -1
	s_add_u32 s96, s94, s36
	v_add_co_ci_u32_e64 v5, null, -1, v5, vcc_lo
	s_addc_u32 s73, s95, s37
	s_cmp_lt_u32 s6, s18
	v_and_b32_e32 v16, -2, v4
	s_cselect_b32 s7, 12, 18
	v_cmp_lt_u64_e64 s1, 1, v[4:5]
	s_add_u32 s74, s16, s7
	v_mov_b32_e32 v17, v5
	s_movk_i32 s6, 0x3e0
	s_addc_u32 s75, s17, 0
	s_add_i32 s8, s8, -1
	v_and_or_b32 v27, v0, s6, 0xc00
	s_and_b32 s6, s8, 0xffff
	s_bfe_u32 s98, s35, 0x30005
	v_cmp_gt_u64_e64 s2, s[36:37], v[0:1]
	v_writelane_b32 v43, s1, 7
	s_cmp_gt_u32 s6, 6
	v_cmp_ne_u64_e64 s1, v[4:5], v[16:17]
	v_mov_b32_e32 v19, s38
	v_cmp_eq_u32_e64 s0, 0, v24
	v_lshlrev_b32_e32 v14, 2, v0
	v_mov_b32_e32 v15, v3
	v_cmp_gt_u32_e64 s10, 2, v0
	v_add_nc_u32_e32 v26, 0xc00, v25
	v_add_co_u32 v18, vcc_lo, v16, v0
	v_lshlrev_b32_e32 v29, 3, v0
	v_lshl_or_b32 v30, v24, 3, 0xc00
	v_mov_b32_e32 v20, s39
	v_mov_b32_e32 v31, 0x8000
	v_mov_b32_e32 v32, -1
	v_mov_b32_e32 v34, 0
	v_mov_b32_e32 v28, 0
	v_mov_b32_e32 v33, 0
	s_cselect_b32 s104, -1, 0
	s_cmp_lg_u32 s98, 0
	s_mov_b32 s97, s30
	s_mov_b32 s99, s31
	s_cselect_b32 vcc_hi, -1, 0
	s_lshl_b32 s68, s35, 1
	s_mov_b32 s69, 14
	s_movk_i32 s63, 0x3c00
	s_mov_b32 s62, 0
	s_mov_b32 s53, 0
	v_add_co_ci_u32_e64 v2, null, 0, v5, vcc_lo
	v_writelane_b32 v43, s1, 8
                                        ; implicit-def: $sgpr52
                                        ; implicit-def: $sgpr66
                                        ; implicit-def: $sgpr55
                                        ; implicit-def: $sgpr67
                                        ; implicit-def: $sgpr54
                                        ; implicit-def: $sgpr49
                                        ; implicit-def: $sgpr50
                                        ; implicit-def: $sgpr60
                                        ; implicit-def: $sgpr48
                                        ; implicit-def: $sgpr61
	s_branch .LBB210_18
.LBB210_16:                             ;   in Loop: Header=BB210_18 Depth=1
	s_or_b32 exec_lo, exec_lo, s11
	v_mov_b32_e32 v20, v5
	v_mov_b32_e32 v19, v4
	s_andn2_b32 s1, s61, exec_lo
	s_and_b32 s7, s9, exec_lo
	s_andn2_b32 s48, s48, exec_lo
	s_or_b32 s61, s1, s7
	s_andn2_b32 s60, s60, exec_lo
	s_andn2_b32 s50, s50, exec_lo
	;; [unrolled: 1-line block ×3, first 2 shown]
	s_orn2_b32 s8, s8, exec_lo
.LBB210_17:                             ;   in Loop: Header=BB210_18 Depth=1
	s_or_b32 exec_lo, exec_lo, s6
	s_and_b32 s6, exec_lo, s8
	s_or_b32 s62, s6, s62
	s_andn2_b32 s6, s54, exec_lo
	s_and_b32 s8, s61, exec_lo
	s_andn2_b32 s9, s67, exec_lo
	s_or_b32 s54, s6, s8
	s_and_b32 s6, s48, exec_lo
	s_andn2_b32 s8, s55, exec_lo
	s_and_b32 s11, s60, exec_lo
	s_or_b32 s67, s9, s6
	s_or_b32 s55, s8, s11
	s_andn2_b32 s6, s66, exec_lo
	s_and_b32 s8, s50, exec_lo
	s_andn2_b32 s9, s52, exec_lo
	s_and_b32 s11, s49, exec_lo
	s_or_b32 s66, s6, s8
	s_or_b32 s52, s9, s11
	s_andn2_b32 exec_lo, exec_lo, s62
	s_cbranch_execz .LBB210_496
.LBB210_18:                             ; =>This Loop Header: Depth=1
                                        ;     Child Loop BB210_23 Depth 2
                                        ;     Child Loop BB210_37 Depth 2
	;; [unrolled: 1-line block ×25, first 2 shown]
	ds_read_b128 v[4:7], v3 offset:5120
	s_waitcnt lgkmcnt(0)
	v_readfirstlane_b32 s77, v5
	v_readfirstlane_b32 s76, v4
	s_cmp_lg_u64 s[76:77], 0
	s_cbranch_scc1 .LBB210_50
; %bb.19:                               ;   in Loop: Header=BB210_18 Depth=1
	s_and_b32 vcc_lo, exec_lo, s91
	s_cbranch_vccz .LBB210_31
; %bb.20:                               ;   in Loop: Header=BB210_18 Depth=1
	v_cmp_gt_u64_e32 vcc_lo, 0x601, v[6:7]
	s_mov_b32 s8, 0
	s_mov_b32 s6, 0
	s_cbranch_vccz .LBB210_32
; %bb.21:                               ;   in Loop: Header=BB210_18 Depth=1
	global_load_ushort v2, v3, s[74:75]
	global_load_ushort v6, v[12:13], off
	v_mov_b32_e32 v5, v1
	v_mov_b32_e32 v4, v0
	s_mov_b32 s11, 0
	s_waitcnt vmcnt(1)
	v_and_b32_e32 v2, 0xffff, v2
	s_branch .LBB210_23
.LBB210_22:                             ;   in Loop: Header=BB210_23 Depth=2
	s_or_b32 exec_lo, exec_lo, s9
	v_mov_b32_e32 v6, v7
	s_andn2_b32 exec_lo, exec_lo, s11
	s_cbranch_execz .LBB210_105
.LBB210_23:                             ;   Parent Loop BB210_18 Depth=1
                                        ; =>  This Inner Loop Header: Depth=2
	v_add_co_u32 v4, vcc_lo, v4, v2
	v_add_co_ci_u32_e64 v5, null, 0, v5, vcc_lo
	s_waitcnt lgkmcnt(0)
	v_mov_b32_e32 v8, 0
	v_mov_b32_e32 v7, 0
	s_mov_b32 s9, exec_lo
	v_cmp_le_u64_e32 vcc_lo, s[36:37], v[4:5]
	v_cmpx_gt_u64_e64 s[36:37], v[4:5]
	s_cbranch_execz .LBB210_25
; %bb.24:                               ;   in Loop: Header=BB210_23 Depth=2
	v_mul_lo_u32 v7, v5, s30
	v_mul_lo_u32 v11, v4, s31
	v_mad_u64_u32 v[9:10], null, v4, s30, 0
	v_add3_u32 v10, v10, v11, v7
	v_lshlrev_b64 v[9:10], 1, v[9:10]
	v_add_co_u32 v9, s6, s29, v9
	v_add_co_ci_u32_e64 v10, null, s33, v10, s6
	global_load_ushort v7, v[9:10], off
.LBB210_25:                             ;   in Loop: Header=BB210_23 Depth=2
	s_or_b32 exec_lo, exec_lo, s9
	s_waitcnt vmcnt(0)
	v_cmp_lt_i16_e64 s6, -1, v6
	v_cndmask_b32_e64 v9, 0xffff, v31, s6
	v_cmp_o_f16_e64 s6, v6, v6
	v_xor_b32_sdwa v9, v9, v6 dst_sel:DWORD dst_unused:UNUSED_PAD src0_sel:DWORD src1_sel:WORD_0
	v_cndmask_b32_e64 v9, 0xffff, v9, s6
	v_and_b32_e32 v9, v9, v33
	v_cmp_eq_u32_e64 s6, v9, v28
	s_cmp_lg_u32 s6, 0
	s_cselect_b32 s9, -1, 0
	s_and_b32 s9, s0, s9
	s_and_saveexec_b32 s12, s9
	s_cbranch_execz .LBB210_29
; %bb.26:                               ;   in Loop: Header=BB210_23 Depth=2
	s_mov_b32 s15, exec_lo
	s_bcnt1_i32_b32 s13, s6
	v_mbcnt_lo_u32_b32 v8, s15, 0
	s_mov_b32 s14, exec_lo
                                        ; implicit-def: $vgpr9
	v_cmpx_eq_u32_e32 0, v8
; %bb.27:                               ;   in Loop: Header=BB210_23 Depth=2
	s_bcnt1_i32_b32 s9, s15
	s_mul_i32 s9, s13, s9
	v_mov_b32_e32 v9, s9
	ds_add_rtn_u32 v9, v3, v9 offset:5144
; %bb.28:                               ;   in Loop: Header=BB210_23 Depth=2
	s_or_b32 exec_lo, exec_lo, s14
	s_waitcnt lgkmcnt(0)
	v_readfirstlane_b32 s9, v9
	v_mad_u32_u24 v8, s13, v8, s9
.LBB210_29:                             ;   in Loop: Header=BB210_23 Depth=2
	s_or_b32 exec_lo, exec_lo, s12
	ds_bpermute_b32 v8, v3, v8
	s_and_b32 s9, exec_lo, vcc_lo
	s_or_b32 s11, s9, s11
	s_and_saveexec_b32 s9, s6
	s_cbranch_execz .LBB210_22
; %bb.30:                               ;   in Loop: Header=BB210_23 Depth=2
	v_and_b32_e32 v9, s6, v23
	v_bcnt_u32_b32 v9, v9, 0
	v_lshlrev_b32_e32 v9, 1, v9
	s_waitcnt lgkmcnt(0)
	v_lshl_add_u32 v8, v8, 1, v9
	ds_write_b16 v8, v6
	s_branch .LBB210_22
.LBB210_31:                             ;   in Loop: Header=BB210_18 Depth=1
	s_mov_b32 s8, -1
	s_mov_b32 s6, 0
.LBB210_32:                             ;   in Loop: Header=BB210_18 Depth=1
	s_and_b32 vcc_lo, exec_lo, s8
	s_cbranch_vccz .LBB210_48
.LBB210_33:                             ;   in Loop: Header=BB210_18 Depth=1
	s_and_saveexec_b32 s9, s2
	s_cbranch_execz .LBB210_45
; %bb.34:                               ;   in Loop: Header=BB210_18 Depth=1
	global_load_ushort v4, v3, s[74:75]
	global_load_ushort v10, v[12:13], off
	v_mov_b32_e32 v8, v0
	s_mov_b32 s11, exec_lo
	s_waitcnt vmcnt(1)
	v_add_nc_u32_sdwa v2, v4, v0 dst_sel:DWORD dst_unused:UNUSED_PAD src0_sel:WORD_0 src1_sel:DWORD
	v_readfirstlane_b32 s6, v4
	v_cmpx_gt_u64_e64 s[36:37], v[2:3]
	s_cbranch_execz .LBB210_44
; %bb.35:                               ;   in Loop: Header=BB210_18 Depth=1
	s_and_b32 s8, s6, 0xffff
	v_readlane_b32 s1, v43, 7
	v_mov_b32_e32 v5, v1
	s_cmp_eq_u32 s8, 1
	v_mov_b32_e32 v7, v3
	v_mov_b32_e32 v4, v0
	;; [unrolled: 1-line block ×3, first 2 shown]
	s_cselect_b32 s6, -1, 0
                                        ; implicit-def: $vgpr8_vgpr9
	s_and_b32 s13, s1, s6
	s_mov_b32 s6, -1
	s_and_saveexec_b32 s12, s13
	s_cbranch_execz .LBB210_39
; %bb.36:                               ;   in Loop: Header=BB210_18 Depth=1
	v_add_co_u32 v4, s6, v2, 1
	v_add_co_ci_u32_e64 v5, null, 0, 0, s6
	v_mov_b32_e32 v8, v16
	s_waitcnt vmcnt(0)
	v_lshlrev_b32_e32 v21, 16, v10
	v_mov_b32_e32 v9, v17
	v_mov_b32_e32 v7, v5
	;; [unrolled: 1-line block ×6, first 2 shown]
	s_mov_b32 s13, 0
.LBB210_37:                             ;   Parent Loop BB210_18 Depth=1
                                        ; =>  This Inner Loop Header: Depth=2
	v_mul_lo_u32 v10, v5, s97
	v_mul_lo_u32 v22, v4, s99
	v_mad_u64_u32 v[35:36], null, v4, s97, 0
	v_mul_lo_u32 v39, v7, s30
	v_mul_lo_u32 v40, v6, s31
	v_mad_u64_u32 v[37:38], null, v6, s30, 0
	v_add3_u32 v36, v36, v22, v10
	v_add3_u32 v38, v38, v40, v39
	v_lshlrev_b64 v[35:36], 1, v[35:36]
	v_lshlrev_b64 v[37:38], 1, v[37:38]
	v_add_co_u32 v35, vcc_lo, s29, v35
	v_add_co_ci_u32_e64 v36, null, s33, v36, vcc_lo
	v_add_co_u32 v37, vcc_lo, s29, v37
	v_add_co_ci_u32_e64 v38, null, s33, v38, vcc_lo
	s_clause 0x1
	global_load_ushort v22, v[35:36], off
	global_load_ushort v10, v[37:38], off
	v_add_co_u32 v8, vcc_lo, v8, -2
	v_add_co_ci_u32_e64 v9, null, -1, v9, vcc_lo
	v_add_co_u32 v6, vcc_lo, v6, 2
	v_add_co_ci_u32_e64 v7, null, 0, v7, vcc_lo
	v_cmp_eq_u64_e64 s6, 0, v[8:9]
	v_add_co_u32 v4, vcc_lo, v4, 2
	v_add_co_ci_u32_e64 v5, null, 0, v5, vcc_lo
	s_or_b32 s13, s6, s13
	s_waitcnt vmcnt(1)
	v_alignbit_b32 v21, v22, v21, 16
	s_waitcnt vmcnt(0)
	v_perm_b32 v22, v10, v22, 0x5040100
	ds_write_b32 v11, v21
	v_add_nc_u32_e32 v11, 4, v11
	v_mov_b32_e32 v21, v22
	s_andn2_b32 exec_lo, exec_lo, s13
	s_cbranch_execnz .LBB210_37
; %bb.38:                               ;   in Loop: Header=BB210_18 Depth=1
	s_or_b32 exec_lo, exec_lo, s13
	v_add_co_u32 v6, vcc_lo, v2, v16
	v_readlane_b32 s1, v43, 8
	v_add_co_ci_u32_e64 v7, null, 0, v17, vcc_lo
	v_add_co_u32 v8, vcc_lo, v6, -1
	v_mov_b32_e32 v4, v18
	s_orn2_b32 s6, s1, exec_lo
	v_add_co_ci_u32_e64 v2, null, -1, v7, vcc_lo
	v_mov_b32_e32 v5, v19
.LBB210_39:                             ;   in Loop: Header=BB210_18 Depth=1
	s_or_b32 exec_lo, exec_lo, s12
	s_and_saveexec_b32 s12, s6
	s_cbranch_execz .LBB210_43
; %bb.40:                               ;   in Loop: Header=BB210_18 Depth=1
	s_sub_u32 s13, 0, s8
	s_subb_u32 s15, 0, 0
	s_mov_b32 s14, 0
	s_inst_prefetch 0x1
	.p2align	6
.LBB210_41:                             ;   Parent Loop BB210_18 Depth=1
                                        ; =>  This Inner Loop Header: Depth=2
	v_mov_b32_e32 v9, v7
	v_mov_b32_e32 v8, v6
	v_lshlrev_b32_e32 v11, 1, v4
	v_mul_lo_u32 v2, v9, s30
	v_mul_lo_u32 v7, v8, s31
	v_mad_u64_u32 v[5:6], null, v8, s30, 0
	v_add3_u32 v6, v6, v7, v2
	s_waitcnt vmcnt(0)
	v_mov_b32_e32 v2, v10
	v_lshlrev_b64 v[5:6], 1, v[5:6]
	ds_write_b16 v11, v2
	v_add_co_u32 v5, vcc_lo, s29, v5
	v_add_co_ci_u32_e64 v6, null, s33, v6, vcc_lo
	global_load_ushort v10, v[5:6], off
	v_add_co_u32 v6, vcc_lo, v8, s8
	v_add_co_ci_u32_e64 v7, null, 0, v9, vcc_lo
	v_mov_b32_e32 v4, v8
	v_mov_b32_e32 v5, v9
	v_add_co_u32 v8, s6, s13, v6
	v_cmp_le_u64_e32 vcc_lo, s[36:37], v[6:7]
	v_add_co_ci_u32_e64 v5, null, s15, v7, s6
	s_or_b32 s14, vcc_lo, s14
	s_andn2_b32 exec_lo, exec_lo, s14
	s_cbranch_execnz .LBB210_41
; %bb.42:                               ;   in Loop: Header=BB210_18 Depth=1
	s_inst_prefetch 0x2
	s_or_b32 exec_lo, exec_lo, s14
.LBB210_43:                             ;   in Loop: Header=BB210_18 Depth=1
	s_or_b32 exec_lo, exec_lo, s12
.LBB210_44:                             ;   in Loop: Header=BB210_18 Depth=1
	s_or_b32 exec_lo, exec_lo, s11
	v_lshlrev_b32_e32 v2, 1, v8
	s_waitcnt vmcnt(0)
	ds_write_b16 v2, v10
.LBB210_45:                             ;   in Loop: Header=BB210_18 Depth=1
	s_or_b32 exec_lo, exec_lo, s9
	s_waitcnt lgkmcnt(0)
	s_barrier
	buffer_gl0_inv
	s_and_saveexec_b32 s6, s3
; %bb.46:                               ;   in Loop: Header=BB210_18 Depth=1
	v_mov_b32_e32 v4, s36
	v_mov_b32_e32 v5, s37
	ds_write_b64 v3, v[4:5] offset:5120
; %bb.47:                               ;   in Loop: Header=BB210_18 Depth=1
	s_or_b32 exec_lo, exec_lo, s6
	s_mov_b32 s6, -1
	s_waitcnt lgkmcnt(0)
	s_barrier
.LBB210_48:                             ;   in Loop: Header=BB210_18 Depth=1
	s_and_b32 vcc_lo, exec_lo, s6
	s_mov_b64 s[76:77], 0
	s_cbranch_vccz .LBB210_50
; %bb.49:                               ;   in Loop: Header=BB210_18 Depth=1
	buffer_gl0_inv
	ds_read_b64 v[4:5], v3 offset:5120
	s_waitcnt lgkmcnt(0)
	v_readfirstlane_b32 s76, v4
.LBB210_50:                             ;   in Loop: Header=BB210_18 Depth=1
	s_cmp_lt_i32 s76, 1
	s_mov_b32 s6, -1
                                        ; implicit-def: $vgpr4_vgpr5
                                        ; implicit-def: $vgpr8_vgpr9
	s_cbranch_scc1 .LBB210_60
; %bb.51:                               ;   in Loop: Header=BB210_18 Depth=1
	s_and_b32 vcc_lo, exec_lo, s6
	s_cbranch_vccnz .LBB210_74
.LBB210_52:                             ;   in Loop: Header=BB210_18 Depth=1
	s_lshl_b32 s6, s53, 7
	s_and_saveexec_b32 s8, s0
	s_cbranch_execz .LBB210_54
.LBB210_53:                             ;   in Loop: Header=BB210_18 Depth=1
	v_lshl_add_u32 v2, s6, 3, v27
	ds_write_b128 v2, v[4:7]
	ds_write_b128 v2, v[8:11] offset:16
.LBB210_54:                             ;   in Loop: Header=BB210_18 Depth=1
	s_or_b32 exec_lo, exec_lo, s8
	s_waitcnt lgkmcnt(0)
	s_barrier
	buffer_gl0_inv
	s_and_saveexec_b32 s8, s90
	s_cbranch_execz .LBB210_88
; %bb.55:                               ;   in Loop: Header=BB210_18 Depth=1
	v_mov_b32_e32 v4, 0
	v_mov_b32_e32 v5, 0
	s_andn2_b32 vcc_lo, exec_lo, s93
	s_cbranch_vccnz .LBB210_87
; %bb.56:                               ;   in Loop: Header=BB210_18 Depth=1
	v_mov_b32_e32 v4, 0
	v_mov_b32_e32 v5, 0
	s_andn2_b32 vcc_lo, exec_lo, s104
	s_cbranch_vccnz .LBB210_84
; %bb.57:                               ;   in Loop: Header=BB210_18 Depth=1
	v_lshl_add_u32 v2, s53, 10, v30
	s_mov_b32 s9, 0
	s_inst_prefetch 0x1
	.p2align	6
.LBB210_58:                             ;   Parent Loop BB210_18 Depth=1
                                        ; =>  This Inner Loop Header: Depth=2
	ds_read2_b64 v[6:9], v2 offset1:4
	ds_read2_b64 v[35:38], v2 offset0:8 offset1:12
	ds_read2_b64 v[39:42], v2 offset0:16 offset1:20
	s_add_i32 s9, s9, 8
	s_cmp_eq_u32 s92, s9
	s_waitcnt lgkmcnt(2)
	v_add_co_u32 v4, vcc_lo, v6, v4
	v_add_co_ci_u32_e64 v5, null, v7, v5, vcc_lo
	v_add_co_u32 v8, vcc_lo, v8, v4
	v_add_co_ci_u32_e64 v9, null, v9, v5, vcc_lo
	ds_read2_b64 v[4:7], v2 offset0:24 offset1:28
	s_waitcnt lgkmcnt(2)
	v_add_co_u32 v8, vcc_lo, v35, v8
	v_add_co_ci_u32_e64 v9, null, v36, v9, vcc_lo
	v_add_nc_u32_e32 v2, 0x100, v2
	v_add_co_u32 v8, vcc_lo, v37, v8
	v_add_co_ci_u32_e64 v9, null, v38, v9, vcc_lo
	s_waitcnt lgkmcnt(1)
	v_add_co_u32 v8, vcc_lo, v39, v8
	v_add_co_ci_u32_e64 v9, null, v40, v9, vcc_lo
	v_add_co_u32 v8, vcc_lo, v41, v8
	v_add_co_ci_u32_e64 v9, null, v42, v9, vcc_lo
	s_waitcnt lgkmcnt(0)
	v_add_co_u32 v4, vcc_lo, v4, v8
	v_add_co_ci_u32_e64 v5, null, v5, v9, vcc_lo
	v_add_co_u32 v4, vcc_lo, v6, v4
	v_add_co_ci_u32_e64 v5, null, v7, v5, vcc_lo
	s_cbranch_scc0 .LBB210_58
; %bb.59:                               ;   in Loop: Header=BB210_18 Depth=1
	s_inst_prefetch 0x2
	s_mov_b32 s9, s92
	s_andn2_b32 vcc_lo, exec_lo, vcc_hi
	s_cbranch_vccz .LBB210_85
	s_branch .LBB210_87
.LBB210_60:                             ;   in Loop: Header=BB210_18 Depth=1
	global_load_ushort v2, v3, s[74:75]
	s_mov_b32 s8, s71
	s_mov_b32 s9, s37
	s_waitcnt vmcnt(0)
	v_readfirstlane_b32 s6, v2
	s_and_b32 s6, 0xffff, s6
	s_lshl_b32 s51, s6, 2
	s_cmp_lg_u64 s[8:9], 0
	s_cbranch_scc0 .LBB210_83
; %bb.61:                               ;   in Loop: Header=BB210_18 Depth=1
	v_cvt_f32_u32_e32 v4, s51
	s_sub_u32 s9, 0, s51
	s_subb_u32 s11, 0, 0
	v_fmac_f32_e64 v4, 0x4f800000, 0
	v_rcp_f32_e32 v4, v4
	v_mul_f32_e32 v4, 0x5f7ffffc, v4
	v_mul_f32_e32 v5, 0x2f800000, v4
	v_trunc_f32_e32 v5, v5
	v_fmac_f32_e32 v4, 0xcf800000, v5
	v_cvt_u32_f32_e32 v5, v5
	v_cvt_u32_f32_e32 v4, v4
	v_readfirstlane_b32 s6, v5
	v_readfirstlane_b32 s8, v4
	s_mul_i32 s12, s9, s6
	s_mul_hi_u32 s14, s9, s8
	s_mul_i32 s13, s11, s8
	s_add_i32 s12, s14, s12
	s_mul_i32 s15, s9, s8
	s_add_i32 s12, s12, s13
	s_mul_hi_u32 s14, s8, s15
	s_mul_i32 s17, s8, s12
	s_mul_hi_u32 s16, s6, s15
	s_mul_i32 s13, s6, s15
	s_mul_hi_u32 s15, s8, s12
	s_add_u32 s14, s14, s17
	s_addc_u32 s15, 0, s15
	s_mul_hi_u32 s18, s6, s12
	s_add_u32 s13, s14, s13
	s_mul_i32 s12, s6, s12
	s_addc_u32 s13, s15, s16
	s_addc_u32 s14, s18, 0
	s_add_u32 s12, s13, s12
	s_addc_u32 s13, 0, s14
	s_add_u32 s8, s8, s12
	s_cselect_b32 s12, -1, 0
	s_mul_hi_u32 s14, s9, s8
	s_cmp_lg_u32 s12, 0
	s_mul_i32 s12, s9, s8
	s_addc_u32 s6, s6, s13
	s_mul_i32 s11, s11, s8
	s_mul_i32 s9, s9, s6
	s_mul_hi_u32 s13, s8, s12
	s_add_i32 s9, s14, s9
	s_mul_hi_u32 s14, s6, s12
	s_add_i32 s9, s9, s11
	s_mul_i32 s11, s6, s12
	s_mul_i32 s16, s8, s9
	s_mul_hi_u32 s15, s8, s9
	s_add_u32 s13, s13, s16
	s_addc_u32 s15, 0, s15
	s_mul_hi_u32 s12, s6, s9
	s_add_u32 s11, s13, s11
	s_mul_i32 s9, s6, s9
	s_addc_u32 s11, s15, s14
	s_addc_u32 s12, s12, 0
	s_add_u32 s9, s11, s9
	s_addc_u32 s11, 0, s12
	s_add_u32 s8, s8, s9
	s_cselect_b32 s9, -1, 0
	s_mul_hi_u32 s12, s36, s8
	s_cmp_lg_u32 s9, 0
	s_mul_hi_u32 s9, s37, s8
	s_addc_u32 s6, s6, s11
	s_mul_i32 s8, s37, s8
	s_mul_i32 s13, s36, s6
	s_mul_hi_u32 s11, s36, s6
	s_add_u32 s12, s12, s13
	s_addc_u32 s11, 0, s11
	s_mul_hi_u32 s14, s37, s6
	s_add_u32 s8, s12, s8
	s_mul_i32 s6, s37, s6
	s_addc_u32 s8, s11, s9
	s_addc_u32 s9, s14, 0
	s_add_u32 s6, s8, s6
	s_addc_u32 s8, 0, s9
	s_mul_hi_u32 s9, s51, s6
	s_mul_i32 s8, s51, s8
	s_mul_i32 s6, s51, s6
	s_add_i32 s9, s9, s8
	s_sub_u32 s6, s36, s6
	s_cselect_b32 s8, -1, 0
	s_cmp_lg_u32 s8, 0
	s_subb_u32 s8, s37, s9
	s_sub_u32 s9, s6, s51
	s_cselect_b32 s11, -1, 0
	s_cmp_lg_u32 s11, 0
	s_subb_u32 s11, s8, 0
	;; [unrolled: 4-line block ×3, first 2 shown]
	s_cmp_ge_u32 s9, s51
	s_cselect_b32 s14, -1, 0
	s_cmp_eq_u32 s11, 0
	s_cselect_b32 s14, s14, -1
	s_cmp_lg_u32 s14, 0
	s_cselect_b32 s11, s13, s11
	s_cselect_b32 s9, s12, s9
	s_cmp_ge_u32 s6, s51
	s_cselect_b32 s12, -1, 0
	s_cmp_eq_u32 s8, 0
	s_cselect_b32 s12, s12, -1
	s_cmp_lg_u32 s12, 0
	s_cselect_b32 s13, s11, s8
	s_cselect_b32 s12, s9, s6
	s_cbranch_execnz .LBB210_63
.LBB210_62:                             ;   in Loop: Header=BB210_18 Depth=1
	v_cvt_f32_u32_e32 v4, s51
	s_sub_i32 s8, 0, s51
	v_rcp_iflag_f32_e32 v4, v4
	v_mul_f32_e32 v4, 0x4f7ffffe, v4
	v_cvt_u32_f32_e32 v4, v4
	v_readfirstlane_b32 s6, v4
	s_mul_i32 s8, s8, s6
	s_mul_hi_u32 s8, s6, s8
	s_add_i32 s6, s6, s8
	s_mul_hi_u32 s6, s36, s6
	s_mul_i32 s6, s6, s51
	s_sub_i32 s6, s36, s6
	s_sub_i32 s8, s6, s51
	s_cmp_ge_u32 s6, s51
	s_cselect_b32 s6, s8, s6
	s_sub_i32 s8, s6, s51
	s_cmp_ge_u32 s6, s51
	s_cselect_b32 s70, s8, s6
	s_mov_b64 s[12:13], s[70:71]
.LBB210_63:                             ;   in Loop: Header=BB210_18 Depth=1
	v_mov_b32_e32 v4, 0
	v_mov_b32_e32 v6, 0
	;; [unrolled: 1-line block ×8, first 2 shown]
	s_sub_u32 s78, s36, s12
	s_subb_u32 s79, s37, s13
	s_mov_b32 s70, exec_lo
	v_cmpx_gt_u64_e64 s[78:79], v[14:15]
	s_cbranch_execz .LBB210_67
; %bb.64:                               ;   in Loop: Header=BB210_18 Depth=1
	v_mov_b32_e32 v22, v15
	v_mov_b32_e32 v21, v14
	s_mov_b64 s[80:81], 0
	s_mov_b32 s72, 0
	s_mov_b64 s[82:83], 0
	s_mov_b64 s[84:85], 0
	;; [unrolled: 1-line block ×3, first 2 shown]
.LBB210_65:                             ;   Parent Loop BB210_18 Depth=1
                                        ; =>  This Inner Loop Header: Depth=2
	v_mul_lo_u32 v6, v22, s30
	v_mul_lo_u32 v7, v21, s31
	v_mad_u64_u32 v[4:5], null, v21, s30, 0
	s_lshl_b64 s[8:9], s[30:31], 1
	v_add3_u32 v5, v5, v7, v6
	v_lshlrev_b64 v[4:5], 1, v[4:5]
	v_add_co_u32 v4, vcc_lo, s29, v4
	v_add_co_ci_u32_e64 v5, null, s33, v5, vcc_lo
	v_add_co_u32 v6, vcc_lo, v4, s8
	v_add_co_ci_u32_e64 v7, null, s9, v5, vcc_lo
	s_clause 0x1
	global_load_ushort v8, v[4:5], off
	global_load_ushort v9, v[6:7], off
	v_add_co_u32 v4, vcc_lo, v6, s8
	v_add_co_ci_u32_e64 v5, null, s9, v7, vcc_lo
	v_add_co_u32 v6, vcc_lo, v4, s8
	v_add_co_ci_u32_e64 v7, null, s9, v5, vcc_lo
	s_clause 0x1
	global_load_ushort v4, v[4:5], off
	global_load_ushort v5, v[6:7], off
	s_waitcnt vmcnt(3)
	v_cmp_lt_i16_e32 vcc_lo, -1, v8
	v_cmp_o_f16_e64 s6, v8, v8
	s_waitcnt vmcnt(2)
	v_cmp_o_f16_e64 s9, v9, v9
	v_cndmask_b32_e32 v6, 0xffff, v31, vcc_lo
	v_cmp_lt_i16_e32 vcc_lo, -1, v9
	v_xor_b32_sdwa v6, v6, v8 dst_sel:DWORD dst_unused:UNUSED_PAD src0_sel:DWORD src1_sel:WORD_0
	v_cndmask_b32_e32 v7, 0xffff, v31, vcc_lo
	s_waitcnt vmcnt(1)
	v_cmp_lt_i16_e32 vcc_lo, -1, v4
	v_cmp_o_f16_e64 s11, v4, v4
	v_cndmask_b32_e64 v6, 0xffff, v6, s6
	v_xor_b32_sdwa v7, v7, v9 dst_sel:DWORD dst_unused:UNUSED_PAD src0_sel:DWORD src1_sel:WORD_0
	s_waitcnt vmcnt(0)
	v_cmp_o_f16_e64 s12, v5, v5
	v_cndmask_b32_e32 v8, 0xffff, v31, vcc_lo
	v_cmp_lt_i16_e32 vcc_lo, -1, v5
	v_xor_b32_sdwa v4, v8, v4 dst_sel:DWORD dst_unused:UNUSED_PAD src0_sel:DWORD src1_sel:WORD_0
	v_cndmask_b32_e32 v8, 0xffff, v31, vcc_lo
	v_cndmask_b32_e64 v4, 0xffff, v4, s11
	v_xor_b32_sdwa v5, v8, v5 dst_sel:DWORD dst_unused:UNUSED_PAD src0_sel:DWORD src1_sel:WORD_0
	v_and_b32_e32 v8, v6, v33
	v_bfe_u32 v6, v6, s69, 2
	v_cmp_eq_u32_e32 vcc_lo, v8, v28
	v_cmp_eq_u32_e64 s6, 0, v6
	v_cmp_eq_u32_e64 s13, 1, v6
	;; [unrolled: 1-line block ×4, first 2 shown]
	v_cndmask_b32_e64 v6, 0xffff, v7, s9
	s_and_b32 s6, vcc_lo, s6
	v_and_b32_e32 v7, v6, v33
	v_bfe_u32 v6, v6, s69, 2
	v_cmp_eq_u32_e64 s9, v7, v28
	v_cmp_eq_u32_e64 s16, 0, v6
	;; [unrolled: 1-line block ×5, first 2 shown]
	v_and_b32_e32 v6, v4, v33
	v_bfe_u32 v4, v4, s69, 2
	s_and_b32 s8, s9, s16
	v_cmp_eq_u32_e64 s11, v6, v28
	v_cmp_eq_u32_e64 s20, 0, v4
	;; [unrolled: 1-line block ×5, first 2 shown]
	v_cndmask_b32_e64 v4, 0, 1, s6
	v_cmp_ne_u32_e64 s6, 0, v4
	v_cndmask_b32_e64 v4, 0xffff, v5, s12
	s_bcnt1_i32_b32 s6, s6
	v_and_b32_e32 v5, v4, v33
	v_bfe_u32 v4, v4, s69, 2
	v_cmp_eq_u32_e64 s12, v5, v28
	v_cmp_eq_u32_e64 s24, 0, v4
	;; [unrolled: 1-line block ×5, first 2 shown]
	v_cndmask_b32_e64 v4, 0, 1, s8
	s_and_b32 s8, s11, s20
	v_cmp_ne_u32_e64 s16, 0, v4
	v_cndmask_b32_e64 v4, 0, 1, s8
	s_and_b32 s8, s12, s24
	v_cmp_ne_u32_e64 s20, 0, v4
	v_cndmask_b32_e64 v4, 0, 1, s8
	s_bcnt1_i32_b32 s8, s16
	s_add_i32 s6, s8, s6
	s_bcnt1_i32_b32 s8, s20
	v_cmp_ne_u32_e64 s24, 0, v4
	s_add_i32 s6, s6, s8
	s_bcnt1_i32_b32 s8, s24
	s_add_i32 s6, s6, s8
	s_add_u32 s86, s86, s6
	s_addc_u32 s87, s87, 0
	s_and_b32 s6, vcc_lo, s13
	s_and_b32 s8, s9, s17
	v_cndmask_b32_e64 v4, 0, 1, s6
	v_cmp_ne_u32_e64 s6, 0, v4
	v_cndmask_b32_e64 v4, 0, 1, s8
	s_and_b32 s8, s11, s21
	s_bcnt1_i32_b32 s6, s6
	v_cmp_ne_u32_e64 s13, 0, v4
	v_cndmask_b32_e64 v4, 0, 1, s8
	s_and_b32 s8, s12, s25
	v_cmp_ne_u32_e64 s16, 0, v4
	v_cndmask_b32_e64 v4, 0, 1, s8
	s_bcnt1_i32_b32 s8, s13
	s_add_i32 s6, s8, s6
	s_bcnt1_i32_b32 s13, s16
	v_cmp_ne_u32_e64 s17, 0, v4
	s_add_i32 s6, s6, s13
	s_bcnt1_i32_b32 s16, s17
	s_add_i32 s6, s6, s16
	s_add_u32 s84, s84, s6
	s_addc_u32 s85, s85, 0
	s_and_b32 s6, vcc_lo, s14
	s_and_b32 s8, s9, s18
	v_cndmask_b32_e64 v4, 0, 1, s6
	v_mov_b32_e32 v6, s84
	v_mov_b32_e32 v7, s85
	v_cmp_ne_u32_e64 s6, 0, v4
	v_cndmask_b32_e64 v4, 0, 1, s8
	s_and_b32 s8, s11, s22
	s_bcnt1_i32_b32 s6, s6
	v_cmp_ne_u32_e64 s13, 0, v4
	v_cndmask_b32_e64 v4, 0, 1, s8
	s_and_b32 s8, s12, s26
	v_cmp_ne_u32_e64 s14, 0, v4
	v_cndmask_b32_e64 v4, 0, 1, s8
	s_bcnt1_i32_b32 s8, s13
	s_add_i32 s6, s8, s6
	s_bcnt1_i32_b32 s13, s14
	v_cmp_ne_u32_e64 s16, 0, v4
	s_add_i32 s6, s6, s13
	s_bcnt1_i32_b32 s14, s16
	s_add_i32 s6, s6, s14
	s_add_u32 s82, s82, s6
	s_addc_u32 s83, s83, 0
	s_and_b32 s6, vcc_lo, s15
	s_and_b32 s8, s11, s23
	v_cndmask_b32_e64 v4, 0, 1, s6
	s_and_b32 s6, s9, s19
	v_mov_b32_e32 v8, s82
	v_mov_b32_e32 v9, s83
	v_cmp_ne_u32_e32 vcc_lo, 0, v4
	v_cndmask_b32_e64 v4, 0, 1, s6
	v_cmp_ne_u32_e64 s6, 0, v4
	v_cndmask_b32_e64 v4, 0, 1, s8
	s_and_b32 s8, s12, s27
	v_add_co_u32 v21, s12, v21, s51
	s_bcnt1_i32_b32 s6, s6
	v_cmp_ne_u32_e64 s9, 0, v4
	v_cndmask_b32_e64 v4, 0, 1, s8
	s_bcnt1_i32_b32 s8, vcc_lo
	v_add_co_ci_u32_e64 v22, null, 0, v22, s12
	s_bcnt1_i32_b32 s9, s9
	v_cmp_ne_u32_e64 s11, 0, v4
	s_add_i32 s6, s6, s8
	v_cmp_le_u64_e64 s12, s[78:79], v[21:22]
	s_add_i32 s6, s6, s9
	v_mov_b32_e32 v4, s86
	s_bcnt1_i32_b32 s11, s11
	v_mov_b32_e32 v5, s87
	s_add_i32 s6, s6, s11
	s_add_u32 s80, s80, s6
	s_addc_u32 s81, s81, 0
	v_mov_b32_e32 v10, s80
	v_mov_b32_e32 v11, s81
	s_or_b32 s72, s12, s72
	s_andn2_b32 exec_lo, exec_lo, s72
	s_cbranch_execnz .LBB210_65
; %bb.66:                               ;   in Loop: Header=BB210_18 Depth=1
	s_or_b32 exec_lo, exec_lo, s72
.LBB210_67:                             ;   in Loop: Header=BB210_18 Depth=1
	s_or_b32 exec_lo, exec_lo, s70
	v_add_co_u32 v21, s6, s78, v0
	v_and_b32_e32 v2, 0xffff, v2
	v_add_co_ci_u32_e64 v22, null, s79, 0, s6
	s_mov_b32 s8, exec_lo
	v_cmpx_gt_u64_e64 s[36:37], v[21:22]
	s_cbranch_execz .LBB210_73
; %bb.68:                               ;   in Loop: Header=BB210_18 Depth=1
	v_mul_lo_u32 v37, v22, s30
	v_mul_lo_u32 v38, v21, s31
	v_mad_u64_u32 v[35:36], null, v21, s30, 0
	s_mov_b32 s13, 0
	v_add3_u32 v36, v36, v38, v37
	v_lshlrev_b64 v[35:36], 1, v[35:36]
	v_add_co_u32 v35, vcc_lo, s29, v35
	v_add_co_ci_u32_e64 v36, null, s33, v36, vcc_lo
	global_load_ushort v36, v[35:36], off
	s_branch .LBB210_70
.LBB210_69:                             ;   in Loop: Header=BB210_70 Depth=2
	s_or_b32 exec_lo, exec_lo, s9
	s_waitcnt vmcnt(0)
	v_cmp_lt_i16_e64 s6, -1, v36
	s_and_b32 s9, exec_lo, vcc_lo
	s_or_b32 s13, s9, s13
	v_cndmask_b32_e64 v37, 0xffff, v31, s6
	v_cmp_o_f16_e64 s6, v36, v36
	v_xor_b32_sdwa v37, v37, v36 dst_sel:DWORD dst_unused:UNUSED_PAD src0_sel:DWORD src1_sel:WORD_0
	v_cndmask_b32_e64 v36, 0xffff, v37, s6
	v_and_b32_e32 v37, v36, v33
	v_bfe_u32 v36, v36, s69, 2
	v_cmp_eq_u32_e32 vcc_lo, v37, v28
	v_cmp_eq_u32_e64 s6, 0, v36
	v_cmp_eq_u32_e64 s9, 1, v36
	;; [unrolled: 1-line block ×4, first 2 shown]
	s_and_b32 s6, vcc_lo, s6
	v_cndmask_b32_e64 v36, 0, 1, s6
	s_and_b32 s6, vcc_lo, s9
	v_cndmask_b32_e64 v37, 0, 1, s6
	;; [unrolled: 2-line block ×3, first 2 shown]
	s_and_b32 s6, vcc_lo, s12
	v_cmp_ne_u32_e32 vcc_lo, 0, v36
	v_cndmask_b32_e64 v39, 0, 1, s6
	v_cmp_ne_u32_e64 s6, 0, v37
	v_cmp_ne_u32_e64 s9, 0, v38
	v_mov_b32_e32 v36, v35
	s_bcnt1_i32_b32 s12, vcc_lo
	v_cmp_ne_u32_e64 s11, 0, v39
	s_bcnt1_i32_b32 s6, s6
	v_add_co_u32 v4, vcc_lo, v4, s12
	s_bcnt1_i32_b32 s9, s9
	v_add_co_ci_u32_e64 v5, null, 0, v5, vcc_lo
	v_add_co_u32 v6, vcc_lo, v6, s6
	v_add_co_ci_u32_e64 v7, null, 0, v7, vcc_lo
	v_add_co_u32 v8, vcc_lo, v8, s9
	s_bcnt1_i32_b32 s6, s11
	v_add_co_ci_u32_e64 v9, null, 0, v9, vcc_lo
	v_add_co_u32 v10, vcc_lo, v10, s6
	v_add_co_ci_u32_e64 v11, null, 0, v11, vcc_lo
	s_andn2_b32 exec_lo, exec_lo, s13
	s_cbranch_execz .LBB210_72
.LBB210_70:                             ;   Parent Loop BB210_18 Depth=1
                                        ; =>  This Inner Loop Header: Depth=2
	v_add_co_u32 v21, vcc_lo, v21, v2
	v_add_co_ci_u32_e64 v22, null, 0, v22, vcc_lo
	v_mov_b32_e32 v35, 0
	s_mov_b32 s9, exec_lo
	v_cmp_le_u64_e32 vcc_lo, s[36:37], v[21:22]
	v_cmpx_gt_u64_e64 s[36:37], v[21:22]
	s_cbranch_execz .LBB210_69
; %bb.71:                               ;   in Loop: Header=BB210_70 Depth=2
	v_mul_lo_u32 v35, v22, s30
	v_mul_lo_u32 v39, v21, s31
	v_mad_u64_u32 v[37:38], null, v21, s30, 0
	v_add3_u32 v38, v38, v39, v35
	v_lshlrev_b64 v[37:38], 1, v[37:38]
	v_add_co_u32 v37, s6, s29, v37
	v_add_co_ci_u32_e64 v38, null, s33, v38, s6
	global_load_ushort v35, v[37:38], off
	s_branch .LBB210_69
.LBB210_72:                             ;   in Loop: Header=BB210_18 Depth=1
	s_or_b32 exec_lo, exec_lo, s13
.LBB210_73:                             ;   in Loop: Header=BB210_18 Depth=1
	s_or_b32 exec_lo, exec_lo, s8
	s_branch .LBB210_52
.LBB210_74:                             ;   in Loop: Header=BB210_18 Depth=1
	global_load_ushort v2, v3, s[74:75]
	v_mov_b32_e32 v6, 0
	v_mov_b32_e32 v8, 0
	;; [unrolled: 1-line block ×6, first 2 shown]
	s_mov_b32 s72, exec_lo
	s_waitcnt vmcnt(0)
	v_readfirstlane_b32 s6, v2
	s_and_b32 s51, 0xffff, s6
	s_lshl_b32 s70, s51, 2
	v_cvt_f32_u32_e32 v4, s70
	s_sub_i32 s8, 0, s70
	v_rcp_iflag_f32_e32 v4, v4
	v_mul_f32_e32 v4, 0x4f7ffffe, v4
	v_cvt_u32_f32_e32 v4, v4
	v_readfirstlane_b32 s6, v4
	v_mov_b32_e32 v4, 0
	v_mov_b32_e32 v5, 0
	s_mul_i32 s8, s8, s6
	s_mul_hi_u32 s8, s6, s8
	s_add_i32 s6, s6, s8
	s_mul_hi_u32 s6, s76, s6
	s_mul_i32 s8, s6, s70
	s_add_i32 s9, s6, 1
	s_sub_i32 s8, s76, s8
	s_sub_i32 s11, s8, s70
	s_cmp_ge_u32 s8, s70
	s_cselect_b32 s6, s9, s6
	s_cselect_b32 s8, s11, s8
	s_add_i32 s9, s6, 1
	s_cmp_ge_u32 s8, s70
	s_cselect_b32 s6, s9, s6
	s_mul_hi_u32 s79, s51, s6
	s_mul_i32 s78, s51, s6
	s_lshl_b64 s[80:81], s[78:79], 2
	v_cmpx_gt_u64_e64 s[80:81], v[14:15]
	s_cbranch_execz .LBB210_78
; %bb.75:                               ;   in Loop: Header=BB210_18 Depth=1
	v_mov_b32_e32 v22, v15
	v_mov_b32_e32 v35, v29
	;; [unrolled: 1-line block ×3, first 2 shown]
	s_lshl_b32 s77, s51, 3
	s_mov_b64 s[82:83], 0
	s_mov_b32 s79, 0
	s_mov_b64 s[84:85], 0
	s_mov_b64 s[86:87], 0
	;; [unrolled: 1-line block ×3, first 2 shown]
.LBB210_76:                             ;   Parent Loop BB210_18 Depth=1
                                        ; =>  This Inner Loop Header: Depth=2
	ds_read_b64 v[4:5], v35
	v_add_nc_u32_e32 v35, s77, v35
	s_waitcnt lgkmcnt(0)
	v_cmp_lt_i16_e32 vcc_lo, -1, v4
	v_cmp_gt_i16_sdwa s6, v4, v32 src0_sel:WORD_1 src1_sel:DWORD
	v_cmp_lt_i16_e64 s9, -1, v5
	v_cmp_gt_i16_sdwa s11, v5, v32 src0_sel:WORD_1 src1_sel:DWORD
	v_cmp_o_f16_e64 s15, v4, v4
	v_cndmask_b32_e32 v6, 0xffff, v31, vcc_lo
	v_cndmask_b32_e64 v7, 0xffff, v31, s6
	v_cmp_o_f16_sdwa s12, v4, v4 src0_sel:WORD_1 src1_sel:WORD_1
	v_cndmask_b32_e64 v8, 0xffff, v31, s11
	v_cmp_o_f16_e64 s13, v5, v5
	v_xor_b32_sdwa v6, v6, v4 dst_sel:DWORD dst_unused:UNUSED_PAD src0_sel:DWORD src1_sel:WORD_0
	v_xor_b32_sdwa v4, v7, v4 dst_sel:DWORD dst_unused:UNUSED_PAD src0_sel:DWORD src1_sel:WORD_1
	v_cndmask_b32_e64 v7, 0xffff, v31, s9
	v_cmp_o_f16_sdwa s14, v5, v5 src0_sel:WORD_1 src1_sel:WORD_1
	v_cndmask_b32_e64 v6, 0xffff, v6, s15
	v_cndmask_b32_e64 v4, 0xffff, v4, s12
	v_xor_b32_sdwa v7, v7, v5 dst_sel:DWORD dst_unused:UNUSED_PAD src0_sel:DWORD src1_sel:WORD_0
	v_xor_b32_sdwa v5, v8, v5 dst_sel:DWORD dst_unused:UNUSED_PAD src0_sel:DWORD src1_sel:WORD_1
	v_and_b32_e32 v8, v6, v33
	v_bfe_u32 v6, v6, s69, 2
	v_cndmask_b32_e64 v7, 0xffff, v7, s13
	v_cndmask_b32_e64 v5, 0xffff, v5, s14
	v_cmp_eq_u32_e32 vcc_lo, v8, v28
	v_and_b32_e32 v8, v4, v33
	v_bfe_u32 v4, v4, s69, 2
	v_cmp_eq_u32_e64 s12, 0, v6
	v_cmp_eq_u32_e64 s13, 1, v6
	;; [unrolled: 1-line block ×8, first 2 shown]
	v_bfe_u32 v4, v7, s69, 2
	v_and_b32_e32 v8, v7, v33
	s_and_b32 s8, vcc_lo, s12
	v_cmp_eq_u32_e64 s15, 3, v6
	v_cmp_eq_u32_e64 s20, 0, v4
	;; [unrolled: 1-line block ×5, first 2 shown]
	v_bfe_u32 v4, v5, s69, 2
	v_cmp_eq_u32_e64 s9, v8, v28
	v_and_b32_e32 v8, v5, v33
	v_cmp_eq_u32_e64 s24, 0, v4
	v_cmp_eq_u32_e64 s25, 1, v4
	;; [unrolled: 1-line block ×4, first 2 shown]
	v_cndmask_b32_e64 v4, 0, 1, s8
	s_and_b32 s8, s6, s16
	v_cmp_eq_u32_e64 s11, v8, v28
	v_cmp_ne_u32_e64 s12, 0, v4
	v_cndmask_b32_e64 v4, 0, 1, s8
	s_and_b32 s8, s9, s20
	v_cmp_ne_u32_e64 s16, 0, v4
	v_cndmask_b32_e64 v4, 0, 1, s8
	s_and_b32 s8, s11, s24
	v_cmp_ne_u32_e64 s20, 0, v4
	v_cndmask_b32_e64 v4, 0, 1, s8
	s_bcnt1_i32_b32 s8, s12
	s_bcnt1_i32_b32 s12, s16
	;; [unrolled: 1-line block ×3, first 2 shown]
	v_cmp_ne_u32_e64 s24, 0, v4
	s_add_i32 s8, s12, s8
	s_add_i32 s8, s8, s16
	s_bcnt1_i32_b32 s20, s24
	s_add_i32 s8, s8, s20
	s_add_u32 s88, s88, s8
	s_addc_u32 s89, s89, 0
	s_and_b32 s8, vcc_lo, s13
	v_cndmask_b32_e64 v4, 0, 1, s8
	s_and_b32 s8, s6, s17
	v_cmp_ne_u32_e64 s12, 0, v4
	v_cndmask_b32_e64 v4, 0, 1, s8
	s_and_b32 s8, s9, s21
	v_cmp_ne_u32_e64 s13, 0, v4
	v_cndmask_b32_e64 v4, 0, 1, s8
	s_and_b32 s8, s11, s25
	v_cmp_ne_u32_e64 s16, 0, v4
	v_cndmask_b32_e64 v4, 0, 1, s8
	s_bcnt1_i32_b32 s8, s12
	s_bcnt1_i32_b32 s12, s13
	;; [unrolled: 1-line block ×3, first 2 shown]
	v_cmp_ne_u32_e64 s17, 0, v4
	s_add_i32 s8, s12, s8
	s_add_i32 s8, s8, s13
	s_bcnt1_i32_b32 s16, s17
	s_add_i32 s8, s8, s16
	s_add_u32 s86, s86, s8
	s_addc_u32 s87, s87, 0
	s_and_b32 s8, vcc_lo, s14
	v_mov_b32_e32 v6, s86
	v_cndmask_b32_e64 v4, 0, 1, s8
	s_and_b32 s8, s6, s18
	v_mov_b32_e32 v7, s87
	v_cmp_ne_u32_e64 s12, 0, v4
	v_cndmask_b32_e64 v4, 0, 1, s8
	s_and_b32 s8, s9, s22
	v_cmp_ne_u32_e64 s13, 0, v4
	v_cndmask_b32_e64 v4, 0, 1, s8
	s_and_b32 s8, s11, s26
	v_cmp_ne_u32_e64 s14, 0, v4
	v_cndmask_b32_e64 v4, 0, 1, s8
	s_bcnt1_i32_b32 s8, s12
	s_bcnt1_i32_b32 s12, s13
	;; [unrolled: 1-line block ×3, first 2 shown]
	v_cmp_ne_u32_e64 s16, 0, v4
	s_add_i32 s8, s12, s8
	v_add_co_u32 v21, s12, v21, s70
	s_add_i32 s8, s8, s13
	s_bcnt1_i32_b32 s14, s16
	v_add_co_ci_u32_e64 v22, null, 0, v22, s12
	s_add_i32 s8, s8, s14
	s_add_u32 s84, s84, s8
	s_addc_u32 s85, s85, 0
	s_and_b32 s8, vcc_lo, s15
	s_and_b32 s6, s6, s19
	v_cndmask_b32_e64 v4, 0, 1, s8
	s_and_b32 s8, s9, s23
	v_cmp_le_u64_e64 s12, s[80:81], v[21:22]
	v_mov_b32_e32 v8, s84
	v_mov_b32_e32 v9, s85
	v_cmp_ne_u32_e32 vcc_lo, 0, v4
	v_cndmask_b32_e64 v4, 0, 1, s6
	v_cmp_ne_u32_e64 s6, 0, v4
	v_cndmask_b32_e64 v4, 0, 1, s8
	s_and_b32 s8, s11, s27
	s_bcnt1_i32_b32 s6, s6
	v_cmp_ne_u32_e64 s9, 0, v4
	v_cndmask_b32_e64 v4, 0, 1, s8
	s_bcnt1_i32_b32 s8, vcc_lo
	s_add_i32 s6, s6, s8
	s_bcnt1_i32_b32 s9, s9
	v_cmp_ne_u32_e64 s11, 0, v4
	s_add_i32 s6, s6, s9
	v_mov_b32_e32 v4, s88
	v_mov_b32_e32 v5, s89
	s_bcnt1_i32_b32 s11, s11
	s_add_i32 s6, s6, s11
	s_add_u32 s82, s82, s6
	s_addc_u32 s83, s83, 0
	v_mov_b32_e32 v10, s82
	v_mov_b32_e32 v11, s83
	s_or_b32 s79, s12, s79
	s_andn2_b32 exec_lo, exec_lo, s79
	s_cbranch_execnz .LBB210_76
; %bb.77:                               ;   in Loop: Header=BB210_18 Depth=1
	s_or_b32 exec_lo, exec_lo, s79
.LBB210_78:                             ;   in Loop: Header=BB210_18 Depth=1
	s_or_b32 exec_lo, exec_lo, s72
	v_add_co_u32 v21, s6, s80, v0
	v_and_b32_e32 v2, 0xffff, v2
	v_add_co_ci_u32_e64 v22, null, s81, 0, s6
	s_and_b32 s70, s76, 0x7fffffff
	s_mov_b32 s8, exec_lo
	v_cmpx_gt_u64_e64 s[70:71], v[21:22]
	s_cbranch_execz .LBB210_82
; %bb.79:                               ;   in Loop: Header=BB210_18 Depth=1
	v_lshl_add_u32 v35, s78, 3, v25
	s_lshl_b32 s15, s51, 1
	s_mov_b32 s14, 0
.LBB210_80:                             ;   Parent Loop BB210_18 Depth=1
                                        ; =>  This Inner Loop Header: Depth=2
	ds_read_u16 v36, v35
	v_add_co_u32 v21, vcc_lo, v21, v2
	v_add_co_ci_u32_e64 v22, null, 0, v22, vcc_lo
	v_add_nc_u32_e32 v35, s15, v35
	v_cmp_le_u64_e32 vcc_lo, s[70:71], v[21:22]
	s_waitcnt lgkmcnt(0)
	v_cmp_lt_i16_e64 s6, -1, v36
	v_cndmask_b32_e64 v37, 0xffff, v31, s6
	v_cmp_o_f16_e64 s6, v36, v36
	v_xor_b32_sdwa v37, v37, v36 dst_sel:DWORD dst_unused:UNUSED_PAD src0_sel:DWORD src1_sel:WORD_0
	v_cndmask_b32_e64 v36, 0xffff, v37, s6
	v_and_b32_e32 v37, v36, v33
	v_bfe_u32 v36, v36, s69, 2
	v_cmp_eq_u32_e64 s6, v37, v28
	v_cmp_eq_u32_e64 s9, 0, v36
	;; [unrolled: 1-line block ×5, first 2 shown]
	s_and_b32 s9, s6, s9
	v_cndmask_b32_e64 v36, 0, 1, s9
	s_and_b32 s9, s6, s11
	v_cndmask_b32_e64 v37, 0, 1, s9
	s_and_b32 s9, s6, s12
	s_and_b32 s6, s6, s13
	v_cndmask_b32_e64 v38, 0, 1, s9
	v_cndmask_b32_e64 v39, 0, 1, s6
	v_cmp_ne_u32_e64 s6, 0, v36
	v_cmp_ne_u32_e64 s9, 0, v37
	;; [unrolled: 1-line block ×4, first 2 shown]
	s_bcnt1_i32_b32 s6, s6
	s_bcnt1_i32_b32 s9, s9
	v_add_co_u32 v4, s6, v4, s6
	s_bcnt1_i32_b32 s11, s11
	v_add_co_ci_u32_e64 v5, null, 0, v5, s6
	v_add_co_u32 v6, s6, v6, s9
	s_bcnt1_i32_b32 s12, s12
	v_add_co_ci_u32_e64 v7, null, 0, v7, s6
	v_add_co_u32 v8, s6, v8, s11
	v_add_co_ci_u32_e64 v9, null, 0, v9, s6
	v_add_co_u32 v10, s6, v10, s12
	v_add_co_ci_u32_e64 v11, null, 0, v11, s6
	s_or_b32 s14, vcc_lo, s14
	s_andn2_b32 exec_lo, exec_lo, s14
	s_cbranch_execnz .LBB210_80
; %bb.81:                               ;   in Loop: Header=BB210_18 Depth=1
	s_or_b32 exec_lo, exec_lo, s14
.LBB210_82:                             ;   in Loop: Header=BB210_18 Depth=1
	s_or_b32 exec_lo, exec_lo, s8
	s_lshl_b32 s6, s53, 7
	s_and_saveexec_b32 s8, s0
	s_cbranch_execnz .LBB210_53
	s_branch .LBB210_54
.LBB210_83:                             ;   in Loop: Header=BB210_18 Depth=1
                                        ; implicit-def: $sgpr12_sgpr13
	s_branch .LBB210_62
.LBB210_84:                             ;   in Loop: Header=BB210_18 Depth=1
	s_mov_b32 s9, 0
	s_andn2_b32 vcc_lo, exec_lo, vcc_hi
	s_cbranch_vccnz .LBB210_87
.LBB210_85:                             ;   in Loop: Header=BB210_18 Depth=1
	s_lshl_b32 s11, s53, 10
	s_lshl_b32 s9, s9, 5
	v_add3_u32 v2, s11, s9, v30
	s_mov_b32 s9, s98
.LBB210_86:                             ;   Parent Loop BB210_18 Depth=1
                                        ; =>  This Inner Loop Header: Depth=2
	ds_read_b64 v[6:7], v2
	v_add_nc_u32_e32 v2, 32, v2
	s_add_i32 s9, s9, -1
	s_cmp_lg_u32 s9, 0
	s_waitcnt lgkmcnt(0)
	v_add_co_u32 v4, vcc_lo, v6, v4
	v_add_co_ci_u32_e64 v5, null, v7, v5, vcc_lo
	s_cbranch_scc1 .LBB210_86
.LBB210_87:                             ;   in Loop: Header=BB210_18 Depth=1
	v_add_lshl_u32 v2, s6, v24, 3
	ds_write_b64 v2, v[4:5] offset:3072
.LBB210_88:                             ;   in Loop: Header=BB210_18 Depth=1
	s_or_b32 exec_lo, exec_lo, s8
	s_lshl_b32 s6, s6, 3
	s_waitcnt lgkmcnt(0)
	v_mov_b32_e32 v2, s6
	s_barrier
	buffer_gl0_inv
	v_cmp_eq_u64_e64 s9, 1, v[19:20]
	s_lshl_b32 s11, 3, s69
	ds_read_b128 v[4:7], v2 offset:3072
	ds_read_b128 v[8:11], v2 offset:3088
	s_mov_b32 s79, -1
	s_not_b32 s26, s11
	s_mov_b32 s27, 0
	s_andn2_b32 vcc_lo, exec_lo, s59
	s_mov_b32 s76, 0
	s_mov_b32 s51, 0
                                        ; implicit-def: $sgpr77
                                        ; implicit-def: $sgpr78
                                        ; implicit-def: $vgpr2
	s_waitcnt lgkmcnt(1)
	v_readfirstlane_b32 s13, v5
	v_readfirstlane_b32 s12, v4
	;; [unrolled: 1-line block ×4, first 2 shown]
	s_waitcnt lgkmcnt(0)
	v_readfirstlane_b32 s17, v9
	v_readfirstlane_b32 s16, v8
	;; [unrolled: 1-line block ×4, first 2 shown]
                                        ; implicit-def: $vgpr4_vgpr5
                                        ; implicit-def: $vgpr8
                                        ; implicit-def: $vgpr9
                                        ; implicit-def: $vgpr10
	s_cbranch_vccnz .LBB210_291
; %bb.89:                               ;   in Loop: Header=BB210_18 Depth=1
	s_cmp_eq_u64 s[12:13], 1
	v_mov_b32_e32 v8, v28
	v_mov_b32_e32 v9, v33
	;; [unrolled: 1-line block ×3, first 2 shown]
	s_cselect_b32 s6, -1, 0
	s_mov_b32 s8, -1
	s_and_b32 s6, s6, s9
                                        ; implicit-def: $sgpr78
                                        ; implicit-def: $sgpr77
	s_and_saveexec_b32 s51, s6
	s_cbranch_execz .LBB210_126
; %bb.90:                               ;   in Loop: Header=BB210_18 Depth=1
	ds_read_b64 v[4:5], v3 offset:5120
	s_waitcnt lgkmcnt(0)
	s_barrier
	buffer_gl0_inv
	v_readfirstlane_b32 s20, v4
	v_readfirstlane_b32 s21, v5
	s_and_saveexec_b32 s8, s10
; %bb.91:                               ;   in Loop: Header=BB210_18 Depth=1
	ds_write_b16 v26, v3
; %bb.92:                               ;   in Loop: Header=BB210_18 Depth=1
	s_or_b32 exec_lo, exec_lo, s8
	v_and_b32_e32 v8, s26, v28
	v_or_b32_e32 v9, s11, v33
	s_mov_b32 s77, -1
	s_mov_b32 s78, 0
	s_cmp_eq_u64 s[20:21], 0
	s_mov_b32 s24, 0
	s_mov_b32 s8, -1
	s_waitcnt lgkmcnt(0)
	s_barrier
	buffer_gl0_inv
                                        ; implicit-def: $vgpr10
	s_cbranch_scc1 .LBB210_110
; %bb.93:                               ;   in Loop: Header=BB210_18 Depth=1
	s_add_u32 s8, s20, s94
	s_addc_u32 s23, s21, s95
	s_mov_b32 s22, s71
	s_cmp_lg_u64 s[22:23], 0
	s_cbranch_scc0 .LBB210_153
; %bb.94:                               ;   in Loop: Header=BB210_18 Depth=1
	v_cvt_f32_u32_e32 v2, s35
	s_sub_u32 s22, 0, s35
	s_subb_u32 s24, 0, 0
	v_fmac_f32_e64 v2, 0x4f800000, 0
	v_rcp_f32_e32 v2, v2
	v_mul_f32_e32 v2, 0x5f7ffffc, v2
	v_mul_f32_e32 v4, 0x2f800000, v2
	v_trunc_f32_e32 v4, v4
	v_fmac_f32_e32 v2, 0xcf800000, v4
	v_cvt_u32_f32_e32 v4, v4
	v_cvt_u32_f32_e32 v2, v2
	v_readfirstlane_b32 s1, v4
	v_readfirstlane_b32 s7, v2
	s_mul_i32 s25, s22, s1
	s_mul_hi_u32 s40, s22, s7
	s_mul_i32 s28, s24, s7
	s_add_i32 s25, s40, s25
	s_mul_i32 s41, s22, s7
	s_add_i32 s25, s25, s28
	s_mul_hi_u32 s40, s7, s41
	s_mul_i32 s43, s7, s25
	s_mul_hi_u32 s42, s1, s41
	s_mul_i32 s28, s1, s41
	s_mul_hi_u32 s41, s7, s25
	s_add_u32 s40, s40, s43
	s_addc_u32 s41, 0, s41
	s_mul_hi_u32 s58, s1, s25
	s_add_u32 s28, s40, s28
	s_mul_i32 s25, s1, s25
	s_addc_u32 s28, s41, s42
	s_addc_u32 s40, s58, 0
	s_add_u32 s25, s28, s25
	s_addc_u32 s28, 0, s40
	s_add_u32 s7, s7, s25
	s_cselect_b32 s25, -1, 0
	s_mul_hi_u32 s40, s22, s7
	s_cmp_lg_u32 s25, 0
	s_mul_i32 s25, s22, s7
	s_addc_u32 s1, s1, s28
	s_mul_i32 s24, s24, s7
	s_mul_i32 s22, s22, s1
	s_mul_hi_u32 s28, s7, s25
	s_add_i32 s22, s40, s22
	s_mul_hi_u32 s40, s1, s25
	s_add_i32 s22, s22, s24
	s_mul_i32 s24, s1, s25
	s_mul_i32 s42, s7, s22
	s_mul_hi_u32 s41, s7, s22
	s_add_u32 s28, s28, s42
	s_addc_u32 s41, 0, s41
	s_mul_hi_u32 s25, s1, s22
	s_add_u32 s24, s28, s24
	s_mul_i32 s22, s1, s22
	s_addc_u32 s24, s41, s40
	s_addc_u32 s25, s25, 0
	s_add_u32 s22, s24, s22
	s_addc_u32 s24, 0, s25
	s_add_u32 s7, s7, s22
	s_cselect_b32 s22, -1, 0
	s_mul_hi_u32 s25, s8, s7
	s_cmp_lg_u32 s22, 0
	s_mul_hi_u32 s22, s23, s7
	s_addc_u32 s1, s1, s24
	s_mul_i32 s7, s23, s7
	s_mul_i32 s28, s8, s1
	s_mul_hi_u32 s24, s8, s1
	s_add_u32 s25, s25, s28
	s_addc_u32 s24, 0, s24
	s_mul_hi_u32 s40, s23, s1
	s_add_u32 s7, s25, s7
	s_mul_i32 s1, s23, s1
	s_addc_u32 s7, s24, s22
	s_addc_u32 s22, s40, 0
	s_add_u32 s1, s7, s1
	s_addc_u32 s7, 0, s22
	s_mul_hi_u32 s22, s35, s1
	s_mul_i32 s7, s35, s7
	s_mul_i32 s1, s35, s1
	s_add_i32 s22, s22, s7
	s_sub_u32 s1, s8, s1
	s_cselect_b32 s7, -1, 0
	s_cmp_lg_u32 s7, 0
	s_subb_u32 s7, s23, s22
	s_sub_u32 s22, s1, s35
	s_cselect_b32 s24, -1, 0
	s_cmp_lg_u32 s24, 0
	s_subb_u32 s24, s7, 0
	;; [unrolled: 4-line block ×3, first 2 shown]
	s_cmp_ge_u32 s22, s35
	s_cselect_b32 s40, -1, 0
	s_cmp_eq_u32 s24, 0
	s_cselect_b32 s40, s40, -1
	s_cmp_lg_u32 s40, 0
	s_cselect_b32 s24, s28, s24
	s_cselect_b32 s22, s25, s22
	s_cmp_ge_u32 s1, s35
	s_cselect_b32 s25, -1, 0
	s_cmp_eq_u32 s7, 0
	s_cselect_b32 s25, s25, -1
	s_cmp_lg_u32 s25, 0
	s_cselect_b32 s25, s24, s7
	s_cselect_b32 s24, s22, s1
	s_cbranch_execnz .LBB210_96
.LBB210_95:                             ;   in Loop: Header=BB210_18 Depth=1
	v_cvt_f32_u32_e32 v2, s35
	s_sub_i32 s7, 0, s35
	v_rcp_iflag_f32_e32 v2, v2
	v_mul_f32_e32 v2, 0x4f7ffffe, v2
	v_cvt_u32_f32_e32 v2, v2
	v_readfirstlane_b32 s1, v2
	s_mul_i32 s7, s7, s1
	s_mul_hi_u32 s7, s1, s7
	s_add_i32 s1, s1, s7
	s_mul_hi_u32 s1, s8, s1
	s_mul_i32 s1, s1, s35
	s_sub_i32 s1, s8, s1
	s_sub_i32 s7, s1, s35
	s_cmp_ge_u32 s1, s35
	s_cselect_b32 s1, s7, s1
	s_sub_i32 s7, s1, s35
	s_cmp_ge_u32 s1, s35
	s_cselect_b32 s70, s7, s1
	s_mov_b64 s[24:25], s[70:71]
.LBB210_96:                             ;   in Loop: Header=BB210_18 Depth=1
	s_sub_u32 s22, s8, s24
	s_subb_u32 s23, s23, s25
	s_mov_b32 s8, 0
	s_mov_b32 s24, 0
	s_mov_b32 s25, exec_lo
                                        ; implicit-def: $vgpr10
	v_cmpx_gt_u64_e64 s[22:23], v[0:1]
	s_cbranch_execz .LBB210_109
; %bb.97:                               ;   in Loop: Header=BB210_18 Depth=1
	v_mov_b32_e32 v5, v1
	v_mov_b32_e32 v2, v25
	;; [unrolled: 1-line block ×3, first 2 shown]
                                        ; implicit-def: $sgpr70
	s_branch .LBB210_101
.LBB210_98:                             ;   in Loop: Header=BB210_101 Depth=2
	s_or_b32 exec_lo, exec_lo, s28
	s_waitcnt lgkmcnt(0)
	s_barrier
	buffer_gl0_inv
	ds_read_b32 v6, v3 offset:3072
	s_waitcnt lgkmcnt(0)
	s_barrier
	buffer_gl0_inv
	v_cmp_neq_f16_e32 vcc_lo, 0, v6
	s_cbranch_vccnz .LBB210_104
; %bb.99:                               ;   in Loop: Header=BB210_101 Depth=2
	v_add_co_u32 v4, vcc_lo, v4, s35
	v_add_co_ci_u32_e64 v5, null, 0, v5, vcc_lo
	v_add_nc_u32_e32 v2, s68, v2
	s_mov_b32 s28, 0
	v_cmp_le_u64_e32 vcc_lo, s[22:23], v[4:5]
	s_orn2_b32 s72, vcc_lo, exec_lo
.LBB210_100:                            ;   in Loop: Header=BB210_101 Depth=2
	s_and_b32 s1, exec_lo, s72
	s_or_b32 s24, s1, s24
	s_andn2_b32 s1, s70, exec_lo
	s_and_b32 s7, s28, exec_lo
	s_or_b32 s70, s1, s7
	s_andn2_b32 exec_lo, exec_lo, s24
	s_cbranch_execz .LBB210_108
.LBB210_101:                            ;   Parent Loop BB210_18 Depth=1
                                        ; =>  This Inner Loop Header: Depth=2
	s_mov_b32 s28, exec_lo
	v_cmpx_gt_u64_e64 s[20:21], v[4:5]
	s_cbranch_execz .LBB210_98
; %bb.102:                              ;   in Loop: Header=BB210_101 Depth=2
	ds_read_u16 v6, v2
	s_waitcnt lgkmcnt(0)
	v_cmp_lt_i16_e32 vcc_lo, -1, v6
	v_cndmask_b32_e32 v7, 0xffff, v31, vcc_lo
	v_cmp_o_f16_e32 vcc_lo, v6, v6
	v_xor_b32_sdwa v7, v7, v6 dst_sel:DWORD dst_unused:UNUSED_PAD src0_sel:DWORD src1_sel:WORD_0
	v_cndmask_b32_e32 v7, 0xffff, v7, vcc_lo
	v_and_b32_e32 v7, v7, v9
	v_cmp_eq_u32_e32 vcc_lo, v7, v8
	s_and_b32 exec_lo, exec_lo, vcc_lo
	s_cbranch_execz .LBB210_98
; %bb.103:                              ;   in Loop: Header=BB210_101 Depth=2
	v_perm_b32 v6, v6, s63, 0x5040100
	ds_write_b32 v3, v6 offset:3072
	s_branch .LBB210_98
.LBB210_104:                            ;   in Loop: Header=BB210_101 Depth=2
	s_mov_b32 s72, -1
	s_mov_b32 s28, -1
                                        ; implicit-def: $vgpr4_vgpr5
                                        ; implicit-def: $vgpr2
	s_branch .LBB210_100
.LBB210_105:                            ;   in Loop: Header=BB210_18 Depth=1
	s_or_b32 exec_lo, exec_lo, s11
	s_waitcnt lgkmcnt(0)
	s_barrier
	buffer_gl0_inv
	s_and_saveexec_b32 s6, s3
	s_cbranch_execz .LBB210_107
; %bb.106:                              ;   in Loop: Header=BB210_18 Depth=1
	ds_read_b32 v4, v3 offset:5144
	s_waitcnt lgkmcnt(0)
	v_ashrrev_i32_e32 v5, 31, v4
	ds_write_b64 v3, v[4:5] offset:5120
.LBB210_107:                            ;   in Loop: Header=BB210_18 Depth=1
	s_or_b32 exec_lo, exec_lo, s6
	s_waitcnt lgkmcnt(0)
	s_mov_b32 s6, -1
	s_barrier
	s_and_b32 vcc_lo, exec_lo, s8
	s_cbranch_vccnz .LBB210_33
	s_branch .LBB210_48
.LBB210_108:                            ;   in Loop: Header=BB210_18 Depth=1
	s_or_b32 exec_lo, exec_lo, s24
	v_lshrrev_b32_e32 v10, 16, v6
	s_and_b32 s24, s70, exec_lo
.LBB210_109:                            ;   in Loop: Header=BB210_18 Depth=1
	s_or_b32 exec_lo, exec_lo, s25
.LBB210_110:                            ;   in Loop: Header=BB210_18 Depth=1
	s_and_b32 vcc_lo, exec_lo, s8
	s_cbranch_vccz .LBB210_125
; %bb.111:                              ;   in Loop: Header=BB210_18 Depth=1
	s_mov_b32 s72, s71
	s_cmp_lg_u64 s[72:73], 0
	s_cbranch_scc0 .LBB210_154
; %bb.112:                              ;   in Loop: Header=BB210_18 Depth=1
	v_cvt_f32_u32_e32 v2, s35
	s_sub_u32 s8, 0, s35
	s_subb_u32 s20, 0, 0
	v_fmac_f32_e64 v2, 0x4f800000, 0
	v_rcp_f32_e32 v2, v2
	v_mul_f32_e32 v2, 0x5f7ffffc, v2
	v_mul_f32_e32 v4, 0x2f800000, v2
	v_trunc_f32_e32 v4, v4
	v_fmac_f32_e32 v2, 0xcf800000, v4
	v_cvt_u32_f32_e32 v4, v4
	v_cvt_u32_f32_e32 v2, v2
	v_readfirstlane_b32 s1, v4
	v_readfirstlane_b32 s7, v2
	s_mul_i32 s21, s8, s1
	s_mul_hi_u32 s23, s8, s7
	s_mul_i32 s22, s20, s7
	s_add_i32 s21, s23, s21
	s_mul_i32 s25, s8, s7
	s_add_i32 s21, s21, s22
	s_mul_hi_u32 s23, s7, s25
	s_mul_i32 s40, s7, s21
	s_mul_hi_u32 s28, s1, s25
	s_mul_i32 s22, s1, s25
	s_mul_hi_u32 s25, s7, s21
	s_add_u32 s23, s23, s40
	s_addc_u32 s25, 0, s25
	s_mul_hi_u32 s41, s1, s21
	s_add_u32 s22, s23, s22
	s_mul_i32 s21, s1, s21
	s_addc_u32 s22, s25, s28
	s_addc_u32 s23, s41, 0
	s_add_u32 s21, s22, s21
	s_addc_u32 s22, 0, s23
	s_add_u32 s7, s7, s21
	s_cselect_b32 s21, -1, 0
	s_mul_hi_u32 s23, s8, s7
	s_cmp_lg_u32 s21, 0
	s_mul_i32 s21, s8, s7
	s_addc_u32 s1, s1, s22
	s_mul_i32 s20, s20, s7
	s_mul_i32 s8, s8, s1
	s_mul_hi_u32 s22, s7, s21
	s_add_i32 s8, s23, s8
	s_mul_hi_u32 s23, s1, s21
	s_add_i32 s8, s8, s20
	s_mul_i32 s20, s1, s21
	s_mul_i32 s28, s7, s8
	s_mul_hi_u32 s25, s7, s8
	s_add_u32 s22, s22, s28
	s_addc_u32 s25, 0, s25
	s_mul_hi_u32 s21, s1, s8
	s_add_u32 s20, s22, s20
	s_mul_i32 s8, s1, s8
	s_addc_u32 s20, s25, s23
	s_addc_u32 s21, s21, 0
	s_add_u32 s8, s20, s8
	s_addc_u32 s20, 0, s21
	s_add_u32 s7, s7, s8
	s_cselect_b32 s8, -1, 0
	s_mul_hi_u32 s21, s96, s7
	s_cmp_lg_u32 s8, 0
	s_mul_hi_u32 s8, s73, s7
	s_addc_u32 s1, s1, s20
	s_mul_i32 s7, s73, s7
	s_mul_i32 s22, s96, s1
	s_mul_hi_u32 s20, s96, s1
	s_add_u32 s21, s21, s22
	s_addc_u32 s20, 0, s20
	s_mul_hi_u32 s23, s73, s1
	s_add_u32 s7, s21, s7
	s_mul_i32 s1, s73, s1
	s_addc_u32 s7, s20, s8
	s_addc_u32 s8, s23, 0
	s_add_u32 s1, s7, s1
	s_addc_u32 s7, 0, s8
	s_mul_hi_u32 s8, s35, s1
	s_mul_i32 s7, s35, s7
	s_mul_i32 s1, s35, s1
	s_add_i32 s8, s8, s7
	s_sub_u32 s1, s96, s1
	s_cselect_b32 s7, -1, 0
	s_cmp_lg_u32 s7, 0
	s_subb_u32 s7, s73, s8
	s_sub_u32 s8, s1, s35
	s_cselect_b32 s20, -1, 0
	s_cmp_lg_u32 s20, 0
	s_subb_u32 s20, s7, 0
	;; [unrolled: 4-line block ×3, first 2 shown]
	s_cmp_ge_u32 s8, s35
	s_cselect_b32 s23, -1, 0
	s_cmp_eq_u32 s20, 0
	s_cselect_b32 s23, s23, -1
	s_cmp_lg_u32 s23, 0
	s_cselect_b32 s20, s22, s20
	s_cselect_b32 s8, s21, s8
	s_cmp_ge_u32 s1, s35
	s_cselect_b32 s21, -1, 0
	s_cmp_eq_u32 s7, 0
	s_cselect_b32 s21, s21, -1
	s_cmp_lg_u32 s21, 0
	s_cselect_b32 s21, s20, s7
	s_cselect_b32 s20, s8, s1
	s_cbranch_execnz .LBB210_114
.LBB210_113:                            ;   in Loop: Header=BB210_18 Depth=1
	v_cvt_f32_u32_e32 v2, s35
	s_sub_i32 s7, 0, s35
	v_rcp_iflag_f32_e32 v2, v2
	v_mul_f32_e32 v2, 0x4f7ffffe, v2
	v_cvt_u32_f32_e32 v2, v2
	v_readfirstlane_b32 s1, v2
	s_mul_i32 s7, s7, s1
	s_mul_hi_u32 s7, s1, s7
	s_add_i32 s1, s1, s7
	s_mul_hi_u32 s1, s96, s1
	s_mul_i32 s1, s1, s35
	s_sub_i32 s1, s96, s1
	s_sub_i32 s7, s1, s35
	s_cmp_ge_u32 s1, s35
	s_cselect_b32 s1, s7, s1
	s_sub_i32 s7, s1, s35
	s_cmp_ge_u32 s1, s35
	s_cselect_b32 s70, s7, s1
	s_mov_b64 s[20:21], s[70:71]
.LBB210_114:                            ;   in Loop: Header=BB210_18 Depth=1
	s_sub_u32 s20, s96, s20
	s_subb_u32 s21, s73, s21
	s_mov_b32 s8, exec_lo
                                        ; implicit-def: $vgpr10
	v_cmpx_gt_u64_e64 s[20:21], v[0:1]
	s_cbranch_execz .LBB210_124
; %bb.115:                              ;   in Loop: Header=BB210_18 Depth=1
	v_mov_b32_e32 v5, v1
	v_mov_b32_e32 v4, v0
	s_mov_b32 s22, 0
                                        ; implicit-def: $sgpr23
	s_branch .LBB210_119
.LBB210_116:                            ;   in Loop: Header=BB210_119 Depth=2
	s_or_b32 exec_lo, exec_lo, s25
	s_waitcnt lgkmcnt(0)
	s_barrier
	buffer_gl0_inv
	ds_read_b32 v2, v3 offset:3072
	s_waitcnt lgkmcnt(0)
	s_barrier
	buffer_gl0_inv
	v_cmp_neq_f16_e32 vcc_lo, 0, v2
	s_cbranch_vccnz .LBB210_122
; %bb.117:                              ;   in Loop: Header=BB210_119 Depth=2
	v_add_co_u32 v4, vcc_lo, v4, s35
	v_add_co_ci_u32_e64 v5, null, 0, v5, vcc_lo
	s_mov_b32 s25, 0
	v_cmp_le_u64_e32 vcc_lo, s[20:21], v[4:5]
	s_orn2_b32 s28, vcc_lo, exec_lo
.LBB210_118:                            ;   in Loop: Header=BB210_119 Depth=2
	s_and_b32 s1, exec_lo, s28
	s_or_b32 s22, s1, s22
	s_andn2_b32 s1, s23, exec_lo
	s_and_b32 s7, s25, exec_lo
	s_or_b32 s23, s1, s7
	s_andn2_b32 exec_lo, exec_lo, s22
	s_cbranch_execz .LBB210_123
.LBB210_119:                            ;   Parent Loop BB210_18 Depth=1
                                        ; =>  This Inner Loop Header: Depth=2
	s_mov_b32 s25, exec_lo
	v_cmpx_gt_u64_e64 s[36:37], v[4:5]
	s_cbranch_execz .LBB210_116
; %bb.120:                              ;   in Loop: Header=BB210_119 Depth=2
	v_mul_lo_u32 v2, v5, s30
	v_mul_lo_u32 v10, v4, s31
	v_mad_u64_u32 v[6:7], null, v4, s30, 0
	v_add3_u32 v7, v7, v10, v2
	v_lshlrev_b64 v[6:7], 1, v[6:7]
	v_add_co_u32 v6, vcc_lo, s29, v6
	v_add_co_ci_u32_e64 v7, null, s33, v7, vcc_lo
	global_load_ushort v2, v[6:7], off
	s_waitcnt vmcnt(0)
	v_cmp_lt_i16_e32 vcc_lo, -1, v2
	v_cndmask_b32_e32 v6, 0xffff, v31, vcc_lo
	v_cmp_o_f16_e32 vcc_lo, v2, v2
	v_xor_b32_sdwa v6, v6, v2 dst_sel:DWORD dst_unused:UNUSED_PAD src0_sel:DWORD src1_sel:WORD_0
	v_cndmask_b32_e32 v6, 0xffff, v6, vcc_lo
	v_and_b32_e32 v6, v6, v9
	v_cmp_eq_u32_e32 vcc_lo, v6, v8
	s_and_b32 exec_lo, exec_lo, vcc_lo
	s_cbranch_execz .LBB210_116
; %bb.121:                              ;   in Loop: Header=BB210_119 Depth=2
	v_perm_b32 v2, v2, s63, 0x5040100
	ds_write_b32 v3, v2 offset:3072
	s_branch .LBB210_116
.LBB210_122:                            ;   in Loop: Header=BB210_119 Depth=2
	s_mov_b32 s28, -1
	s_mov_b32 s25, -1
                                        ; implicit-def: $vgpr4_vgpr5
	s_branch .LBB210_118
.LBB210_123:                            ;   in Loop: Header=BB210_18 Depth=1
	s_or_b32 exec_lo, exec_lo, s22
	v_lshrrev_b32_e32 v10, 16, v2
	s_andn2_b32 s1, s24, exec_lo
	s_and_b32 s7, s23, exec_lo
	s_or_b32 s24, s1, s7
.LBB210_124:                            ;   in Loop: Header=BB210_18 Depth=1
	s_or_b32 exec_lo, exec_lo, s8
	s_mov_b32 s77, 0
	s_mov_b32 s78, -1
.LBB210_125:                            ;   in Loop: Header=BB210_18 Depth=1
	s_orn2_b32 s8, s24, exec_lo
.LBB210_126:                            ;   in Loop: Header=BB210_18 Depth=1
	s_or_b32 exec_lo, exec_lo, s51
	s_mov_b32 s79, 0
	s_mov_b32 s76, 0
	;; [unrolled: 1-line block ×3, first 2 shown]
                                        ; implicit-def: $vgpr4_vgpr5
                                        ; implicit-def: $vgpr2
	s_and_saveexec_b32 s80, s8
	s_cbranch_execz .LBB210_290
; %bb.127:                              ;   in Loop: Header=BB210_18 Depth=1
	v_mov_b32_e32 v4, 1
	v_mov_b32_e32 v5, 0
	;; [unrolled: 1-line block ×3, first 2 shown]
	s_xor_b32 s1, s6, -1
	s_mov_b32 s20, 0
	s_and_saveexec_b32 s6, s1
	s_cbranch_execz .LBB210_136
; %bb.128:                              ;   in Loop: Header=BB210_18 Depth=1
	s_mov_b32 s1, exec_lo
	v_cmpx_ge_u64_e64 s[12:13], v[19:20]
	s_xor_b32 s8, exec_lo, s1
	s_cbranch_execz .LBB210_133
; %bb.129:                              ;   in Loop: Header=BB210_18 Depth=1
	ds_read_b64 v[4:5], v3 offset:5120
	v_and_b32_e32 v8, s26, v8
	v_or_b32_e32 v9, s11, v9
	s_waitcnt lgkmcnt(0)
	v_cmp_ne_u64_e32 vcc_lo, 0, v[4:5]
	s_cbranch_vccnz .LBB210_133
; %bb.130:                              ;   in Loop: Header=BB210_18 Depth=1
	s_and_saveexec_b32 s20, s3
; %bb.131:                              ;   in Loop: Header=BB210_18 Depth=1
	v_mov_b32_e32 v4, s12
	v_mov_b32_e32 v5, s13
	ds_write_b64 v3, v[4:5] offset:5128
; %bb.132:                              ;   in Loop: Header=BB210_18 Depth=1
	s_or_b32 exec_lo, exec_lo, s20
	s_waitcnt lgkmcnt(0)
	s_barrier
	buffer_gl0_inv
.LBB210_133:                            ;   in Loop: Header=BB210_18 Depth=1
	s_or_saveexec_b32 s8, s8
	v_mov_b32_e32 v4, v19
	v_mov_b32_e32 v2, 8
	v_mov_b32_e32 v5, v20
	s_mov_b32 s20, 0
	s_xor_b32 exec_lo, exec_lo, s8
; %bb.134:                              ;   in Loop: Header=BB210_18 Depth=1
	v_sub_co_u32 v4, vcc_lo, v19, s12
	v_subrev_co_ci_u32_e64 v5, null, s13, v20, vcc_lo
	v_mov_b32_e32 v2, 0
	s_mov_b32 s20, exec_lo
; %bb.135:                              ;   in Loop: Header=BB210_18 Depth=1
	s_or_b32 exec_lo, exec_lo, s8
	s_and_b32 s20, s20, exec_lo
.LBB210_136:                            ;   in Loop: Header=BB210_18 Depth=1
	s_or_b32 exec_lo, exec_lo, s6
	s_mov_b32 s8, -1
                                        ; implicit-def: $sgpr51
                                        ; implicit-def: $sgpr76
	s_and_saveexec_b32 s1, s20
	s_xor_b32 s6, exec_lo, s1
	s_cbranch_execz .LBB210_287
; %bb.137:                              ;   in Loop: Header=BB210_18 Depth=1
	v_cmp_eq_u64_e32 vcc_lo, 1, v[4:5]
	s_cmp_eq_u64 s[14:15], 1
                                        ; implicit-def: $sgpr76
                                        ; implicit-def: $sgpr51
	s_cselect_b32 s8, -1, 0
	s_and_b32 s82, s8, vcc_lo
	s_mov_b32 s8, -1
	s_and_saveexec_b32 s81, s82
	s_cbranch_execz .LBB210_173
; %bb.138:                              ;   in Loop: Header=BB210_18 Depth=1
	ds_read_b64 v[6:7], v3 offset:5120
	s_waitcnt lgkmcnt(0)
	s_barrier
	buffer_gl0_inv
	v_readfirstlane_b32 s20, v6
	v_readfirstlane_b32 s21, v7
	s_and_saveexec_b32 s8, s10
; %bb.139:                              ;   in Loop: Header=BB210_18 Depth=1
	ds_write_b16 v26, v3
; %bb.140:                              ;   in Loop: Header=BB210_18 Depth=1
	s_or_b32 exec_lo, exec_lo, s8
	s_lshl_b32 s8, 1, s69
	v_or_b32_e32 v9, s11, v9
	v_and_or_b32 v8, v8, s26, s8
	s_mov_b32 s51, -1
	s_mov_b32 s76, 0
	s_cmp_eq_u64 s[20:21], 0
	s_mov_b32 s24, 0
	s_mov_b32 s8, -1
	s_waitcnt lgkmcnt(0)
	s_barrier
	buffer_gl0_inv
                                        ; implicit-def: $vgpr10
	s_cbranch_scc1 .LBB210_157
; %bb.141:                              ;   in Loop: Header=BB210_18 Depth=1
	s_add_u32 s72, s20, s94
	s_addc_u32 s23, s21, s95
	s_mov_b32 s22, s71
	s_cmp_lg_u64 s[22:23], 0
	s_cbranch_scc0 .LBB210_200
; %bb.142:                              ;   in Loop: Header=BB210_18 Depth=1
	v_cvt_f32_u32_e32 v6, s35
	s_sub_u32 s24, 0, s35
	s_subb_u32 s25, 0, 0
	v_fmac_f32_e64 v6, 0x4f800000, 0
	v_rcp_f32_e32 v6, v6
	v_mul_f32_e32 v6, 0x5f7ffffc, v6
	v_mul_f32_e32 v7, 0x2f800000, v6
	v_trunc_f32_e32 v7, v7
	v_fmac_f32_e32 v6, 0xcf800000, v7
	v_cvt_u32_f32_e32 v7, v7
	v_cvt_u32_f32_e32 v6, v6
	v_readfirstlane_b32 s8, v7
	v_readfirstlane_b32 s22, v6
	s_mul_i32 s28, s24, s8
	s_mul_hi_u32 s83, s24, s22
	s_mul_i32 s70, s25, s22
	s_add_i32 s28, s83, s28
	s_mul_i32 s84, s24, s22
	s_add_i32 s28, s28, s70
	s_mul_hi_u32 s83, s22, s84
	s_mul_i32 s86, s22, s28
	s_mul_hi_u32 s85, s8, s84
	s_mul_i32 s70, s8, s84
	s_mul_hi_u32 s84, s22, s28
	s_add_u32 s83, s83, s86
	s_addc_u32 s84, 0, s84
	s_mul_hi_u32 s87, s8, s28
	s_add_u32 s70, s83, s70
	s_mul_i32 s28, s8, s28
	s_addc_u32 s70, s84, s85
	s_addc_u32 s83, s87, 0
	s_add_u32 s28, s70, s28
	s_addc_u32 s70, 0, s83
	s_add_u32 s22, s22, s28
	s_cselect_b32 s28, -1, 0
	s_mul_hi_u32 s83, s24, s22
	s_cmp_lg_u32 s28, 0
	s_mul_i32 s28, s24, s22
	s_addc_u32 s8, s8, s70
	s_mul_i32 s25, s25, s22
	s_mul_i32 s24, s24, s8
	s_mul_hi_u32 s70, s22, s28
	s_add_i32 s24, s83, s24
	s_mul_hi_u32 s83, s8, s28
	s_add_i32 s24, s24, s25
	s_mul_i32 s25, s8, s28
	s_mul_i32 s85, s22, s24
	s_mul_hi_u32 s84, s22, s24
	s_add_u32 s70, s70, s85
	s_addc_u32 s84, 0, s84
	s_mul_hi_u32 s28, s8, s24
	s_add_u32 s25, s70, s25
	s_mul_i32 s24, s8, s24
	s_addc_u32 s25, s84, s83
	s_addc_u32 s28, s28, 0
	s_add_u32 s24, s25, s24
	s_addc_u32 s25, 0, s28
	s_add_u32 s22, s22, s24
	s_cselect_b32 s24, -1, 0
	s_mul_hi_u32 s28, s72, s22
	s_cmp_lg_u32 s24, 0
	s_mul_hi_u32 s24, s23, s22
	s_addc_u32 s8, s8, s25
	s_mul_i32 s22, s23, s22
	s_mul_i32 s70, s72, s8
	s_mul_hi_u32 s25, s72, s8
	s_add_u32 s28, s28, s70
	s_addc_u32 s25, 0, s25
	s_mul_hi_u32 s83, s23, s8
	s_add_u32 s22, s28, s22
	s_mul_i32 s8, s23, s8
	s_addc_u32 s22, s25, s24
	s_addc_u32 s24, s83, 0
	s_add_u32 s8, s22, s8
	s_addc_u32 s22, 0, s24
	s_mul_hi_u32 s24, s35, s8
	s_mul_i32 s22, s35, s22
	s_mul_i32 s8, s35, s8
	s_add_i32 s24, s24, s22
	s_sub_u32 s8, s72, s8
	s_cselect_b32 s22, -1, 0
	s_cmp_lg_u32 s22, 0
	s_subb_u32 s22, s23, s24
	s_sub_u32 s24, s8, s35
	s_cselect_b32 s25, -1, 0
	s_cmp_lg_u32 s25, 0
	s_subb_u32 s25, s22, 0
	;; [unrolled: 4-line block ×3, first 2 shown]
	s_cmp_ge_u32 s24, s35
	s_cselect_b32 s83, -1, 0
	s_cmp_eq_u32 s25, 0
	s_cselect_b32 s83, s83, -1
	s_cmp_lg_u32 s83, 0
	s_cselect_b32 s25, s70, s25
	s_cselect_b32 s24, s28, s24
	s_cmp_ge_u32 s8, s35
	s_cselect_b32 s28, -1, 0
	s_cmp_eq_u32 s22, 0
	s_cselect_b32 s28, s28, -1
	s_cmp_lg_u32 s28, 0
	s_cselect_b32 s25, s25, s22
	s_cselect_b32 s24, s24, s8
	s_cbranch_execnz .LBB210_144
.LBB210_143:                            ;   in Loop: Header=BB210_18 Depth=1
	v_cvt_f32_u32_e32 v6, s35
	s_sub_i32 s22, 0, s35
	v_rcp_iflag_f32_e32 v6, v6
	v_mul_f32_e32 v6, 0x4f7ffffe, v6
	v_cvt_u32_f32_e32 v6, v6
	v_readfirstlane_b32 s8, v6
	s_mul_i32 s22, s22, s8
	s_mul_hi_u32 s22, s8, s22
	s_add_i32 s8, s8, s22
	s_mul_hi_u32 s8, s72, s8
	s_mul_i32 s8, s8, s35
	s_sub_i32 s8, s72, s8
	s_sub_i32 s22, s8, s35
	s_cmp_ge_u32 s8, s35
	s_cselect_b32 s8, s22, s8
	s_sub_i32 s22, s8, s35
	s_cmp_ge_u32 s8, s35
	s_cselect_b32 s70, s22, s8
	s_mov_b64 s[24:25], s[70:71]
.LBB210_144:                            ;   in Loop: Header=BB210_18 Depth=1
	s_sub_u32 s22, s72, s24
	s_subb_u32 s23, s23, s25
	s_mov_b32 s8, 0
	s_mov_b32 s24, 0
	s_mov_b32 s25, exec_lo
                                        ; implicit-def: $vgpr10
	v_cmpx_gt_u64_e64 s[22:23], v[0:1]
	s_cbranch_execz .LBB210_156
; %bb.145:                              ;   in Loop: Header=BB210_18 Depth=1
	v_mov_b32_e32 v7, v1
	v_mov_b32_e32 v10, v25
	;; [unrolled: 1-line block ×3, first 2 shown]
                                        ; implicit-def: $sgpr70
	s_branch .LBB210_149
.LBB210_146:                            ;   in Loop: Header=BB210_149 Depth=2
	s_or_b32 exec_lo, exec_lo, s72
	s_waitcnt lgkmcnt(0)
	s_barrier
	buffer_gl0_inv
	ds_read_b32 v11, v3 offset:3072
	s_waitcnt lgkmcnt(0)
	s_barrier
	buffer_gl0_inv
	v_cmp_neq_f16_e32 vcc_lo, 0, v11
	s_cbranch_vccnz .LBB210_152
; %bb.147:                              ;   in Loop: Header=BB210_149 Depth=2
	v_add_co_u32 v6, vcc_lo, v6, s35
	v_add_co_ci_u32_e64 v7, null, 0, v7, vcc_lo
	v_add_nc_u32_e32 v10, s68, v10
	s_mov_b32 s28, 0
	v_cmp_le_u64_e32 vcc_lo, s[22:23], v[6:7]
	s_orn2_b32 s72, vcc_lo, exec_lo
.LBB210_148:                            ;   in Loop: Header=BB210_149 Depth=2
	s_and_b32 s1, exec_lo, s72
	s_or_b32 s24, s1, s24
	s_andn2_b32 s1, s70, exec_lo
	s_and_b32 s7, s28, exec_lo
	s_or_b32 s70, s1, s7
	s_andn2_b32 exec_lo, exec_lo, s24
	s_cbranch_execz .LBB210_155
.LBB210_149:                            ;   Parent Loop BB210_18 Depth=1
                                        ; =>  This Inner Loop Header: Depth=2
	s_mov_b32 s72, exec_lo
	v_cmpx_gt_u64_e64 s[20:21], v[6:7]
	s_cbranch_execz .LBB210_146
; %bb.150:                              ;   in Loop: Header=BB210_149 Depth=2
	ds_read_u16 v11, v10
	s_waitcnt lgkmcnt(0)
	v_cmp_lt_i16_e32 vcc_lo, -1, v11
	v_cndmask_b32_e32 v21, 0xffff, v31, vcc_lo
	v_cmp_o_f16_e32 vcc_lo, v11, v11
	v_xor_b32_sdwa v21, v21, v11 dst_sel:DWORD dst_unused:UNUSED_PAD src0_sel:DWORD src1_sel:WORD_0
	v_cndmask_b32_e32 v21, 0xffff, v21, vcc_lo
	v_and_b32_e32 v21, v21, v9
	v_cmp_eq_u32_e32 vcc_lo, v21, v8
	s_and_b32 exec_lo, exec_lo, vcc_lo
	s_cbranch_execz .LBB210_146
; %bb.151:                              ;   in Loop: Header=BB210_149 Depth=2
	v_perm_b32 v11, v11, s63, 0x5040100
	ds_write_b32 v3, v11 offset:3072
	s_branch .LBB210_146
.LBB210_152:                            ;   in Loop: Header=BB210_149 Depth=2
	s_mov_b32 s72, -1
	s_mov_b32 s28, -1
                                        ; implicit-def: $vgpr6_vgpr7
                                        ; implicit-def: $vgpr10
	s_branch .LBB210_148
.LBB210_153:                            ;   in Loop: Header=BB210_18 Depth=1
                                        ; implicit-def: $sgpr24_sgpr25
	s_branch .LBB210_95
.LBB210_154:                            ;   in Loop: Header=BB210_18 Depth=1
                                        ; implicit-def: $sgpr20_sgpr21
	s_branch .LBB210_113
.LBB210_155:                            ;   in Loop: Header=BB210_18 Depth=1
	s_or_b32 exec_lo, exec_lo, s24
	v_lshrrev_b32_e32 v10, 16, v11
	s_and_b32 s24, s70, exec_lo
.LBB210_156:                            ;   in Loop: Header=BB210_18 Depth=1
	s_or_b32 exec_lo, exec_lo, s25
.LBB210_157:                            ;   in Loop: Header=BB210_18 Depth=1
	s_and_b32 vcc_lo, exec_lo, s8
	s_cbranch_vccz .LBB210_172
; %bb.158:                              ;   in Loop: Header=BB210_18 Depth=1
	s_mov_b32 s72, s71
	s_cmp_lg_u64 s[72:73], 0
	s_cbranch_scc0 .LBB210_201
; %bb.159:                              ;   in Loop: Header=BB210_18 Depth=1
	v_cvt_f32_u32_e32 v6, s35
	s_sub_u32 s21, 0, s35
	s_subb_u32 s22, 0, 0
	v_fmac_f32_e64 v6, 0x4f800000, 0
	v_rcp_f32_e32 v6, v6
	v_mul_f32_e32 v6, 0x5f7ffffc, v6
	v_mul_f32_e32 v7, 0x2f800000, v6
	v_trunc_f32_e32 v7, v7
	v_fmac_f32_e32 v6, 0xcf800000, v7
	v_cvt_u32_f32_e32 v7, v7
	v_cvt_u32_f32_e32 v6, v6
	v_readfirstlane_b32 s8, v7
	v_readfirstlane_b32 s20, v6
	s_mul_i32 s23, s21, s8
	s_mul_hi_u32 s28, s21, s20
	s_mul_i32 s25, s22, s20
	s_add_i32 s23, s28, s23
	s_mul_i32 s51, s21, s20
	s_add_i32 s23, s23, s25
	s_mul_hi_u32 s28, s20, s51
	s_mul_i32 s72, s20, s23
	s_mul_hi_u32 s70, s8, s51
	s_mul_i32 s25, s8, s51
	s_mul_hi_u32 s51, s20, s23
	s_add_u32 s28, s28, s72
	s_addc_u32 s51, 0, s51
	s_mul_hi_u32 s76, s8, s23
	s_add_u32 s25, s28, s25
	s_mul_i32 s23, s8, s23
	s_addc_u32 s25, s51, s70
	s_addc_u32 s28, s76, 0
	s_add_u32 s23, s25, s23
	s_addc_u32 s25, 0, s28
	s_add_u32 s20, s20, s23
	s_cselect_b32 s23, -1, 0
	s_mul_hi_u32 s28, s21, s20
	s_cmp_lg_u32 s23, 0
	s_mul_i32 s23, s21, s20
	s_addc_u32 s8, s8, s25
	s_mul_i32 s22, s22, s20
	s_mul_i32 s21, s21, s8
	s_mul_hi_u32 s25, s20, s23
	s_add_i32 s21, s28, s21
	s_mul_hi_u32 s28, s8, s23
	s_add_i32 s21, s21, s22
	s_mul_i32 s22, s8, s23
	s_mul_i32 s70, s20, s21
	s_mul_hi_u32 s51, s20, s21
	s_add_u32 s25, s25, s70
	s_addc_u32 s51, 0, s51
	s_mul_hi_u32 s23, s8, s21
	s_add_u32 s22, s25, s22
	s_mul_i32 s21, s8, s21
	s_addc_u32 s22, s51, s28
	s_addc_u32 s23, s23, 0
	s_add_u32 s21, s22, s21
	s_addc_u32 s22, 0, s23
	s_add_u32 s20, s20, s21
	s_cselect_b32 s21, -1, 0
	s_mul_hi_u32 s23, s96, s20
	s_cmp_lg_u32 s21, 0
	s_mul_hi_u32 s21, s73, s20
	s_addc_u32 s8, s8, s22
	s_mul_i32 s20, s73, s20
	s_mul_i32 s25, s96, s8
	s_mul_hi_u32 s22, s96, s8
	s_add_u32 s23, s23, s25
	s_addc_u32 s22, 0, s22
	s_mul_hi_u32 s28, s73, s8
	s_add_u32 s20, s23, s20
	s_mul_i32 s8, s73, s8
	s_addc_u32 s20, s22, s21
	s_addc_u32 s21, s28, 0
	s_add_u32 s8, s20, s8
	s_addc_u32 s20, 0, s21
	s_mul_hi_u32 s21, s35, s8
	s_mul_i32 s20, s35, s20
	s_mul_i32 s8, s35, s8
	s_add_i32 s21, s21, s20
	s_sub_u32 s8, s96, s8
	s_cselect_b32 s20, -1, 0
	s_cmp_lg_u32 s20, 0
	s_subb_u32 s20, s73, s21
	s_sub_u32 s21, s8, s35
	s_cselect_b32 s22, -1, 0
	s_cmp_lg_u32 s22, 0
	s_subb_u32 s22, s20, 0
	;; [unrolled: 4-line block ×3, first 2 shown]
	s_cmp_ge_u32 s21, s35
	s_cselect_b32 s28, -1, 0
	s_cmp_eq_u32 s22, 0
	s_cselect_b32 s28, s28, -1
	s_cmp_lg_u32 s28, 0
	s_cselect_b32 s22, s25, s22
	s_cselect_b32 s23, s23, s21
	s_cmp_ge_u32 s8, s35
	s_cselect_b32 s21, -1, 0
	s_cmp_eq_u32 s20, 0
	s_cselect_b32 s21, s21, -1
	s_cmp_lg_u32 s21, 0
	s_cselect_b32 s21, s22, s20
	s_cselect_b32 s20, s23, s8
	s_cbranch_execnz .LBB210_161
.LBB210_160:                            ;   in Loop: Header=BB210_18 Depth=1
	v_cvt_f32_u32_e32 v6, s35
	s_sub_i32 s20, 0, s35
	v_rcp_iflag_f32_e32 v6, v6
	v_mul_f32_e32 v6, 0x4f7ffffe, v6
	v_cvt_u32_f32_e32 v6, v6
	v_readfirstlane_b32 s8, v6
	s_mul_i32 s20, s20, s8
	s_mul_hi_u32 s20, s8, s20
	s_add_i32 s8, s8, s20
	s_mul_hi_u32 s8, s96, s8
	s_mul_i32 s8, s8, s35
	s_sub_i32 s8, s96, s8
	s_sub_i32 s20, s8, s35
	s_cmp_ge_u32 s8, s35
	s_cselect_b32 s8, s20, s8
	s_sub_i32 s20, s8, s35
	s_cmp_ge_u32 s8, s35
	s_cselect_b32 s70, s20, s8
	s_mov_b64 s[20:21], s[70:71]
.LBB210_161:                            ;   in Loop: Header=BB210_18 Depth=1
	s_sub_u32 s20, s96, s20
	s_subb_u32 s21, s73, s21
	s_mov_b32 s8, exec_lo
                                        ; implicit-def: $vgpr10
	v_cmpx_gt_u64_e64 s[20:21], v[0:1]
	s_cbranch_execz .LBB210_171
; %bb.162:                              ;   in Loop: Header=BB210_18 Depth=1
	v_mov_b32_e32 v7, v1
	v_mov_b32_e32 v6, v0
	s_mov_b32 s22, 0
                                        ; implicit-def: $sgpr23
	s_branch .LBB210_166
.LBB210_163:                            ;   in Loop: Header=BB210_166 Depth=2
	s_or_b32 exec_lo, exec_lo, s25
	s_waitcnt lgkmcnt(0)
	s_barrier
	buffer_gl0_inv
	ds_read_b32 v10, v3 offset:3072
	s_waitcnt lgkmcnt(0)
	s_barrier
	buffer_gl0_inv
	v_cmp_eq_f16_e32 vcc_lo, 0, v10
	s_cbranch_vccz .LBB210_169
; %bb.164:                              ;   in Loop: Header=BB210_166 Depth=2
	v_add_co_u32 v6, vcc_lo, v6, s35
	v_add_co_ci_u32_e64 v7, null, 0, v7, vcc_lo
	s_mov_b32 s25, 0
	v_cmp_le_u64_e32 vcc_lo, s[20:21], v[6:7]
	s_orn2_b32 s28, vcc_lo, exec_lo
.LBB210_165:                            ;   in Loop: Header=BB210_166 Depth=2
	s_and_b32 s1, exec_lo, s28
	s_or_b32 s22, s1, s22
	s_andn2_b32 s1, s23, exec_lo
	s_and_b32 s7, s25, exec_lo
	s_or_b32 s23, s1, s7
	s_andn2_b32 exec_lo, exec_lo, s22
	s_cbranch_execz .LBB210_170
.LBB210_166:                            ;   Parent Loop BB210_18 Depth=1
                                        ; =>  This Inner Loop Header: Depth=2
	s_mov_b32 s25, exec_lo
	v_cmpx_gt_u64_e64 s[36:37], v[6:7]
	s_cbranch_execz .LBB210_163
; %bb.167:                              ;   in Loop: Header=BB210_166 Depth=2
	v_mul_lo_u32 v21, v7, s30
	v_mul_lo_u32 v22, v6, s31
	v_mad_u64_u32 v[10:11], null, v6, s30, 0
	v_add3_u32 v11, v11, v22, v21
	v_lshlrev_b64 v[10:11], 1, v[10:11]
	v_add_co_u32 v10, vcc_lo, s29, v10
	v_add_co_ci_u32_e64 v11, null, s33, v11, vcc_lo
	global_load_ushort v10, v[10:11], off
	s_waitcnt vmcnt(0)
	v_cmp_lt_i16_e32 vcc_lo, -1, v10
	v_cndmask_b32_e32 v11, 0xffff, v31, vcc_lo
	v_cmp_o_f16_e32 vcc_lo, v10, v10
	v_xor_b32_sdwa v11, v11, v10 dst_sel:DWORD dst_unused:UNUSED_PAD src0_sel:DWORD src1_sel:WORD_0
	v_cndmask_b32_e32 v11, 0xffff, v11, vcc_lo
	v_and_b32_e32 v11, v11, v9
	v_cmp_eq_u32_e32 vcc_lo, v11, v8
	s_and_b32 exec_lo, exec_lo, vcc_lo
	s_cbranch_execz .LBB210_163
; %bb.168:                              ;   in Loop: Header=BB210_166 Depth=2
	v_perm_b32 v10, v10, s63, 0x5040100
	ds_write_b32 v3, v10 offset:3072
	s_branch .LBB210_163
.LBB210_169:                            ;   in Loop: Header=BB210_166 Depth=2
	s_mov_b32 s28, -1
	s_mov_b32 s25, -1
                                        ; implicit-def: $vgpr6_vgpr7
	s_branch .LBB210_165
.LBB210_170:                            ;   in Loop: Header=BB210_18 Depth=1
	s_or_b32 exec_lo, exec_lo, s22
	v_lshrrev_b32_e32 v10, 16, v10
	s_andn2_b32 s1, s24, exec_lo
	s_and_b32 s7, s23, exec_lo
	s_or_b32 s24, s1, s7
.LBB210_171:                            ;   in Loop: Header=BB210_18 Depth=1
	s_or_b32 exec_lo, exec_lo, s8
	s_mov_b32 s51, 0
	s_mov_b32 s76, -1
.LBB210_172:                            ;   in Loop: Header=BB210_18 Depth=1
	s_orn2_b32 s8, s24, exec_lo
.LBB210_173:                            ;   in Loop: Header=BB210_18 Depth=1
	s_or_b32 exec_lo, exec_lo, s81
	s_mov_b32 s20, 0
	s_and_saveexec_b32 s81, s8
	s_cbranch_execz .LBB210_286
; %bb.174:                              ;   in Loop: Header=BB210_18 Depth=1
	v_mov_b32_e32 v6, 1
	v_mov_b32_e32 v7, 0
	;; [unrolled: 1-line block ×3, first 2 shown]
	s_xor_b32 s21, s82, -1
	s_and_saveexec_b32 s8, s21
	s_cbranch_execz .LBB210_183
; %bb.175:                              ;   in Loop: Header=BB210_18 Depth=1
	s_mov_b32 s20, exec_lo
	v_cmpx_ge_u64_e64 s[14:15], v[4:5]
	s_xor_b32 s20, exec_lo, s20
	s_cbranch_execz .LBB210_180
; %bb.176:                              ;   in Loop: Header=BB210_18 Depth=1
	ds_read_b64 v[6:7], v3 offset:5120
	s_lshl_b32 s21, 1, s69
	v_or_b32_e32 v9, s11, v9
	v_and_or_b32 v8, v8, s26, s21
	s_waitcnt lgkmcnt(0)
	v_cmp_ne_u64_e32 vcc_lo, 0, v[6:7]
	s_cbranch_vccnz .LBB210_180
; %bb.177:                              ;   in Loop: Header=BB210_18 Depth=1
	s_and_saveexec_b32 s21, s3
; %bb.178:                              ;   in Loop: Header=BB210_18 Depth=1
	v_mov_b32_e32 v6, s14
	v_mov_b32_e32 v7, s15
	ds_write_b64 v3, v[6:7] offset:5128
; %bb.179:                              ;   in Loop: Header=BB210_18 Depth=1
	s_or_b32 exec_lo, exec_lo, s21
	s_waitcnt lgkmcnt(0)
	s_barrier
	buffer_gl0_inv
.LBB210_180:                            ;   in Loop: Header=BB210_18 Depth=1
	s_or_saveexec_b32 s20, s20
	v_mov_b32_e32 v2, 8
	s_mov_b32 s21, 0
	s_xor_b32 exec_lo, exec_lo, s20
; %bb.181:                              ;   in Loop: Header=BB210_18 Depth=1
	v_sub_co_u32 v4, vcc_lo, v4, s14
	v_subrev_co_ci_u32_e64 v5, null, s15, v5, vcc_lo
	v_mov_b32_e32 v2, 0
	s_mov_b32 s21, exec_lo
; %bb.182:                              ;   in Loop: Header=BB210_18 Depth=1
	s_or_b32 exec_lo, exec_lo, s20
	v_mov_b32_e32 v7, v5
	v_mov_b32_e32 v6, v4
	s_and_b32 s20, s21, exec_lo
.LBB210_183:                            ;   in Loop: Header=BB210_18 Depth=1
	s_or_b32 exec_lo, exec_lo, s8
	s_mov_b32 s8, -1
                                        ; implicit-def: $sgpr83
                                        ; implicit-def: $sgpr84
	s_and_saveexec_b32 s82, s20
	s_cbranch_execz .LBB210_285
; %bb.184:                              ;   in Loop: Header=BB210_18 Depth=1
	v_cmp_eq_u64_e32 vcc_lo, 1, v[6:7]
	s_cmp_eq_u64 s[16:17], 1
                                        ; implicit-def: $sgpr84
                                        ; implicit-def: $sgpr83
	s_cselect_b32 s8, -1, 0
	s_and_b32 s86, s8, vcc_lo
	s_mov_b32 s8, -1
	s_and_saveexec_b32 s85, s86
	s_cbranch_execz .LBB210_220
; %bb.185:                              ;   in Loop: Header=BB210_18 Depth=1
	ds_read_b64 v[4:5], v3 offset:5120
	s_waitcnt lgkmcnt(0)
	s_barrier
	buffer_gl0_inv
	v_readfirstlane_b32 s20, v4
	v_readfirstlane_b32 s21, v5
	s_and_saveexec_b32 s8, s10
; %bb.186:                              ;   in Loop: Header=BB210_18 Depth=1
	ds_write_b16 v26, v3
; %bb.187:                              ;   in Loop: Header=BB210_18 Depth=1
	s_or_b32 exec_lo, exec_lo, s8
	s_lshl_b32 s8, 2, s69
	v_or_b32_e32 v9, s11, v9
	v_and_or_b32 v8, v8, s26, s8
	s_mov_b32 s83, -1
	s_mov_b32 s84, 0
	s_cmp_eq_u64 s[20:21], 0
	s_mov_b32 s24, 0
	s_mov_b32 s8, -1
	s_waitcnt lgkmcnt(0)
	s_barrier
	buffer_gl0_inv
                                        ; implicit-def: $vgpr10
	s_cbranch_scc1 .LBB210_204
; %bb.188:                              ;   in Loop: Header=BB210_18 Depth=1
	s_add_u32 s72, s20, s94
	s_addc_u32 s23, s21, s95
	s_mov_b32 s22, s71
	s_cmp_lg_u64 s[22:23], 0
	s_cbranch_scc0 .LBB210_237
; %bb.189:                              ;   in Loop: Header=BB210_18 Depth=1
	v_cvt_f32_u32_e32 v4, s35
	s_sub_u32 s24, 0, s35
	s_subb_u32 s25, 0, 0
	v_fmac_f32_e64 v4, 0x4f800000, 0
	v_rcp_f32_e32 v4, v4
	v_mul_f32_e32 v4, 0x5f7ffffc, v4
	v_mul_f32_e32 v5, 0x2f800000, v4
	v_trunc_f32_e32 v5, v5
	v_fmac_f32_e32 v4, 0xcf800000, v5
	v_cvt_u32_f32_e32 v5, v5
	v_cvt_u32_f32_e32 v4, v4
	v_readfirstlane_b32 s8, v5
	v_readfirstlane_b32 s22, v4
	s_mul_i32 s28, s24, s8
	s_mul_hi_u32 s87, s24, s22
	s_mul_i32 s70, s25, s22
	s_add_i32 s28, s87, s28
	s_mul_i32 s88, s24, s22
	s_add_i32 s28, s28, s70
	s_mul_hi_u32 s87, s22, s88
	s_mul_i32 vcc_lo, s22, s28
	s_mul_hi_u32 s89, s8, s88
	s_mul_i32 s70, s8, s88
	s_mul_hi_u32 s88, s22, s28
	s_add_u32 s87, s87, vcc_lo
	s_addc_u32 s88, 0, s88
	s_mul_hi_u32 s58, s8, s28
	s_add_u32 s70, s87, s70
	s_mul_i32 s28, s8, s28
	s_addc_u32 s70, s88, s89
	s_addc_u32 s58, s58, 0
	s_add_u32 s28, s70, s28
	s_addc_u32 s58, 0, s58
	s_add_u32 s22, s22, s28
	s_cselect_b32 s28, -1, 0
	s_mul_hi_u32 s70, s24, s22
	s_cmp_lg_u32 s28, 0
	s_mul_i32 s28, s24, s22
	s_addc_u32 s8, s8, s58
	s_mul_i32 s25, s25, s22
	s_mul_i32 s24, s24, s8
	s_mul_hi_u32 s58, s22, s28
	s_add_i32 s24, s70, s24
	s_mul_hi_u32 s70, s8, s28
	s_add_i32 s24, s24, s25
	s_mul_i32 s25, s8, s28
	s_mul_i32 s88, s22, s24
	s_mul_hi_u32 s87, s22, s24
	s_add_u32 s58, s58, s88
	s_addc_u32 s87, 0, s87
	s_mul_hi_u32 s28, s8, s24
	s_add_u32 s25, s58, s25
	s_mul_i32 s24, s8, s24
	s_addc_u32 s25, s87, s70
	s_addc_u32 s28, s28, 0
	s_add_u32 s24, s25, s24
	s_addc_u32 s25, 0, s28
	s_add_u32 s22, s22, s24
	s_cselect_b32 s24, -1, 0
	s_mul_hi_u32 s28, s72, s22
	s_cmp_lg_u32 s24, 0
	s_mul_hi_u32 s24, s23, s22
	s_addc_u32 s8, s8, s25
	s_mul_i32 s22, s23, s22
	s_mul_i32 s58, s72, s8
	s_mul_hi_u32 s25, s72, s8
	s_add_u32 s28, s28, s58
	s_addc_u32 s25, 0, s25
	s_mul_hi_u32 s70, s23, s8
	s_add_u32 s22, s28, s22
	s_mul_i32 s8, s23, s8
	s_addc_u32 s22, s25, s24
	s_addc_u32 s24, s70, 0
	s_add_u32 s8, s22, s8
	s_addc_u32 s22, 0, s24
	s_mul_hi_u32 s24, s35, s8
	s_mul_i32 s22, s35, s22
	s_mul_i32 s8, s35, s8
	s_add_i32 s24, s24, s22
	s_sub_u32 s8, s72, s8
	s_cselect_b32 s22, -1, 0
	s_cmp_lg_u32 s22, 0
	s_subb_u32 s22, s23, s24
	s_sub_u32 s24, s8, s35
	s_cselect_b32 s25, -1, 0
	s_cmp_lg_u32 s25, 0
	s_subb_u32 s25, s22, 0
	;; [unrolled: 4-line block ×3, first 2 shown]
	s_cmp_ge_u32 s24, s35
	s_cselect_b32 s70, -1, 0
	s_cmp_eq_u32 s25, 0
	s_cselect_b32 s70, s70, -1
	s_cmp_lg_u32 s70, 0
	s_cselect_b32 s25, s58, s25
	s_cselect_b32 s24, s28, s24
	s_cmp_ge_u32 s8, s35
	s_cselect_b32 s28, -1, 0
	s_cmp_eq_u32 s22, 0
	s_cselect_b32 s28, s28, -1
	s_cmp_lg_u32 s28, 0
	s_cselect_b32 s25, s25, s22
	s_cselect_b32 s24, s24, s8
	s_cbranch_execnz .LBB210_191
.LBB210_190:                            ;   in Loop: Header=BB210_18 Depth=1
	v_cvt_f32_u32_e32 v4, s35
	s_sub_i32 s22, 0, s35
	v_rcp_iflag_f32_e32 v4, v4
	v_mul_f32_e32 v4, 0x4f7ffffe, v4
	v_cvt_u32_f32_e32 v4, v4
	v_readfirstlane_b32 s8, v4
	s_mul_i32 s22, s22, s8
	s_mul_hi_u32 s22, s8, s22
	s_add_i32 s8, s8, s22
	s_mul_hi_u32 s8, s72, s8
	s_mul_i32 s8, s8, s35
	s_sub_i32 s8, s72, s8
	s_sub_i32 s22, s8, s35
	s_cmp_ge_u32 s8, s35
	s_cselect_b32 s8, s22, s8
	s_sub_i32 s22, s8, s35
	s_cmp_ge_u32 s8, s35
	s_cselect_b32 s70, s22, s8
	s_mov_b64 s[24:25], s[70:71]
.LBB210_191:                            ;   in Loop: Header=BB210_18 Depth=1
	s_sub_u32 s22, s72, s24
	s_subb_u32 s23, s23, s25
	s_mov_b32 s8, 0
	s_mov_b32 s24, 0
	s_mov_b32 s25, exec_lo
                                        ; implicit-def: $vgpr10
	v_cmpx_gt_u64_e64 s[22:23], v[0:1]
	s_cbranch_execz .LBB210_203
; %bb.192:                              ;   in Loop: Header=BB210_18 Depth=1
	v_mov_b32_e32 v5, v1
	v_mov_b32_e32 v10, v25
	;; [unrolled: 1-line block ×3, first 2 shown]
                                        ; implicit-def: $sgpr70
	s_branch .LBB210_196
.LBB210_193:                            ;   in Loop: Header=BB210_196 Depth=2
	s_or_b32 exec_lo, exec_lo, s72
	s_waitcnt lgkmcnt(0)
	s_barrier
	buffer_gl0_inv
	ds_read_b32 v11, v3 offset:3072
	s_waitcnt lgkmcnt(0)
	s_barrier
	buffer_gl0_inv
	v_cmp_neq_f16_e32 vcc_lo, 0, v11
	s_cbranch_vccnz .LBB210_199
; %bb.194:                              ;   in Loop: Header=BB210_196 Depth=2
	v_add_co_u32 v4, vcc_lo, v4, s35
	v_add_co_ci_u32_e64 v5, null, 0, v5, vcc_lo
	v_add_nc_u32_e32 v10, s68, v10
	s_mov_b32 s28, 0
	v_cmp_le_u64_e32 vcc_lo, s[22:23], v[4:5]
	s_orn2_b32 s72, vcc_lo, exec_lo
.LBB210_195:                            ;   in Loop: Header=BB210_196 Depth=2
	s_and_b32 s1, exec_lo, s72
	s_or_b32 s24, s1, s24
	s_andn2_b32 s1, s70, exec_lo
	s_and_b32 s7, s28, exec_lo
	s_or_b32 s70, s1, s7
	s_andn2_b32 exec_lo, exec_lo, s24
	s_cbranch_execz .LBB210_202
.LBB210_196:                            ;   Parent Loop BB210_18 Depth=1
                                        ; =>  This Inner Loop Header: Depth=2
	s_mov_b32 s72, exec_lo
	v_cmpx_gt_u64_e64 s[20:21], v[4:5]
	s_cbranch_execz .LBB210_193
; %bb.197:                              ;   in Loop: Header=BB210_196 Depth=2
	ds_read_u16 v11, v10
	s_waitcnt lgkmcnt(0)
	v_cmp_lt_i16_e32 vcc_lo, -1, v11
	v_cndmask_b32_e32 v21, 0xffff, v31, vcc_lo
	v_cmp_o_f16_e32 vcc_lo, v11, v11
	v_xor_b32_sdwa v21, v21, v11 dst_sel:DWORD dst_unused:UNUSED_PAD src0_sel:DWORD src1_sel:WORD_0
	v_cndmask_b32_e32 v21, 0xffff, v21, vcc_lo
	v_and_b32_e32 v21, v21, v9
	v_cmp_eq_u32_e32 vcc_lo, v21, v8
	s_and_b32 exec_lo, exec_lo, vcc_lo
	s_cbranch_execz .LBB210_193
; %bb.198:                              ;   in Loop: Header=BB210_196 Depth=2
	v_perm_b32 v11, v11, s63, 0x5040100
	ds_write_b32 v3, v11 offset:3072
	s_branch .LBB210_193
.LBB210_199:                            ;   in Loop: Header=BB210_196 Depth=2
	s_mov_b32 s72, -1
	s_mov_b32 s28, -1
                                        ; implicit-def: $vgpr4_vgpr5
                                        ; implicit-def: $vgpr10
	s_branch .LBB210_195
.LBB210_200:                            ;   in Loop: Header=BB210_18 Depth=1
                                        ; implicit-def: $sgpr24_sgpr25
	s_andn2_b32 vcc_lo, exec_lo, s8
	s_cbranch_vccz .LBB210_143
	s_branch .LBB210_144
.LBB210_201:                            ;   in Loop: Header=BB210_18 Depth=1
                                        ; implicit-def: $sgpr20_sgpr21
	s_branch .LBB210_160
.LBB210_202:                            ;   in Loop: Header=BB210_18 Depth=1
	s_or_b32 exec_lo, exec_lo, s24
	v_lshrrev_b32_e32 v10, 16, v11
	s_and_b32 s24, s70, exec_lo
.LBB210_203:                            ;   in Loop: Header=BB210_18 Depth=1
	s_or_b32 exec_lo, exec_lo, s25
.LBB210_204:                            ;   in Loop: Header=BB210_18 Depth=1
	s_and_b32 vcc_lo, exec_lo, s8
	s_cbranch_vccz .LBB210_219
; %bb.205:                              ;   in Loop: Header=BB210_18 Depth=1
	s_mov_b32 s72, s71
	s_cmp_lg_u64 s[72:73], 0
	s_cbranch_scc0 .LBB210_238
; %bb.206:                              ;   in Loop: Header=BB210_18 Depth=1
	v_cvt_f32_u32_e32 v4, s35
	s_sub_u32 s21, 0, s35
	s_subb_u32 s22, 0, 0
	v_fmac_f32_e64 v4, 0x4f800000, 0
	v_rcp_f32_e32 v4, v4
	v_mul_f32_e32 v4, 0x5f7ffffc, v4
	v_mul_f32_e32 v5, 0x2f800000, v4
	v_trunc_f32_e32 v5, v5
	v_fmac_f32_e32 v4, 0xcf800000, v5
	v_cvt_u32_f32_e32 v5, v5
	v_cvt_u32_f32_e32 v4, v4
	v_readfirstlane_b32 s8, v5
	v_readfirstlane_b32 s20, v4
	s_mul_i32 s23, s21, s8
	s_mul_hi_u32 s28, s21, s20
	s_mul_i32 s25, s22, s20
	s_add_i32 s23, s28, s23
	s_mul_i32 s58, s21, s20
	s_add_i32 s23, s23, s25
	s_mul_hi_u32 s28, s20, s58
	s_mul_i32 s72, s20, s23
	s_mul_hi_u32 s70, s8, s58
	s_mul_i32 s25, s8, s58
	s_mul_hi_u32 s58, s20, s23
	s_add_u32 s28, s28, s72
	s_addc_u32 s58, 0, s58
	s_mul_hi_u32 s83, s8, s23
	s_add_u32 s25, s28, s25
	s_mul_i32 s23, s8, s23
	s_addc_u32 s25, s58, s70
	s_addc_u32 s28, s83, 0
	s_add_u32 s23, s25, s23
	s_addc_u32 s25, 0, s28
	s_add_u32 s20, s20, s23
	s_cselect_b32 s23, -1, 0
	s_mul_hi_u32 s28, s21, s20
	s_cmp_lg_u32 s23, 0
	s_mul_i32 s23, s21, s20
	s_addc_u32 s8, s8, s25
	s_mul_i32 s22, s22, s20
	s_mul_i32 s21, s21, s8
	s_mul_hi_u32 s25, s20, s23
	s_add_i32 s21, s28, s21
	s_mul_hi_u32 s28, s8, s23
	s_add_i32 s21, s21, s22
	s_mul_i32 s22, s8, s23
	s_mul_i32 s70, s20, s21
	s_mul_hi_u32 s58, s20, s21
	s_add_u32 s25, s25, s70
	s_addc_u32 s58, 0, s58
	s_mul_hi_u32 s23, s8, s21
	s_add_u32 s22, s25, s22
	s_mul_i32 s21, s8, s21
	s_addc_u32 s22, s58, s28
	s_addc_u32 s23, s23, 0
	s_add_u32 s21, s22, s21
	s_addc_u32 s22, 0, s23
	s_add_u32 s20, s20, s21
	s_cselect_b32 s21, -1, 0
	s_mul_hi_u32 s23, s96, s20
	s_cmp_lg_u32 s21, 0
	s_mul_hi_u32 s21, s73, s20
	s_addc_u32 s8, s8, s22
	s_mul_i32 s20, s73, s20
	s_mul_i32 s25, s96, s8
	s_mul_hi_u32 s22, s96, s8
	s_add_u32 s23, s23, s25
	s_addc_u32 s22, 0, s22
	s_mul_hi_u32 s28, s73, s8
	s_add_u32 s20, s23, s20
	s_mul_i32 s8, s73, s8
	s_addc_u32 s20, s22, s21
	s_addc_u32 s21, s28, 0
	s_add_u32 s8, s20, s8
	s_addc_u32 s20, 0, s21
	s_mul_hi_u32 s21, s35, s8
	s_mul_i32 s20, s35, s20
	s_mul_i32 s8, s35, s8
	s_add_i32 s21, s21, s20
	s_sub_u32 s8, s96, s8
	s_cselect_b32 s20, -1, 0
	s_cmp_lg_u32 s20, 0
	s_subb_u32 s20, s73, s21
	s_sub_u32 s21, s8, s35
	s_cselect_b32 s22, -1, 0
	s_cmp_lg_u32 s22, 0
	s_subb_u32 s22, s20, 0
	;; [unrolled: 4-line block ×3, first 2 shown]
	s_cmp_ge_u32 s21, s35
	s_cselect_b32 s28, -1, 0
	s_cmp_eq_u32 s22, 0
	s_cselect_b32 s28, s28, -1
	s_cmp_lg_u32 s28, 0
	s_cselect_b32 s22, s25, s22
	s_cselect_b32 s23, s23, s21
	s_cmp_ge_u32 s8, s35
	s_cselect_b32 s21, -1, 0
	s_cmp_eq_u32 s20, 0
	s_cselect_b32 s21, s21, -1
	s_cmp_lg_u32 s21, 0
	s_cselect_b32 s21, s22, s20
	s_cselect_b32 s20, s23, s8
	s_cbranch_execnz .LBB210_208
.LBB210_207:                            ;   in Loop: Header=BB210_18 Depth=1
	v_cvt_f32_u32_e32 v4, s35
	s_sub_i32 s20, 0, s35
	v_rcp_iflag_f32_e32 v4, v4
	v_mul_f32_e32 v4, 0x4f7ffffe, v4
	v_cvt_u32_f32_e32 v4, v4
	v_readfirstlane_b32 s8, v4
	s_mul_i32 s20, s20, s8
	s_mul_hi_u32 s20, s8, s20
	s_add_i32 s8, s8, s20
	s_mul_hi_u32 s8, s96, s8
	s_mul_i32 s8, s8, s35
	s_sub_i32 s8, s96, s8
	s_sub_i32 s20, s8, s35
	s_cmp_ge_u32 s8, s35
	s_cselect_b32 s8, s20, s8
	s_sub_i32 s20, s8, s35
	s_cmp_ge_u32 s8, s35
	s_cselect_b32 s70, s20, s8
	s_mov_b64 s[20:21], s[70:71]
.LBB210_208:                            ;   in Loop: Header=BB210_18 Depth=1
	s_sub_u32 s20, s96, s20
	s_subb_u32 s21, s73, s21
	s_mov_b32 s8, exec_lo
                                        ; implicit-def: $vgpr10
	v_cmpx_gt_u64_e64 s[20:21], v[0:1]
	s_cbranch_execz .LBB210_218
; %bb.209:                              ;   in Loop: Header=BB210_18 Depth=1
	v_mov_b32_e32 v5, v1
	v_mov_b32_e32 v4, v0
	s_mov_b32 s22, 0
                                        ; implicit-def: $sgpr23
	s_branch .LBB210_213
.LBB210_210:                            ;   in Loop: Header=BB210_213 Depth=2
	s_or_b32 exec_lo, exec_lo, s25
	s_waitcnt lgkmcnt(0)
	s_barrier
	buffer_gl0_inv
	ds_read_b32 v10, v3 offset:3072
	s_waitcnt lgkmcnt(0)
	s_barrier
	buffer_gl0_inv
	v_cmp_eq_f16_e32 vcc_lo, 0, v10
	s_cbranch_vccz .LBB210_216
; %bb.211:                              ;   in Loop: Header=BB210_213 Depth=2
	v_add_co_u32 v4, vcc_lo, v4, s35
	v_add_co_ci_u32_e64 v5, null, 0, v5, vcc_lo
	s_mov_b32 s25, 0
	v_cmp_le_u64_e32 vcc_lo, s[20:21], v[4:5]
	s_orn2_b32 s28, vcc_lo, exec_lo
.LBB210_212:                            ;   in Loop: Header=BB210_213 Depth=2
	s_and_b32 s1, exec_lo, s28
	s_or_b32 s22, s1, s22
	s_andn2_b32 s1, s23, exec_lo
	s_and_b32 s7, s25, exec_lo
	s_or_b32 s23, s1, s7
	s_andn2_b32 exec_lo, exec_lo, s22
	s_cbranch_execz .LBB210_217
.LBB210_213:                            ;   Parent Loop BB210_18 Depth=1
                                        ; =>  This Inner Loop Header: Depth=2
	s_mov_b32 s25, exec_lo
	v_cmpx_gt_u64_e64 s[36:37], v[4:5]
	s_cbranch_execz .LBB210_210
; %bb.214:                              ;   in Loop: Header=BB210_213 Depth=2
	v_mul_lo_u32 v21, v5, s30
	v_mul_lo_u32 v22, v4, s31
	v_mad_u64_u32 v[10:11], null, v4, s30, 0
	v_add3_u32 v11, v11, v22, v21
	v_lshlrev_b64 v[10:11], 1, v[10:11]
	v_add_co_u32 v10, vcc_lo, s29, v10
	v_add_co_ci_u32_e64 v11, null, s33, v11, vcc_lo
	global_load_ushort v10, v[10:11], off
	s_waitcnt vmcnt(0)
	v_cmp_lt_i16_e32 vcc_lo, -1, v10
	v_cndmask_b32_e32 v11, 0xffff, v31, vcc_lo
	v_cmp_o_f16_e32 vcc_lo, v10, v10
	v_xor_b32_sdwa v11, v11, v10 dst_sel:DWORD dst_unused:UNUSED_PAD src0_sel:DWORD src1_sel:WORD_0
	v_cndmask_b32_e32 v11, 0xffff, v11, vcc_lo
	v_and_b32_e32 v11, v11, v9
	v_cmp_eq_u32_e32 vcc_lo, v11, v8
	s_and_b32 exec_lo, exec_lo, vcc_lo
	s_cbranch_execz .LBB210_210
; %bb.215:                              ;   in Loop: Header=BB210_213 Depth=2
	v_perm_b32 v10, v10, s63, 0x5040100
	ds_write_b32 v3, v10 offset:3072
	s_branch .LBB210_210
.LBB210_216:                            ;   in Loop: Header=BB210_213 Depth=2
	s_mov_b32 s28, -1
	s_mov_b32 s25, -1
                                        ; implicit-def: $vgpr4_vgpr5
	s_branch .LBB210_212
.LBB210_217:                            ;   in Loop: Header=BB210_18 Depth=1
	s_or_b32 exec_lo, exec_lo, s22
	v_lshrrev_b32_e32 v10, 16, v10
	s_andn2_b32 s1, s24, exec_lo
	s_and_b32 s7, s23, exec_lo
	s_or_b32 s24, s1, s7
.LBB210_218:                            ;   in Loop: Header=BB210_18 Depth=1
	s_or_b32 exec_lo, exec_lo, s8
	s_mov_b32 s83, 0
	s_mov_b32 s84, -1
.LBB210_219:                            ;   in Loop: Header=BB210_18 Depth=1
	s_orn2_b32 s8, s24, exec_lo
.LBB210_220:                            ;   in Loop: Header=BB210_18 Depth=1
	s_or_b32 exec_lo, exec_lo, s85
	s_mov_b32 s20, 0
	s_and_saveexec_b32 s85, s8
	s_cbranch_execz .LBB210_284
; %bb.221:                              ;   in Loop: Header=BB210_18 Depth=1
	v_mov_b32_e32 v4, 1
	v_mov_b32_e32 v5, 0
	;; [unrolled: 1-line block ×3, first 2 shown]
	s_xor_b32 s21, s86, -1
	s_and_saveexec_b32 s8, s21
	s_cbranch_execz .LBB210_230
; %bb.222:                              ;   in Loop: Header=BB210_18 Depth=1
	s_mov_b32 s20, exec_lo
	v_cmpx_ge_u64_e64 s[16:17], v[6:7]
	s_xor_b32 s20, exec_lo, s20
	s_cbranch_execz .LBB210_227
; %bb.223:                              ;   in Loop: Header=BB210_18 Depth=1
	ds_read_b64 v[4:5], v3 offset:5120
	s_lshl_b32 s21, 2, s69
	v_or_b32_e32 v9, s11, v9
	v_and_or_b32 v8, v8, s26, s21
	s_waitcnt lgkmcnt(0)
	v_cmp_ne_u64_e32 vcc_lo, 0, v[4:5]
	s_cbranch_vccnz .LBB210_227
; %bb.224:                              ;   in Loop: Header=BB210_18 Depth=1
	s_and_saveexec_b32 s21, s3
; %bb.225:                              ;   in Loop: Header=BB210_18 Depth=1
	v_mov_b32_e32 v4, s16
	v_mov_b32_e32 v5, s17
	ds_write_b64 v3, v[4:5] offset:5128
; %bb.226:                              ;   in Loop: Header=BB210_18 Depth=1
	s_or_b32 exec_lo, exec_lo, s21
	s_waitcnt lgkmcnt(0)
	s_barrier
	buffer_gl0_inv
.LBB210_227:                            ;   in Loop: Header=BB210_18 Depth=1
	s_or_saveexec_b32 s20, s20
	v_mov_b32_e32 v2, 8
	s_mov_b32 s21, 0
	s_xor_b32 exec_lo, exec_lo, s20
; %bb.228:                              ;   in Loop: Header=BB210_18 Depth=1
	v_sub_co_u32 v6, vcc_lo, v6, s16
	v_subrev_co_ci_u32_e64 v7, null, s17, v7, vcc_lo
	v_mov_b32_e32 v2, 0
	s_mov_b32 s21, exec_lo
; %bb.229:                              ;   in Loop: Header=BB210_18 Depth=1
	s_or_b32 exec_lo, exec_lo, s20
	v_mov_b32_e32 v4, v6
	v_mov_b32_e32 v5, v7
	s_and_b32 s20, s21, exec_lo
.LBB210_230:                            ;   in Loop: Header=BB210_18 Depth=1
	s_or_b32 exec_lo, exec_lo, s8
	s_mov_b32 s8, -1
                                        ; implicit-def: $sgpr89
                                        ; implicit-def: $sgpr72
	s_and_saveexec_b32 s86, s20
	s_cbranch_execz .LBB210_283
; %bb.231:                              ;   in Loop: Header=BB210_18 Depth=1
	v_cmp_eq_u64_e32 vcc_lo, 1, v[4:5]
	s_cmp_eq_u64 s[18:19], 1
	s_mov_b32 s20, -1
	s_cselect_b32 s8, -1, 0
                                        ; implicit-def: $sgpr89
                                        ; implicit-def: $sgpr72
	s_and_b32 s87, s8, vcc_lo
	s_and_saveexec_b32 s88, s87
	s_cbranch_execz .LBB210_271
; %bb.232:                              ;   in Loop: Header=BB210_18 Depth=1
	ds_read_b64 v[6:7], v3 offset:5120
	s_waitcnt lgkmcnt(0)
	s_barrier
	buffer_gl0_inv
	v_readfirstlane_b32 s20, v6
	v_readfirstlane_b32 s21, v7
	s_and_saveexec_b32 s8, s10
; %bb.233:                              ;   in Loop: Header=BB210_18 Depth=1
	ds_write_b16 v26, v3
; %bb.234:                              ;   in Loop: Header=BB210_18 Depth=1
	s_or_b32 exec_lo, exec_lo, s8
	v_or_b32_e32 v8, s11, v8
	v_or_b32_e32 v9, s11, v9
	s_mov_b32 s72, -1
	s_mov_b32 s89, 0
	s_cmp_eq_u64 s[20:21], 0
	s_mov_b32 s24, 0
	s_mov_b32 s8, -1
	s_waitcnt lgkmcnt(0)
	s_barrier
	buffer_gl0_inv
                                        ; implicit-def: $vgpr10
	s_cbranch_scc1 .LBB210_253
; %bb.235:                              ;   in Loop: Header=BB210_18 Depth=1
	s_add_u32 s8, s20, s94
	s_addc_u32 s23, s21, s95
	s_mov_b32 s22, s71
	s_cmp_lg_u64 s[22:23], 0
	s_cbranch_scc0 .LBB210_239
; %bb.236:                              ;   in Loop: Header=BB210_18 Depth=1
	v_cvt_f32_u32_e32 v6, s35
	s_sub_u32 s25, 0, s35
	s_subb_u32 s28, 0, 0
	v_fmac_f32_e64 v6, 0x4f800000, 0
	v_rcp_f32_e32 v6, v6
	v_mul_f32_e32 v6, 0x5f7ffffc, v6
	v_mul_f32_e32 v7, 0x2f800000, v6
	v_trunc_f32_e32 v7, v7
	v_fmac_f32_e32 v6, 0xcf800000, v7
	v_cvt_u32_f32_e32 v7, v7
	v_cvt_u32_f32_e32 v6, v6
	v_readfirstlane_b32 s22, v7
	v_readfirstlane_b32 s24, v6
	s_mul_i32 s58, s25, s22
	s_mul_hi_u32 vcc_lo, s25, s24
	s_mul_i32 s70, s28, s24
	s_add_i32 s58, vcc_lo, s58
	s_mul_i32 s1, s25, s24
	s_add_i32 s58, s58, s70
	s_mul_hi_u32 vcc_lo, s24, s1
	s_mul_i32 s40, s24, s58
	s_mul_hi_u32 s70, s24, s58
	s_mul_hi_u32 s7, s22, s1
	s_mul_i32 s1, s22, s1
	s_add_u32 s40, vcc_lo, s40
	s_addc_u32 s43, 0, s70
	s_mul_hi_u32 s41, s22, s58
	s_add_u32 s1, s40, s1
	s_mul_i32 s42, s22, s58
	s_addc_u32 s1, s43, s7
	s_addc_u32 s7, s41, 0
	s_add_u32 s1, s1, s42
	s_addc_u32 s7, 0, s7
	s_add_u32 s1, s24, s1
	s_cselect_b32 s24, -1, 0
	s_mul_hi_u32 s40, s25, s1
	s_cmp_lg_u32 s24, 0
	s_mul_i32 s28, s28, s1
	s_addc_u32 s7, s22, s7
	s_mul_i32 s22, s25, s1
	s_mul_i32 s25, s25, s7
	s_mul_hi_u32 s24, s1, s22
	s_add_i32 s25, s40, s25
	s_mul_hi_u32 s40, s7, s22
	s_add_i32 s25, s25, s28
	s_mul_i32 s22, s7, s22
	s_mul_i32 s42, s1, s25
	s_mul_hi_u32 s41, s1, s25
	s_add_u32 s24, s24, s42
	s_addc_u32 s41, 0, s41
	s_mul_hi_u32 s28, s7, s25
	s_add_u32 s22, s24, s22
	s_mul_i32 s25, s7, s25
	s_addc_u32 s22, s41, s40
	s_addc_u32 s24, s28, 0
	s_add_u32 s22, s22, s25
	s_addc_u32 s24, 0, s24
	s_add_u32 s1, s1, s22
	s_cselect_b32 s22, -1, 0
	s_mul_hi_u32 s25, s8, s1
	s_cmp_lg_u32 s22, 0
	s_mul_hi_u32 s22, s23, s1
	s_addc_u32 s7, s7, s24
	s_mul_i32 s1, s23, s1
	s_mul_i32 s28, s8, s7
	s_mul_hi_u32 s24, s8, s7
	s_add_u32 s25, s25, s28
	s_addc_u32 s24, 0, s24
	s_mul_hi_u32 s40, s23, s7
	s_add_u32 s1, s25, s1
	s_mul_i32 s7, s23, s7
	s_addc_u32 s1, s24, s22
	s_addc_u32 s22, s40, 0
	s_add_u32 s1, s1, s7
	s_addc_u32 s7, 0, s22
	s_mul_hi_u32 s22, s35, s1
	s_mul_i32 s7, s35, s7
	s_mul_i32 s1, s35, s1
	s_add_i32 s22, s22, s7
	s_sub_u32 s1, s8, s1
	s_cselect_b32 s7, -1, 0
	s_cmp_lg_u32 s7, 0
	s_subb_u32 s7, s23, s22
	s_sub_u32 s22, s1, s35
	s_cselect_b32 s24, -1, 0
	s_cmp_lg_u32 s24, 0
	s_subb_u32 s24, s7, 0
	s_sub_u32 s25, s22, s35
	s_cselect_b32 s28, -1, 0
	s_cmp_lg_u32 s28, 0
	s_subb_u32 s28, s24, 0
	s_cmp_ge_u32 s22, s35
	s_cselect_b32 s40, -1, 0
	s_cmp_eq_u32 s24, 0
	s_cselect_b32 s40, s40, -1
	s_cmp_lg_u32 s40, 0
	s_cselect_b32 s24, s28, s24
	s_cselect_b32 s22, s25, s22
	s_cmp_ge_u32 s1, s35
	s_cselect_b32 s25, -1, 0
	s_cmp_eq_u32 s7, 0
	s_cselect_b32 s25, s25, -1
	s_cmp_lg_u32 s25, 0
	s_cselect_b32 s25, s24, s7
	s_cselect_b32 s24, s22, s1
	s_mov_b32 s22, 0
	s_branch .LBB210_240
.LBB210_237:                            ;   in Loop: Header=BB210_18 Depth=1
                                        ; implicit-def: $sgpr24_sgpr25
	s_andn2_b32 vcc_lo, exec_lo, s8
	s_cbranch_vccz .LBB210_190
	s_branch .LBB210_191
.LBB210_238:                            ;   in Loop: Header=BB210_18 Depth=1
                                        ; implicit-def: $sgpr20_sgpr21
	s_branch .LBB210_207
.LBB210_239:                            ;   in Loop: Header=BB210_18 Depth=1
	s_mov_b32 s22, -1
                                        ; implicit-def: $sgpr24_sgpr25
.LBB210_240:                            ;   in Loop: Header=BB210_18 Depth=1
	s_andn2_b32 vcc_lo, exec_lo, s22
	s_cbranch_vccnz .LBB210_242
; %bb.241:                              ;   in Loop: Header=BB210_18 Depth=1
	v_cvt_f32_u32_e32 v6, s35
	s_sub_i32 s24, 0, s35
	v_rcp_iflag_f32_e32 v6, v6
	v_mul_f32_e32 v6, 0x4f7ffffe, v6
	v_cvt_u32_f32_e32 v6, v6
	v_readfirstlane_b32 s22, v6
	s_mul_i32 s24, s24, s22
	s_mul_hi_u32 s24, s22, s24
	s_add_i32 s22, s22, s24
	s_mul_hi_u32 s22, s8, s22
	s_mul_i32 s22, s22, s35
	s_sub_i32 s22, s8, s22
	s_sub_i32 s24, s22, s35
	s_cmp_ge_u32 s22, s35
	s_cselect_b32 s22, s24, s22
	s_sub_i32 s24, s22, s35
	s_cmp_ge_u32 s22, s35
	s_cselect_b32 s70, s24, s22
	s_mov_b64 s[24:25], s[70:71]
.LBB210_242:                            ;   in Loop: Header=BB210_18 Depth=1
	s_sub_u32 s22, s8, s24
	s_subb_u32 s23, s23, s25
	s_mov_b32 s8, 0
	s_mov_b32 s24, 0
	s_mov_b32 s25, exec_lo
                                        ; implicit-def: $vgpr10
	v_cmpx_gt_u64_e64 s[22:23], v[0:1]
	s_cbranch_execz .LBB210_252
; %bb.243:                              ;   in Loop: Header=BB210_18 Depth=1
	v_mov_b32_e32 v7, v1
	v_mov_b32_e32 v10, v25
	;; [unrolled: 1-line block ×3, first 2 shown]
                                        ; implicit-def: $sgpr70
	s_branch .LBB210_247
.LBB210_244:                            ;   in Loop: Header=BB210_247 Depth=2
	s_or_b32 exec_lo, exec_lo, s28
	s_waitcnt lgkmcnt(0)
	s_barrier
	buffer_gl0_inv
	ds_read_b32 v11, v3 offset:3072
	s_waitcnt lgkmcnt(0)
	s_barrier
	buffer_gl0_inv
	v_cmp_neq_f16_e32 vcc_lo, 0, v11
	s_cbranch_vccnz .LBB210_250
; %bb.245:                              ;   in Loop: Header=BB210_247 Depth=2
	v_add_co_u32 v6, vcc_lo, v6, s35
	v_add_co_ci_u32_e64 v7, null, 0, v7, vcc_lo
	v_add_nc_u32_e32 v10, s68, v10
	s_mov_b32 s28, 0
	v_cmp_le_u64_e32 vcc_lo, s[22:23], v[6:7]
	s_orn2_b32 vcc_lo, vcc_lo, exec_lo
.LBB210_246:                            ;   in Loop: Header=BB210_247 Depth=2
	s_and_b32 s1, exec_lo, vcc_lo
	s_or_b32 s24, s1, s24
	s_andn2_b32 s1, s70, exec_lo
	s_and_b32 s7, s28, exec_lo
	s_or_b32 s70, s1, s7
	s_andn2_b32 exec_lo, exec_lo, s24
	s_cbranch_execz .LBB210_251
.LBB210_247:                            ;   Parent Loop BB210_18 Depth=1
                                        ; =>  This Inner Loop Header: Depth=2
	s_mov_b32 s28, exec_lo
	v_cmpx_gt_u64_e64 s[20:21], v[6:7]
	s_cbranch_execz .LBB210_244
; %bb.248:                              ;   in Loop: Header=BB210_247 Depth=2
	ds_read_u16 v11, v10
	s_waitcnt lgkmcnt(0)
	v_cmp_lt_i16_e32 vcc_lo, -1, v11
	v_cndmask_b32_e32 v21, 0xffff, v31, vcc_lo
	v_cmp_o_f16_e32 vcc_lo, v11, v11
	v_xor_b32_sdwa v21, v21, v11 dst_sel:DWORD dst_unused:UNUSED_PAD src0_sel:DWORD src1_sel:WORD_0
	v_cndmask_b32_e32 v21, 0xffff, v21, vcc_lo
	v_and_b32_e32 v21, v21, v9
	v_cmp_eq_u32_e32 vcc_lo, v21, v8
	s_and_b32 exec_lo, exec_lo, vcc_lo
	s_cbranch_execz .LBB210_244
; %bb.249:                              ;   in Loop: Header=BB210_247 Depth=2
	v_perm_b32 v11, v11, s63, 0x5040100
	ds_write_b32 v3, v11 offset:3072
	s_branch .LBB210_244
.LBB210_250:                            ;   in Loop: Header=BB210_247 Depth=2
	s_mov_b32 vcc_lo, -1
	s_mov_b32 s28, -1
                                        ; implicit-def: $vgpr6_vgpr7
                                        ; implicit-def: $vgpr10
	s_branch .LBB210_246
.LBB210_251:                            ;   in Loop: Header=BB210_18 Depth=1
	s_or_b32 exec_lo, exec_lo, s24
	v_lshrrev_b32_e32 v10, 16, v11
	s_and_b32 s24, s70, exec_lo
.LBB210_252:                            ;   in Loop: Header=BB210_18 Depth=1
	s_or_b32 exec_lo, exec_lo, s25
.LBB210_253:                            ;   in Loop: Header=BB210_18 Depth=1
	s_and_b32 vcc_lo, exec_lo, s8
	s_cbranch_vccz .LBB210_270
; %bb.254:                              ;   in Loop: Header=BB210_18 Depth=1
	s_mov_b32 s72, s71
	s_cmp_lg_u64 s[72:73], 0
	s_cbranch_scc0 .LBB210_256
; %bb.255:                              ;   in Loop: Header=BB210_18 Depth=1
	v_cvt_f32_u32_e32 v6, s35
	s_sub_u32 s8, 0, s35
	s_subb_u32 s20, 0, 0
	v_fmac_f32_e64 v6, 0x4f800000, 0
	v_rcp_f32_e32 v6, v6
	v_mul_f32_e32 v6, 0x5f7ffffc, v6
	v_mul_f32_e32 v7, 0x2f800000, v6
	v_trunc_f32_e32 v7, v7
	v_fmac_f32_e32 v6, 0xcf800000, v7
	v_cvt_u32_f32_e32 v7, v7
	v_cvt_u32_f32_e32 v6, v6
	v_readfirstlane_b32 s1, v7
	v_readfirstlane_b32 s7, v6
	s_mul_i32 s21, s8, s1
	s_mul_hi_u32 s23, s8, s7
	s_mul_i32 s22, s20, s7
	s_add_i32 s21, s23, s21
	s_mul_i32 s25, s8, s7
	s_add_i32 s21, s21, s22
	s_mul_hi_u32 s23, s7, s25
	s_mul_i32 s40, s7, s21
	s_mul_hi_u32 s28, s1, s25
	s_mul_i32 s22, s1, s25
	s_mul_hi_u32 s25, s7, s21
	s_add_u32 s23, s23, s40
	s_addc_u32 s25, 0, s25
	s_mul_hi_u32 s41, s1, s21
	s_add_u32 s22, s23, s22
	s_mul_i32 s21, s1, s21
	s_addc_u32 s22, s25, s28
	s_addc_u32 s23, s41, 0
	s_add_u32 s21, s22, s21
	s_addc_u32 s22, 0, s23
	s_add_u32 s7, s7, s21
	s_cselect_b32 s21, -1, 0
	s_mul_hi_u32 s23, s8, s7
	s_cmp_lg_u32 s21, 0
	s_mul_i32 s21, s8, s7
	s_addc_u32 s1, s1, s22
	s_mul_i32 s20, s20, s7
	s_mul_i32 s8, s8, s1
	s_mul_hi_u32 s22, s7, s21
	s_add_i32 s8, s23, s8
	s_mul_hi_u32 s23, s1, s21
	s_add_i32 s8, s8, s20
	s_mul_i32 s20, s1, s21
	s_mul_i32 s28, s7, s8
	s_mul_hi_u32 s25, s7, s8
	s_add_u32 s22, s22, s28
	s_addc_u32 s25, 0, s25
	s_mul_hi_u32 s21, s1, s8
	s_add_u32 s20, s22, s20
	s_mul_i32 s8, s1, s8
	s_addc_u32 s20, s25, s23
	s_addc_u32 s21, s21, 0
	s_add_u32 s8, s20, s8
	s_addc_u32 s20, 0, s21
	s_add_u32 s7, s7, s8
	s_cselect_b32 s8, -1, 0
	s_mul_hi_u32 s21, s96, s7
	s_cmp_lg_u32 s8, 0
	s_mul_hi_u32 s8, s73, s7
	s_addc_u32 s1, s1, s20
	s_mul_i32 s7, s73, s7
	s_mul_i32 s22, s96, s1
	s_mul_hi_u32 s20, s96, s1
	s_add_u32 s21, s21, s22
	s_addc_u32 s20, 0, s20
	s_mul_hi_u32 s23, s73, s1
	s_add_u32 s7, s21, s7
	s_mul_i32 s1, s73, s1
	s_addc_u32 s7, s20, s8
	s_addc_u32 s8, s23, 0
	s_add_u32 s1, s7, s1
	s_addc_u32 s7, 0, s8
	s_mul_hi_u32 s8, s35, s1
	s_mul_i32 s7, s35, s7
	s_mul_i32 s1, s35, s1
	s_add_i32 s8, s8, s7
	s_sub_u32 s1, s96, s1
	s_cselect_b32 s7, -1, 0
	s_cmp_lg_u32 s7, 0
	s_subb_u32 s7, s73, s8
	s_sub_u32 s8, s1, s35
	s_cselect_b32 s20, -1, 0
	s_cmp_lg_u32 s20, 0
	s_subb_u32 s20, s7, 0
	;; [unrolled: 4-line block ×3, first 2 shown]
	s_cmp_ge_u32 s8, s35
	s_cselect_b32 s23, -1, 0
	s_cmp_eq_u32 s20, 0
	s_cselect_b32 s23, s23, -1
	s_cmp_lg_u32 s23, 0
	s_cselect_b32 s20, s22, s20
	s_cselect_b32 s8, s21, s8
	s_cmp_ge_u32 s1, s35
	s_cselect_b32 s21, -1, 0
	s_cmp_eq_u32 s7, 0
	s_cselect_b32 s21, s21, -1
	s_cmp_lg_u32 s21, 0
	s_cselect_b32 s21, s20, s7
	s_cselect_b32 s20, s8, s1
	s_mov_b32 s8, 0
	s_branch .LBB210_257
.LBB210_256:                            ;   in Loop: Header=BB210_18 Depth=1
	s_mov_b32 s8, -1
                                        ; implicit-def: $sgpr20_sgpr21
.LBB210_257:                            ;   in Loop: Header=BB210_18 Depth=1
	s_andn2_b32 vcc_lo, exec_lo, s8
	s_cbranch_vccnz .LBB210_259
; %bb.258:                              ;   in Loop: Header=BB210_18 Depth=1
	v_cvt_f32_u32_e32 v6, s35
	s_sub_i32 s7, 0, s35
	v_rcp_iflag_f32_e32 v6, v6
	v_mul_f32_e32 v6, 0x4f7ffffe, v6
	v_cvt_u32_f32_e32 v6, v6
	v_readfirstlane_b32 s1, v6
	s_mul_i32 s7, s7, s1
	s_mul_hi_u32 s7, s1, s7
	s_add_i32 s1, s1, s7
	s_mul_hi_u32 s1, s96, s1
	s_mul_i32 s1, s1, s35
	s_sub_i32 s1, s96, s1
	s_sub_i32 s7, s1, s35
	s_cmp_ge_u32 s1, s35
	s_cselect_b32 s1, s7, s1
	s_sub_i32 s7, s1, s35
	s_cmp_ge_u32 s1, s35
	s_cselect_b32 s70, s7, s1
	s_mov_b64 s[20:21], s[70:71]
.LBB210_259:                            ;   in Loop: Header=BB210_18 Depth=1
	s_sub_u32 s20, s96, s20
	s_subb_u32 s21, s73, s21
	s_mov_b32 s8, exec_lo
                                        ; implicit-def: $vgpr10
	v_cmpx_gt_u64_e64 s[20:21], v[0:1]
	s_cbranch_execz .LBB210_269
; %bb.260:                              ;   in Loop: Header=BB210_18 Depth=1
	v_mov_b32_e32 v7, v1
	v_mov_b32_e32 v6, v0
	s_mov_b32 s22, 0
                                        ; implicit-def: $sgpr23
	s_branch .LBB210_264
.LBB210_261:                            ;   in Loop: Header=BB210_264 Depth=2
	s_or_b32 exec_lo, exec_lo, s25
	s_waitcnt lgkmcnt(0)
	s_barrier
	buffer_gl0_inv
	ds_read_b32 v10, v3 offset:3072
	s_waitcnt lgkmcnt(0)
	s_barrier
	buffer_gl0_inv
	v_cmp_eq_f16_e32 vcc_lo, 0, v10
	s_cbranch_vccz .LBB210_267
; %bb.262:                              ;   in Loop: Header=BB210_264 Depth=2
	v_add_co_u32 v6, vcc_lo, v6, s35
	v_add_co_ci_u32_e64 v7, null, 0, v7, vcc_lo
	s_mov_b32 s25, 0
	v_cmp_le_u64_e32 vcc_lo, s[20:21], v[6:7]
	s_orn2_b32 s28, vcc_lo, exec_lo
.LBB210_263:                            ;   in Loop: Header=BB210_264 Depth=2
	s_and_b32 s1, exec_lo, s28
	s_or_b32 s22, s1, s22
	s_andn2_b32 s1, s23, exec_lo
	s_and_b32 s7, s25, exec_lo
	s_or_b32 s23, s1, s7
	s_andn2_b32 exec_lo, exec_lo, s22
	s_cbranch_execz .LBB210_268
.LBB210_264:                            ;   Parent Loop BB210_18 Depth=1
                                        ; =>  This Inner Loop Header: Depth=2
	s_mov_b32 s25, exec_lo
	v_cmpx_gt_u64_e64 s[36:37], v[6:7]
	s_cbranch_execz .LBB210_261
; %bb.265:                              ;   in Loop: Header=BB210_264 Depth=2
	v_mul_lo_u32 v21, v7, s30
	v_mul_lo_u32 v22, v6, s31
	v_mad_u64_u32 v[10:11], null, v6, s30, 0
	v_add3_u32 v11, v11, v22, v21
	v_lshlrev_b64 v[10:11], 1, v[10:11]
	v_add_co_u32 v10, vcc_lo, s29, v10
	v_add_co_ci_u32_e64 v11, null, s33, v11, vcc_lo
	global_load_ushort v10, v[10:11], off
	s_waitcnt vmcnt(0)
	v_cmp_lt_i16_e32 vcc_lo, -1, v10
	v_cndmask_b32_e32 v11, 0xffff, v31, vcc_lo
	v_cmp_o_f16_e32 vcc_lo, v10, v10
	v_xor_b32_sdwa v11, v11, v10 dst_sel:DWORD dst_unused:UNUSED_PAD src0_sel:DWORD src1_sel:WORD_0
	v_cndmask_b32_e32 v11, 0xffff, v11, vcc_lo
	v_and_b32_e32 v11, v11, v9
	v_cmp_eq_u32_e32 vcc_lo, v11, v8
	s_and_b32 exec_lo, exec_lo, vcc_lo
	s_cbranch_execz .LBB210_261
; %bb.266:                              ;   in Loop: Header=BB210_264 Depth=2
	v_perm_b32 v10, v10, s63, 0x5040100
	ds_write_b32 v3, v10 offset:3072
	s_branch .LBB210_261
.LBB210_267:                            ;   in Loop: Header=BB210_264 Depth=2
	s_mov_b32 s28, -1
	s_mov_b32 s25, -1
                                        ; implicit-def: $vgpr6_vgpr7
	s_branch .LBB210_263
.LBB210_268:                            ;   in Loop: Header=BB210_18 Depth=1
	s_or_b32 exec_lo, exec_lo, s22
	v_lshrrev_b32_e32 v10, 16, v10
	s_andn2_b32 s1, s24, exec_lo
	s_and_b32 s7, s23, exec_lo
	s_or_b32 s24, s1, s7
.LBB210_269:                            ;   in Loop: Header=BB210_18 Depth=1
	s_or_b32 exec_lo, exec_lo, s8
	s_mov_b32 s72, 0
	s_mov_b32 s89, -1
.LBB210_270:                            ;   in Loop: Header=BB210_18 Depth=1
	s_orn2_b32 s20, s24, exec_lo
.LBB210_271:                            ;   in Loop: Header=BB210_18 Depth=1
	s_or_b32 exec_lo, exec_lo, s88
	s_mov_b32 s21, 0
	s_and_saveexec_b32 s8, s20
	s_cbranch_execz .LBB210_282
; %bb.272:                              ;   in Loop: Header=BB210_18 Depth=1
	v_mov_b32_e32 v6, 1
	v_mov_b32_e32 v7, 0
	;; [unrolled: 1-line block ×3, first 2 shown]
	s_xor_b32 s1, s87, -1
	s_and_saveexec_b32 s20, s1
	s_cbranch_execz .LBB210_281
; %bb.273:                              ;   in Loop: Header=BB210_18 Depth=1
	s_mov_b32 s1, exec_lo
	v_cmpx_ge_u64_e64 s[18:19], v[4:5]
	s_xor_b32 s21, exec_lo, s1
	s_cbranch_execz .LBB210_278
; %bb.274:                              ;   in Loop: Header=BB210_18 Depth=1
	ds_read_b64 v[6:7], v3 offset:5120
	v_or_b32_e32 v8, s11, v8
	v_or_b32_e32 v9, s11, v9
	s_waitcnt lgkmcnt(0)
	v_cmp_ne_u64_e32 vcc_lo, 0, v[6:7]
	s_cbranch_vccnz .LBB210_278
; %bb.275:                              ;   in Loop: Header=BB210_18 Depth=1
	s_and_saveexec_b32 s22, s3
; %bb.276:                              ;   in Loop: Header=BB210_18 Depth=1
	v_mov_b32_e32 v6, s18
	v_mov_b32_e32 v7, s19
	ds_write_b64 v3, v[6:7] offset:5128
; %bb.277:                              ;   in Loop: Header=BB210_18 Depth=1
	s_or_b32 exec_lo, exec_lo, s22
	s_waitcnt lgkmcnt(0)
	s_barrier
	buffer_gl0_inv
.LBB210_278:                            ;   in Loop: Header=BB210_18 Depth=1
	s_andn2_saveexec_b32 s21, s21
; %bb.279:                              ;   in Loop: Header=BB210_18 Depth=1
	v_sub_co_u32 v4, vcc_lo, v4, s18
	v_subrev_co_ci_u32_e64 v5, null, s19, v5, vcc_lo
; %bb.280:                              ;   in Loop: Header=BB210_18 Depth=1
	s_or_b32 exec_lo, exec_lo, s21
	v_mov_b32_e32 v7, v5
	v_mov_b32_e32 v2, 8
	;; [unrolled: 1-line block ×3, first 2 shown]
.LBB210_281:                            ;   in Loop: Header=BB210_18 Depth=1
	s_or_b32 exec_lo, exec_lo, s20
	v_mov_b32_e32 v4, v6
	v_mov_b32_e32 v5, v7
	s_mov_b32 s21, exec_lo
.LBB210_282:                            ;   in Loop: Header=BB210_18 Depth=1
	s_or_b32 exec_lo, exec_lo, s8
	s_orn2_b32 s8, s21, exec_lo
.LBB210_283:                            ;   in Loop: Header=BB210_18 Depth=1
	s_or_b32 exec_lo, exec_lo, s86
	v_mov_b32_e32 v7, v5
	v_mov_b32_e32 v6, v4
	s_andn2_b32 s20, s84, exec_lo
	s_and_b32 s21, s89, exec_lo
	s_andn2_b32 s22, s83, exec_lo
	s_and_b32 s23, s72, exec_lo
	s_or_b32 s84, s20, s21
	s_or_b32 s83, s22, s23
	s_and_b32 s20, s8, exec_lo
.LBB210_284:                            ;   in Loop: Header=BB210_18 Depth=1
	s_or_b32 exec_lo, exec_lo, s85
	s_orn2_b32 s8, s20, exec_lo
.LBB210_285:                            ;   in Loop: Header=BB210_18 Depth=1
	s_or_b32 exec_lo, exec_lo, s82
	v_mov_b32_e32 v4, v6
	v_mov_b32_e32 v5, v7
	s_andn2_b32 s20, s76, exec_lo
	s_and_b32 s21, s84, exec_lo
	s_andn2_b32 s22, s51, exec_lo
	s_and_b32 s23, s83, exec_lo
	s_or_b32 s76, s20, s21
	s_or_b32 s51, s22, s23
	s_and_b32 s20, s8, exec_lo
.LBB210_286:                            ;   in Loop: Header=BB210_18 Depth=1
	s_or_b32 exec_lo, exec_lo, s81
	s_orn2_b32 s8, s20, exec_lo
.LBB210_287:                            ;   in Loop: Header=BB210_18 Depth=1
	s_or_b32 exec_lo, exec_lo, s6
	s_mov_b32 s6, 0
	s_mov_b32 s20, 0
	s_and_saveexec_b32 s21, s8
	s_xor_b32 s8, exec_lo, s21
; %bb.288:                              ;   in Loop: Header=BB210_18 Depth=1
	v_cmp_ne_u32_e32 vcc_lo, 8, v2
	v_cmp_eq_u32_e64 s6, 8, v2
	s_and_b32 s20, vcc_lo, exec_lo
	s_and_b32 s6, s6, exec_lo
; %bb.289:                              ;   in Loop: Header=BB210_18 Depth=1
	s_or_b32 exec_lo, exec_lo, s8
	s_andn2_b32 s8, s78, exec_lo
	s_and_b32 s21, s76, exec_lo
	s_andn2_b32 s22, s77, exec_lo
	s_and_b32 s23, s51, exec_lo
	s_or_b32 s78, s8, s21
	s_or_b32 s77, s22, s23
	s_and_b32 s51, s20, exec_lo
	s_and_b32 s76, s6, exec_lo
.LBB210_290:                            ;   in Loop: Header=BB210_18 Depth=1
	s_or_b32 exec_lo, exec_lo, s80
.LBB210_291:                            ;   in Loop: Header=BB210_18 Depth=1
	s_and_b32 vcc_lo, exec_lo, s79
	s_cbranch_vccz .LBB210_308
; %bb.292:                              ;   in Loop: Header=BB210_18 Depth=1
	s_cmp_eq_u64 s[18:19], 1
	s_mov_b32 s8, -1
	s_cselect_b32 s6, -1, 0
                                        ; implicit-def: $sgpr27
	s_and_b32 s6, s6, s9
                                        ; implicit-def: $sgpr9
	s_and_saveexec_b32 s77, s6
	s_cbranch_execz .LBB210_327
; %bb.293:                              ;   in Loop: Header=BB210_18 Depth=1
	ds_read_b64 v[4:5], v3 offset:5120
	s_waitcnt lgkmcnt(0)
	s_barrier
	buffer_gl0_inv
	v_readfirstlane_b32 s20, v4
	v_readfirstlane_b32 s21, v5
	s_and_saveexec_b32 s8, s10
; %bb.294:                              ;   in Loop: Header=BB210_18 Depth=1
	ds_write_b16 v26, v3
; %bb.295:                              ;   in Loop: Header=BB210_18 Depth=1
	s_or_b32 exec_lo, exec_lo, s8
	v_or_b32_e32 v28, s11, v28
	v_or_b32_e32 v33, s11, v33
	s_mov_b32 s27, -1
	s_mov_b32 s9, 0
	s_cmp_eq_u64 s[20:21], 0
	s_mov_b32 s24, 0
	s_mov_b32 s8, -1
	s_waitcnt lgkmcnt(0)
	s_barrier
	buffer_gl0_inv
                                        ; implicit-def: $vgpr34
	s_cbranch_scc1 .LBB210_311
; %bb.296:                              ;   in Loop: Header=BB210_18 Depth=1
	s_add_u32 s72, s20, s94
	s_addc_u32 s23, s21, s95
	s_mov_b32 s22, s71
	s_cmp_lg_u64 s[22:23], 0
	s_cbranch_scc0 .LBB210_354
; %bb.297:                              ;   in Loop: Header=BB210_18 Depth=1
	v_cvt_f32_u32_e32 v2, s35
	s_sub_u32 s24, 0, s35
	s_subb_u32 s25, 0, 0
	v_fmac_f32_e64 v2, 0x4f800000, 0
	v_rcp_f32_e32 v2, v2
	v_mul_f32_e32 v2, 0x5f7ffffc, v2
	v_mul_f32_e32 v4, 0x2f800000, v2
	v_trunc_f32_e32 v4, v4
	v_fmac_f32_e32 v2, 0xcf800000, v4
	v_cvt_u32_f32_e32 v4, v4
	v_cvt_u32_f32_e32 v2, v2
	v_readfirstlane_b32 s8, v4
	v_readfirstlane_b32 s22, v2
	s_mul_i32 s28, s24, s8
	s_mul_hi_u32 s78, s24, s22
	s_mul_i32 s70, s25, s22
	s_add_i32 s28, s78, s28
	s_mul_i32 s79, s24, s22
	s_add_i32 s28, s28, s70
	s_mul_hi_u32 s78, s22, s79
	s_mul_i32 s81, s22, s28
	s_mul_hi_u32 s80, s8, s79
	s_mul_i32 s70, s8, s79
	s_mul_hi_u32 s79, s22, s28
	s_add_u32 s78, s78, s81
	s_addc_u32 s79, 0, s79
	s_mul_hi_u32 s82, s8, s28
	s_add_u32 s70, s78, s70
	s_mul_i32 s28, s8, s28
	s_addc_u32 s70, s79, s80
	s_addc_u32 s78, s82, 0
	s_add_u32 s28, s70, s28
	s_addc_u32 s70, 0, s78
	s_add_u32 s22, s22, s28
	s_cselect_b32 s28, -1, 0
	s_mul_hi_u32 s78, s24, s22
	s_cmp_lg_u32 s28, 0
	s_mul_i32 s28, s24, s22
	s_addc_u32 s8, s8, s70
	s_mul_i32 s25, s25, s22
	s_mul_i32 s24, s24, s8
	s_mul_hi_u32 s70, s22, s28
	s_add_i32 s24, s78, s24
	s_mul_hi_u32 s78, s8, s28
	s_add_i32 s24, s24, s25
	s_mul_i32 s25, s8, s28
	s_mul_i32 s80, s22, s24
	s_mul_hi_u32 s79, s22, s24
	s_add_u32 s70, s70, s80
	s_addc_u32 s79, 0, s79
	s_mul_hi_u32 s28, s8, s24
	s_add_u32 s25, s70, s25
	s_mul_i32 s24, s8, s24
	s_addc_u32 s25, s79, s78
	s_addc_u32 s28, s28, 0
	s_add_u32 s24, s25, s24
	s_addc_u32 s25, 0, s28
	s_add_u32 s22, s22, s24
	s_cselect_b32 s24, -1, 0
	s_mul_hi_u32 s28, s72, s22
	s_cmp_lg_u32 s24, 0
	s_mul_hi_u32 s24, s23, s22
	s_addc_u32 s8, s8, s25
	s_mul_i32 s22, s23, s22
	s_mul_i32 s70, s72, s8
	s_mul_hi_u32 s25, s72, s8
	s_add_u32 s28, s28, s70
	s_addc_u32 s25, 0, s25
	s_mul_hi_u32 s78, s23, s8
	s_add_u32 s22, s28, s22
	s_mul_i32 s8, s23, s8
	s_addc_u32 s22, s25, s24
	s_addc_u32 s24, s78, 0
	s_add_u32 s8, s22, s8
	s_addc_u32 s22, 0, s24
	s_mul_hi_u32 s24, s35, s8
	s_mul_i32 s22, s35, s22
	s_mul_i32 s8, s35, s8
	s_add_i32 s24, s24, s22
	s_sub_u32 s8, s72, s8
	s_cselect_b32 s22, -1, 0
	s_cmp_lg_u32 s22, 0
	s_subb_u32 s22, s23, s24
	s_sub_u32 s24, s8, s35
	s_cselect_b32 s25, -1, 0
	s_cmp_lg_u32 s25, 0
	s_subb_u32 s25, s22, 0
	;; [unrolled: 4-line block ×3, first 2 shown]
	s_cmp_ge_u32 s24, s35
	s_cselect_b32 s78, -1, 0
	s_cmp_eq_u32 s25, 0
	s_cselect_b32 s78, s78, -1
	s_cmp_lg_u32 s78, 0
	s_cselect_b32 s25, s70, s25
	s_cselect_b32 s24, s28, s24
	s_cmp_ge_u32 s8, s35
	s_cselect_b32 s28, -1, 0
	s_cmp_eq_u32 s22, 0
	s_cselect_b32 s28, s28, -1
	s_cmp_lg_u32 s28, 0
	s_cselect_b32 s25, s25, s22
	s_cselect_b32 s24, s24, s8
	s_cbranch_execnz .LBB210_299
.LBB210_298:                            ;   in Loop: Header=BB210_18 Depth=1
	v_cvt_f32_u32_e32 v2, s35
	s_sub_i32 s22, 0, s35
	v_rcp_iflag_f32_e32 v2, v2
	v_mul_f32_e32 v2, 0x4f7ffffe, v2
	v_cvt_u32_f32_e32 v2, v2
	v_readfirstlane_b32 s8, v2
	s_mul_i32 s22, s22, s8
	s_mul_hi_u32 s22, s8, s22
	s_add_i32 s8, s8, s22
	s_mul_hi_u32 s8, s72, s8
	s_mul_i32 s8, s8, s35
	s_sub_i32 s8, s72, s8
	s_sub_i32 s22, s8, s35
	s_cmp_ge_u32 s8, s35
	s_cselect_b32 s8, s22, s8
	s_sub_i32 s22, s8, s35
	s_cmp_ge_u32 s8, s35
	s_cselect_b32 s70, s22, s8
	s_mov_b64 s[24:25], s[70:71]
.LBB210_299:                            ;   in Loop: Header=BB210_18 Depth=1
	s_sub_u32 s22, s72, s24
	s_subb_u32 s23, s23, s25
	s_mov_b32 s8, 0
	s_mov_b32 s24, 0
	s_mov_b32 s25, exec_lo
                                        ; implicit-def: $vgpr34
	v_cmpx_gt_u64_e64 s[22:23], v[0:1]
	s_cbranch_execz .LBB210_310
; %bb.300:                              ;   in Loop: Header=BB210_18 Depth=1
	v_mov_b32_e32 v5, v1
	v_mov_b32_e32 v2, v25
	;; [unrolled: 1-line block ×3, first 2 shown]
                                        ; implicit-def: $sgpr70
	s_branch .LBB210_304
.LBB210_301:                            ;   in Loop: Header=BB210_304 Depth=2
	s_or_b32 exec_lo, exec_lo, s72
	s_waitcnt lgkmcnt(0)
	s_barrier
	buffer_gl0_inv
	ds_read_b32 v6, v3 offset:3072
	s_waitcnt lgkmcnt(0)
	s_barrier
	buffer_gl0_inv
	v_cmp_neq_f16_e32 vcc_lo, 0, v6
	s_cbranch_vccnz .LBB210_307
; %bb.302:                              ;   in Loop: Header=BB210_304 Depth=2
	v_add_co_u32 v4, vcc_lo, v4, s35
	v_add_co_ci_u32_e64 v5, null, 0, v5, vcc_lo
	v_add_nc_u32_e32 v2, s68, v2
	s_mov_b32 s28, 0
	v_cmp_le_u64_e32 vcc_lo, s[22:23], v[4:5]
	s_orn2_b32 s72, vcc_lo, exec_lo
.LBB210_303:                            ;   in Loop: Header=BB210_304 Depth=2
	s_and_b32 s1, exec_lo, s72
	s_or_b32 s24, s1, s24
	s_andn2_b32 s1, s70, exec_lo
	s_and_b32 s7, s28, exec_lo
	s_or_b32 s70, s1, s7
	s_andn2_b32 exec_lo, exec_lo, s24
	s_cbranch_execz .LBB210_309
.LBB210_304:                            ;   Parent Loop BB210_18 Depth=1
                                        ; =>  This Inner Loop Header: Depth=2
	s_mov_b32 s72, exec_lo
	v_cmpx_gt_u64_e64 s[20:21], v[4:5]
	s_cbranch_execz .LBB210_301
; %bb.305:                              ;   in Loop: Header=BB210_304 Depth=2
	ds_read_u16 v6, v2
	s_waitcnt lgkmcnt(0)
	v_cmp_lt_i16_e32 vcc_lo, -1, v6
	v_cndmask_b32_e32 v7, 0xffff, v31, vcc_lo
	v_cmp_o_f16_e32 vcc_lo, v6, v6
	v_xor_b32_sdwa v7, v7, v6 dst_sel:DWORD dst_unused:UNUSED_PAD src0_sel:DWORD src1_sel:WORD_0
	v_cndmask_b32_e32 v7, 0xffff, v7, vcc_lo
	v_and_b32_e32 v7, v7, v33
	v_cmp_eq_u32_e32 vcc_lo, v7, v28
	s_and_b32 exec_lo, exec_lo, vcc_lo
	s_cbranch_execz .LBB210_301
; %bb.306:                              ;   in Loop: Header=BB210_304 Depth=2
	v_perm_b32 v6, v6, s63, 0x5040100
	ds_write_b32 v3, v6 offset:3072
	s_branch .LBB210_301
.LBB210_307:                            ;   in Loop: Header=BB210_304 Depth=2
	s_mov_b32 s72, -1
	s_mov_b32 s28, -1
                                        ; implicit-def: $vgpr4_vgpr5
                                        ; implicit-def: $vgpr2
	s_branch .LBB210_303
.LBB210_308:                            ;   in Loop: Header=BB210_18 Depth=1
	v_mov_b32_e32 v28, v8
	v_mov_b32_e32 v33, v9
	;; [unrolled: 1-line block ×3, first 2 shown]
	s_mov_b32 s9, 0
	s_and_saveexec_b32 s6, s76
	s_cbranch_execnz .LBB210_492
	s_branch .LBB210_493
.LBB210_309:                            ;   in Loop: Header=BB210_18 Depth=1
	s_or_b32 exec_lo, exec_lo, s24
	v_lshrrev_b32_e32 v34, 16, v6
	s_and_b32 s24, s70, exec_lo
.LBB210_310:                            ;   in Loop: Header=BB210_18 Depth=1
	s_or_b32 exec_lo, exec_lo, s25
.LBB210_311:                            ;   in Loop: Header=BB210_18 Depth=1
	s_and_b32 vcc_lo, exec_lo, s8
	s_cbranch_vccz .LBB210_326
; %bb.312:                              ;   in Loop: Header=BB210_18 Depth=1
	s_mov_b32 s72, s71
	s_cmp_lg_u64 s[72:73], 0
	s_cbranch_scc0 .LBB210_355
; %bb.313:                              ;   in Loop: Header=BB210_18 Depth=1
	v_cvt_f32_u32_e32 v2, s35
	s_sub_u32 s20, 0, s35
	s_subb_u32 s21, 0, 0
	v_fmac_f32_e64 v2, 0x4f800000, 0
	v_rcp_f32_e32 v2, v2
	v_mul_f32_e32 v2, 0x5f7ffffc, v2
	v_mul_f32_e32 v4, 0x2f800000, v2
	v_trunc_f32_e32 v4, v4
	v_fmac_f32_e32 v2, 0xcf800000, v4
	v_cvt_u32_f32_e32 v4, v4
	v_cvt_u32_f32_e32 v2, v2
	v_readfirstlane_b32 s8, v4
	v_readfirstlane_b32 s9, v2
	s_mul_i32 s22, s20, s8
	s_mul_hi_u32 s25, s20, s9
	s_mul_i32 s23, s21, s9
	s_add_i32 s22, s25, s22
	s_mul_i32 s27, s20, s9
	s_add_i32 s22, s22, s23
	s_mul_hi_u32 s25, s9, s27
	s_mul_i32 s70, s9, s22
	s_mul_hi_u32 s28, s8, s27
	s_mul_i32 s23, s8, s27
	s_mul_hi_u32 s27, s9, s22
	s_add_u32 s25, s25, s70
	s_addc_u32 s27, 0, s27
	s_mul_hi_u32 s72, s8, s22
	s_add_u32 s23, s25, s23
	s_mul_i32 s22, s8, s22
	s_addc_u32 s23, s27, s28
	s_addc_u32 s25, s72, 0
	s_add_u32 s22, s23, s22
	s_addc_u32 s23, 0, s25
	s_add_u32 s9, s9, s22
	s_cselect_b32 s22, -1, 0
	s_mul_hi_u32 s25, s20, s9
	s_cmp_lg_u32 s22, 0
	s_mul_i32 s22, s20, s9
	s_addc_u32 s8, s8, s23
	s_mul_i32 s21, s21, s9
	s_mul_i32 s20, s20, s8
	s_mul_hi_u32 s23, s9, s22
	s_add_i32 s20, s25, s20
	s_mul_hi_u32 s25, s8, s22
	s_add_i32 s20, s20, s21
	s_mul_i32 s21, s8, s22
	s_mul_i32 s28, s9, s20
	s_mul_hi_u32 s27, s9, s20
	s_add_u32 s23, s23, s28
	s_addc_u32 s27, 0, s27
	s_mul_hi_u32 s22, s8, s20
	s_add_u32 s21, s23, s21
	s_mul_i32 s20, s8, s20
	s_addc_u32 s21, s27, s25
	s_addc_u32 s22, s22, 0
	s_add_u32 s20, s21, s20
	s_addc_u32 s21, 0, s22
	s_add_u32 s9, s9, s20
	s_cselect_b32 s20, -1, 0
	s_mul_hi_u32 s22, s96, s9
	s_cmp_lg_u32 s20, 0
	s_mul_hi_u32 s20, s73, s9
	s_addc_u32 s8, s8, s21
	s_mul_i32 s9, s73, s9
	s_mul_i32 s23, s96, s8
	s_mul_hi_u32 s21, s96, s8
	s_add_u32 s22, s22, s23
	s_addc_u32 s21, 0, s21
	s_mul_hi_u32 s25, s73, s8
	s_add_u32 s9, s22, s9
	s_mul_i32 s8, s73, s8
	s_addc_u32 s9, s21, s20
	s_addc_u32 s20, s25, 0
	s_add_u32 s8, s9, s8
	s_addc_u32 s9, 0, s20
	s_mul_hi_u32 s20, s35, s8
	s_mul_i32 s9, s35, s9
	s_mul_i32 s8, s35, s8
	s_add_i32 s20, s20, s9
	s_sub_u32 s8, s96, s8
	s_cselect_b32 s9, -1, 0
	s_cmp_lg_u32 s9, 0
	s_subb_u32 s9, s73, s20
	s_sub_u32 s20, s8, s35
	s_cselect_b32 s21, -1, 0
	s_cmp_lg_u32 s21, 0
	s_subb_u32 s21, s9, 0
	;; [unrolled: 4-line block ×3, first 2 shown]
	s_cmp_ge_u32 s20, s35
	s_cselect_b32 s25, -1, 0
	s_cmp_eq_u32 s21, 0
	s_cselect_b32 s25, s25, -1
	s_cmp_lg_u32 s25, 0
	s_cselect_b32 s21, s23, s21
	s_cselect_b32 s20, s22, s20
	s_cmp_ge_u32 s8, s35
	s_cselect_b32 s22, -1, 0
	s_cmp_eq_u32 s9, 0
	s_cselect_b32 s22, s22, -1
	s_cmp_lg_u32 s22, 0
	s_cselect_b32 s21, s21, s9
	s_cselect_b32 s20, s20, s8
	s_cbranch_execnz .LBB210_315
.LBB210_314:                            ;   in Loop: Header=BB210_18 Depth=1
	v_cvt_f32_u32_e32 v2, s35
	s_sub_i32 s9, 0, s35
	v_rcp_iflag_f32_e32 v2, v2
	v_mul_f32_e32 v2, 0x4f7ffffe, v2
	v_cvt_u32_f32_e32 v2, v2
	v_readfirstlane_b32 s8, v2
	s_mul_i32 s9, s9, s8
	s_mul_hi_u32 s9, s8, s9
	s_add_i32 s8, s8, s9
	s_mul_hi_u32 s8, s96, s8
	s_mul_i32 s8, s8, s35
	s_sub_i32 s8, s96, s8
	s_sub_i32 s9, s8, s35
	s_cmp_ge_u32 s8, s35
	s_cselect_b32 s8, s9, s8
	s_sub_i32 s9, s8, s35
	s_cmp_ge_u32 s8, s35
	s_cselect_b32 s70, s9, s8
	s_mov_b64 s[20:21], s[70:71]
.LBB210_315:                            ;   in Loop: Header=BB210_18 Depth=1
	s_sub_u32 s20, s96, s20
	s_subb_u32 s21, s73, s21
	s_mov_b32 s8, exec_lo
                                        ; implicit-def: $vgpr34
	v_cmpx_gt_u64_e64 s[20:21], v[0:1]
	s_cbranch_execz .LBB210_325
; %bb.316:                              ;   in Loop: Header=BB210_18 Depth=1
	v_mov_b32_e32 v5, v1
	v_mov_b32_e32 v4, v0
	s_mov_b32 s9, 0
                                        ; implicit-def: $sgpr22
	s_branch .LBB210_320
.LBB210_317:                            ;   in Loop: Header=BB210_320 Depth=2
	s_or_b32 exec_lo, exec_lo, s23
	s_waitcnt lgkmcnt(0)
	s_barrier
	buffer_gl0_inv
	ds_read_b32 v2, v3 offset:3072
	s_waitcnt lgkmcnt(0)
	s_barrier
	buffer_gl0_inv
	v_cmp_neq_f16_e32 vcc_lo, 0, v2
	s_cbranch_vccnz .LBB210_323
; %bb.318:                              ;   in Loop: Header=BB210_320 Depth=2
	v_add_co_u32 v4, vcc_lo, v4, s35
	v_add_co_ci_u32_e64 v5, null, 0, v5, vcc_lo
	s_mov_b32 s23, 0
	v_cmp_le_u64_e32 vcc_lo, s[20:21], v[4:5]
	s_orn2_b32 s25, vcc_lo, exec_lo
.LBB210_319:                            ;   in Loop: Header=BB210_320 Depth=2
	s_and_b32 s1, exec_lo, s25
	s_or_b32 s9, s1, s9
	s_andn2_b32 s1, s22, exec_lo
	s_and_b32 s7, s23, exec_lo
	s_or_b32 s22, s1, s7
	s_andn2_b32 exec_lo, exec_lo, s9
	s_cbranch_execz .LBB210_324
.LBB210_320:                            ;   Parent Loop BB210_18 Depth=1
                                        ; =>  This Inner Loop Header: Depth=2
	s_mov_b32 s23, exec_lo
	v_cmpx_gt_u64_e64 s[36:37], v[4:5]
	s_cbranch_execz .LBB210_317
; %bb.321:                              ;   in Loop: Header=BB210_320 Depth=2
	v_mul_lo_u32 v2, v5, s30
	v_mul_lo_u32 v8, v4, s31
	v_mad_u64_u32 v[6:7], null, v4, s30, 0
	v_add3_u32 v7, v7, v8, v2
	v_lshlrev_b64 v[6:7], 1, v[6:7]
	v_add_co_u32 v6, vcc_lo, s29, v6
	v_add_co_ci_u32_e64 v7, null, s33, v7, vcc_lo
	global_load_ushort v2, v[6:7], off
	s_waitcnt vmcnt(0)
	v_cmp_lt_i16_e32 vcc_lo, -1, v2
	v_cndmask_b32_e32 v6, 0xffff, v31, vcc_lo
	v_cmp_o_f16_e32 vcc_lo, v2, v2
	v_xor_b32_sdwa v6, v6, v2 dst_sel:DWORD dst_unused:UNUSED_PAD src0_sel:DWORD src1_sel:WORD_0
	v_cndmask_b32_e32 v6, 0xffff, v6, vcc_lo
	v_and_b32_e32 v6, v6, v33
	v_cmp_eq_u32_e32 vcc_lo, v6, v28
	s_and_b32 exec_lo, exec_lo, vcc_lo
	s_cbranch_execz .LBB210_317
; %bb.322:                              ;   in Loop: Header=BB210_320 Depth=2
	v_perm_b32 v2, v2, s63, 0x5040100
	ds_write_b32 v3, v2 offset:3072
	s_branch .LBB210_317
.LBB210_323:                            ;   in Loop: Header=BB210_320 Depth=2
	s_mov_b32 s25, -1
	s_mov_b32 s23, -1
                                        ; implicit-def: $vgpr4_vgpr5
	s_branch .LBB210_319
.LBB210_324:                            ;   in Loop: Header=BB210_18 Depth=1
	s_or_b32 exec_lo, exec_lo, s9
	s_andn2_b32 s1, s24, exec_lo
	s_and_b32 s7, s22, exec_lo
	v_lshrrev_b32_e32 v34, 16, v2
	s_or_b32 s24, s1, s7
.LBB210_325:                            ;   in Loop: Header=BB210_18 Depth=1
	s_or_b32 exec_lo, exec_lo, s8
	s_mov_b32 s27, 0
	s_mov_b32 s9, -1
.LBB210_326:                            ;   in Loop: Header=BB210_18 Depth=1
	s_orn2_b32 s8, s24, exec_lo
.LBB210_327:                            ;   in Loop: Header=BB210_18 Depth=1
	s_or_b32 exec_lo, exec_lo, s77
                                        ; implicit-def: $vgpr4_vgpr5
                                        ; implicit-def: $vgpr2
	s_and_saveexec_b32 s24, s8
	s_cbranch_execz .LBB210_491
; %bb.328:                              ;   in Loop: Header=BB210_18 Depth=1
	v_mov_b32_e32 v4, 1
	v_mov_b32_e32 v5, 0
	;; [unrolled: 1-line block ×3, first 2 shown]
	s_xor_b32 s8, s6, -1
	s_mov_b32 s20, 0
	s_and_saveexec_b32 s6, s8
	s_cbranch_execz .LBB210_337
; %bb.329:                              ;   in Loop: Header=BB210_18 Depth=1
	s_mov_b32 s8, exec_lo
	v_cmpx_ge_u64_e64 s[18:19], v[19:20]
	s_xor_b32 s8, exec_lo, s8
	s_cbranch_execz .LBB210_334
; %bb.330:                              ;   in Loop: Header=BB210_18 Depth=1
	ds_read_b64 v[4:5], v3 offset:5120
	v_or_b32_e32 v28, s11, v28
	v_or_b32_e32 v33, s11, v33
	s_waitcnt lgkmcnt(0)
	v_cmp_ne_u64_e32 vcc_lo, 0, v[4:5]
	s_cbranch_vccnz .LBB210_334
; %bb.331:                              ;   in Loop: Header=BB210_18 Depth=1
	s_and_saveexec_b32 s20, s3
; %bb.332:                              ;   in Loop: Header=BB210_18 Depth=1
	v_mov_b32_e32 v4, s18
	v_mov_b32_e32 v5, s19
	ds_write_b64 v3, v[4:5] offset:5128
; %bb.333:                              ;   in Loop: Header=BB210_18 Depth=1
	s_or_b32 exec_lo, exec_lo, s20
	s_waitcnt lgkmcnt(0)
	s_barrier
	buffer_gl0_inv
.LBB210_334:                            ;   in Loop: Header=BB210_18 Depth=1
	s_or_saveexec_b32 s8, s8
	v_mov_b32_e32 v2, 5
	s_mov_b32 s20, 0
	s_xor_b32 exec_lo, exec_lo, s8
; %bb.335:                              ;   in Loop: Header=BB210_18 Depth=1
	v_sub_co_u32 v19, vcc_lo, v19, s18
	v_subrev_co_ci_u32_e64 v20, null, s19, v20, vcc_lo
	v_mov_b32_e32 v2, 0
	s_mov_b32 s20, exec_lo
; %bb.336:                              ;   in Loop: Header=BB210_18 Depth=1
	s_or_b32 exec_lo, exec_lo, s8
	v_mov_b32_e32 v4, v19
	v_mov_b32_e32 v5, v20
	s_and_b32 s20, s20, exec_lo
.LBB210_337:                            ;   in Loop: Header=BB210_18 Depth=1
	s_or_b32 exec_lo, exec_lo, s6
	s_mov_b32 s8, -1
                                        ; implicit-def: $sgpr25
                                        ; implicit-def: $sgpr77
	s_and_saveexec_b32 s6, s20
	s_xor_b32 s6, exec_lo, s6
	s_cbranch_execz .LBB210_488
; %bb.338:                              ;   in Loop: Header=BB210_18 Depth=1
	v_cmp_eq_u64_e32 vcc_lo, 1, v[4:5]
	s_cmp_eq_u64 s[16:17], 1
                                        ; implicit-def: $sgpr77
                                        ; implicit-def: $sgpr25
	s_cselect_b32 s8, -1, 0
	s_and_b32 s78, s8, vcc_lo
	s_mov_b32 s8, -1
	s_and_saveexec_b32 s79, s78
	s_cbranch_execz .LBB210_374
; %bb.339:                              ;   in Loop: Header=BB210_18 Depth=1
	ds_read_b64 v[6:7], v3 offset:5120
	s_waitcnt lgkmcnt(0)
	s_barrier
	buffer_gl0_inv
	v_readfirstlane_b32 s18, v6
	v_readfirstlane_b32 s19, v7
	s_and_saveexec_b32 s8, s10
; %bb.340:                              ;   in Loop: Header=BB210_18 Depth=1
	ds_write_b16 v26, v3
; %bb.341:                              ;   in Loop: Header=BB210_18 Depth=1
	s_or_b32 exec_lo, exec_lo, s8
	s_lshl_b32 s8, 2, s69
	v_or_b32_e32 v33, s11, v33
	v_and_or_b32 v28, v28, s26, s8
	s_mov_b32 s25, -1
	s_mov_b32 s77, 0
	s_cmp_eq_u64 s[18:19], 0
	s_mov_b32 s22, 0
	s_mov_b32 s8, -1
	s_waitcnt lgkmcnt(0)
	s_barrier
	buffer_gl0_inv
                                        ; implicit-def: $vgpr34
	s_cbranch_scc1 .LBB210_358
; %bb.342:                              ;   in Loop: Header=BB210_18 Depth=1
	s_add_u32 s72, s18, s94
	s_addc_u32 s21, s19, s95
	s_mov_b32 s20, s71
	s_cmp_lg_u64 s[20:21], 0
	s_cbranch_scc0 .LBB210_401
; %bb.343:                              ;   in Loop: Header=BB210_18 Depth=1
	v_cvt_f32_u32_e32 v6, s35
	s_sub_u32 s22, 0, s35
	s_subb_u32 s23, 0, 0
	v_fmac_f32_e64 v6, 0x4f800000, 0
	v_rcp_f32_e32 v6, v6
	v_mul_f32_e32 v6, 0x5f7ffffc, v6
	v_mul_f32_e32 v7, 0x2f800000, v6
	v_trunc_f32_e32 v7, v7
	v_fmac_f32_e32 v6, 0xcf800000, v7
	v_cvt_u32_f32_e32 v7, v7
	v_cvt_u32_f32_e32 v6, v6
	v_readfirstlane_b32 s8, v7
	v_readfirstlane_b32 s20, v6
	s_mul_i32 s28, s22, s8
	s_mul_hi_u32 s80, s22, s20
	s_mul_i32 s70, s23, s20
	s_add_i32 s28, s80, s28
	s_mul_i32 s81, s22, s20
	s_add_i32 s28, s28, s70
	s_mul_hi_u32 s80, s20, s81
	s_mul_i32 s83, s20, s28
	s_mul_hi_u32 s82, s8, s81
	s_mul_i32 s70, s8, s81
	s_mul_hi_u32 s81, s20, s28
	s_add_u32 s80, s80, s83
	s_addc_u32 s81, 0, s81
	s_mul_hi_u32 s84, s8, s28
	s_add_u32 s70, s80, s70
	s_mul_i32 s28, s8, s28
	s_addc_u32 s70, s81, s82
	s_addc_u32 s80, s84, 0
	s_add_u32 s28, s70, s28
	s_addc_u32 s70, 0, s80
	s_add_u32 s20, s20, s28
	s_cselect_b32 s28, -1, 0
	s_mul_hi_u32 s80, s22, s20
	s_cmp_lg_u32 s28, 0
	s_mul_i32 s28, s22, s20
	s_addc_u32 s8, s8, s70
	s_mul_i32 s23, s23, s20
	s_mul_i32 s22, s22, s8
	s_mul_hi_u32 s70, s20, s28
	s_add_i32 s22, s80, s22
	s_mul_hi_u32 s80, s8, s28
	s_add_i32 s22, s22, s23
	s_mul_i32 s23, s8, s28
	s_mul_i32 s82, s20, s22
	s_mul_hi_u32 s81, s20, s22
	s_add_u32 s70, s70, s82
	s_addc_u32 s81, 0, s81
	s_mul_hi_u32 s28, s8, s22
	s_add_u32 s23, s70, s23
	s_mul_i32 s22, s8, s22
	s_addc_u32 s23, s81, s80
	s_addc_u32 s28, s28, 0
	s_add_u32 s22, s23, s22
	s_addc_u32 s23, 0, s28
	s_add_u32 s20, s20, s22
	s_cselect_b32 s22, -1, 0
	s_mul_hi_u32 s28, s72, s20
	s_cmp_lg_u32 s22, 0
	s_mul_hi_u32 s22, s21, s20
	s_addc_u32 s8, s8, s23
	s_mul_i32 s20, s21, s20
	s_mul_i32 s70, s72, s8
	s_mul_hi_u32 s23, s72, s8
	s_add_u32 s28, s28, s70
	s_addc_u32 s23, 0, s23
	s_mul_hi_u32 s80, s21, s8
	s_add_u32 s20, s28, s20
	s_mul_i32 s8, s21, s8
	s_addc_u32 s20, s23, s22
	s_addc_u32 s22, s80, 0
	s_add_u32 s8, s20, s8
	s_addc_u32 s20, 0, s22
	s_mul_hi_u32 s22, s35, s8
	s_mul_i32 s20, s35, s20
	s_mul_i32 s8, s35, s8
	s_add_i32 s22, s22, s20
	s_sub_u32 s8, s72, s8
	s_cselect_b32 s20, -1, 0
	s_cmp_lg_u32 s20, 0
	s_subb_u32 s20, s21, s22
	s_sub_u32 s22, s8, s35
	s_cselect_b32 s23, -1, 0
	s_cmp_lg_u32 s23, 0
	s_subb_u32 s23, s20, 0
	;; [unrolled: 4-line block ×3, first 2 shown]
	s_cmp_ge_u32 s22, s35
	s_cselect_b32 s80, -1, 0
	s_cmp_eq_u32 s23, 0
	s_cselect_b32 s80, s80, -1
	s_cmp_lg_u32 s80, 0
	s_cselect_b32 s23, s70, s23
	s_cselect_b32 s22, s28, s22
	s_cmp_ge_u32 s8, s35
	s_cselect_b32 s28, -1, 0
	s_cmp_eq_u32 s20, 0
	s_cselect_b32 s28, s28, -1
	s_cmp_lg_u32 s28, 0
	s_cselect_b32 s23, s23, s20
	s_cselect_b32 s22, s22, s8
	s_cbranch_execnz .LBB210_345
.LBB210_344:                            ;   in Loop: Header=BB210_18 Depth=1
	v_cvt_f32_u32_e32 v6, s35
	s_sub_i32 s20, 0, s35
	v_rcp_iflag_f32_e32 v6, v6
	v_mul_f32_e32 v6, 0x4f7ffffe, v6
	v_cvt_u32_f32_e32 v6, v6
	v_readfirstlane_b32 s8, v6
	s_mul_i32 s20, s20, s8
	s_mul_hi_u32 s20, s8, s20
	s_add_i32 s8, s8, s20
	s_mul_hi_u32 s8, s72, s8
	s_mul_i32 s8, s8, s35
	s_sub_i32 s8, s72, s8
	s_sub_i32 s20, s8, s35
	s_cmp_ge_u32 s8, s35
	s_cselect_b32 s8, s20, s8
	s_sub_i32 s20, s8, s35
	s_cmp_ge_u32 s8, s35
	s_cselect_b32 s70, s20, s8
	s_mov_b64 s[22:23], s[70:71]
.LBB210_345:                            ;   in Loop: Header=BB210_18 Depth=1
	s_sub_u32 s20, s72, s22
	s_subb_u32 s21, s21, s23
	s_mov_b32 s8, 0
	s_mov_b32 s22, 0
	s_mov_b32 s23, exec_lo
                                        ; implicit-def: $vgpr34
	v_cmpx_gt_u64_e64 s[20:21], v[0:1]
	s_cbranch_execz .LBB210_357
; %bb.346:                              ;   in Loop: Header=BB210_18 Depth=1
	v_mov_b32_e32 v7, v1
	v_mov_b32_e32 v8, v25
	;; [unrolled: 1-line block ×3, first 2 shown]
                                        ; implicit-def: $sgpr70
	s_branch .LBB210_350
.LBB210_347:                            ;   in Loop: Header=BB210_350 Depth=2
	s_or_b32 exec_lo, exec_lo, s72
	s_waitcnt lgkmcnt(0)
	s_barrier
	buffer_gl0_inv
	ds_read_b32 v9, v3 offset:3072
	s_waitcnt lgkmcnt(0)
	s_barrier
	buffer_gl0_inv
	v_cmp_neq_f16_e32 vcc_lo, 0, v9
	s_cbranch_vccnz .LBB210_353
; %bb.348:                              ;   in Loop: Header=BB210_350 Depth=2
	v_add_co_u32 v6, vcc_lo, v6, s35
	v_add_co_ci_u32_e64 v7, null, 0, v7, vcc_lo
	v_add_nc_u32_e32 v8, s68, v8
	s_mov_b32 s28, 0
	v_cmp_le_u64_e32 vcc_lo, s[20:21], v[6:7]
	s_orn2_b32 s72, vcc_lo, exec_lo
.LBB210_349:                            ;   in Loop: Header=BB210_350 Depth=2
	s_and_b32 s1, exec_lo, s72
	s_or_b32 s22, s1, s22
	s_andn2_b32 s1, s70, exec_lo
	s_and_b32 s7, s28, exec_lo
	s_or_b32 s70, s1, s7
	s_andn2_b32 exec_lo, exec_lo, s22
	s_cbranch_execz .LBB210_356
.LBB210_350:                            ;   Parent Loop BB210_18 Depth=1
                                        ; =>  This Inner Loop Header: Depth=2
	s_mov_b32 s72, exec_lo
	v_cmpx_gt_u64_e64 s[18:19], v[6:7]
	s_cbranch_execz .LBB210_347
; %bb.351:                              ;   in Loop: Header=BB210_350 Depth=2
	ds_read_u16 v9, v8
	s_waitcnt lgkmcnt(0)
	v_cmp_lt_i16_e32 vcc_lo, -1, v9
	v_cndmask_b32_e32 v10, 0xffff, v31, vcc_lo
	v_cmp_o_f16_e32 vcc_lo, v9, v9
	v_xor_b32_sdwa v10, v10, v9 dst_sel:DWORD dst_unused:UNUSED_PAD src0_sel:DWORD src1_sel:WORD_0
	v_cndmask_b32_e32 v10, 0xffff, v10, vcc_lo
	v_and_b32_e32 v10, v10, v33
	v_cmp_eq_u32_e32 vcc_lo, v10, v28
	s_and_b32 exec_lo, exec_lo, vcc_lo
	s_cbranch_execz .LBB210_347
; %bb.352:                              ;   in Loop: Header=BB210_350 Depth=2
	v_perm_b32 v9, v9, s63, 0x5040100
	ds_write_b32 v3, v9 offset:3072
	s_branch .LBB210_347
.LBB210_353:                            ;   in Loop: Header=BB210_350 Depth=2
	s_mov_b32 s72, -1
	s_mov_b32 s28, -1
                                        ; implicit-def: $vgpr6_vgpr7
                                        ; implicit-def: $vgpr8
	s_branch .LBB210_349
.LBB210_354:                            ;   in Loop: Header=BB210_18 Depth=1
                                        ; implicit-def: $sgpr24_sgpr25
	s_andn2_b32 vcc_lo, exec_lo, s8
	s_cbranch_vccz .LBB210_298
	s_branch .LBB210_299
.LBB210_355:                            ;   in Loop: Header=BB210_18 Depth=1
                                        ; implicit-def: $sgpr20_sgpr21
	s_branch .LBB210_314
.LBB210_356:                            ;   in Loop: Header=BB210_18 Depth=1
	s_or_b32 exec_lo, exec_lo, s22
	v_lshrrev_b32_e32 v34, 16, v9
	s_and_b32 s22, s70, exec_lo
.LBB210_357:                            ;   in Loop: Header=BB210_18 Depth=1
	s_or_b32 exec_lo, exec_lo, s23
.LBB210_358:                            ;   in Loop: Header=BB210_18 Depth=1
	s_and_b32 vcc_lo, exec_lo, s8
	s_cbranch_vccz .LBB210_373
; %bb.359:                              ;   in Loop: Header=BB210_18 Depth=1
	s_mov_b32 s72, s71
	s_cmp_lg_u64 s[72:73], 0
	s_cbranch_scc0 .LBB210_402
; %bb.360:                              ;   in Loop: Header=BB210_18 Depth=1
	v_cvt_f32_u32_e32 v6, s35
	s_sub_u32 s19, 0, s35
	s_subb_u32 s20, 0, 0
	v_fmac_f32_e64 v6, 0x4f800000, 0
	v_rcp_f32_e32 v6, v6
	v_mul_f32_e32 v6, 0x5f7ffffc, v6
	v_mul_f32_e32 v7, 0x2f800000, v6
	v_trunc_f32_e32 v7, v7
	v_fmac_f32_e32 v6, 0xcf800000, v7
	v_cvt_u32_f32_e32 v7, v7
	v_cvt_u32_f32_e32 v6, v6
	v_readfirstlane_b32 s8, v7
	v_readfirstlane_b32 s18, v6
	s_mul_i32 s21, s19, s8
	s_mul_hi_u32 s25, s19, s18
	s_mul_i32 s23, s20, s18
	s_add_i32 s21, s25, s21
	s_mul_i32 s28, s19, s18
	s_add_i32 s21, s21, s23
	s_mul_hi_u32 s25, s18, s28
	s_mul_i32 s72, s18, s21
	s_mul_hi_u32 s70, s8, s28
	s_mul_i32 s23, s8, s28
	s_mul_hi_u32 s28, s18, s21
	s_add_u32 s25, s25, s72
	s_addc_u32 s28, 0, s28
	s_mul_hi_u32 s77, s8, s21
	s_add_u32 s23, s25, s23
	s_mul_i32 s21, s8, s21
	s_addc_u32 s23, s28, s70
	s_addc_u32 s25, s77, 0
	s_add_u32 s21, s23, s21
	s_addc_u32 s23, 0, s25
	s_add_u32 s18, s18, s21
	s_cselect_b32 s21, -1, 0
	s_mul_hi_u32 s25, s19, s18
	s_cmp_lg_u32 s21, 0
	s_mul_i32 s21, s19, s18
	s_addc_u32 s8, s8, s23
	s_mul_i32 s20, s20, s18
	s_mul_i32 s19, s19, s8
	s_mul_hi_u32 s23, s18, s21
	s_add_i32 s19, s25, s19
	s_mul_hi_u32 s25, s8, s21
	s_add_i32 s19, s19, s20
	s_mul_i32 s20, s8, s21
	s_mul_i32 s70, s18, s19
	s_mul_hi_u32 s28, s18, s19
	s_add_u32 s23, s23, s70
	s_addc_u32 s28, 0, s28
	s_mul_hi_u32 s21, s8, s19
	s_add_u32 s20, s23, s20
	s_mul_i32 s19, s8, s19
	s_addc_u32 s20, s28, s25
	s_addc_u32 s21, s21, 0
	s_add_u32 s19, s20, s19
	s_addc_u32 s20, 0, s21
	s_add_u32 s18, s18, s19
	s_cselect_b32 s19, -1, 0
	s_mul_hi_u32 s21, s96, s18
	s_cmp_lg_u32 s19, 0
	s_mul_hi_u32 s19, s73, s18
	s_addc_u32 s8, s8, s20
	s_mul_i32 s18, s73, s18
	s_mul_i32 s23, s96, s8
	s_mul_hi_u32 s20, s96, s8
	s_add_u32 s21, s21, s23
	s_addc_u32 s20, 0, s20
	s_mul_hi_u32 s25, s73, s8
	s_add_u32 s18, s21, s18
	s_mul_i32 s8, s73, s8
	s_addc_u32 s18, s20, s19
	s_addc_u32 s19, s25, 0
	s_add_u32 s8, s18, s8
	s_addc_u32 s18, 0, s19
	s_mul_hi_u32 s19, s35, s8
	s_mul_i32 s18, s35, s18
	s_mul_i32 s8, s35, s8
	s_add_i32 s19, s19, s18
	s_sub_u32 s8, s96, s8
	s_cselect_b32 s18, -1, 0
	s_cmp_lg_u32 s18, 0
	s_subb_u32 s18, s73, s19
	s_sub_u32 s19, s8, s35
	s_cselect_b32 s20, -1, 0
	s_cmp_lg_u32 s20, 0
	s_subb_u32 s20, s18, 0
	;; [unrolled: 4-line block ×3, first 2 shown]
	s_cmp_ge_u32 s19, s35
	s_cselect_b32 s25, -1, 0
	s_cmp_eq_u32 s20, 0
	s_cselect_b32 s25, s25, -1
	s_cmp_lg_u32 s25, 0
	s_cselect_b32 s20, s23, s20
	s_cselect_b32 s21, s21, s19
	s_cmp_ge_u32 s8, s35
	s_cselect_b32 s19, -1, 0
	s_cmp_eq_u32 s18, 0
	s_cselect_b32 s19, s19, -1
	s_cmp_lg_u32 s19, 0
	s_cselect_b32 s19, s20, s18
	s_cselect_b32 s18, s21, s8
	s_cbranch_execnz .LBB210_362
.LBB210_361:                            ;   in Loop: Header=BB210_18 Depth=1
	v_cvt_f32_u32_e32 v6, s35
	s_sub_i32 s18, 0, s35
	v_rcp_iflag_f32_e32 v6, v6
	v_mul_f32_e32 v6, 0x4f7ffffe, v6
	v_cvt_u32_f32_e32 v6, v6
	v_readfirstlane_b32 s8, v6
	s_mul_i32 s18, s18, s8
	s_mul_hi_u32 s18, s8, s18
	s_add_i32 s8, s8, s18
	s_mul_hi_u32 s8, s96, s8
	s_mul_i32 s8, s8, s35
	s_sub_i32 s8, s96, s8
	s_sub_i32 s18, s8, s35
	s_cmp_ge_u32 s8, s35
	s_cselect_b32 s8, s18, s8
	s_sub_i32 s18, s8, s35
	s_cmp_ge_u32 s8, s35
	s_cselect_b32 s70, s18, s8
	s_mov_b64 s[18:19], s[70:71]
.LBB210_362:                            ;   in Loop: Header=BB210_18 Depth=1
	s_sub_u32 s18, s96, s18
	s_subb_u32 s19, s73, s19
	s_mov_b32 s8, exec_lo
                                        ; implicit-def: $vgpr34
	v_cmpx_gt_u64_e64 s[18:19], v[0:1]
	s_cbranch_execz .LBB210_372
; %bb.363:                              ;   in Loop: Header=BB210_18 Depth=1
	v_mov_b32_e32 v7, v1
	v_mov_b32_e32 v6, v0
	s_mov_b32 s20, 0
                                        ; implicit-def: $sgpr21
	s_branch .LBB210_367
.LBB210_364:                            ;   in Loop: Header=BB210_367 Depth=2
	s_or_b32 exec_lo, exec_lo, s23
	s_waitcnt lgkmcnt(0)
	s_barrier
	buffer_gl0_inv
	ds_read_b32 v8, v3 offset:3072
	s_waitcnt lgkmcnt(0)
	s_barrier
	buffer_gl0_inv
	v_cmp_eq_f16_e32 vcc_lo, 0, v8
	s_cbranch_vccz .LBB210_370
; %bb.365:                              ;   in Loop: Header=BB210_367 Depth=2
	v_add_co_u32 v6, vcc_lo, v6, s35
	v_add_co_ci_u32_e64 v7, null, 0, v7, vcc_lo
	s_mov_b32 s23, 0
	v_cmp_le_u64_e32 vcc_lo, s[18:19], v[6:7]
	s_orn2_b32 s25, vcc_lo, exec_lo
.LBB210_366:                            ;   in Loop: Header=BB210_367 Depth=2
	s_and_b32 s1, exec_lo, s25
	s_or_b32 s20, s1, s20
	s_andn2_b32 s1, s21, exec_lo
	s_and_b32 s7, s23, exec_lo
	s_or_b32 s21, s1, s7
	s_andn2_b32 exec_lo, exec_lo, s20
	s_cbranch_execz .LBB210_371
.LBB210_367:                            ;   Parent Loop BB210_18 Depth=1
                                        ; =>  This Inner Loop Header: Depth=2
	s_mov_b32 s23, exec_lo
	v_cmpx_gt_u64_e64 s[36:37], v[6:7]
	s_cbranch_execz .LBB210_364
; %bb.368:                              ;   in Loop: Header=BB210_367 Depth=2
	v_mul_lo_u32 v10, v7, s30
	v_mul_lo_u32 v11, v6, s31
	v_mad_u64_u32 v[8:9], null, v6, s30, 0
	v_add3_u32 v9, v9, v11, v10
	v_lshlrev_b64 v[8:9], 1, v[8:9]
	v_add_co_u32 v8, vcc_lo, s29, v8
	v_add_co_ci_u32_e64 v9, null, s33, v9, vcc_lo
	global_load_ushort v8, v[8:9], off
	s_waitcnt vmcnt(0)
	v_cmp_lt_i16_e32 vcc_lo, -1, v8
	v_cndmask_b32_e32 v9, 0xffff, v31, vcc_lo
	v_cmp_o_f16_e32 vcc_lo, v8, v8
	v_xor_b32_sdwa v9, v9, v8 dst_sel:DWORD dst_unused:UNUSED_PAD src0_sel:DWORD src1_sel:WORD_0
	v_cndmask_b32_e32 v9, 0xffff, v9, vcc_lo
	v_and_b32_e32 v9, v9, v33
	v_cmp_eq_u32_e32 vcc_lo, v9, v28
	s_and_b32 exec_lo, exec_lo, vcc_lo
	s_cbranch_execz .LBB210_364
; %bb.369:                              ;   in Loop: Header=BB210_367 Depth=2
	v_perm_b32 v8, v8, s63, 0x5040100
	ds_write_b32 v3, v8 offset:3072
	s_branch .LBB210_364
.LBB210_370:                            ;   in Loop: Header=BB210_367 Depth=2
	s_mov_b32 s25, -1
	s_mov_b32 s23, -1
                                        ; implicit-def: $vgpr6_vgpr7
	s_branch .LBB210_366
.LBB210_371:                            ;   in Loop: Header=BB210_18 Depth=1
	s_or_b32 exec_lo, exec_lo, s20
	v_lshrrev_b32_e32 v34, 16, v8
	s_andn2_b32 s1, s22, exec_lo
	s_and_b32 s7, s21, exec_lo
	s_or_b32 s22, s1, s7
.LBB210_372:                            ;   in Loop: Header=BB210_18 Depth=1
	s_or_b32 exec_lo, exec_lo, s8
	s_mov_b32 s25, 0
	s_mov_b32 s77, -1
.LBB210_373:                            ;   in Loop: Header=BB210_18 Depth=1
	s_orn2_b32 s8, s22, exec_lo
.LBB210_374:                            ;   in Loop: Header=BB210_18 Depth=1
	s_or_b32 exec_lo, exec_lo, s79
	s_mov_b32 s18, 0
	s_and_saveexec_b32 s22, s8
	s_cbranch_execz .LBB210_487
; %bb.375:                              ;   in Loop: Header=BB210_18 Depth=1
	v_mov_b32_e32 v6, 1
	v_mov_b32_e32 v7, 0
	;; [unrolled: 1-line block ×3, first 2 shown]
	s_xor_b32 s19, s78, -1
	s_and_saveexec_b32 s8, s19
	s_cbranch_execz .LBB210_384
; %bb.376:                              ;   in Loop: Header=BB210_18 Depth=1
	s_mov_b32 s18, exec_lo
	v_cmpx_ge_u64_e64 s[16:17], v[4:5]
	s_xor_b32 s18, exec_lo, s18
	s_cbranch_execz .LBB210_381
; %bb.377:                              ;   in Loop: Header=BB210_18 Depth=1
	ds_read_b64 v[6:7], v3 offset:5120
	s_lshl_b32 s19, 2, s69
	v_or_b32_e32 v33, s11, v33
	v_and_or_b32 v28, v28, s26, s19
	s_waitcnt lgkmcnt(0)
	v_cmp_ne_u64_e32 vcc_lo, 0, v[6:7]
	s_cbranch_vccnz .LBB210_381
; %bb.378:                              ;   in Loop: Header=BB210_18 Depth=1
	s_and_saveexec_b32 s19, s3
; %bb.379:                              ;   in Loop: Header=BB210_18 Depth=1
	v_mov_b32_e32 v6, s16
	v_mov_b32_e32 v7, s17
	ds_write_b64 v3, v[6:7] offset:5128
; %bb.380:                              ;   in Loop: Header=BB210_18 Depth=1
	s_or_b32 exec_lo, exec_lo, s19
	s_waitcnt lgkmcnt(0)
	s_barrier
	buffer_gl0_inv
.LBB210_381:                            ;   in Loop: Header=BB210_18 Depth=1
	s_or_saveexec_b32 s18, s18
	v_mov_b32_e32 v2, 5
	s_mov_b32 s19, 0
	s_xor_b32 exec_lo, exec_lo, s18
; %bb.382:                              ;   in Loop: Header=BB210_18 Depth=1
	v_sub_co_u32 v4, vcc_lo, v4, s16
	v_subrev_co_ci_u32_e64 v5, null, s17, v5, vcc_lo
	v_mov_b32_e32 v2, 0
	s_mov_b32 s19, exec_lo
; %bb.383:                              ;   in Loop: Header=BB210_18 Depth=1
	s_or_b32 exec_lo, exec_lo, s18
	v_mov_b32_e32 v7, v5
	v_mov_b32_e32 v6, v4
	s_and_b32 s18, s19, exec_lo
.LBB210_384:                            ;   in Loop: Header=BB210_18 Depth=1
	s_or_b32 exec_lo, exec_lo, s8
	s_mov_b32 s8, -1
                                        ; implicit-def: $sgpr78
                                        ; implicit-def: $sgpr79
	s_and_saveexec_b32 s23, s18
	s_cbranch_execz .LBB210_486
; %bb.385:                              ;   in Loop: Header=BB210_18 Depth=1
	v_cmp_eq_u64_e32 vcc_lo, 1, v[6:7]
	s_cmp_eq_u64 s[14:15], 1
                                        ; implicit-def: $sgpr79
                                        ; implicit-def: $sgpr78
	s_cselect_b32 s8, -1, 0
	s_and_b32 s80, s8, vcc_lo
	s_mov_b32 s8, -1
	s_and_saveexec_b32 s81, s80
	s_cbranch_execz .LBB210_421
; %bb.386:                              ;   in Loop: Header=BB210_18 Depth=1
	ds_read_b64 v[4:5], v3 offset:5120
	s_waitcnt lgkmcnt(0)
	s_barrier
	buffer_gl0_inv
	v_readfirstlane_b32 s16, v4
	v_readfirstlane_b32 s17, v5
	s_and_saveexec_b32 s8, s10
; %bb.387:                              ;   in Loop: Header=BB210_18 Depth=1
	ds_write_b16 v26, v3
; %bb.388:                              ;   in Loop: Header=BB210_18 Depth=1
	s_or_b32 exec_lo, exec_lo, s8
	s_lshl_b32 s8, 1, s69
	v_or_b32_e32 v33, s11, v33
	v_and_or_b32 v28, v28, s26, s8
	s_mov_b32 s78, -1
	s_mov_b32 s79, 0
	s_cmp_eq_u64 s[16:17], 0
	s_mov_b32 s20, 0
	s_mov_b32 s8, -1
	s_waitcnt lgkmcnt(0)
	s_barrier
	buffer_gl0_inv
                                        ; implicit-def: $vgpr34
	s_cbranch_scc1 .LBB210_405
; %bb.389:                              ;   in Loop: Header=BB210_18 Depth=1
	s_add_u32 s72, s16, s94
	s_addc_u32 s19, s17, s95
	s_mov_b32 s18, s71
	s_cmp_lg_u64 s[18:19], 0
	s_cbranch_scc0 .LBB210_438
; %bb.390:                              ;   in Loop: Header=BB210_18 Depth=1
	v_cvt_f32_u32_e32 v4, s35
	s_sub_u32 s20, 0, s35
	s_subb_u32 s21, 0, 0
	v_fmac_f32_e64 v4, 0x4f800000, 0
	v_rcp_f32_e32 v4, v4
	v_mul_f32_e32 v4, 0x5f7ffffc, v4
	v_mul_f32_e32 v5, 0x2f800000, v4
	v_trunc_f32_e32 v5, v5
	v_fmac_f32_e32 v4, 0xcf800000, v5
	v_cvt_u32_f32_e32 v5, v5
	v_cvt_u32_f32_e32 v4, v4
	v_readfirstlane_b32 s8, v5
	v_readfirstlane_b32 s18, v4
	s_mul_i32 s28, s20, s8
	s_mul_hi_u32 s82, s20, s18
	s_mul_i32 s70, s21, s18
	s_add_i32 s28, s82, s28
	s_mul_i32 s83, s20, s18
	s_add_i32 s28, s28, s70
	s_mul_hi_u32 s82, s18, s83
	s_mul_i32 s85, s18, s28
	s_mul_hi_u32 s84, s8, s83
	s_mul_i32 s70, s8, s83
	s_mul_hi_u32 s83, s18, s28
	s_add_u32 s82, s82, s85
	s_addc_u32 s83, 0, s83
	s_mul_hi_u32 s86, s8, s28
	s_add_u32 s70, s82, s70
	s_mul_i32 s28, s8, s28
	s_addc_u32 s70, s83, s84
	s_addc_u32 s82, s86, 0
	s_add_u32 s28, s70, s28
	s_addc_u32 s70, 0, s82
	s_add_u32 s18, s18, s28
	s_cselect_b32 s28, -1, 0
	s_mul_hi_u32 s82, s20, s18
	s_cmp_lg_u32 s28, 0
	s_mul_i32 s28, s20, s18
	s_addc_u32 s8, s8, s70
	s_mul_i32 s21, s21, s18
	s_mul_i32 s20, s20, s8
	s_mul_hi_u32 s70, s18, s28
	s_add_i32 s20, s82, s20
	s_mul_hi_u32 s82, s8, s28
	s_add_i32 s20, s20, s21
	s_mul_i32 s21, s8, s28
	s_mul_i32 s84, s18, s20
	s_mul_hi_u32 s83, s18, s20
	s_add_u32 s70, s70, s84
	s_addc_u32 s83, 0, s83
	s_mul_hi_u32 s28, s8, s20
	s_add_u32 s21, s70, s21
	s_mul_i32 s20, s8, s20
	s_addc_u32 s21, s83, s82
	s_addc_u32 s28, s28, 0
	s_add_u32 s20, s21, s20
	s_addc_u32 s21, 0, s28
	s_add_u32 s18, s18, s20
	s_cselect_b32 s20, -1, 0
	s_mul_hi_u32 s28, s72, s18
	s_cmp_lg_u32 s20, 0
	s_mul_hi_u32 s20, s19, s18
	s_addc_u32 s8, s8, s21
	s_mul_i32 s18, s19, s18
	s_mul_i32 s70, s72, s8
	s_mul_hi_u32 s21, s72, s8
	s_add_u32 s28, s28, s70
	s_addc_u32 s21, 0, s21
	s_mul_hi_u32 s82, s19, s8
	s_add_u32 s18, s28, s18
	s_mul_i32 s8, s19, s8
	s_addc_u32 s18, s21, s20
	s_addc_u32 s20, s82, 0
	s_add_u32 s8, s18, s8
	s_addc_u32 s18, 0, s20
	s_mul_hi_u32 s20, s35, s8
	s_mul_i32 s18, s35, s18
	s_mul_i32 s8, s35, s8
	s_add_i32 s20, s20, s18
	s_sub_u32 s8, s72, s8
	s_cselect_b32 s18, -1, 0
	s_cmp_lg_u32 s18, 0
	s_subb_u32 s18, s19, s20
	s_sub_u32 s20, s8, s35
	s_cselect_b32 s21, -1, 0
	s_cmp_lg_u32 s21, 0
	s_subb_u32 s21, s18, 0
	;; [unrolled: 4-line block ×3, first 2 shown]
	s_cmp_ge_u32 s20, s35
	s_cselect_b32 s82, -1, 0
	s_cmp_eq_u32 s21, 0
	s_cselect_b32 s82, s82, -1
	s_cmp_lg_u32 s82, 0
	s_cselect_b32 s21, s70, s21
	s_cselect_b32 s20, s28, s20
	s_cmp_ge_u32 s8, s35
	s_cselect_b32 s28, -1, 0
	s_cmp_eq_u32 s18, 0
	s_cselect_b32 s28, s28, -1
	s_cmp_lg_u32 s28, 0
	s_cselect_b32 s21, s21, s18
	s_cselect_b32 s20, s20, s8
	s_cbranch_execnz .LBB210_392
.LBB210_391:                            ;   in Loop: Header=BB210_18 Depth=1
	v_cvt_f32_u32_e32 v4, s35
	s_sub_i32 s18, 0, s35
	v_rcp_iflag_f32_e32 v4, v4
	v_mul_f32_e32 v4, 0x4f7ffffe, v4
	v_cvt_u32_f32_e32 v4, v4
	v_readfirstlane_b32 s8, v4
	s_mul_i32 s18, s18, s8
	s_mul_hi_u32 s18, s8, s18
	s_add_i32 s8, s8, s18
	s_mul_hi_u32 s8, s72, s8
	s_mul_i32 s8, s8, s35
	s_sub_i32 s8, s72, s8
	s_sub_i32 s18, s8, s35
	s_cmp_ge_u32 s8, s35
	s_cselect_b32 s8, s18, s8
	s_sub_i32 s18, s8, s35
	s_cmp_ge_u32 s8, s35
	s_cselect_b32 s70, s18, s8
	s_mov_b64 s[20:21], s[70:71]
.LBB210_392:                            ;   in Loop: Header=BB210_18 Depth=1
	s_sub_u32 s18, s72, s20
	s_subb_u32 s19, s19, s21
	s_mov_b32 s8, 0
	s_mov_b32 s20, 0
	s_mov_b32 s21, exec_lo
                                        ; implicit-def: $vgpr34
	v_cmpx_gt_u64_e64 s[18:19], v[0:1]
	s_cbranch_execz .LBB210_404
; %bb.393:                              ;   in Loop: Header=BB210_18 Depth=1
	v_mov_b32_e32 v5, v1
	v_mov_b32_e32 v8, v25
	;; [unrolled: 1-line block ×3, first 2 shown]
                                        ; implicit-def: $sgpr70
	s_branch .LBB210_397
.LBB210_394:                            ;   in Loop: Header=BB210_397 Depth=2
	s_or_b32 exec_lo, exec_lo, s72
	s_waitcnt lgkmcnt(0)
	s_barrier
	buffer_gl0_inv
	ds_read_b32 v9, v3 offset:3072
	s_waitcnt lgkmcnt(0)
	s_barrier
	buffer_gl0_inv
	v_cmp_neq_f16_e32 vcc_lo, 0, v9
	s_cbranch_vccnz .LBB210_400
; %bb.395:                              ;   in Loop: Header=BB210_397 Depth=2
	v_add_co_u32 v4, vcc_lo, v4, s35
	v_add_co_ci_u32_e64 v5, null, 0, v5, vcc_lo
	v_add_nc_u32_e32 v8, s68, v8
	s_mov_b32 s28, 0
	v_cmp_le_u64_e32 vcc_lo, s[18:19], v[4:5]
	s_orn2_b32 s72, vcc_lo, exec_lo
.LBB210_396:                            ;   in Loop: Header=BB210_397 Depth=2
	s_and_b32 s1, exec_lo, s72
	s_or_b32 s20, s1, s20
	s_andn2_b32 s1, s70, exec_lo
	s_and_b32 s7, s28, exec_lo
	s_or_b32 s70, s1, s7
	s_andn2_b32 exec_lo, exec_lo, s20
	s_cbranch_execz .LBB210_403
.LBB210_397:                            ;   Parent Loop BB210_18 Depth=1
                                        ; =>  This Inner Loop Header: Depth=2
	s_mov_b32 s72, exec_lo
	v_cmpx_gt_u64_e64 s[16:17], v[4:5]
	s_cbranch_execz .LBB210_394
; %bb.398:                              ;   in Loop: Header=BB210_397 Depth=2
	ds_read_u16 v9, v8
	s_waitcnt lgkmcnt(0)
	v_cmp_lt_i16_e32 vcc_lo, -1, v9
	v_cndmask_b32_e32 v10, 0xffff, v31, vcc_lo
	v_cmp_o_f16_e32 vcc_lo, v9, v9
	v_xor_b32_sdwa v10, v10, v9 dst_sel:DWORD dst_unused:UNUSED_PAD src0_sel:DWORD src1_sel:WORD_0
	v_cndmask_b32_e32 v10, 0xffff, v10, vcc_lo
	v_and_b32_e32 v10, v10, v33
	v_cmp_eq_u32_e32 vcc_lo, v10, v28
	s_and_b32 exec_lo, exec_lo, vcc_lo
	s_cbranch_execz .LBB210_394
; %bb.399:                              ;   in Loop: Header=BB210_397 Depth=2
	v_perm_b32 v9, v9, s63, 0x5040100
	ds_write_b32 v3, v9 offset:3072
	s_branch .LBB210_394
.LBB210_400:                            ;   in Loop: Header=BB210_397 Depth=2
	s_mov_b32 s72, -1
	s_mov_b32 s28, -1
                                        ; implicit-def: $vgpr4_vgpr5
                                        ; implicit-def: $vgpr8
	s_branch .LBB210_396
.LBB210_401:                            ;   in Loop: Header=BB210_18 Depth=1
                                        ; implicit-def: $sgpr22_sgpr23
	s_andn2_b32 vcc_lo, exec_lo, s8
	s_cbranch_vccz .LBB210_344
	s_branch .LBB210_345
.LBB210_402:                            ;   in Loop: Header=BB210_18 Depth=1
                                        ; implicit-def: $sgpr18_sgpr19
	s_branch .LBB210_361
.LBB210_403:                            ;   in Loop: Header=BB210_18 Depth=1
	s_or_b32 exec_lo, exec_lo, s20
	v_lshrrev_b32_e32 v34, 16, v9
	s_and_b32 s20, s70, exec_lo
.LBB210_404:                            ;   in Loop: Header=BB210_18 Depth=1
	s_or_b32 exec_lo, exec_lo, s21
.LBB210_405:                            ;   in Loop: Header=BB210_18 Depth=1
	s_and_b32 vcc_lo, exec_lo, s8
	s_cbranch_vccz .LBB210_420
; %bb.406:                              ;   in Loop: Header=BB210_18 Depth=1
	s_mov_b32 s72, s71
	s_cmp_lg_u64 s[72:73], 0
	s_cbranch_scc0 .LBB210_439
; %bb.407:                              ;   in Loop: Header=BB210_18 Depth=1
	v_cvt_f32_u32_e32 v4, s35
	s_sub_u32 s17, 0, s35
	s_subb_u32 s18, 0, 0
	v_fmac_f32_e64 v4, 0x4f800000, 0
	v_rcp_f32_e32 v4, v4
	v_mul_f32_e32 v4, 0x5f7ffffc, v4
	v_mul_f32_e32 v5, 0x2f800000, v4
	v_trunc_f32_e32 v5, v5
	v_fmac_f32_e32 v4, 0xcf800000, v5
	v_cvt_u32_f32_e32 v5, v5
	v_cvt_u32_f32_e32 v4, v4
	v_readfirstlane_b32 s8, v5
	v_readfirstlane_b32 s16, v4
	s_mul_i32 s19, s17, s8
	s_mul_hi_u32 s28, s17, s16
	s_mul_i32 s21, s18, s16
	s_add_i32 s19, s28, s19
	s_mul_i32 s70, s17, s16
	s_add_i32 s19, s19, s21
	s_mul_hi_u32 s28, s16, s70
	s_mul_i32 s78, s16, s19
	s_mul_hi_u32 s72, s8, s70
	s_mul_i32 s21, s8, s70
	s_mul_hi_u32 s70, s16, s19
	s_add_u32 s28, s28, s78
	s_addc_u32 s70, 0, s70
	s_mul_hi_u32 s79, s8, s19
	s_add_u32 s21, s28, s21
	s_mul_i32 s19, s8, s19
	s_addc_u32 s21, s70, s72
	s_addc_u32 s28, s79, 0
	s_add_u32 s19, s21, s19
	s_addc_u32 s21, 0, s28
	s_add_u32 s16, s16, s19
	s_cselect_b32 s19, -1, 0
	s_mul_hi_u32 s28, s17, s16
	s_cmp_lg_u32 s19, 0
	s_mul_i32 s19, s17, s16
	s_addc_u32 s8, s8, s21
	s_mul_i32 s18, s18, s16
	s_mul_i32 s17, s17, s8
	s_mul_hi_u32 s21, s16, s19
	s_add_i32 s17, s28, s17
	s_mul_hi_u32 s28, s8, s19
	s_add_i32 s17, s17, s18
	s_mul_i32 s18, s8, s19
	s_mul_i32 s72, s16, s17
	s_mul_hi_u32 s70, s16, s17
	s_add_u32 s21, s21, s72
	s_addc_u32 s70, 0, s70
	s_mul_hi_u32 s19, s8, s17
	s_add_u32 s18, s21, s18
	s_mul_i32 s17, s8, s17
	s_addc_u32 s18, s70, s28
	s_addc_u32 s19, s19, 0
	s_add_u32 s17, s18, s17
	s_addc_u32 s18, 0, s19
	s_add_u32 s16, s16, s17
	s_cselect_b32 s17, -1, 0
	s_mul_hi_u32 s19, s96, s16
	s_cmp_lg_u32 s17, 0
	s_mul_hi_u32 s17, s73, s16
	s_addc_u32 s8, s8, s18
	s_mul_i32 s16, s73, s16
	s_mul_i32 s21, s96, s8
	s_mul_hi_u32 s18, s96, s8
	s_add_u32 s19, s19, s21
	s_addc_u32 s18, 0, s18
	s_mul_hi_u32 s28, s73, s8
	s_add_u32 s16, s19, s16
	s_mul_i32 s8, s73, s8
	s_addc_u32 s16, s18, s17
	s_addc_u32 s17, s28, 0
	s_add_u32 s8, s16, s8
	s_addc_u32 s16, 0, s17
	s_mul_hi_u32 s17, s35, s8
	s_mul_i32 s16, s35, s16
	s_mul_i32 s8, s35, s8
	s_add_i32 s17, s17, s16
	s_sub_u32 s8, s96, s8
	s_cselect_b32 s16, -1, 0
	s_cmp_lg_u32 s16, 0
	s_subb_u32 s16, s73, s17
	s_sub_u32 s17, s8, s35
	s_cselect_b32 s18, -1, 0
	s_cmp_lg_u32 s18, 0
	s_subb_u32 s18, s16, 0
	s_sub_u32 s19, s17, s35
	s_cselect_b32 s21, -1, 0
	s_cmp_lg_u32 s21, 0
	s_subb_u32 s21, s18, 0
	s_cmp_ge_u32 s17, s35
	s_cselect_b32 s28, -1, 0
	s_cmp_eq_u32 s18, 0
	s_cselect_b32 s28, s28, -1
	s_cmp_lg_u32 s28, 0
	s_cselect_b32 s18, s21, s18
	s_cselect_b32 s19, s19, s17
	s_cmp_ge_u32 s8, s35
	s_cselect_b32 s17, -1, 0
	s_cmp_eq_u32 s16, 0
	s_cselect_b32 s17, s17, -1
	s_cmp_lg_u32 s17, 0
	s_cselect_b32 s17, s18, s16
	s_cselect_b32 s16, s19, s8
	s_cbranch_execnz .LBB210_409
.LBB210_408:                            ;   in Loop: Header=BB210_18 Depth=1
	v_cvt_f32_u32_e32 v4, s35
	s_sub_i32 s16, 0, s35
	v_rcp_iflag_f32_e32 v4, v4
	v_mul_f32_e32 v4, 0x4f7ffffe, v4
	v_cvt_u32_f32_e32 v4, v4
	v_readfirstlane_b32 s8, v4
	s_mul_i32 s16, s16, s8
	s_mul_hi_u32 s16, s8, s16
	s_add_i32 s8, s8, s16
	s_mul_hi_u32 s8, s96, s8
	s_mul_i32 s8, s8, s35
	s_sub_i32 s8, s96, s8
	s_sub_i32 s16, s8, s35
	s_cmp_ge_u32 s8, s35
	s_cselect_b32 s8, s16, s8
	s_sub_i32 s16, s8, s35
	s_cmp_ge_u32 s8, s35
	s_cselect_b32 s70, s16, s8
	s_mov_b64 s[16:17], s[70:71]
.LBB210_409:                            ;   in Loop: Header=BB210_18 Depth=1
	s_sub_u32 s16, s96, s16
	s_subb_u32 s17, s73, s17
	s_mov_b32 s8, exec_lo
                                        ; implicit-def: $vgpr34
	v_cmpx_gt_u64_e64 s[16:17], v[0:1]
	s_cbranch_execz .LBB210_419
; %bb.410:                              ;   in Loop: Header=BB210_18 Depth=1
	v_mov_b32_e32 v5, v1
	v_mov_b32_e32 v4, v0
	s_mov_b32 s18, 0
                                        ; implicit-def: $sgpr19
	s_branch .LBB210_414
.LBB210_411:                            ;   in Loop: Header=BB210_414 Depth=2
	s_or_b32 exec_lo, exec_lo, s21
	s_waitcnt lgkmcnt(0)
	s_barrier
	buffer_gl0_inv
	ds_read_b32 v8, v3 offset:3072
	s_waitcnt lgkmcnt(0)
	s_barrier
	buffer_gl0_inv
	v_cmp_eq_f16_e32 vcc_lo, 0, v8
	s_cbranch_vccz .LBB210_417
; %bb.412:                              ;   in Loop: Header=BB210_414 Depth=2
	v_add_co_u32 v4, vcc_lo, v4, s35
	v_add_co_ci_u32_e64 v5, null, 0, v5, vcc_lo
	s_mov_b32 s21, 0
	v_cmp_le_u64_e32 vcc_lo, s[16:17], v[4:5]
	s_orn2_b32 s28, vcc_lo, exec_lo
.LBB210_413:                            ;   in Loop: Header=BB210_414 Depth=2
	s_and_b32 s1, exec_lo, s28
	s_or_b32 s18, s1, s18
	s_andn2_b32 s1, s19, exec_lo
	s_and_b32 s7, s21, exec_lo
	s_or_b32 s19, s1, s7
	s_andn2_b32 exec_lo, exec_lo, s18
	s_cbranch_execz .LBB210_418
.LBB210_414:                            ;   Parent Loop BB210_18 Depth=1
                                        ; =>  This Inner Loop Header: Depth=2
	s_mov_b32 s21, exec_lo
	v_cmpx_gt_u64_e64 s[36:37], v[4:5]
	s_cbranch_execz .LBB210_411
; %bb.415:                              ;   in Loop: Header=BB210_414 Depth=2
	v_mul_lo_u32 v10, v5, s30
	v_mul_lo_u32 v11, v4, s31
	v_mad_u64_u32 v[8:9], null, v4, s30, 0
	v_add3_u32 v9, v9, v11, v10
	v_lshlrev_b64 v[8:9], 1, v[8:9]
	v_add_co_u32 v8, vcc_lo, s29, v8
	v_add_co_ci_u32_e64 v9, null, s33, v9, vcc_lo
	global_load_ushort v8, v[8:9], off
	s_waitcnt vmcnt(0)
	v_cmp_lt_i16_e32 vcc_lo, -1, v8
	v_cndmask_b32_e32 v9, 0xffff, v31, vcc_lo
	v_cmp_o_f16_e32 vcc_lo, v8, v8
	v_xor_b32_sdwa v9, v9, v8 dst_sel:DWORD dst_unused:UNUSED_PAD src0_sel:DWORD src1_sel:WORD_0
	v_cndmask_b32_e32 v9, 0xffff, v9, vcc_lo
	v_and_b32_e32 v9, v9, v33
	v_cmp_eq_u32_e32 vcc_lo, v9, v28
	s_and_b32 exec_lo, exec_lo, vcc_lo
	s_cbranch_execz .LBB210_411
; %bb.416:                              ;   in Loop: Header=BB210_414 Depth=2
	v_perm_b32 v8, v8, s63, 0x5040100
	ds_write_b32 v3, v8 offset:3072
	s_branch .LBB210_411
.LBB210_417:                            ;   in Loop: Header=BB210_414 Depth=2
	s_mov_b32 s28, -1
	s_mov_b32 s21, -1
                                        ; implicit-def: $vgpr4_vgpr5
	s_branch .LBB210_413
.LBB210_418:                            ;   in Loop: Header=BB210_18 Depth=1
	s_or_b32 exec_lo, exec_lo, s18
	v_lshrrev_b32_e32 v34, 16, v8
	s_andn2_b32 s1, s20, exec_lo
	s_and_b32 s7, s19, exec_lo
	s_or_b32 s20, s1, s7
.LBB210_419:                            ;   in Loop: Header=BB210_18 Depth=1
	s_or_b32 exec_lo, exec_lo, s8
	s_mov_b32 s78, 0
	s_mov_b32 s79, -1
.LBB210_420:                            ;   in Loop: Header=BB210_18 Depth=1
	s_orn2_b32 s8, s20, exec_lo
.LBB210_421:                            ;   in Loop: Header=BB210_18 Depth=1
	s_or_b32 exec_lo, exec_lo, s81
	s_mov_b32 s16, 0
	s_and_saveexec_b32 s20, s8
	s_cbranch_execz .LBB210_485
; %bb.422:                              ;   in Loop: Header=BB210_18 Depth=1
	v_mov_b32_e32 v4, 1
	v_mov_b32_e32 v5, 0
	;; [unrolled: 1-line block ×3, first 2 shown]
	s_xor_b32 s17, s80, -1
	s_and_saveexec_b32 s8, s17
	s_cbranch_execz .LBB210_431
; %bb.423:                              ;   in Loop: Header=BB210_18 Depth=1
	s_mov_b32 s16, exec_lo
	v_cmpx_ge_u64_e64 s[14:15], v[6:7]
	s_xor_b32 s16, exec_lo, s16
	s_cbranch_execz .LBB210_428
; %bb.424:                              ;   in Loop: Header=BB210_18 Depth=1
	ds_read_b64 v[4:5], v3 offset:5120
	s_lshl_b32 s17, 1, s69
	v_or_b32_e32 v33, s11, v33
	v_and_or_b32 v28, v28, s26, s17
	s_waitcnt lgkmcnt(0)
	v_cmp_ne_u64_e32 vcc_lo, 0, v[4:5]
	s_cbranch_vccnz .LBB210_428
; %bb.425:                              ;   in Loop: Header=BB210_18 Depth=1
	s_and_saveexec_b32 s17, s3
; %bb.426:                              ;   in Loop: Header=BB210_18 Depth=1
	v_mov_b32_e32 v4, s14
	v_mov_b32_e32 v5, s15
	ds_write_b64 v3, v[4:5] offset:5128
; %bb.427:                              ;   in Loop: Header=BB210_18 Depth=1
	s_or_b32 exec_lo, exec_lo, s17
	s_waitcnt lgkmcnt(0)
	s_barrier
	buffer_gl0_inv
.LBB210_428:                            ;   in Loop: Header=BB210_18 Depth=1
	s_or_saveexec_b32 s16, s16
	v_mov_b32_e32 v2, 5
	s_mov_b32 s17, 0
	s_xor_b32 exec_lo, exec_lo, s16
; %bb.429:                              ;   in Loop: Header=BB210_18 Depth=1
	v_sub_co_u32 v6, vcc_lo, v6, s14
	v_subrev_co_ci_u32_e64 v7, null, s15, v7, vcc_lo
	v_mov_b32_e32 v2, 0
	s_mov_b32 s17, exec_lo
; %bb.430:                              ;   in Loop: Header=BB210_18 Depth=1
	s_or_b32 exec_lo, exec_lo, s16
	v_mov_b32_e32 v4, v6
	v_mov_b32_e32 v5, v7
	s_and_b32 s16, s17, exec_lo
.LBB210_431:                            ;   in Loop: Header=BB210_18 Depth=1
	s_or_b32 exec_lo, exec_lo, s8
	s_mov_b32 s8, -1
                                        ; implicit-def: $sgpr82
                                        ; implicit-def: $sgpr72
	s_and_saveexec_b32 s21, s16
	s_cbranch_execz .LBB210_484
; %bb.432:                              ;   in Loop: Header=BB210_18 Depth=1
	v_cmp_eq_u64_e32 vcc_lo, 1, v[4:5]
	s_cmp_eq_u64 s[12:13], 1
	s_mov_b32 s14, -1
	s_cselect_b32 s8, -1, 0
                                        ; implicit-def: $sgpr82
                                        ; implicit-def: $sgpr72
	s_and_b32 s80, s8, vcc_lo
	s_and_saveexec_b32 s81, s80
	s_cbranch_execz .LBB210_472
; %bb.433:                              ;   in Loop: Header=BB210_18 Depth=1
	ds_read_b64 v[6:7], v3 offset:5120
	s_waitcnt lgkmcnt(0)
	s_barrier
	buffer_gl0_inv
	v_readfirstlane_b32 s14, v6
	v_readfirstlane_b32 s15, v7
	s_and_saveexec_b32 s8, s10
; %bb.434:                              ;   in Loop: Header=BB210_18 Depth=1
	ds_write_b16 v26, v3
; %bb.435:                              ;   in Loop: Header=BB210_18 Depth=1
	s_or_b32 exec_lo, exec_lo, s8
	v_and_b32_e32 v28, s26, v28
	v_or_b32_e32 v33, s11, v33
	s_mov_b32 s72, -1
	s_mov_b32 s82, 0
	s_cmp_eq_u64 s[14:15], 0
	s_mov_b32 s18, 0
	s_mov_b32 s8, -1
	s_waitcnt lgkmcnt(0)
	s_barrier
	buffer_gl0_inv
                                        ; implicit-def: $vgpr34
	s_cbranch_scc1 .LBB210_454
; %bb.436:                              ;   in Loop: Header=BB210_18 Depth=1
	s_add_u32 s83, s14, s94
	s_addc_u32 s17, s15, s95
	s_mov_b32 s16, s71
	s_cmp_lg_u64 s[16:17], 0
	s_cbranch_scc0 .LBB210_440
; %bb.437:                              ;   in Loop: Header=BB210_18 Depth=1
	v_cvt_f32_u32_e32 v6, s35
	s_sub_u32 s18, 0, s35
	s_subb_u32 s19, 0, 0
	v_fmac_f32_e64 v6, 0x4f800000, 0
	v_rcp_f32_e32 v6, v6
	v_mul_f32_e32 v6, 0x5f7ffffc, v6
	v_mul_f32_e32 v7, 0x2f800000, v6
	v_trunc_f32_e32 v7, v7
	v_fmac_f32_e32 v6, 0xcf800000, v7
	v_cvt_u32_f32_e32 v7, v7
	v_cvt_u32_f32_e32 v6, v6
	v_readfirstlane_b32 s8, v7
	v_readfirstlane_b32 s16, v6
	s_mul_i32 s28, s18, s8
	s_mul_hi_u32 s84, s18, s16
	s_mul_i32 s70, s19, s16
	s_add_i32 s28, s84, s28
	s_mul_i32 s85, s18, s16
	s_add_i32 s28, s28, s70
	s_mul_hi_u32 s84, s16, s85
	s_mul_i32 s87, s16, s28
	s_mul_hi_u32 s86, s8, s85
	s_mul_i32 s70, s8, s85
	s_mul_hi_u32 s85, s16, s28
	s_add_u32 s84, s84, s87
	s_addc_u32 s85, 0, s85
	s_mul_hi_u32 s88, s8, s28
	s_add_u32 s70, s84, s70
	s_mul_i32 s28, s8, s28
	s_addc_u32 s70, s85, s86
	s_addc_u32 s84, s88, 0
	s_add_u32 s28, s70, s28
	s_addc_u32 s70, 0, s84
	s_add_u32 s16, s16, s28
	s_cselect_b32 s28, -1, 0
	s_mul_hi_u32 s84, s18, s16
	s_cmp_lg_u32 s28, 0
	s_mul_i32 s28, s18, s16
	s_addc_u32 s8, s8, s70
	s_mul_i32 s19, s19, s16
	s_mul_i32 s18, s18, s8
	s_mul_hi_u32 s70, s16, s28
	s_add_i32 s18, s84, s18
	s_mul_hi_u32 s84, s8, s28
	s_add_i32 s18, s18, s19
	s_mul_i32 s19, s8, s28
	s_mul_i32 s86, s16, s18
	s_mul_hi_u32 s85, s16, s18
	s_add_u32 s70, s70, s86
	s_addc_u32 s85, 0, s85
	s_mul_hi_u32 s28, s8, s18
	s_add_u32 s19, s70, s19
	s_mul_i32 s18, s8, s18
	s_addc_u32 s19, s85, s84
	s_addc_u32 s28, s28, 0
	s_add_u32 s18, s19, s18
	s_addc_u32 s19, 0, s28
	s_add_u32 s16, s16, s18
	s_cselect_b32 s18, -1, 0
	s_mul_hi_u32 s28, s83, s16
	s_cmp_lg_u32 s18, 0
	s_mul_hi_u32 s18, s17, s16
	s_addc_u32 s8, s8, s19
	s_mul_i32 s16, s17, s16
	s_mul_i32 s70, s83, s8
	s_mul_hi_u32 s19, s83, s8
	s_add_u32 s28, s28, s70
	s_addc_u32 s19, 0, s19
	s_mul_hi_u32 s84, s17, s8
	s_add_u32 s16, s28, s16
	s_mul_i32 s8, s17, s8
	s_addc_u32 s16, s19, s18
	s_addc_u32 s18, s84, 0
	s_add_u32 s8, s16, s8
	s_addc_u32 s16, 0, s18
	s_mul_hi_u32 s18, s35, s8
	s_mul_i32 s16, s35, s16
	s_mul_i32 s8, s35, s8
	s_add_i32 s18, s18, s16
	s_sub_u32 s8, s83, s8
	s_cselect_b32 s16, -1, 0
	s_cmp_lg_u32 s16, 0
	s_subb_u32 s16, s17, s18
	s_sub_u32 s18, s8, s35
	s_cselect_b32 s19, -1, 0
	s_cmp_lg_u32 s19, 0
	s_subb_u32 s19, s16, 0
	;; [unrolled: 4-line block ×3, first 2 shown]
	s_cmp_ge_u32 s18, s35
	s_cselect_b32 s84, -1, 0
	s_cmp_eq_u32 s19, 0
	s_cselect_b32 s84, s84, -1
	s_cmp_lg_u32 s84, 0
	s_cselect_b32 s19, s70, s19
	s_cselect_b32 s18, s28, s18
	s_cmp_ge_u32 s8, s35
	s_cselect_b32 s28, -1, 0
	s_cmp_eq_u32 s16, 0
	s_cselect_b32 s28, s28, -1
	s_cmp_lg_u32 s28, 0
	s_cselect_b32 s19, s19, s16
	s_cselect_b32 s18, s18, s8
	s_mov_b32 s8, 0
	s_branch .LBB210_441
.LBB210_438:                            ;   in Loop: Header=BB210_18 Depth=1
                                        ; implicit-def: $sgpr20_sgpr21
	s_andn2_b32 vcc_lo, exec_lo, s8
	s_cbranch_vccz .LBB210_391
	s_branch .LBB210_392
.LBB210_439:                            ;   in Loop: Header=BB210_18 Depth=1
                                        ; implicit-def: $sgpr16_sgpr17
	s_branch .LBB210_408
.LBB210_440:                            ;   in Loop: Header=BB210_18 Depth=1
                                        ; implicit-def: $sgpr18_sgpr19
.LBB210_441:                            ;   in Loop: Header=BB210_18 Depth=1
	s_andn2_b32 vcc_lo, exec_lo, s8
	s_cbranch_vccnz .LBB210_443
; %bb.442:                              ;   in Loop: Header=BB210_18 Depth=1
	v_cvt_f32_u32_e32 v6, s35
	s_sub_i32 s16, 0, s35
	v_rcp_iflag_f32_e32 v6, v6
	v_mul_f32_e32 v6, 0x4f7ffffe, v6
	v_cvt_u32_f32_e32 v6, v6
	v_readfirstlane_b32 s8, v6
	s_mul_i32 s16, s16, s8
	s_mul_hi_u32 s16, s8, s16
	s_add_i32 s8, s8, s16
	s_mul_hi_u32 s8, s83, s8
	s_mul_i32 s8, s8, s35
	s_sub_i32 s8, s83, s8
	s_sub_i32 s16, s8, s35
	s_cmp_ge_u32 s8, s35
	s_cselect_b32 s8, s16, s8
	s_sub_i32 s16, s8, s35
	s_cmp_ge_u32 s8, s35
	s_cselect_b32 s70, s16, s8
	s_mov_b64 s[18:19], s[70:71]
.LBB210_443:                            ;   in Loop: Header=BB210_18 Depth=1
	s_sub_u32 s16, s83, s18
	s_subb_u32 s17, s17, s19
	s_mov_b32 s8, 0
	s_mov_b32 s18, 0
	s_mov_b32 s19, exec_lo
                                        ; implicit-def: $vgpr34
	v_cmpx_gt_u64_e64 s[16:17], v[0:1]
	s_cbranch_execz .LBB210_453
; %bb.444:                              ;   in Loop: Header=BB210_18 Depth=1
	v_mov_b32_e32 v7, v1
	v_mov_b32_e32 v8, v25
	;; [unrolled: 1-line block ×3, first 2 shown]
                                        ; implicit-def: $sgpr70
	s_branch .LBB210_448
.LBB210_445:                            ;   in Loop: Header=BB210_448 Depth=2
	s_or_b32 exec_lo, exec_lo, s83
	s_waitcnt lgkmcnt(0)
	s_barrier
	buffer_gl0_inv
	ds_read_b32 v9, v3 offset:3072
	s_waitcnt lgkmcnt(0)
	s_barrier
	buffer_gl0_inv
	v_cmp_neq_f16_e32 vcc_lo, 0, v9
	s_cbranch_vccnz .LBB210_451
; %bb.446:                              ;   in Loop: Header=BB210_448 Depth=2
	v_add_co_u32 v6, vcc_lo, v6, s35
	v_add_co_ci_u32_e64 v7, null, 0, v7, vcc_lo
	v_add_nc_u32_e32 v8, s68, v8
	s_mov_b32 s28, 0
	v_cmp_le_u64_e32 vcc_lo, s[16:17], v[6:7]
	s_orn2_b32 s83, vcc_lo, exec_lo
.LBB210_447:                            ;   in Loop: Header=BB210_448 Depth=2
	s_and_b32 s1, exec_lo, s83
	s_or_b32 s18, s1, s18
	s_andn2_b32 s1, s70, exec_lo
	s_and_b32 s7, s28, exec_lo
	s_or_b32 s70, s1, s7
	s_andn2_b32 exec_lo, exec_lo, s18
	s_cbranch_execz .LBB210_452
.LBB210_448:                            ;   Parent Loop BB210_18 Depth=1
                                        ; =>  This Inner Loop Header: Depth=2
	s_mov_b32 s83, exec_lo
	v_cmpx_gt_u64_e64 s[14:15], v[6:7]
	s_cbranch_execz .LBB210_445
; %bb.449:                              ;   in Loop: Header=BB210_448 Depth=2
	ds_read_u16 v9, v8
	s_waitcnt lgkmcnt(0)
	v_cmp_lt_i16_e32 vcc_lo, -1, v9
	v_cndmask_b32_e32 v10, 0xffff, v31, vcc_lo
	v_cmp_o_f16_e32 vcc_lo, v9, v9
	v_xor_b32_sdwa v10, v10, v9 dst_sel:DWORD dst_unused:UNUSED_PAD src0_sel:DWORD src1_sel:WORD_0
	v_cndmask_b32_e32 v10, 0xffff, v10, vcc_lo
	v_and_b32_e32 v10, v10, v33
	v_cmp_eq_u32_e32 vcc_lo, v10, v28
	s_and_b32 exec_lo, exec_lo, vcc_lo
	s_cbranch_execz .LBB210_445
; %bb.450:                              ;   in Loop: Header=BB210_448 Depth=2
	v_perm_b32 v9, v9, s63, 0x5040100
	ds_write_b32 v3, v9 offset:3072
	s_branch .LBB210_445
.LBB210_451:                            ;   in Loop: Header=BB210_448 Depth=2
	s_mov_b32 s83, -1
	s_mov_b32 s28, -1
                                        ; implicit-def: $vgpr6_vgpr7
                                        ; implicit-def: $vgpr8
	s_branch .LBB210_447
.LBB210_452:                            ;   in Loop: Header=BB210_18 Depth=1
	s_or_b32 exec_lo, exec_lo, s18
	v_lshrrev_b32_e32 v34, 16, v9
	s_and_b32 s18, s70, exec_lo
.LBB210_453:                            ;   in Loop: Header=BB210_18 Depth=1
	s_or_b32 exec_lo, exec_lo, s19
.LBB210_454:                            ;   in Loop: Header=BB210_18 Depth=1
	s_and_b32 vcc_lo, exec_lo, s8
	s_cbranch_vccz .LBB210_471
; %bb.455:                              ;   in Loop: Header=BB210_18 Depth=1
	s_mov_b32 s72, s71
	s_cmp_lg_u64 s[72:73], 0
	s_cbranch_scc0 .LBB210_457
; %bb.456:                              ;   in Loop: Header=BB210_18 Depth=1
	v_cvt_f32_u32_e32 v6, s35
	s_sub_u32 s15, 0, s35
	s_subb_u32 s16, 0, 0
	v_fmac_f32_e64 v6, 0x4f800000, 0
	v_rcp_f32_e32 v6, v6
	v_mul_f32_e32 v6, 0x5f7ffffc, v6
	v_mul_f32_e32 v7, 0x2f800000, v6
	v_trunc_f32_e32 v7, v7
	v_fmac_f32_e32 v6, 0xcf800000, v7
	v_cvt_u32_f32_e32 v7, v7
	v_cvt_u32_f32_e32 v6, v6
	v_readfirstlane_b32 s8, v7
	v_readfirstlane_b32 s14, v6
	s_mul_i32 s17, s15, s8
	s_mul_hi_u32 s28, s15, s14
	s_mul_i32 s19, s16, s14
	s_add_i32 s17, s28, s17
	s_mul_i32 s70, s15, s14
	s_add_i32 s17, s17, s19
	s_mul_hi_u32 s28, s14, s70
	s_mul_i32 s82, s14, s17
	s_mul_hi_u32 s72, s8, s70
	s_mul_i32 s19, s8, s70
	s_mul_hi_u32 s70, s14, s17
	s_add_u32 s28, s28, s82
	s_addc_u32 s70, 0, s70
	s_mul_hi_u32 s83, s8, s17
	s_add_u32 s19, s28, s19
	s_mul_i32 s17, s8, s17
	s_addc_u32 s19, s70, s72
	s_addc_u32 s28, s83, 0
	s_add_u32 s17, s19, s17
	s_addc_u32 s19, 0, s28
	s_add_u32 s14, s14, s17
	s_cselect_b32 s17, -1, 0
	s_mul_hi_u32 s28, s15, s14
	s_cmp_lg_u32 s17, 0
	s_mul_i32 s17, s15, s14
	s_addc_u32 s8, s8, s19
	s_mul_i32 s16, s16, s14
	s_mul_i32 s15, s15, s8
	s_mul_hi_u32 s19, s14, s17
	s_add_i32 s15, s28, s15
	s_mul_hi_u32 s28, s8, s17
	s_add_i32 s15, s15, s16
	s_mul_i32 s16, s8, s17
	s_mul_i32 s72, s14, s15
	s_mul_hi_u32 s70, s14, s15
	s_add_u32 s19, s19, s72
	s_addc_u32 s70, 0, s70
	s_mul_hi_u32 s17, s8, s15
	s_add_u32 s16, s19, s16
	s_mul_i32 s15, s8, s15
	s_addc_u32 s16, s70, s28
	s_addc_u32 s17, s17, 0
	s_add_u32 s15, s16, s15
	s_addc_u32 s16, 0, s17
	s_add_u32 s14, s14, s15
	s_cselect_b32 s15, -1, 0
	s_mul_hi_u32 s17, s96, s14
	s_cmp_lg_u32 s15, 0
	s_mul_hi_u32 s15, s73, s14
	s_addc_u32 s8, s8, s16
	s_mul_i32 s14, s73, s14
	s_mul_i32 s19, s96, s8
	s_mul_hi_u32 s16, s96, s8
	s_add_u32 s17, s17, s19
	s_addc_u32 s16, 0, s16
	s_mul_hi_u32 s28, s73, s8
	s_add_u32 s14, s17, s14
	s_mul_i32 s8, s73, s8
	s_addc_u32 s14, s16, s15
	s_addc_u32 s15, s28, 0
	s_add_u32 s8, s14, s8
	s_addc_u32 s14, 0, s15
	s_mul_hi_u32 s15, s35, s8
	s_mul_i32 s14, s35, s14
	s_mul_i32 s8, s35, s8
	s_add_i32 s15, s15, s14
	s_sub_u32 s8, s96, s8
	s_cselect_b32 s14, -1, 0
	s_cmp_lg_u32 s14, 0
	s_subb_u32 s14, s73, s15
	s_sub_u32 s15, s8, s35
	s_cselect_b32 s16, -1, 0
	s_cmp_lg_u32 s16, 0
	s_subb_u32 s16, s14, 0
	;; [unrolled: 4-line block ×3, first 2 shown]
	s_cmp_ge_u32 s15, s35
	s_cselect_b32 s28, -1, 0
	s_cmp_eq_u32 s16, 0
	s_cselect_b32 s28, s28, -1
	s_cmp_lg_u32 s28, 0
	s_cselect_b32 s16, s19, s16
	s_cselect_b32 s17, s17, s15
	s_cmp_ge_u32 s8, s35
	s_cselect_b32 s15, -1, 0
	s_cmp_eq_u32 s14, 0
	s_cselect_b32 s15, s15, -1
	s_cmp_lg_u32 s15, 0
	s_cselect_b32 s15, s16, s14
	s_cselect_b32 s14, s17, s8
	s_mov_b32 s8, 0
	s_branch .LBB210_458
.LBB210_457:                            ;   in Loop: Header=BB210_18 Depth=1
	s_mov_b32 s8, -1
                                        ; implicit-def: $sgpr14_sgpr15
.LBB210_458:                            ;   in Loop: Header=BB210_18 Depth=1
	s_andn2_b32 vcc_lo, exec_lo, s8
	s_cbranch_vccnz .LBB210_460
; %bb.459:                              ;   in Loop: Header=BB210_18 Depth=1
	v_cvt_f32_u32_e32 v6, s35
	s_sub_i32 s14, 0, s35
	v_rcp_iflag_f32_e32 v6, v6
	v_mul_f32_e32 v6, 0x4f7ffffe, v6
	v_cvt_u32_f32_e32 v6, v6
	v_readfirstlane_b32 s8, v6
	s_mul_i32 s14, s14, s8
	s_mul_hi_u32 s14, s8, s14
	s_add_i32 s8, s8, s14
	s_mul_hi_u32 s8, s96, s8
	s_mul_i32 s8, s8, s35
	s_sub_i32 s8, s96, s8
	s_sub_i32 s14, s8, s35
	s_cmp_ge_u32 s8, s35
	s_cselect_b32 s8, s14, s8
	s_sub_i32 s14, s8, s35
	s_cmp_ge_u32 s8, s35
	s_cselect_b32 s70, s14, s8
	s_mov_b64 s[14:15], s[70:71]
.LBB210_460:                            ;   in Loop: Header=BB210_18 Depth=1
	s_sub_u32 s14, s96, s14
	s_subb_u32 s15, s73, s15
	s_mov_b32 s8, exec_lo
                                        ; implicit-def: $vgpr34
	v_cmpx_gt_u64_e64 s[14:15], v[0:1]
	s_cbranch_execz .LBB210_470
; %bb.461:                              ;   in Loop: Header=BB210_18 Depth=1
	v_mov_b32_e32 v7, v1
	v_mov_b32_e32 v6, v0
	s_mov_b32 s16, 0
                                        ; implicit-def: $sgpr17
	s_branch .LBB210_465
.LBB210_462:                            ;   in Loop: Header=BB210_465 Depth=2
	s_or_b32 exec_lo, exec_lo, s19
	s_waitcnt lgkmcnt(0)
	s_barrier
	buffer_gl0_inv
	ds_read_b32 v8, v3 offset:3072
	s_waitcnt lgkmcnt(0)
	s_barrier
	buffer_gl0_inv
	v_cmp_eq_f16_e32 vcc_lo, 0, v8
	s_cbranch_vccz .LBB210_468
; %bb.463:                              ;   in Loop: Header=BB210_465 Depth=2
	v_add_co_u32 v6, vcc_lo, v6, s35
	v_add_co_ci_u32_e64 v7, null, 0, v7, vcc_lo
	s_mov_b32 s19, 0
	v_cmp_le_u64_e32 vcc_lo, s[14:15], v[6:7]
	s_orn2_b32 s28, vcc_lo, exec_lo
.LBB210_464:                            ;   in Loop: Header=BB210_465 Depth=2
	s_and_b32 s1, exec_lo, s28
	s_or_b32 s16, s1, s16
	s_andn2_b32 s1, s17, exec_lo
	s_and_b32 s7, s19, exec_lo
	s_or_b32 s17, s1, s7
	s_andn2_b32 exec_lo, exec_lo, s16
	s_cbranch_execz .LBB210_469
.LBB210_465:                            ;   Parent Loop BB210_18 Depth=1
                                        ; =>  This Inner Loop Header: Depth=2
	s_mov_b32 s19, exec_lo
	v_cmpx_gt_u64_e64 s[36:37], v[6:7]
	s_cbranch_execz .LBB210_462
; %bb.466:                              ;   in Loop: Header=BB210_465 Depth=2
	v_mul_lo_u32 v10, v7, s30
	v_mul_lo_u32 v11, v6, s31
	v_mad_u64_u32 v[8:9], null, v6, s30, 0
	v_add3_u32 v9, v9, v11, v10
	v_lshlrev_b64 v[8:9], 1, v[8:9]
	v_add_co_u32 v8, vcc_lo, s29, v8
	v_add_co_ci_u32_e64 v9, null, s33, v9, vcc_lo
	global_load_ushort v8, v[8:9], off
	s_waitcnt vmcnt(0)
	v_cmp_lt_i16_e32 vcc_lo, -1, v8
	v_cndmask_b32_e32 v9, 0xffff, v31, vcc_lo
	v_cmp_o_f16_e32 vcc_lo, v8, v8
	v_xor_b32_sdwa v9, v9, v8 dst_sel:DWORD dst_unused:UNUSED_PAD src0_sel:DWORD src1_sel:WORD_0
	v_cndmask_b32_e32 v9, 0xffff, v9, vcc_lo
	v_and_b32_e32 v9, v9, v33
	v_cmp_eq_u32_e32 vcc_lo, v9, v28
	s_and_b32 exec_lo, exec_lo, vcc_lo
	s_cbranch_execz .LBB210_462
; %bb.467:                              ;   in Loop: Header=BB210_465 Depth=2
	v_perm_b32 v8, v8, s63, 0x5040100
	ds_write_b32 v3, v8 offset:3072
	s_branch .LBB210_462
.LBB210_468:                            ;   in Loop: Header=BB210_465 Depth=2
	s_mov_b32 s28, -1
	s_mov_b32 s19, -1
                                        ; implicit-def: $vgpr6_vgpr7
	s_branch .LBB210_464
.LBB210_469:                            ;   in Loop: Header=BB210_18 Depth=1
	s_or_b32 exec_lo, exec_lo, s16
	v_lshrrev_b32_e32 v34, 16, v8
	s_andn2_b32 s1, s18, exec_lo
	s_and_b32 s7, s17, exec_lo
	s_or_b32 s18, s1, s7
.LBB210_470:                            ;   in Loop: Header=BB210_18 Depth=1
	s_or_b32 exec_lo, exec_lo, s8
	s_mov_b32 s72, 0
	s_mov_b32 s82, -1
.LBB210_471:                            ;   in Loop: Header=BB210_18 Depth=1
	s_orn2_b32 s14, s18, exec_lo
.LBB210_472:                            ;   in Loop: Header=BB210_18 Depth=1
	s_or_b32 exec_lo, exec_lo, s81
	s_mov_b32 s15, 0
	s_and_saveexec_b32 s8, s14
	s_cbranch_execz .LBB210_483
; %bb.473:                              ;   in Loop: Header=BB210_18 Depth=1
	v_mov_b32_e32 v6, 1
	v_mov_b32_e32 v7, 0
	;; [unrolled: 1-line block ×3, first 2 shown]
	s_xor_b32 s15, s80, -1
	s_and_saveexec_b32 s14, s15
	s_cbranch_execz .LBB210_482
; %bb.474:                              ;   in Loop: Header=BB210_18 Depth=1
	s_mov_b32 s15, exec_lo
	v_cmpx_ge_u64_e64 s[12:13], v[4:5]
	s_xor_b32 s15, exec_lo, s15
	s_cbranch_execz .LBB210_479
; %bb.475:                              ;   in Loop: Header=BB210_18 Depth=1
	ds_read_b64 v[6:7], v3 offset:5120
	v_and_b32_e32 v28, s26, v28
	v_or_b32_e32 v33, s11, v33
	s_waitcnt lgkmcnt(0)
	v_cmp_ne_u64_e32 vcc_lo, 0, v[6:7]
	s_cbranch_vccnz .LBB210_479
; %bb.476:                              ;   in Loop: Header=BB210_18 Depth=1
	s_and_saveexec_b32 s11, s3
; %bb.477:                              ;   in Loop: Header=BB210_18 Depth=1
	v_mov_b32_e32 v6, s12
	v_mov_b32_e32 v7, s13
	ds_write_b64 v3, v[6:7] offset:5128
; %bb.478:                              ;   in Loop: Header=BB210_18 Depth=1
	s_or_b32 exec_lo, exec_lo, s11
	s_waitcnt lgkmcnt(0)
	s_barrier
	buffer_gl0_inv
.LBB210_479:                            ;   in Loop: Header=BB210_18 Depth=1
	s_andn2_saveexec_b32 s11, s15
; %bb.480:                              ;   in Loop: Header=BB210_18 Depth=1
	v_sub_co_u32 v4, vcc_lo, v4, s12
	v_subrev_co_ci_u32_e64 v5, null, s13, v5, vcc_lo
; %bb.481:                              ;   in Loop: Header=BB210_18 Depth=1
	s_or_b32 exec_lo, exec_lo, s11
	v_mov_b32_e32 v7, v5
	v_mov_b32_e32 v2, 5
	;; [unrolled: 1-line block ×3, first 2 shown]
.LBB210_482:                            ;   in Loop: Header=BB210_18 Depth=1
	s_or_b32 exec_lo, exec_lo, s14
	v_mov_b32_e32 v4, v6
	v_mov_b32_e32 v5, v7
	s_mov_b32 s15, exec_lo
.LBB210_483:                            ;   in Loop: Header=BB210_18 Depth=1
	s_or_b32 exec_lo, exec_lo, s8
	s_orn2_b32 s8, s15, exec_lo
.LBB210_484:                            ;   in Loop: Header=BB210_18 Depth=1
	s_or_b32 exec_lo, exec_lo, s21
	s_andn2_b32 s11, s79, exec_lo
	s_and_b32 s12, s82, exec_lo
	s_andn2_b32 s13, s78, exec_lo
	s_and_b32 s14, s72, exec_lo
	v_mov_b32_e32 v7, v5
	v_mov_b32_e32 v6, v4
	s_or_b32 s79, s11, s12
	s_or_b32 s78, s13, s14
	s_and_b32 s16, s8, exec_lo
.LBB210_485:                            ;   in Loop: Header=BB210_18 Depth=1
	s_or_b32 exec_lo, exec_lo, s20
	s_orn2_b32 s8, s16, exec_lo
.LBB210_486:                            ;   in Loop: Header=BB210_18 Depth=1
	s_or_b32 exec_lo, exec_lo, s23
	s_andn2_b32 s11, s77, exec_lo
	s_and_b32 s12, s79, exec_lo
	s_andn2_b32 s13, s25, exec_lo
	s_and_b32 s14, s78, exec_lo
	v_mov_b32_e32 v4, v6
	v_mov_b32_e32 v5, v7
	s_or_b32 s77, s11, s12
	s_or_b32 s25, s13, s14
	s_and_b32 s18, s8, exec_lo
.LBB210_487:                            ;   in Loop: Header=BB210_18 Depth=1
	s_or_b32 exec_lo, exec_lo, s22
	s_orn2_b32 s8, s18, exec_lo
.LBB210_488:                            ;   in Loop: Header=BB210_18 Depth=1
	s_or_b32 exec_lo, exec_lo, s6
	s_mov_b32 s6, s76
	s_mov_b32 s11, s51
	s_and_saveexec_b32 s12, s8
; %bb.489:                              ;   in Loop: Header=BB210_18 Depth=1
	v_cmp_ne_u32_e32 vcc_lo, 5, v2
	v_cmp_eq_u32_e64 s6, 5, v2
	s_andn2_b32 s8, s51, exec_lo
	s_andn2_b32 s13, s76, exec_lo
	s_and_b32 s11, vcc_lo, exec_lo
	s_and_b32 s6, s6, exec_lo
	s_or_b32 s11, s8, s11
	s_or_b32 s6, s13, s6
; %bb.490:                              ;   in Loop: Header=BB210_18 Depth=1
	s_or_b32 exec_lo, exec_lo, s12
	s_andn2_b32 s1, s9, exec_lo
	s_and_b32 s7, s77, exec_lo
	s_andn2_b32 s8, s27, exec_lo
	s_and_b32 s12, s25, exec_lo
	s_or_b32 s9, s1, s7
	s_or_b32 s27, s8, s12
	s_andn2_b32 s1, s51, exec_lo
	s_and_b32 s7, s11, exec_lo
	s_andn2_b32 s8, s76, exec_lo
	s_and_b32 s6, s6, exec_lo
	s_or_b32 s51, s1, s7
	s_or_b32 s76, s8, s6
.LBB210_491:                            ;   in Loop: Header=BB210_18 Depth=1
	s_or_b32 exec_lo, exec_lo, s24
	s_mov_b32 s77, 0
	s_mov_b32 s78, 0
	s_and_saveexec_b32 s6, s76
.LBB210_492:                            ;   in Loop: Header=BB210_18 Depth=1
	v_mov_b32_e32 v2, 0
	s_or_b32 s51, s51, exec_lo
.LBB210_493:                            ;   in Loop: Header=BB210_18 Depth=1
	s_or_b32 exec_lo, exec_lo, s6
	s_andn2_b32 s1, s48, exec_lo
	s_and_b32 s6, s9, exec_lo
	s_andn2_b32 s7, s60, exec_lo
	s_and_b32 s9, s27, exec_lo
	v_mov_b32_e32 v20, v5
	v_mov_b32_e32 v19, v4
	s_or_b32 s48, s1, s6
	s_or_b32 s60, s7, s9
	s_andn2_b32 s1, s50, exec_lo
	s_and_b32 s6, s78, exec_lo
	s_andn2_b32 s7, s49, exec_lo
	s_and_b32 s9, s77, exec_lo
	s_mov_b32 s8, -1
	s_andn2_b32 s61, s61, exec_lo
	s_or_b32 s50, s1, s6
	s_or_b32 s49, s7, s9
	s_and_saveexec_b32 s1, s51
	s_xor_b32 s6, exec_lo, s1
	s_cbranch_execz .LBB210_17
; %bb.494:                              ;   in Loop: Header=BB210_18 Depth=1
	s_mov_b32 s9, -1
	s_mov_b32 s11, exec_lo
	v_cmpx_eq_u32_e32 0, v2
	s_cbranch_execz .LBB210_16
; %bb.495:                              ;   in Loop: Header=BB210_18 Depth=1
	s_xor_b32 s53, s53, 1
	s_add_i32 s12, s69, -2
	s_cmp_eq_u32 s69, 0
	s_mov_b32 s69, s12
	s_cselect_b32 s8, -1, 0
	s_xor_b32 s9, exec_lo, -1
	s_orn2_b32 s8, s8, exec_lo
	s_branch .LBB210_16
.LBB210_496:
	s_or_b32 exec_lo, exec_lo, s62
	s_xor_b32 s7, s67, -1
	s_xor_b32 s9, s55, -1
	;; [unrolled: 1-line block ×5, first 2 shown]
	s_mov_b32 s8, 0
	s_and_saveexec_b32 s11, s1
	s_xor_b32 s14, exec_lo, s11
	s_cbranch_execnz .LBB210_501
; %bb.497:
	s_andn2_saveexec_b32 s0, s14
	s_cbranch_execnz .LBB210_520
.LBB210_498:
	s_or_b32 exec_lo, exec_lo, s0
	s_and_saveexec_b32 s0, s8
.LBB210_499:
	; divergent unreachable
.LBB210_500:
	s_endpgm
.LBB210_501:
	s_and_saveexec_b32 s1, s10
	s_xor_b32 s15, exec_lo, s1
	s_cbranch_execz .LBB210_518
; %bb.502:
	s_and_saveexec_b32 s1, s9
	s_xor_b32 s16, exec_lo, s1
	s_cbranch_execz .LBB210_516
; %bb.503:
	;; [unrolled: 4-line block ×3, first 2 shown]
	s_and_saveexec_b32 s1, s6
	s_xor_b32 s6, exec_lo, s1
; %bb.505:
	v_and_b32_e32 v2, 0x8000, v28
	v_mov_b32_e32 v3, 0xffff
	v_cmp_eq_u32_e32 vcc_lo, 0, v2
	v_cndmask_b32_e32 v2, 0x8000, v3, vcc_lo
	v_xor_b32_e32 v34, v2, v28
; %bb.506:
	s_or_b32 exec_lo, exec_lo, s6
	s_and_saveexec_b32 s6, s3
	v_readlane_b32 s28, v43, 6
; %bb.507:
	v_mov_b32_e32 v2, 0
	v_mov_b32_e32 v3, v2
	ds_write_b64 v2, v[2:3] offset:5136
; %bb.508:
	s_or_b32 exec_lo, exec_lo, s6
	v_mov_b32_e32 v16, 0
	s_waitcnt lgkmcnt(0)
	s_barrier
	buffer_gl0_inv
	s_and_saveexec_b32 s3, s2
	s_cbranch_execz .LBB210_510
; %bb.509:
	global_load_ushort v16, v[12:13], off
.LBB210_510:
	s_or_b32 exec_lo, exec_lo, s3
	s_clause 0x3
	s_load_dwordx2 s[40:41], s[4:5], 0x450
	s_load_dwordx4 s[48:51], s[4:5], 0x298
	s_load_dwordx4 s[24:27], s[4:5], 0x1d8
	s_load_dwordx2 s[42:43], s[4:5], 0x1c8
	s_add_u32 s1, s36, 31
	s_addc_u32 s7, s37, 0
	s_and_b32 s6, s1, 0xffffffe0
	s_mul_i32 s1, s64, s47
	s_mul_hi_u32 s3, s64, s46
	s_mul_i32 s8, s64, s46
	s_add_i32 s3, s3, s1
	s_sub_u32 s1, s34, s8
	s_subb_u32 s3, 0, s3
	v_mov_b32_e32 v15, 0x8000
	v_cmp_lt_i16_e32 vcc_lo, -1, v34
	s_mov_b32 s21, -1
	v_cndmask_b32_e32 v2, 0xffff, v15, vcc_lo
	s_waitcnt lgkmcnt(0)
	s_mul_i32 s8, s1, s41
	s_mul_hi_u32 s9, s1, s40
	s_mul_i32 s3, s3, s40
	s_add_i32 s8, s9, s8
	s_mul_i32 s12, s56, s26
	s_add_i32 s13, s8, s3
	v_readlane_b32 s8, v43, 0
	v_readlane_b32 s9, v43, 1
	v_xor_b32_sdwa v2, v2, v34 dst_sel:DWORD dst_unused:UNUSED_PAD src0_sel:DWORD src1_sel:WORD_0
	v_cmp_o_f16_e32 vcc_lo, v34, v34
	s_mov_b32 s22, s8
	s_mul_i32 s3, s8, s25
	s_mul_hi_u32 s8, s8, s24
	s_mul_i32 s9, s22, s24
	s_add_i32 s8, s8, s3
	s_sub_u32 s3, s56, s9
	s_subb_u32 s8, s57, s8
	s_mul_i32 s9, s3, s51
	s_mul_hi_u32 s10, s3, s50
	s_mul_i32 s8, s8, s50
	s_add_i32 s9, s10, s9
	s_mul_i32 s10, s22, s49
	s_mul_hi_u32 s11, s22, s48
	s_add_i32 s9, s9, s8
	s_add_i32 s11, s11, s10
	s_mul_i32 s8, s56, s27
	s_mul_hi_u32 s10, s56, s26
	s_load_dwordx2 s[26:27], s[4:5], 0x2a8
	s_add_i32 s10, s10, s8
	s_sub_u32 s12, s34, s12
	v_readlane_b32 s24, v43, 2
	s_subb_u32 s10, 0, s10
	v_readlane_b32 s25, v43, 3
	v_cndmask_b32_e32 v14, 0xffff, v2, vcc_lo
	v_cmp_gt_u64_e32 vcc_lo, s[6:7], v[0:1]
	s_waitcnt lgkmcnt(0)
	s_mul_i32 s8, s12, s27
	s_mul_hi_u32 s18, s12, s26
	s_mul_i32 s10, s10, s26
	s_add_i32 s8, s18, s8
	s_mul_i32 s18, s24, s44
	s_add_i32 s19, s8, s10
	s_mul_i32 s8, s24, s45
	s_mul_hi_u32 s10, s24, s44
	s_load_dwordx4 s[44:47], s[4:5], 0x440
	s_add_i32 s10, s10, s8
	s_sub_u32 s20, s64, s18
	s_mul_i32 s8, s3, s50
	s_subb_u32 s10, s65, s10
	s_waitcnt lgkmcnt(0)
	s_mul_i32 s3, s20, s47
	s_mul_hi_u32 s18, s20, s46
	s_add_i32 s3, s18, s3
	s_mul_i32 s18, s10, s46
	s_mul_i32 s10, s22, s48
	s_add_i32 s23, s3, s18
	s_mul_i32 s3, s24, s45
	s_mul_hi_u32 s18, s24, s44
	s_lshl_b64 s[10:11], s[10:11], 1
	s_add_i32 s25, s18, s3
	s_add_u32 s3, s42, s10
	s_addc_u32 s10, s43, s11
	s_lshl_b64 s[8:9], s[8:9], 1
	s_mul_i32 s18, s12, s26
	s_add_u32 s3, s3, s8
	s_addc_u32 s12, s10, s9
	s_clause 0x1
	s_load_dwordx2 s[8:9], s[4:5], 0x368
	s_load_dwordx2 s[10:11], s[4:5], 0x510
	s_lshl_b64 s[18:19], s[18:19], 1
	v_readlane_b32 s26, v43, 4
	s_mul_i32 s24, s24, s44
	v_readlane_b32 s27, v43, 5
	s_add_u32 s5, s3, s18
	s_addc_u32 s18, s12, s19
	s_lshl_b64 s[24:25], s[24:25], 3
	s_mul_i32 s22, s20, s46
	s_add_u32 s3, s26, s24
	s_addc_u32 s4, s27, s25
	s_lshl_b64 s[22:23], s[22:23], 3
	s_mul_i32 s12, s1, s40
	s_add_u32 s1, s3, s22
	s_addc_u32 s3, s4, s23
	s_lshl_b64 s[12:13], s[12:13], 3
	s_mov_b32 s19, 0
	s_add_u32 s12, s1, s12
	s_addc_u32 s13, s3, s13
	s_mov_b32 s3, 0
	s_and_saveexec_b32 s20, vcc_lo
	s_cbranch_execnz .LBB210_521
; %bb.511:
	s_or_b32 exec_lo, exec_lo, s20
	s_and_saveexec_b32 s4, s21
	s_cbranch_execnz .LBB210_538
.LBB210_512:
	s_or_b32 exec_lo, exec_lo, s4
	s_and_saveexec_b32 s0, s3
	s_xor_b32 s0, exec_lo, s0
	s_cbranch_execnz .LBB210_561
.LBB210_513:
	s_or_b32 exec_lo, exec_lo, s0
	s_waitcnt lgkmcnt(0)
	s_and_b32 s8, s19, exec_lo
.LBB210_514:
	s_andn2_saveexec_b32 s0, s17
	s_cbranch_execnz .LBB210_563
.LBB210_515:
	s_or_b32 exec_lo, exec_lo, s0
	s_and_b32 s8, s8, exec_lo
.LBB210_516:
	s_andn2_saveexec_b32 s0, s16
	s_cbranch_execnz .LBB210_562
.LBB210_517:
	s_or_b32 exec_lo, exec_lo, s0
	s_and_b32 s8, s8, exec_lo
.LBB210_518:
	s_andn2_saveexec_b32 s0, s15
	s_cbranch_execnz .LBB210_557
.LBB210_519:
	s_or_b32 exec_lo, exec_lo, s0
	s_and_b32 s8, s8, exec_lo
	s_andn2_saveexec_b32 s0, s14
	s_cbranch_execz .LBB210_498
.LBB210_520:
	s_or_b32 s8, s8, exec_lo
	s_trap 2
	s_or_b32 exec_lo, exec_lo, s0
	s_and_saveexec_b32 s0, s8
	s_cbranch_execnz .LBB210_499
	s_branch .LBB210_500
.LBB210_521:
	v_mov_b32_e32 v9, v1
	v_mov_b32_e32 v3, 0
	v_mov_b32_e32 v8, v0
	s_mov_b32 s21, 0
                                        ; implicit-def: $sgpr22
                                        ; implicit-def: $vgpr6_vgpr7
	s_branch .LBB210_523
.LBB210_522:                            ;   in Loop: Header=BB210_523 Depth=1
	s_or_b32 exec_lo, exec_lo, s24
	s_xor_b32 s1, s23, -1
	s_and_b32 s3, exec_lo, s4
	v_mov_b32_e32 v9, v5
	v_mov_b32_e32 v8, v4
	s_or_b32 s21, s3, s21
	s_waitcnt vmcnt(0)
	v_mov_b32_e32 v16, v17
	s_andn2_b32 s3, s22, exec_lo
	s_and_b32 s1, s1, exec_lo
	s_or_b32 s22, s3, s1
	s_andn2_b32 exec_lo, exec_lo, s21
	s_cbranch_execz .LBB210_537
.LBB210_523:                            ; =>This Inner Loop Header: Depth=1
	v_add_co_u32 v4, s3, v8, s35
	v_add_co_ci_u32_e64 v5, null, 0, v9, s3
	v_mov_b32_e32 v17, 0
	s_mov_b32 s4, exec_lo
	v_cmpx_gt_u64_e64 s[36:37], v[4:5]
	s_cbranch_execz .LBB210_525
; %bb.524:                              ;   in Loop: Header=BB210_523 Depth=1
	v_mul_lo_u32 v2, v5, s30
	v_mul_lo_u32 v17, v4, s31
	v_mad_u64_u32 v[10:11], null, v4, s30, 0
	v_add3_u32 v11, v11, v17, v2
	v_lshlrev_b64 v[10:11], 1, v[10:11]
	v_add_co_u32 v10, s3, s29, v10
	v_add_co_ci_u32_e64 v11, null, s33, v11, s3
	global_load_ushort v17, v[10:11], off
.LBB210_525:                            ;   in Loop: Header=BB210_523 Depth=1
	s_or_b32 exec_lo, exec_lo, s4
	s_mov_b32 s23, 0
	s_mov_b32 s4, exec_lo
	v_cmpx_gt_u64_e64 s[36:37], v[8:9]
	s_cbranch_execz .LBB210_527
; %bb.526:                              ;   in Loop: Header=BB210_523 Depth=1
	s_waitcnt vmcnt(0)
	v_cmp_lt_i16_e64 s3, -1, v16
	v_cndmask_b32_e64 v2, 0xffff, v15, s3
	v_cmp_o_f16_e64 s3, v16, v16
	v_xor_b32_sdwa v2, v2, v16 dst_sel:DWORD dst_unused:UNUSED_PAD src0_sel:DWORD src1_sel:WORD_0
	v_cndmask_b32_e64 v2, 0xffff, v2, s3
	v_cmp_gt_u32_e64 s3, v2, v14
	v_cndmask_b32_e64 v10, 0, 1, s3
	v_cmp_lt_u32_e64 s3, v2, v14
	v_cndmask_b32_e64 v2, 0, 1, s3
	v_cndmask_b32_e64 v2, v2, v10, s28
	v_and_b32_e32 v2, 1, v2
	v_cmp_eq_u32_e64 s3, 1, v2
	s_and_b32 s23, s3, exec_lo
.LBB210_527:                            ;   in Loop: Header=BB210_523 Depth=1
	s_or_b32 exec_lo, exec_lo, s4
	v_cndmask_b32_e64 v2, 0, 1, s23
	v_cmp_ne_u32_e64 s3, 0, v2
	s_cmp_lg_u32 s3, 0
	s_cselect_b32 s1, -1, 0
	s_and_b32 s1, s0, s1
	s_and_saveexec_b32 s24, s1
	s_cbranch_execz .LBB210_531
; %bb.528:                              ;   in Loop: Header=BB210_523 Depth=1
	s_mov_b32 s27, exec_lo
	s_bcnt1_i32_b32 s25, s3
	v_mbcnt_lo_u32_b32 v10, s27, 0
	s_mov_b32 s26, exec_lo
                                        ; implicit-def: $vgpr6_vgpr7
	v_cmpx_eq_u32_e32 0, v10
	s_cbranch_execz .LBB210_530
; %bb.529:                              ;   in Loop: Header=BB210_523 Depth=1
	s_bcnt1_i32_b32 s1, s27
	s_mul_i32 s1, s25, s1
	v_mov_b32_e32 v2, s1
	s_waitcnt lgkmcnt(0)
	ds_add_rtn_u64 v[6:7], v3, v[2:3] offset:5136
.LBB210_530:                            ;   in Loop: Header=BB210_523 Depth=1
	s_or_b32 exec_lo, exec_lo, s26
	s_waitcnt lgkmcnt(0)
	v_readfirstlane_b32 s27, v7
	v_readfirstlane_b32 s26, v6
	v_mad_u64_u32 v[6:7], null, s25, v10, s[26:27]
.LBB210_531:                            ;   in Loop: Header=BB210_523 Depth=1
	s_or_b32 exec_lo, exec_lo, s24
	s_waitcnt lgkmcnt(0)
	ds_bpermute_b32 v6, v3, v6
	ds_bpermute_b32 v7, v3, v7
	s_mov_b32 s4, -1
	s_mov_b32 s25, -1
	s_and_saveexec_b32 s24, s23
	s_cbranch_execz .LBB210_535
; %bb.532:                              ;   in Loop: Header=BB210_523 Depth=1
	v_and_b32_e32 v2, s3, v23
	s_mov_b32 s23, 0
	s_mov_b32 s25, exec_lo
	v_bcnt_u32_b32 v2, v2, 0
	s_waitcnt lgkmcnt(0)
	v_add_co_u32 v10, s3, v6, v2
	v_add_co_ci_u32_e64 v11, null, 0, v7, s3
	v_cmpx_gt_u64_e64 s[38:39], v[10:11]
	s_cbranch_execz .LBB210_534
; %bb.533:                              ;   in Loop: Header=BB210_523 Depth=1
	v_mul_lo_u32 v2, v11, s8
	v_mul_lo_u32 v20, v10, s9
	v_mad_u64_u32 v[18:19], null, v10, s8, 0
	v_mul_lo_u32 v21, v11, s10
	v_mul_lo_u32 v22, v10, s11
	v_mad_u64_u32 v[10:11], null, v10, s10, 0
	s_mov_b32 s23, exec_lo
	v_add3_u32 v19, v19, v20, v2
	v_add3_u32 v11, v11, v22, v21
	v_lshlrev_b64 v[18:19], 1, v[18:19]
	v_lshlrev_b64 v[10:11], 3, v[10:11]
	v_add_co_u32 v18, s3, s5, v18
	v_add_co_ci_u32_e64 v19, null, s18, v19, s3
	v_add_co_u32 v10, s3, s12, v10
	v_add_co_ci_u32_e64 v11, null, s13, v11, s3
	s_waitcnt vmcnt(0)
	global_store_short v[18:19], v16, off
	global_store_dwordx2 v[10:11], v[8:9], off
.LBB210_534:                            ;   in Loop: Header=BB210_523 Depth=1
	s_or_b32 exec_lo, exec_lo, s25
	s_orn2_b32 s25, s23, exec_lo
.LBB210_535:                            ;   in Loop: Header=BB210_523 Depth=1
	s_or_b32 exec_lo, exec_lo, s24
	s_mov_b32 s23, -1
	s_and_saveexec_b32 s24, s25
	s_cbranch_execz .LBB210_522
; %bb.536:                              ;   in Loop: Header=BB210_523 Depth=1
	v_cmp_le_u64_e64 s3, s[6:7], v[4:5]
	s_xor_b32 s23, exec_lo, -1
	s_orn2_b32 s4, s3, exec_lo
	s_branch .LBB210_522
.LBB210_537:
	s_or_b32 exec_lo, exec_lo, s21
	s_mov_b32 s3, exec_lo
	s_orn2_b32 s21, s22, exec_lo
	s_or_b32 exec_lo, exec_lo, s20
	s_and_saveexec_b32 s4, s21
	s_cbranch_execz .LBB210_512
.LBB210_538:
	v_mov_b32_e32 v11, 0
	s_waitcnt vmcnt(0) lgkmcnt(0)
	s_waitcnt_vscnt null, 0x0
	s_barrier
	buffer_gl0_inv
	s_and_saveexec_b32 s1, s2
	s_cbranch_execz .LBB210_540
; %bb.539:
	global_load_ushort v11, v[12:13], off
.LBB210_540:
	s_or_b32 exec_lo, exec_lo, s1
	s_mov_b32 s1, 0
	s_and_saveexec_b32 s2, vcc_lo
	s_cbranch_execz .LBB210_560
; %bb.541:
	v_mov_b32_e32 v10, 0x8000
	v_mov_b32_e32 v3, 0
	s_mov_b32 s19, 0
                                        ; implicit-def: $sgpr20
                                        ; implicit-def: $vgpr6_vgpr7
	s_branch .LBB210_544
.LBB210_542:                            ;   in Loop: Header=BB210_544 Depth=1
	s_or_b32 exec_lo, exec_lo, s21
	s_orn2_b32 s23, s24, exec_lo
	s_orn2_b32 s22, s22, exec_lo
.LBB210_543:                            ;   in Loop: Header=BB210_544 Depth=1
	s_or_b32 exec_lo, exec_lo, s1
	s_xor_b32 s1, s23, -1
	s_and_b32 s21, exec_lo, s22
	v_mov_b32_e32 v0, v4
	v_mov_b32_e32 v1, v5
	s_or_b32 s19, s21, s19
	v_mov_b32_e32 v11, v12
	s_andn2_b32 s20, s20, exec_lo
	s_and_b32 s1, s1, exec_lo
	s_or_b32 s20, s20, s1
	s_andn2_b32 exec_lo, exec_lo, s19
	s_cbranch_execz .LBB210_558
.LBB210_544:                            ; =>This Inner Loop Header: Depth=1
	v_add_co_u32 v4, vcc_lo, v0, s35
	v_add_co_ci_u32_e64 v5, null, 0, v1, vcc_lo
	v_mov_b32_e32 v12, 0
	s_mov_b32 s1, exec_lo
	v_cmpx_gt_u64_e64 s[36:37], v[4:5]
	s_cbranch_execz .LBB210_546
; %bb.545:                              ;   in Loop: Header=BB210_544 Depth=1
	v_mul_lo_u32 v2, v5, s30
	v_mul_lo_u32 v12, v4, s31
	v_mad_u64_u32 v[8:9], null, v4, s30, 0
	v_add3_u32 v9, v9, v12, v2
	v_lshlrev_b64 v[8:9], 1, v[8:9]
	v_add_co_u32 v8, vcc_lo, s29, v8
	v_add_co_ci_u32_e64 v9, null, s33, v9, vcc_lo
	global_load_ushort v12, v[8:9], off
.LBB210_546:                            ;   in Loop: Header=BB210_544 Depth=1
	s_or_b32 exec_lo, exec_lo, s1
	s_waitcnt vmcnt(0)
	v_cmp_lt_i16_e32 vcc_lo, -1, v11
	v_cndmask_b32_e32 v2, 0xffff, v10, vcc_lo
	v_cmp_o_f16_e32 vcc_lo, v11, v11
	v_xor_b32_sdwa v2, v2, v11 dst_sel:DWORD dst_unused:UNUSED_PAD src0_sel:DWORD src1_sel:WORD_0
	v_cndmask_b32_e32 v2, 0xffff, v2, vcc_lo
	v_cmp_gt_u64_e32 vcc_lo, s[36:37], v[0:1]
	v_cmp_eq_u32_e64 s1, v2, v14
	s_and_b32 s21, vcc_lo, s1
	v_cndmask_b32_e64 v2, 0, 1, s21
	v_cmp_ne_u32_e32 vcc_lo, 0, v2
	s_cmp_lg_u32 vcc_lo, 0
	s_cselect_b32 s1, -1, 0
	s_and_b32 s1, s0, s1
	s_and_saveexec_b32 s22, s1
	s_cbranch_execz .LBB210_550
; %bb.547:                              ;   in Loop: Header=BB210_544 Depth=1
	s_mov_b32 s25, exec_lo
	s_bcnt1_i32_b32 s23, vcc_lo
	v_mbcnt_lo_u32_b32 v8, s25, 0
	s_mov_b32 s24, exec_lo
                                        ; implicit-def: $vgpr6_vgpr7
	v_cmpx_eq_u32_e32 0, v8
; %bb.548:                              ;   in Loop: Header=BB210_544 Depth=1
	s_bcnt1_i32_b32 s1, s25
	s_mul_i32 s1, s23, s1
	v_mov_b32_e32 v2, s1
	ds_add_rtn_u64 v[6:7], v3, v[2:3] offset:5136
; %bb.549:                              ;   in Loop: Header=BB210_544 Depth=1
	s_or_b32 exec_lo, exec_lo, s24
	s_waitcnt lgkmcnt(0)
	v_readfirstlane_b32 s25, v7
	v_readfirstlane_b32 s24, v6
	v_mad_u64_u32 v[6:7], null, s23, v8, s[24:25]
.LBB210_550:                            ;   in Loop: Header=BB210_544 Depth=1
	s_or_b32 exec_lo, exec_lo, s22
	ds_bpermute_b32 v6, v3, v6
	ds_bpermute_b32 v7, v3, v7
	s_cmp_eq_u32 vcc_lo, 0
	s_mov_b32 s22, -1
	s_cselect_b32 s23, -1, 0
	s_waitcnt lgkmcnt(0)
	v_cmp_gt_u64_e64 s1, s[38:39], v[6:7]
	s_or_b32 s24, s23, s1
	s_mov_b32 s23, -1
	s_and_saveexec_b32 s1, s24
	s_cbranch_execz .LBB210_543
; %bb.551:                              ;   in Loop: Header=BB210_544 Depth=1
	v_and_b32_e32 v2, vcc_lo, v23
	v_sub_co_u32 v8, vcc_lo, s38, v6
	v_sub_co_ci_u32_e64 v9, null, s39, v7, vcc_lo
	v_bcnt_u32_b32 v2, v2, 0
	s_mov_b32 s24, -1
	v_bcnt_u32_b32 v2, 0, v2
	v_cmp_gt_u64_e32 vcc_lo, v[8:9], v[2:3]
	s_and_b32 s25, s21, vcc_lo
	s_and_saveexec_b32 s21, s25
	s_cbranch_execz .LBB210_555
; %bb.552:                              ;   in Loop: Header=BB210_544 Depth=1
	v_add_co_u32 v8, vcc_lo, v6, v2
	v_add_co_ci_u32_e64 v9, null, 0, v7, vcc_lo
	s_mov_b32 s23, 0
	s_mov_b32 s24, exec_lo
	v_cmpx_gt_u64_e64 s[38:39], v[8:9]
; %bb.553:                              ;   in Loop: Header=BB210_544 Depth=1
	v_mul_lo_u32 v2, v9, s8
	v_mul_lo_u32 v13, v8, s9
	v_mad_u64_u32 v[15:16], null, v8, s8, 0
	v_mul_lo_u32 v17, v9, s10
	v_mul_lo_u32 v18, v8, s11
	v_mad_u64_u32 v[8:9], null, v8, s10, 0
	s_mov_b32 s23, exec_lo
	v_add3_u32 v16, v16, v13, v2
	v_add3_u32 v9, v9, v18, v17
	v_lshlrev_b64 v[15:16], 1, v[15:16]
	v_lshlrev_b64 v[8:9], 3, v[8:9]
	v_add_co_u32 v15, vcc_lo, s5, v15
	v_add_co_ci_u32_e64 v16, null, s18, v16, vcc_lo
	v_add_co_u32 v8, vcc_lo, s12, v8
	v_add_co_ci_u32_e64 v9, null, s13, v9, vcc_lo
	global_store_short v[15:16], v11, off
	global_store_dwordx2 v[8:9], v[0:1], off
; %bb.554:                              ;   in Loop: Header=BB210_544 Depth=1
	s_or_b32 exec_lo, exec_lo, s24
	s_xor_b32 s24, exec_lo, -1
	s_orn2_b32 s23, s23, exec_lo
.LBB210_555:                            ;   in Loop: Header=BB210_544 Depth=1
	s_or_b32 exec_lo, exec_lo, s21
	s_and_saveexec_b32 s21, s23
	s_cbranch_execz .LBB210_542
; %bb.556:                              ;   in Loop: Header=BB210_544 Depth=1
	v_cmp_le_u64_e32 vcc_lo, s[6:7], v[4:5]
	s_or_b32 s24, s24, exec_lo
	s_orn2_b32 s22, vcc_lo, exec_lo
	s_branch .LBB210_542
.LBB210_557:
	s_or_b32 s8, s8, exec_lo
	s_trap 2
	s_branch .LBB210_519
.LBB210_558:
	s_or_b32 exec_lo, exec_lo, s19
	s_mov_b32 s0, 0
	s_and_saveexec_b32 s1, s20
	s_xor_b32 s1, exec_lo, s1
	s_cbranch_execnz .LBB210_564
.LBB210_559:
	s_or_b32 exec_lo, exec_lo, s1
	s_and_b32 s1, s0, exec_lo
.LBB210_560:
	s_or_b32 exec_lo, exec_lo, s2
	s_and_b32 s19, s1, exec_lo
	s_andn2_b32 s3, s3, exec_lo
	s_or_b32 exec_lo, exec_lo, s4
	s_and_saveexec_b32 s0, s3
	s_xor_b32 s0, exec_lo, s0
	s_cbranch_execz .LBB210_513
.LBB210_561:
	s_or_b32 s19, s19, exec_lo
	s_trap 2
	s_branch .LBB210_513
.LBB210_562:
	s_or_b32 s8, s8, exec_lo
	s_trap 2
	s_branch .LBB210_517
.LBB210_563:
	s_or_b32 s8, s8, exec_lo
	s_trap 2
	s_branch .LBB210_515
.LBB210_564:
	s_mov_b32 s0, exec_lo
	s_trap 2
	s_branch .LBB210_559
	.section	.rodata,"a",@progbits
	.p2align	6, 0x0
	.amdhsa_kernel _ZN2at6native6sbtopk10gatherTopKIN3c104HalfEmLi3ELb0EEEvNS_4cuda6detail10TensorInfoIKT_T0_EESA_SA_bSA_SA_NS7_IS8_SA_EESA_NS7_IlSA_EESA_PS8_
		.amdhsa_group_segment_fixed_size 5152
		.amdhsa_private_segment_fixed_size 0
		.amdhsa_kernarg_size 1568
		.amdhsa_user_sgpr_count 6
		.amdhsa_user_sgpr_private_segment_buffer 1
		.amdhsa_user_sgpr_dispatch_ptr 0
		.amdhsa_user_sgpr_queue_ptr 0
		.amdhsa_user_sgpr_kernarg_segment_ptr 1
		.amdhsa_user_sgpr_dispatch_id 0
		.amdhsa_user_sgpr_flat_scratch_init 0
		.amdhsa_user_sgpr_private_segment_size 0
		.amdhsa_wavefront_size32 1
		.amdhsa_uses_dynamic_stack 0
		.amdhsa_system_sgpr_private_segment_wavefront_offset 0
		.amdhsa_system_sgpr_workgroup_id_x 1
		.amdhsa_system_sgpr_workgroup_id_y 1
		.amdhsa_system_sgpr_workgroup_id_z 1
		.amdhsa_system_sgpr_workgroup_info 0
		.amdhsa_system_vgpr_workitem_id 0
		.amdhsa_next_free_vgpr 44
		.amdhsa_next_free_sgpr 105
		.amdhsa_reserve_vcc 1
		.amdhsa_reserve_flat_scratch 0
		.amdhsa_float_round_mode_32 0
		.amdhsa_float_round_mode_16_64 0
		.amdhsa_float_denorm_mode_32 3
		.amdhsa_float_denorm_mode_16_64 3
		.amdhsa_dx10_clamp 1
		.amdhsa_ieee_mode 1
		.amdhsa_fp16_overflow 0
		.amdhsa_workgroup_processor_mode 1
		.amdhsa_memory_ordered 1
		.amdhsa_forward_progress 1
		.amdhsa_shared_vgpr_count 0
		.amdhsa_exception_fp_ieee_invalid_op 0
		.amdhsa_exception_fp_denorm_src 0
		.amdhsa_exception_fp_ieee_div_zero 0
		.amdhsa_exception_fp_ieee_overflow 0
		.amdhsa_exception_fp_ieee_underflow 0
		.amdhsa_exception_fp_ieee_inexact 0
		.amdhsa_exception_int_div_zero 0
	.end_amdhsa_kernel
	.section	.text._ZN2at6native6sbtopk10gatherTopKIN3c104HalfEmLi3ELb0EEEvNS_4cuda6detail10TensorInfoIKT_T0_EESA_SA_bSA_SA_NS7_IS8_SA_EESA_NS7_IlSA_EESA_PS8_,"axG",@progbits,_ZN2at6native6sbtopk10gatherTopKIN3c104HalfEmLi3ELb0EEEvNS_4cuda6detail10TensorInfoIKT_T0_EESA_SA_bSA_SA_NS7_IS8_SA_EESA_NS7_IlSA_EESA_PS8_,comdat
.Lfunc_end210:
	.size	_ZN2at6native6sbtopk10gatherTopKIN3c104HalfEmLi3ELb0EEEvNS_4cuda6detail10TensorInfoIKT_T0_EESA_SA_bSA_SA_NS7_IS8_SA_EESA_NS7_IlSA_EESA_PS8_, .Lfunc_end210-_ZN2at6native6sbtopk10gatherTopKIN3c104HalfEmLi3ELb0EEEvNS_4cuda6detail10TensorInfoIKT_T0_EESA_SA_bSA_SA_NS7_IS8_SA_EESA_NS7_IlSA_EESA_PS8_
                                        ; -- End function
	.set _ZN2at6native6sbtopk10gatherTopKIN3c104HalfEmLi3ELb0EEEvNS_4cuda6detail10TensorInfoIKT_T0_EESA_SA_bSA_SA_NS7_IS8_SA_EESA_NS7_IlSA_EESA_PS8_.num_vgpr, 44
	.set _ZN2at6native6sbtopk10gatherTopKIN3c104HalfEmLi3ELb0EEEvNS_4cuda6detail10TensorInfoIKT_T0_EESA_SA_bSA_SA_NS7_IS8_SA_EESA_NS7_IlSA_EESA_PS8_.num_agpr, 0
	.set _ZN2at6native6sbtopk10gatherTopKIN3c104HalfEmLi3ELb0EEEvNS_4cuda6detail10TensorInfoIKT_T0_EESA_SA_bSA_SA_NS7_IS8_SA_EESA_NS7_IlSA_EESA_PS8_.numbered_sgpr, 105
	.set _ZN2at6native6sbtopk10gatherTopKIN3c104HalfEmLi3ELb0EEEvNS_4cuda6detail10TensorInfoIKT_T0_EESA_SA_bSA_SA_NS7_IS8_SA_EESA_NS7_IlSA_EESA_PS8_.num_named_barrier, 0
	.set _ZN2at6native6sbtopk10gatherTopKIN3c104HalfEmLi3ELb0EEEvNS_4cuda6detail10TensorInfoIKT_T0_EESA_SA_bSA_SA_NS7_IS8_SA_EESA_NS7_IlSA_EESA_PS8_.private_seg_size, 0
	.set _ZN2at6native6sbtopk10gatherTopKIN3c104HalfEmLi3ELb0EEEvNS_4cuda6detail10TensorInfoIKT_T0_EESA_SA_bSA_SA_NS7_IS8_SA_EESA_NS7_IlSA_EESA_PS8_.uses_vcc, 1
	.set _ZN2at6native6sbtopk10gatherTopKIN3c104HalfEmLi3ELb0EEEvNS_4cuda6detail10TensorInfoIKT_T0_EESA_SA_bSA_SA_NS7_IS8_SA_EESA_NS7_IlSA_EESA_PS8_.uses_flat_scratch, 0
	.set _ZN2at6native6sbtopk10gatherTopKIN3c104HalfEmLi3ELb0EEEvNS_4cuda6detail10TensorInfoIKT_T0_EESA_SA_bSA_SA_NS7_IS8_SA_EESA_NS7_IlSA_EESA_PS8_.has_dyn_sized_stack, 0
	.set _ZN2at6native6sbtopk10gatherTopKIN3c104HalfEmLi3ELb0EEEvNS_4cuda6detail10TensorInfoIKT_T0_EESA_SA_bSA_SA_NS7_IS8_SA_EESA_NS7_IlSA_EESA_PS8_.has_recursion, 0
	.set _ZN2at6native6sbtopk10gatherTopKIN3c104HalfEmLi3ELb0EEEvNS_4cuda6detail10TensorInfoIKT_T0_EESA_SA_bSA_SA_NS7_IS8_SA_EESA_NS7_IlSA_EESA_PS8_.has_indirect_call, 0
	.section	.AMDGPU.csdata,"",@progbits
; Kernel info:
; codeLenInByte = 27004
; TotalNumSgprs: 107
; NumVgprs: 44
; ScratchSize: 0
; MemoryBound: 0
; FloatMode: 240
; IeeeMode: 1
; LDSByteSize: 5152 bytes/workgroup (compile time only)
; SGPRBlocks: 0
; VGPRBlocks: 5
; NumSGPRsForWavesPerEU: 107
; NumVGPRsForWavesPerEU: 44
; Occupancy: 16
; WaveLimiterHint : 1
; COMPUTE_PGM_RSRC2:SCRATCH_EN: 0
; COMPUTE_PGM_RSRC2:USER_SGPR: 6
; COMPUTE_PGM_RSRC2:TRAP_HANDLER: 0
; COMPUTE_PGM_RSRC2:TGID_X_EN: 1
; COMPUTE_PGM_RSRC2:TGID_Y_EN: 1
; COMPUTE_PGM_RSRC2:TGID_Z_EN: 1
; COMPUTE_PGM_RSRC2:TIDIG_COMP_CNT: 0
	.section	.text._ZN2at6native6mbtopk23computeBlockDigitCountsIN3c104HalfEmjLin1EEEvNS_4cuda6detail10TensorInfoIKT_T0_EEjPjjSA_iijT1_PSD_Ps,"axG",@progbits,_ZN2at6native6mbtopk23computeBlockDigitCountsIN3c104HalfEmjLin1EEEvNS_4cuda6detail10TensorInfoIKT_T0_EEjPjjSA_iijT1_PSD_Ps,comdat
	.protected	_ZN2at6native6mbtopk23computeBlockDigitCountsIN3c104HalfEmjLin1EEEvNS_4cuda6detail10TensorInfoIKT_T0_EEjPjjSA_iijT1_PSD_Ps ; -- Begin function _ZN2at6native6mbtopk23computeBlockDigitCountsIN3c104HalfEmjLin1EEEvNS_4cuda6detail10TensorInfoIKT_T0_EEjPjjSA_iijT1_PSD_Ps
	.globl	_ZN2at6native6mbtopk23computeBlockDigitCountsIN3c104HalfEmjLin1EEEvNS_4cuda6detail10TensorInfoIKT_T0_EEjPjjSA_iijT1_PSD_Ps
	.p2align	8
	.type	_ZN2at6native6mbtopk23computeBlockDigitCountsIN3c104HalfEmjLin1EEEvNS_4cuda6detail10TensorInfoIKT_T0_EEjPjjSA_iijT1_PSD_Ps,@function
_ZN2at6native6mbtopk23computeBlockDigitCountsIN3c104HalfEmjLin1EEEvNS_4cuda6detail10TensorInfoIKT_T0_EEjPjjSA_iijT1_PSD_Ps: ; @_ZN2at6native6mbtopk23computeBlockDigitCountsIN3c104HalfEmjLin1EEEvNS_4cuda6detail10TensorInfoIKT_T0_EEjPjjSA_iijT1_PSD_Ps
; %bb.0:
	s_clause 0x2
	s_load_dwordx4 s[0:3], s[4:5], 0x1c0
	s_load_dword s13, s[4:5], 0x1b0
	s_load_dwordx2 s[10:11], s[4:5], 0x1e0
	s_waitcnt lgkmcnt(0)
	v_cvt_f32_u32_e32 v1, s2
	s_mul_i32 s8, s11, s8
	s_sub_i32 s11, 0, s2
	s_add_i32 s7, s8, s7
	v_rcp_iflag_f32_e32 v1, v1
	s_mul_i32 s24, s7, s10
	s_add_i32 s24, s24, s6
	v_mul_f32_e32 v1, 0x4f7ffffe, v1
	v_cvt_u32_f32_e32 v1, v1
	v_readfirstlane_b32 s9, v1
	s_mul_i32 s11, s11, s9
	s_mul_hi_u32 s7, s9, s11
	s_add_i32 s9, s9, s7
	s_mul_hi_u32 s6, s24, s9
	s_mul_i32 s7, s6, s2
	s_add_i32 s8, s6, 1
	s_sub_i32 s7, s24, s7
	s_sub_i32 s9, s7, s2
	s_cmp_ge_u32 s7, s2
	s_cselect_b32 s6, s8, s6
	s_cselect_b32 s7, s9, s7
	s_add_i32 s8, s6, 1
	s_cmp_ge_u32 s7, s2
	s_cselect_b32 s12, s8, s6
	s_cmp_ge_u32 s12, s13
	s_mov_b32 s13, 0
	s_cbranch_scc1 .LBB211_28
; %bb.1:
	s_clause 0x1
	s_load_dwordx4 s[8:11], s[4:5], 0x1d0
	s_load_dword s14, s[4:5], 0x198
	s_lshl_b64 s[6:7], s[12:13], 2
	s_mov_b64 s[20:21], s[12:13]
	s_waitcnt lgkmcnt(0)
	s_add_u32 s8, s8, s6
	s_addc_u32 s9, s9, s7
	s_cmp_lt_i32 s14, 2
	s_mov_b64 s[6:7], 0
	s_cbranch_scc1 .LBB211_7
; %bb.2:
	s_add_i32 s16, s14, -1
	s_mov_b32 s17, 0
	s_add_i32 s13, s14, 1
	s_lshl_b64 s[6:7], s[16:17], 3
	s_add_u32 s6, s4, s6
	s_addc_u32 s7, s5, s7
	s_add_u32 s18, s6, 8
	s_addc_u32 s19, s7, 0
	s_mov_b64 s[6:7], 0
.LBB211_3:                              ; =>This Inner Loop Header: Depth=1
	s_load_dwordx2 s[22:23], s[18:19], 0x0
	s_waitcnt lgkmcnt(0)
	v_cmp_lt_u64_e64 s14, s[20:21], s[22:23]
	s_and_b32 vcc_lo, exec_lo, s14
	s_mov_b64 s[14:15], 0
	s_cbranch_vccnz .LBB211_5
; %bb.4:                                ;   in Loop: Header=BB211_3 Depth=1
	v_cvt_f32_u32_e32 v1, s22
	s_sub_i32 s15, 0, s22
	v_rcp_iflag_f32_e32 v1, v1
	v_mul_f32_e32 v1, 0x4f7ffffe, v1
	v_cvt_u32_f32_e32 v1, v1
	v_readfirstlane_b32 s14, v1
	s_mul_i32 s15, s15, s14
	s_mul_hi_u32 s15, s14, s15
	s_add_i32 s14, s14, s15
	s_mul_hi_u32 s14, s20, s14
	s_mul_i32 s15, s14, s22
	s_add_i32 s16, s14, 1
	s_sub_i32 s15, s20, s15
	s_sub_i32 s25, s15, s22
	s_cmp_ge_u32 s15, s22
	s_cselect_b32 s14, s16, s14
	s_cselect_b32 s15, s25, s15
	s_add_i32 s16, s14, 1
	s_cmp_ge_u32 s15, s22
	s_cselect_b32 s16, s16, s14
	s_mov_b64 s[14:15], s[16:17]
.LBB211_5:                              ;   in Loop: Header=BB211_3 Depth=1
	s_load_dwordx2 s[26:27], s[18:19], 0xc8
	s_mul_i32 s16, s14, s23
	s_mul_hi_u32 s23, s14, s22
	s_mul_i32 s22, s14, s22
	s_add_i32 s23, s23, s16
	s_sub_u32 s16, s20, s22
	s_subb_u32 s20, s21, s23
	s_waitcnt lgkmcnt(0)
	s_mul_i32 s20, s26, s20
	s_mul_hi_u32 s21, s26, s16
	s_mul_i32 s22, s27, s16
	s_add_i32 s20, s21, s20
	s_mul_i32 s16, s26, s16
	s_add_i32 s20, s20, s22
	s_add_u32 s6, s16, s6
	s_addc_u32 s7, s20, s7
	s_add_i32 s13, s13, -1
	s_add_u32 s18, s18, -8
	s_addc_u32 s19, s19, -1
	s_cmp_gt_u32 s13, 2
	s_cbranch_scc0 .LBB211_8
; %bb.6:                                ;   in Loop: Header=BB211_3 Depth=1
	s_mov_b64 s[20:21], s[14:15]
	s_branch .LBB211_3
.LBB211_7:
	s_mov_b64 s[14:15], s[20:21]
.LBB211_8:
	s_load_dword s13, s[8:9], 0x0
	v_cmp_gt_u32_e32 vcc_lo, 0x100, v0
	v_lshlrev_b32_e32 v1, 2, v0
	s_and_saveexec_b32 s8, vcc_lo
; %bb.9:
	v_mov_b32_e32 v2, 0
	ds_write_b32 v1, v2
; %bb.10:
	s_or_b32 exec_lo, exec_lo, s8
	s_load_dword s15, s[4:5], 0x1a0
	s_mul_i32 s8, s12, s2
	s_waitcnt lgkmcnt(0)
	s_sub_i32 s8, s24, s8
	s_barrier
	s_mul_i32 s9, s1, s8
	s_add_i32 s12, s8, 1
	s_lshl_b32 s16, s9, 8
	buffer_gl0_inv
	s_sub_i32 s9, s15, s16
	s_add_u32 s8, s9, 0xff
	s_addc_u32 s9, 0, 0
	s_lshr_b64 s[8:9], s[8:9], 8
	s_cmp_lt_u32 s12, s2
	s_mov_b32 s12, 0
	s_cselect_b32 s2, s1, s8
	s_cmp_lt_i32 s2, 1
	s_cbranch_scc1 .LBB211_26
; %bb.11:
	s_clause 0x2
	s_load_dwordx2 s[18:19], s[4:5], 0xd0
	s_load_dwordx2 s[8:9], s[4:5], 0x1b8
	;; [unrolled: 1-line block ×3, first 2 shown]
	v_add_nc_u32_e32 v2, s16, v0
	s_waitcnt lgkmcnt(0)
	s_mul_i32 s1, s19, s14
	s_mul_hi_u32 s17, s18, s14
	s_mul_i32 s18, s18, s14
	s_add_i32 s19, s17, s1
	s_lshl_b64 s[18:19], s[18:19], 1
	s_add_u32 s1, s4, s18
	s_addc_u32 s14, s5, s19
	s_lshl_b64 s[4:5], s[6:7], 1
	s_add_u32 s4, s1, s4
	s_addc_u32 s5, s14, s5
	s_and_b32 s1, s0, 0xff
	s_cmp_eq_u32 s2, 1
	s_cbranch_scc1 .LBB211_21
; %bb.12:
	v_mov_b32_e32 v3, 1
	v_mov_b32_e32 v4, 0x8000
	;; [unrolled: 1-line block ×3, first 2 shown]
	s_and_b32 s6, s2, 0x7ffffffe
	s_mov_b32 s7, 0
	s_branch .LBB211_14
.LBB211_13:                             ;   in Loop: Header=BB211_14 Depth=1
	s_or_b32 exec_lo, exec_lo, s12
	v_add_nc_u32_e32 v5, 0x200, v5
	s_add_i32 s7, s7, 2
	s_cmp_eq_u32 s6, s7
	s_cbranch_scc1 .LBB211_20
.LBB211_14:                             ; =>This Inner Loop Header: Depth=1
	s_mov_b32 s12, exec_lo
	v_cmpx_gt_u32_e64 s15, v5
	s_cbranch_execz .LBB211_17
; %bb.15:                               ;   in Loop: Header=BB211_14 Depth=1
	v_mad_u64_u32 v[6:7], null, s8, v5, 0
	v_mad_u64_u32 v[7:8], null, s9, v5, v[7:8]
	v_lshlrev_b64 v[6:7], 1, v[6:7]
	v_add_co_u32 v6, s0, s4, v6
	v_add_co_ci_u32_e64 v7, null, s5, v7, s0
	global_load_ushort v6, v[6:7], off
	s_waitcnt vmcnt(0)
	v_cmp_lt_i16_e64 s0, -1, v6
	v_cndmask_b32_e64 v7, 0xffff, v4, s0
	v_cmp_o_f16_e64 s0, v6, v6
	v_xor_b32_sdwa v7, v7, v6 dst_sel:DWORD dst_unused:UNUSED_PAD src0_sel:DWORD src1_sel:WORD_0
	v_cndmask_b32_e64 v6, 0xffff, v7, s0
	v_xor_b32_e32 v7, s13, v6
	v_and_b32_e32 v7, s3, v7
	v_cmp_eq_u32_e64 s0, 0, v7
	s_and_b32 exec_lo, exec_lo, s0
; %bb.16:                               ;   in Loop: Header=BB211_14 Depth=1
	v_bfe_u32 v6, v6, s1, 8
	v_lshlrev_b32_e32 v6, 2, v6
	ds_add_u32 v6, v3
.LBB211_17:                             ;   in Loop: Header=BB211_14 Depth=1
	s_or_b32 exec_lo, exec_lo, s12
	v_add_nc_u32_e32 v6, 0x100, v5
	s_mov_b32 s12, exec_lo
	v_cmpx_gt_u32_e64 s15, v6
	s_cbranch_execz .LBB211_13
; %bb.18:                               ;   in Loop: Header=BB211_14 Depth=1
	v_mad_u64_u32 v[7:8], null, s8, v6, 0
	v_mad_u64_u32 v[8:9], null, s9, v6, v[8:9]
	v_lshlrev_b64 v[6:7], 1, v[7:8]
	v_add_co_u32 v6, s0, s4, v6
	v_add_co_ci_u32_e64 v7, null, s5, v7, s0
	global_load_ushort v6, v[6:7], off
	s_waitcnt vmcnt(0)
	v_cmp_lt_i16_e64 s0, -1, v6
	v_cndmask_b32_e64 v7, 0xffff, v4, s0
	v_cmp_o_f16_e64 s0, v6, v6
	v_xor_b32_sdwa v7, v7, v6 dst_sel:DWORD dst_unused:UNUSED_PAD src0_sel:DWORD src1_sel:WORD_0
	v_cndmask_b32_e64 v6, 0xffff, v7, s0
	v_xor_b32_e32 v7, s13, v6
	v_and_b32_e32 v7, s3, v7
	v_cmp_eq_u32_e64 s0, 0, v7
	s_and_b32 exec_lo, exec_lo, s0
	s_cbranch_execz .LBB211_13
; %bb.19:                               ;   in Loop: Header=BB211_14 Depth=1
	v_bfe_u32 v6, v6, s1, 8
	v_lshlrev_b32_e32 v6, 2, v6
	ds_add_u32 v6, v3
	s_branch .LBB211_13
.LBB211_20:
	s_lshl_b32 s12, s6, 8
.LBB211_21:
	s_bitcmp0_b32 s2, 0
	s_cbranch_scc1 .LBB211_26
; %bb.22:
	v_add_nc_u32_e32 v2, s12, v2
	s_mov_b32 s2, exec_lo
	v_cmpx_gt_u32_e64 s15, v2
	s_cbranch_execz .LBB211_25
; %bb.23:
	v_mad_u64_u32 v[3:4], null, s8, v2, 0
	v_mad_u64_u32 v[4:5], null, s9, v2, v[4:5]
	v_lshlrev_b64 v[2:3], 1, v[3:4]
	v_add_co_u32 v2, s0, s4, v2
	v_add_co_ci_u32_e64 v3, null, s5, v3, s0
	global_load_ushort v2, v[2:3], off
	v_mov_b32_e32 v3, 0x8000
	s_waitcnt vmcnt(0)
	v_cmp_lt_i16_e64 s0, -1, v2
	v_cndmask_b32_e64 v3, 0xffff, v3, s0
	v_cmp_o_f16_e64 s0, v2, v2
	v_xor_b32_sdwa v3, v3, v2 dst_sel:DWORD dst_unused:UNUSED_PAD src0_sel:DWORD src1_sel:WORD_0
	v_cndmask_b32_e64 v2, 0xffff, v3, s0
	v_xor_b32_e32 v3, s13, v2
	v_and_b32_e32 v3, s3, v3
	v_cmp_eq_u32_e64 s0, 0, v3
	s_and_b32 exec_lo, exec_lo, s0
	s_cbranch_execz .LBB211_25
; %bb.24:
	v_bfe_u32 v2, v2, s1, 8
	v_mov_b32_e32 v3, 1
	v_lshlrev_b32_e32 v2, 2, v2
	ds_add_u32 v2, v3
.LBB211_25:
	s_or_b32 exec_lo, exec_lo, s2
.LBB211_26:
	s_waitcnt lgkmcnt(0)
	s_barrier
	buffer_gl0_inv
	s_and_saveexec_b32 s0, vcc_lo
	s_cbranch_execz .LBB211_28
; %bb.27:
	ds_read_b32 v2, v1
	v_lshl_or_b32 v0, s24, 8, v0
	v_mov_b32_e32 v1, 0
	v_lshlrev_b64 v[0:1], 1, v[0:1]
	v_add_co_u32 v0, vcc_lo, s10, v0
	v_add_co_ci_u32_e64 v1, null, s11, v1, vcc_lo
	s_waitcnt lgkmcnt(0)
	global_store_short v[0:1], v2, off
.LBB211_28:
	s_endpgm
	.section	.rodata,"a",@progbits
	.p2align	6, 0x0
	.amdhsa_kernel _ZN2at6native6mbtopk23computeBlockDigitCountsIN3c104HalfEmjLin1EEEvNS_4cuda6detail10TensorInfoIKT_T0_EEjPjjSA_iijT1_PSD_Ps
		.amdhsa_group_segment_fixed_size 1024
		.amdhsa_private_segment_fixed_size 0
		.amdhsa_kernarg_size 736
		.amdhsa_user_sgpr_count 6
		.amdhsa_user_sgpr_private_segment_buffer 1
		.amdhsa_user_sgpr_dispatch_ptr 0
		.amdhsa_user_sgpr_queue_ptr 0
		.amdhsa_user_sgpr_kernarg_segment_ptr 1
		.amdhsa_user_sgpr_dispatch_id 0
		.amdhsa_user_sgpr_flat_scratch_init 0
		.amdhsa_user_sgpr_private_segment_size 0
		.amdhsa_wavefront_size32 1
		.amdhsa_uses_dynamic_stack 0
		.amdhsa_system_sgpr_private_segment_wavefront_offset 0
		.amdhsa_system_sgpr_workgroup_id_x 1
		.amdhsa_system_sgpr_workgroup_id_y 1
		.amdhsa_system_sgpr_workgroup_id_z 1
		.amdhsa_system_sgpr_workgroup_info 0
		.amdhsa_system_vgpr_workitem_id 0
		.amdhsa_next_free_vgpr 10
		.amdhsa_next_free_sgpr 28
		.amdhsa_reserve_vcc 1
		.amdhsa_reserve_flat_scratch 0
		.amdhsa_float_round_mode_32 0
		.amdhsa_float_round_mode_16_64 0
		.amdhsa_float_denorm_mode_32 3
		.amdhsa_float_denorm_mode_16_64 3
		.amdhsa_dx10_clamp 1
		.amdhsa_ieee_mode 1
		.amdhsa_fp16_overflow 0
		.amdhsa_workgroup_processor_mode 1
		.amdhsa_memory_ordered 1
		.amdhsa_forward_progress 1
		.amdhsa_shared_vgpr_count 0
		.amdhsa_exception_fp_ieee_invalid_op 0
		.amdhsa_exception_fp_denorm_src 0
		.amdhsa_exception_fp_ieee_div_zero 0
		.amdhsa_exception_fp_ieee_overflow 0
		.amdhsa_exception_fp_ieee_underflow 0
		.amdhsa_exception_fp_ieee_inexact 0
		.amdhsa_exception_int_div_zero 0
	.end_amdhsa_kernel
	.section	.text._ZN2at6native6mbtopk23computeBlockDigitCountsIN3c104HalfEmjLin1EEEvNS_4cuda6detail10TensorInfoIKT_T0_EEjPjjSA_iijT1_PSD_Ps,"axG",@progbits,_ZN2at6native6mbtopk23computeBlockDigitCountsIN3c104HalfEmjLin1EEEvNS_4cuda6detail10TensorInfoIKT_T0_EEjPjjSA_iijT1_PSD_Ps,comdat
.Lfunc_end211:
	.size	_ZN2at6native6mbtopk23computeBlockDigitCountsIN3c104HalfEmjLin1EEEvNS_4cuda6detail10TensorInfoIKT_T0_EEjPjjSA_iijT1_PSD_Ps, .Lfunc_end211-_ZN2at6native6mbtopk23computeBlockDigitCountsIN3c104HalfEmjLin1EEEvNS_4cuda6detail10TensorInfoIKT_T0_EEjPjjSA_iijT1_PSD_Ps
                                        ; -- End function
	.set _ZN2at6native6mbtopk23computeBlockDigitCountsIN3c104HalfEmjLin1EEEvNS_4cuda6detail10TensorInfoIKT_T0_EEjPjjSA_iijT1_PSD_Ps.num_vgpr, 10
	.set _ZN2at6native6mbtopk23computeBlockDigitCountsIN3c104HalfEmjLin1EEEvNS_4cuda6detail10TensorInfoIKT_T0_EEjPjjSA_iijT1_PSD_Ps.num_agpr, 0
	.set _ZN2at6native6mbtopk23computeBlockDigitCountsIN3c104HalfEmjLin1EEEvNS_4cuda6detail10TensorInfoIKT_T0_EEjPjjSA_iijT1_PSD_Ps.numbered_sgpr, 28
	.set _ZN2at6native6mbtopk23computeBlockDigitCountsIN3c104HalfEmjLin1EEEvNS_4cuda6detail10TensorInfoIKT_T0_EEjPjjSA_iijT1_PSD_Ps.num_named_barrier, 0
	.set _ZN2at6native6mbtopk23computeBlockDigitCountsIN3c104HalfEmjLin1EEEvNS_4cuda6detail10TensorInfoIKT_T0_EEjPjjSA_iijT1_PSD_Ps.private_seg_size, 0
	.set _ZN2at6native6mbtopk23computeBlockDigitCountsIN3c104HalfEmjLin1EEEvNS_4cuda6detail10TensorInfoIKT_T0_EEjPjjSA_iijT1_PSD_Ps.uses_vcc, 1
	.set _ZN2at6native6mbtopk23computeBlockDigitCountsIN3c104HalfEmjLin1EEEvNS_4cuda6detail10TensorInfoIKT_T0_EEjPjjSA_iijT1_PSD_Ps.uses_flat_scratch, 0
	.set _ZN2at6native6mbtopk23computeBlockDigitCountsIN3c104HalfEmjLin1EEEvNS_4cuda6detail10TensorInfoIKT_T0_EEjPjjSA_iijT1_PSD_Ps.has_dyn_sized_stack, 0
	.set _ZN2at6native6mbtopk23computeBlockDigitCountsIN3c104HalfEmjLin1EEEvNS_4cuda6detail10TensorInfoIKT_T0_EEjPjjSA_iijT1_PSD_Ps.has_recursion, 0
	.set _ZN2at6native6mbtopk23computeBlockDigitCountsIN3c104HalfEmjLin1EEEvNS_4cuda6detail10TensorInfoIKT_T0_EEjPjjSA_iijT1_PSD_Ps.has_indirect_call, 0
	.section	.AMDGPU.csdata,"",@progbits
; Kernel info:
; codeLenInByte = 1332
; TotalNumSgprs: 30
; NumVgprs: 10
; ScratchSize: 0
; MemoryBound: 0
; FloatMode: 240
; IeeeMode: 1
; LDSByteSize: 1024 bytes/workgroup (compile time only)
; SGPRBlocks: 0
; VGPRBlocks: 1
; NumSGPRsForWavesPerEU: 30
; NumVGPRsForWavesPerEU: 10
; Occupancy: 16
; WaveLimiterHint : 0
; COMPUTE_PGM_RSRC2:SCRATCH_EN: 0
; COMPUTE_PGM_RSRC2:USER_SGPR: 6
; COMPUTE_PGM_RSRC2:TRAP_HANDLER: 0
; COMPUTE_PGM_RSRC2:TGID_X_EN: 1
; COMPUTE_PGM_RSRC2:TGID_Y_EN: 1
; COMPUTE_PGM_RSRC2:TGID_Z_EN: 1
; COMPUTE_PGM_RSRC2:TIDIG_COMP_CNT: 0
	.section	.text._ZN2at6native6mbtopk10gatherTopKIN3c104HalfEmLin1EEEvNS_4cuda6detail10TensorInfoIKT_T0_EESA_SA_bjSA_NS7_IS8_SA_EESA_NS7_IlSA_EESA_jjPS8_PjSF_j,"axG",@progbits,_ZN2at6native6mbtopk10gatherTopKIN3c104HalfEmLin1EEEvNS_4cuda6detail10TensorInfoIKT_T0_EESA_SA_bjSA_NS7_IS8_SA_EESA_NS7_IlSA_EESA_jjPS8_PjSF_j,comdat
	.protected	_ZN2at6native6mbtopk10gatherTopKIN3c104HalfEmLin1EEEvNS_4cuda6detail10TensorInfoIKT_T0_EESA_SA_bjSA_NS7_IS8_SA_EESA_NS7_IlSA_EESA_jjPS8_PjSF_j ; -- Begin function _ZN2at6native6mbtopk10gatherTopKIN3c104HalfEmLin1EEEvNS_4cuda6detail10TensorInfoIKT_T0_EESA_SA_bjSA_NS7_IS8_SA_EESA_NS7_IlSA_EESA_jjPS8_PjSF_j
	.globl	_ZN2at6native6mbtopk10gatherTopKIN3c104HalfEmLin1EEEvNS_4cuda6detail10TensorInfoIKT_T0_EESA_SA_bjSA_NS7_IS8_SA_EESA_NS7_IlSA_EESA_jjPS8_PjSF_j
	.p2align	8
	.type	_ZN2at6native6mbtopk10gatherTopKIN3c104HalfEmLin1EEEvNS_4cuda6detail10TensorInfoIKT_T0_EESA_SA_bjSA_NS7_IS8_SA_EESA_NS7_IlSA_EESA_jjPS8_PjSF_j,@function
_ZN2at6native6mbtopk10gatherTopKIN3c104HalfEmLin1EEEvNS_4cuda6detail10TensorInfoIKT_T0_EESA_SA_bjSA_NS7_IS8_SA_EESA_NS7_IlSA_EESA_jjPS8_PjSF_j: ; @_ZN2at6native6mbtopk10gatherTopKIN3c104HalfEmLin1EEEvNS_4cuda6detail10TensorInfoIKT_T0_EESA_SA_bjSA_NS7_IS8_SA_EESA_NS7_IlSA_EESA_jjPS8_PjSF_j
; %bb.0:
	s_clause 0x1
	s_load_dwordx2 s[0:1], s[4:5], 0x538
	s_load_dword s2, s[4:5], 0x530
	s_waitcnt lgkmcnt(0)
	s_mul_i32 s1, s1, s8
	s_add_i32 s1, s1, s7
	s_mul_i32 s0, s1, s0
	s_add_i32 s0, s0, s6
	s_cmp_ge_u32 s0, s2
	s_cbranch_scc1 .LBB212_61
; %bb.1:
	s_clause 0x1
	s_load_dwordx2 s[6:7], s[4:5], 0x510
	s_load_dwordx4 s[8:11], s[4:5], 0x1a0
	s_mov_b32 s13, 0
	s_waitcnt lgkmcnt(0)
	v_cvt_f32_u32_e32 v1, s7
	s_sub_i32 s2, 0, s7
	s_lshl_b32 s33, s6, 8
	v_rcp_iflag_f32_e32 v1, v1
	v_mul_f32_e32 v1, 0x4f7ffffe, v1
	v_cvt_u32_f32_e32 v1, v1
	v_readfirstlane_b32 s1, v1
	s_mul_i32 s2, s2, s1
	s_mul_hi_u32 s2, s1, s2
	s_add_i32 s1, s1, s2
	s_mul_hi_u32 s1, s0, s1
	s_mul_i32 s2, s1, s7
	s_add_i32 s3, s1, 1
	s_sub_i32 s2, s0, s2
	s_sub_i32 s12, s2, s7
	s_cmp_ge_u32 s2, s7
	s_cselect_b32 s1, s3, s1
	s_cselect_b32 s2, s12, s2
	s_add_i32 s3, s1, 1
	s_cmp_ge_u32 s2, s7
	s_cselect_b32 s12, s3, s1
	s_mul_i32 s18, s12, s7
	s_sub_i32 s50, s0, s18
	s_add_i32 s0, s50, 1
	s_cmp_lt_u32 s0, s7
	s_cbranch_scc1 .LBB212_3
; %bb.2:
	s_mul_i32 s0, s50, s33
	s_sub_u32 s0, s8, s0
	s_subb_u32 s1, s9, 0
	s_add_u32 s0, s0, 0xff
	s_addc_u32 s1, s1, 0
	s_ashr_i32 s2, s1, 31
	s_lshr_b32 s2, s2, 24
	s_add_u32 s0, s0, s2
	s_addc_u32 s1, s1, 0
	s_lshr_b64 s[0:1], s[0:1], 8
	s_mov_b32 s6, s0
.LBB212_3:
	s_load_dword s2, s[4:5], 0x198
	s_mov_b64 s[16:17], 0
	s_mov_b64 s[20:21], s[12:13]
	s_waitcnt lgkmcnt(0)
	s_cmp_lt_i32 s2, 2
	s_cbranch_scc1 .LBB212_9
; %bb.4:
	s_add_i32 s0, s2, -1
	s_mov_b32 s1, 0
	s_add_i32 s19, s2, 1
	s_lshl_b64 s[14:15], s[0:1], 3
	s_add_u32 s0, s4, s14
	s_addc_u32 s3, s5, s15
	s_add_u32 s2, s0, 8
	s_addc_u32 s3, s3, 0
	s_mov_b64 s[14:15], s[12:13]
.LBB212_5:                              ; =>This Inner Loop Header: Depth=1
	s_load_dwordx2 s[22:23], s[2:3], 0x0
	s_mov_b64 s[20:21], 0
	s_waitcnt lgkmcnt(0)
	v_cmp_lt_u64_e64 s0, s[14:15], s[22:23]
	s_and_b32 vcc_lo, exec_lo, s0
	s_cbranch_vccnz .LBB212_7
; %bb.6:                                ;   in Loop: Header=BB212_5 Depth=1
	v_cvt_f32_u32_e32 v1, s22
	s_sub_i32 s20, 0, s22
	v_rcp_iflag_f32_e32 v1, v1
	v_mul_f32_e32 v1, 0x4f7ffffe, v1
	v_cvt_u32_f32_e32 v1, v1
	v_readfirstlane_b32 s0, v1
	s_mul_i32 s20, s20, s0
	s_mul_hi_u32 s20, s0, s20
	s_add_i32 s0, s0, s20
	s_mul_hi_u32 s0, s14, s0
	s_mul_i32 s20, s0, s22
	s_add_i32 s21, s0, 1
	s_sub_i32 s20, s14, s20
	s_sub_i32 s24, s20, s22
	s_cmp_ge_u32 s20, s22
	s_cselect_b32 s0, s21, s0
	s_cselect_b32 s20, s24, s20
	s_add_i32 s21, s0, 1
	s_cmp_ge_u32 s20, s22
	s_cselect_b32 s0, s21, s0
	s_mov_b64 s[20:21], s[0:1]
.LBB212_7:                              ;   in Loop: Header=BB212_5 Depth=1
	s_load_dwordx2 s[24:25], s[2:3], 0xc8
	s_mul_i32 s0, s20, s23
	s_mul_hi_u32 s23, s20, s22
	s_mul_i32 s22, s20, s22
	s_add_i32 s23, s23, s0
	s_sub_u32 s0, s14, s22
	s_subb_u32 s14, s15, s23
	s_waitcnt lgkmcnt(0)
	s_mul_i32 s14, s24, s14
	s_mul_hi_u32 s15, s24, s0
	s_mul_i32 s22, s25, s0
	s_add_i32 s14, s15, s14
	s_mul_i32 s0, s24, s0
	s_add_i32 s14, s14, s22
	s_add_u32 s16, s0, s16
	s_addc_u32 s17, s14, s17
	s_add_i32 s19, s19, -1
	s_add_u32 s2, s2, -8
	s_addc_u32 s3, s3, -1
	s_cmp_gt_u32 s19, 2
	s_cbranch_scc0 .LBB212_9
; %bb.8:                                ;   in Loop: Header=BB212_5 Depth=1
	s_mov_b64 s[14:15], s[20:21]
	s_branch .LBB212_5
.LBB212_9:
	s_clause 0x1
	s_load_dword s14, s[4:5], 0x358
	s_load_dwordx2 s[24:25], s[4:5], 0xd0
	s_add_u32 s0, s4, 0x1c0
	s_addc_u32 s1, s5, 0
	s_mov_b64 s[22:23], 0
	s_mov_b64 s[26:27], s[12:13]
	s_waitcnt lgkmcnt(0)
	s_cmp_lt_i32 s14, 2
	s_cbranch_scc1 .LBB212_15
; %bb.10:
	s_add_i32 s2, s14, -1
	s_mov_b32 s3, 0
	s_add_i32 s19, s14, 1
	s_lshl_b64 s[22:23], s[2:3], 3
	s_mov_b64 s[28:29], s[12:13]
	s_add_u32 s2, s0, s22
	s_addc_u32 s15, s1, s23
	s_add_u32 s14, s2, 8
	s_addc_u32 s15, s15, 0
	s_mov_b64 s[22:23], 0
.LBB212_11:                             ; =>This Inner Loop Header: Depth=1
	s_load_dwordx2 s[30:31], s[14:15], 0x0
	s_mov_b64 s[26:27], 0
	s_waitcnt lgkmcnt(0)
	v_cmp_lt_u64_e64 s2, s[28:29], s[30:31]
	s_and_b32 vcc_lo, exec_lo, s2
	s_cbranch_vccnz .LBB212_13
; %bb.12:                               ;   in Loop: Header=BB212_11 Depth=1
	v_cvt_f32_u32_e32 v1, s30
	s_sub_i32 s21, 0, s30
	v_rcp_iflag_f32_e32 v1, v1
	v_mul_f32_e32 v1, 0x4f7ffffe, v1
	v_cvt_u32_f32_e32 v1, v1
	v_readfirstlane_b32 s2, v1
	s_mul_i32 s21, s21, s2
	s_mul_hi_u32 s21, s2, s21
	s_add_i32 s2, s2, s21
	s_mul_hi_u32 s2, s28, s2
	s_mul_i32 s21, s2, s30
	s_add_i32 s26, s2, 1
	s_sub_i32 s21, s28, s21
	s_sub_i32 s27, s21, s30
	s_cmp_ge_u32 s21, s30
	s_cselect_b32 s2, s26, s2
	s_cselect_b32 s21, s27, s21
	s_add_i32 s26, s2, 1
	s_cmp_ge_u32 s21, s30
	s_cselect_b32 s2, s26, s2
	s_mov_b64 s[26:27], s[2:3]
.LBB212_13:                             ;   in Loop: Header=BB212_11 Depth=1
	s_load_dwordx2 s[34:35], s[14:15], 0xc8
	s_mul_i32 s2, s26, s31
	s_mul_hi_u32 s21, s26, s30
	s_mul_i32 s30, s26, s30
	s_add_i32 s21, s21, s2
	s_sub_u32 s2, s28, s30
	s_subb_u32 s21, s29, s21
	s_waitcnt lgkmcnt(0)
	s_mul_i32 s21, s34, s21
	s_mul_hi_u32 s28, s34, s2
	s_mul_i32 s29, s35, s2
	s_add_i32 s21, s28, s21
	s_mul_i32 s2, s34, s2
	s_add_i32 s21, s21, s29
	s_add_u32 s22, s2, s22
	s_addc_u32 s23, s21, s23
	s_add_i32 s19, s19, -1
	s_add_u32 s14, s14, -8
	s_addc_u32 s15, s15, -1
	s_cmp_gt_u32 s19, 2
	s_cbranch_scc0 .LBB212_15
; %bb.14:                               ;   in Loop: Header=BB212_11 Depth=1
	s_mov_b64 s[28:29], s[26:27]
	s_branch .LBB212_11
.LBB212_15:
	s_clause 0x1
	s_load_dword s2, s[4:5], 0x500
	s_load_dwordx2 s[30:31], s[0:1], 0xd0
	s_add_u32 s3, s4, 0x368
	s_addc_u32 s14, s5, 0
	s_mov_b64 s[28:29], 0
	s_waitcnt lgkmcnt(0)
	s_cmp_lt_i32 s2, 2
	s_cbranch_scc1 .LBB212_21
; %bb.16:
	s_add_i32 s0, s2, -1
	s_mov_b32 s1, 0
	s_add_i32 s19, s2, 1
	s_lshl_b64 s[28:29], s[0:1], 3
	s_add_u32 s0, s3, s28
	s_addc_u32 s3, s14, s29
	s_add_u32 s2, s0, 8
	s_addc_u32 s3, s3, 0
	s_mov_b64 s[28:29], 0
	s_mov_b64 s[14:15], s[12:13]
.LBB212_17:                             ; =>This Inner Loop Header: Depth=1
	s_load_dwordx2 s[36:37], s[2:3], 0x0
	s_mov_b64 s[34:35], 0
	s_waitcnt lgkmcnt(0)
	v_cmp_lt_u64_e64 s0, s[14:15], s[36:37]
	s_and_b32 vcc_lo, exec_lo, s0
	s_cbranch_vccnz .LBB212_19
; %bb.18:                               ;   in Loop: Header=BB212_17 Depth=1
	v_cvt_f32_u32_e32 v1, s36
	s_sub_i32 s21, 0, s36
	v_rcp_iflag_f32_e32 v1, v1
	v_mul_f32_e32 v1, 0x4f7ffffe, v1
	v_cvt_u32_f32_e32 v1, v1
	v_readfirstlane_b32 s0, v1
	s_mul_i32 s21, s21, s0
	s_mul_hi_u32 s21, s0, s21
	s_add_i32 s0, s0, s21
	s_mul_hi_u32 s0, s14, s0
	s_mul_i32 s21, s0, s36
	s_add_i32 s27, s0, 1
	s_sub_i32 s21, s14, s21
	s_sub_i32 s34, s21, s36
	s_cmp_ge_u32 s21, s36
	s_cselect_b32 s0, s27, s0
	s_cselect_b32 s21, s34, s21
	s_add_i32 s27, s0, 1
	s_cmp_ge_u32 s21, s36
	s_cselect_b32 s0, s27, s0
	s_mov_b64 s[34:35], s[0:1]
.LBB212_19:                             ;   in Loop: Header=BB212_17 Depth=1
	s_load_dwordx2 s[38:39], s[2:3], 0xc8
	s_mul_i32 s0, s34, s37
	s_mul_hi_u32 s21, s34, s36
	s_mul_i32 s27, s34, s36
	s_add_i32 s21, s21, s0
	s_sub_u32 s0, s14, s27
	s_subb_u32 s14, s15, s21
	s_waitcnt lgkmcnt(0)
	s_mul_i32 s14, s38, s14
	s_mul_hi_u32 s15, s38, s0
	s_mul_i32 s21, s39, s0
	s_add_i32 s14, s15, s14
	s_mul_i32 s0, s38, s0
	s_add_i32 s14, s14, s21
	s_add_u32 s28, s0, s28
	s_addc_u32 s29, s14, s29
	s_add_i32 s19, s19, -1
	s_add_u32 s2, s2, -8
	s_addc_u32 s3, s3, -1
	s_cmp_gt_u32 s19, 2
	s_cbranch_scc0 .LBB212_22
; %bb.20:                               ;   in Loop: Header=BB212_17 Depth=1
	s_mov_b64 s[14:15], s[34:35]
	s_branch .LBB212_17
.LBB212_21:
	s_mov_b64 s[34:35], s[12:13]
.LBB212_22:
	s_load_dwordx4 s[0:3], s[4:5], 0x518
	s_lshl_b64 s[12:13], s[12:13], 1
	v_mov_b32_e32 v1, 0
	s_mov_b32 s19, 0
	s_waitcnt lgkmcnt(0)
	s_add_u32 s0, s0, s12
	s_addc_u32 s1, s1, s13
	global_load_ushort v1, v1, s[0:1]
	s_clause 0x3
	s_load_dwordx2 s[38:39], s[4:5], 0x438
	s_load_dwordx2 s[42:43], s[4:5], 0x0
	;; [unrolled: 1-line block ×4, first 2 shown]
	v_cmp_ne_u32_e64 s0, 0, v0
	v_cmp_eq_u32_e64 s1, 0, v0
	s_waitcnt vmcnt(0)
	v_readfirstlane_b32 s21, v1
	s_and_saveexec_b32 s27, s1
	s_cbranch_execz .LBB212_38
; %bb.23:
	s_load_dwordx2 s[44:45], s[4:5], 0x528
	s_lshl_b64 s[46:47], s[18:19], 2
	s_mov_b32 s18, 0
	s_add_u32 s12, s2, s46
	s_addc_u32 s13, s3, s47
	s_mov_b32 s35, 0
	s_waitcnt lgkmcnt(0)
	s_add_u32 s14, s44, s46
	s_addc_u32 s15, s45, s47
	s_cmp_lt_u32 s7, 4
	s_cbranch_scc1 .LBB212_35
; %bb.24:
	s_mov_b32 s51, 0
.LBB212_25:                             ; =>This Inner Loop Header: Depth=1
	s_add_u32 s12, s2, s46
	s_addc_u32 s13, s3, s47
	s_add_u32 s48, s44, s46
	s_load_dwordx4 s[12:15], s[12:13], 0x0
	s_addc_u32 s49, s45, s47
	s_cmp_ge_u32 s51, s50
	s_cbranch_scc0 .LBB212_32
; %bb.26:                               ;   in Loop: Header=BB212_25 Depth=1
	s_add_i32 s52, s51, 1
	s_cmp_ge_u32 s52, s50
	s_cbranch_scc0 .LBB212_33
.LBB212_27:                             ;   in Loop: Header=BB212_25 Depth=1
	s_add_i32 s52, s52, 1
	s_cmp_ge_u32 s52, s50
	s_cbranch_scc0 .LBB212_34
.LBB212_28:                             ;   in Loop: Header=BB212_25 Depth=1
	s_add_i32 s52, s52, 1
	s_cmp_ge_u32 s52, s50
	s_cbranch_scc1 .LBB212_30
.LBB212_29:                             ;   in Loop: Header=BB212_25 Depth=1
	s_load_dword s48, s[48:49], 0xc
	s_waitcnt lgkmcnt(0)
	s_add_i32 s19, s19, s15
	s_add_i32 s18, s48, s18
.LBB212_30:                             ;   in Loop: Header=BB212_25 Depth=1
	s_waitcnt lgkmcnt(0)
	s_add_i32 s12, s12, s35
	s_add_i32 s12, s12, s13
	;; [unrolled: 1-line block ×4, first 2 shown]
	s_add_u32 s2, s2, 16
	s_addc_u32 s3, s3, 0
	s_add_u32 s44, s44, 16
	s_addc_u32 s45, s45, 0
	s_add_i32 s49, s52, 4
	s_add_u32 s14, s44, s46
	s_addc_u32 s15, s45, s47
	s_add_u32 s12, s2, s46
	s_addc_u32 s13, s3, s47
	s_add_i32 s48, s52, 1
	s_cmp_ge_u32 s49, s7
	s_cbranch_scc1 .LBB212_36
; %bb.31:                               ;   in Loop: Header=BB212_25 Depth=1
	s_mov_b32 s51, s48
	s_branch .LBB212_25
.LBB212_32:                             ;   in Loop: Header=BB212_25 Depth=1
	s_load_dword s52, s[48:49], 0x0
	s_waitcnt lgkmcnt(0)
	s_add_i32 s19, s12, s19
	s_add_i32 s18, s52, s18
	;; [unrolled: 1-line block ×3, first 2 shown]
	s_cmp_ge_u32 s52, s50
	s_cbranch_scc1 .LBB212_27
.LBB212_33:                             ;   in Loop: Header=BB212_25 Depth=1
	s_load_dword s53, s[48:49], 0x4
	s_waitcnt lgkmcnt(0)
	s_add_i32 s19, s19, s13
	s_add_i32 s18, s53, s18
	;; [unrolled: 1-line block ×3, first 2 shown]
	s_cmp_ge_u32 s52, s50
	s_cbranch_scc1 .LBB212_28
.LBB212_34:                             ;   in Loop: Header=BB212_25 Depth=1
	s_load_dword s53, s[48:49], 0x8
	s_waitcnt lgkmcnt(0)
	s_add_i32 s19, s19, s14
	s_add_i32 s18, s53, s18
	;; [unrolled: 1-line block ×3, first 2 shown]
	s_cmp_ge_u32 s52, s50
	s_cbranch_scc0 .LBB212_29
	s_branch .LBB212_30
.LBB212_35:
	s_mov_b32 s2, 0
	s_cmp_ge_u32 s2, s7
	s_cbranch_scc0 .LBB212_59
	s_branch .LBB212_37
.LBB212_36:
	s_add_i32 s2, s51, 4
	s_cmp_ge_u32 s2, s7
	s_cbranch_scc0 .LBB212_59
.LBB212_37:
	v_mov_b32_e32 v1, s18
	v_mov_b32_e32 v2, s35
	;; [unrolled: 1-line block ×4, first 2 shown]
	ds_write_b96 v4, v[1:3] offset:1056
.LBB212_38:
	s_or_b32 exec_lo, exec_lo, s27
	s_cmp_eq_u32 s6, 0
	s_waitcnt lgkmcnt(0)
	s_barrier
	buffer_gl0_inv
	s_cbranch_scc1 .LBB212_61
; %bb.39:
	s_mul_i32 s7, s25, s20
	s_mul_hi_u32 s12, s24, s20
	s_mul_i32 s2, s31, s26
	s_mul_hi_u32 s3, s30, s26
	s_add_i32 s13, s12, s7
	s_mul_i32 s12, s24, s20
	s_add_i32 s3, s3, s2
	s_mul_i32 s2, s39, s34
	s_mul_hi_u32 s7, s38, s34
	s_lshl_b64 s[12:13], s[12:13], 1
	s_add_i32 s15, s7, s2
	s_add_u32 s7, s42, s12
	s_addc_u32 s14, s43, s13
	s_lshl_b64 s[12:13], s[16:17], 1
	v_mov_b32_e32 v5, 0
	s_mul_i32 s2, s30, s26
	s_add_u32 s7, s7, s12
	s_addc_u32 s16, s14, s13
	s_lshl_b64 s[2:3], s[2:3], 1
	ds_read_b96 v[1:3], v5 offset:1056
	s_add_u32 s12, s40, s2
	s_addc_u32 s13, s41, s3
	s_lshl_b64 s[2:3], s[22:23], 1
	s_mul_i32 s14, s38, s34
	s_add_u32 s17, s12, s2
	s_addc_u32 s18, s13, s3
	s_lshl_b64 s[2:3], s[14:15], 3
	v_add_nc_u32_e32 v10, -1, v0
	s_add_u32 s12, s36, s2
	s_addc_u32 s13, s37, s3
	s_lshl_b64 s[2:3], s[28:29], 3
	v_lshrrev_b32_e32 v4, 3, v0
	s_add_u32 s19, s12, s2
	s_sext_i32_i16 s2, s21
	s_addc_u32 s20, s13, s3
	s_and_b32 s3, 0xffff, s21
	s_cmp_gt_i32 s2, -1
	s_mov_b32 s2, 0x8000
	v_cmp_o_f16_e64 s12, s21, s21
	s_cselect_b32 s2, s2, 0xffff
	v_lshrrev_b32_e32 v6, 3, v10
	s_xor_b32 s2, s2, s3
	s_waitcnt lgkmcnt(0)
	v_add_nc_u32_e32 v1, v1, v2
	s_and_b32 s3, s12, exec_lo
	s_clause 0x3
	s_load_dword s3, s[4:5], 0x1b0
	s_load_dwordx2 s[12:13], s[4:5], 0x1b8
	s_load_dwordx2 s[14:15], s[4:5], 0x360
	;; [unrolled: 1-line block ×3, first 2 shown]
	v_and_b32_e32 v4, 28, v4
	v_and_b32_e32 v11, 0x1ffffffc, v6
	v_mad_u64_u32 v[6:7], null, s50, s33, v[0:1]
	v_and_b32_e32 v2, 0xfc, v0
	v_lshl_add_u32 v8, v0, 2, v4
	v_lshlrev_b32_e32 v4, 5, v0
	v_mbcnt_lo_u32_b32 v9, -1, 0
	s_cselect_b32 s21, s2, 0xffff
	v_cmp_gt_u32_e64 s2, 32, v0
	v_lshl_add_u32 v0, v10, 2, v11
	v_add_nc_u32_e32 v10, v2, v4
	v_and_b32_e32 v11, 15, v9
	v_bfe_i32 v12, v9, 4, 1
	v_add_nc_u32_e32 v13, -1, v9
	v_mov_b32_e32 v14, 0x8000
	v_mov_b32_e32 v4, v6
	s_waitcnt lgkmcnt(0)
	s_bitcmp1_b32 s3, 0
                                        ; implicit-def: $vgpr15
	s_cselect_b32 s3, -1, 0
	s_branch .LBB212_42
.LBB212_40:                             ;   in Loop: Header=BB212_42 Depth=1
	s_or_b32 exec_lo, exec_lo, s22
	v_add_nc_u32_e32 v1, v2, v1
.LBB212_41:                             ;   in Loop: Header=BB212_42 Depth=1
	v_add_nc_u32_e32 v3, v16, v3
	v_add_nc_u32_e32 v4, 0x100, v4
	s_add_i32 s6, s6, -1
	s_cmp_lg_u32 s6, 0
	s_cbranch_scc0 .LBB212_61
.LBB212_42:                             ; =>This Inner Loop Header: Depth=1
	v_mov_b32_e32 v2, v5
	v_mov_b32_e32 v6, v5
	s_mov_b32 s22, exec_lo
	v_cmpx_gt_u64_e64 s[8:9], v[4:5]
	s_cbranch_execz .LBB212_44
; %bb.43:                               ;   in Loop: Header=BB212_42 Depth=1
	v_mad_u64_u32 v[6:7], null, s12, v4, 0
	v_mov_b32_e32 v2, v7
	v_mad_u64_u32 v[15:16], null, s13, v4, v[2:3]
	v_mov_b32_e32 v7, v15
	v_lshlrev_b64 v[6:7], 1, v[6:7]
	v_add_co_u32 v6, vcc_lo, s7, v6
	v_add_co_ci_u32_e64 v7, null, s16, v7, vcc_lo
	global_load_ushort v15, v[6:7], off
	s_waitcnt vmcnt(0)
	v_cmp_lt_i16_e32 vcc_lo, -1, v15
	v_cndmask_b32_e32 v2, 0xffff, v14, vcc_lo
	v_cmp_o_f16_e32 vcc_lo, v15, v15
	v_xor_b32_sdwa v2, v2, v15 dst_sel:DWORD dst_unused:UNUSED_PAD src0_sel:DWORD src1_sel:WORD_0
	v_cndmask_b32_e32 v6, 0xffff, v2, vcc_lo
	v_cmp_lt_u32_e32 vcc_lo, s21, v6
	v_cndmask_b32_e64 v2, 0, 1, vcc_lo
	v_cmp_gt_u32_e32 vcc_lo, s21, v6
	v_cndmask_b32_e64 v7, 0, 1, vcc_lo
	v_cmp_eq_u32_e32 vcc_lo, s21, v6
	v_cndmask_b32_e64 v2, v7, v2, s3
	v_cndmask_b32_e64 v6, 0, 1, vcc_lo
	v_and_b32_e32 v2, 1, v2
.LBB212_44:                             ;   in Loop: Header=BB212_42 Depth=1
	s_or_b32 exec_lo, exec_lo, s22
	ds_write_b32 v8, v2
	s_waitcnt lgkmcnt(0)
	s_barrier
	buffer_gl0_inv
	s_and_saveexec_b32 s22, s2
	s_cbranch_execz .LBB212_46
; %bb.45:                               ;   in Loop: Header=BB212_42 Depth=1
	ds_read2_b32 v[16:17], v10 offset1:1
	ds_read2_b32 v[18:19], v10 offset0:2 offset1:3
	ds_read2_b32 v[20:21], v10 offset0:4 offset1:5
	;; [unrolled: 1-line block ×3, first 2 shown]
	v_cmp_ne_u32_e32 vcc_lo, 0, v11
	; wave barrier
	s_waitcnt lgkmcnt(3)
	v_add_nc_u32_e32 v7, v17, v16
	s_waitcnt lgkmcnt(2)
	v_add3_u32 v7, v7, v18, v19
	s_waitcnt lgkmcnt(1)
	v_add3_u32 v7, v7, v20, v21
	;; [unrolled: 2-line block ×3, first 2 shown]
	v_mov_b32_dpp v17, v7 row_shr:1 row_mask:0xf bank_mask:0xf
	v_cndmask_b32_e32 v17, 0, v17, vcc_lo
	v_cmp_lt_u32_e32 vcc_lo, 1, v11
	v_add_nc_u32_e32 v7, v17, v7
	v_mov_b32_dpp v17, v7 row_shr:2 row_mask:0xf bank_mask:0xf
	v_cndmask_b32_e32 v17, 0, v17, vcc_lo
	v_cmp_lt_u32_e32 vcc_lo, 3, v11
	v_add_nc_u32_e32 v7, v7, v17
	;; [unrolled: 4-line block ×3, first 2 shown]
	v_mov_b32_dpp v17, v7 row_shr:8 row_mask:0xf bank_mask:0xf
	v_cndmask_b32_e32 v17, 0, v17, vcc_lo
	v_cmp_gt_i32_e32 vcc_lo, 0, v13
	v_add_nc_u32_e32 v7, v7, v17
	v_cndmask_b32_e32 v18, v13, v9, vcc_lo
	ds_swizzle_b32 v17, v7 offset:swizzle(BROADCAST,32,15)
	v_lshlrev_b32_e32 v18, 2, v18
	s_waitcnt lgkmcnt(0)
	v_and_b32_e32 v17, v12, v17
	v_add_nc_u32_e32 v7, v7, v17
	ds_bpermute_b32 v7, v18, v7
	s_waitcnt lgkmcnt(0)
	v_add_nc_u32_e32 v7, v7, v16
	v_cndmask_b32_e64 v7, v7, v2, s1
	ds_write_b32 v10, v7
	; wave barrier
	ds_read2_b32 v[16:17], v10 offset0:1 offset1:2
	ds_read2_b32 v[18:19], v10 offset0:3 offset1:4
	ds_read2_b32 v[20:21], v10 offset0:5 offset1:6
	ds_read_b32 v22, v10 offset:28
	s_waitcnt lgkmcnt(3)
	v_add_nc_u32_e32 v7, v16, v7
	v_add_nc_u32_e32 v16, v17, v7
	s_waitcnt lgkmcnt(2)
	v_add_nc_u32_e32 v17, v18, v16
	v_add_nc_u32_e32 v18, v19, v17
	;; [unrolled: 3-line block ×3, first 2 shown]
	s_waitcnt lgkmcnt(0)
	v_add_nc_u32_e32 v21, v22, v20
	ds_write2_b32 v10, v7, v16 offset0:1 offset1:2
	ds_write2_b32 v10, v17, v18 offset0:3 offset1:4
	;; [unrolled: 1-line block ×3, first 2 shown]
	ds_write_b32 v10, v21 offset:28
.LBB212_46:                             ;   in Loop: Header=BB212_42 Depth=1
	s_or_b32 exec_lo, exec_lo, s22
	v_mov_b32_e32 v7, 0
	s_waitcnt lgkmcnt(0)
	s_barrier
	buffer_gl0_inv
	s_and_saveexec_b32 s22, s0
; %bb.47:                               ;   in Loop: Header=BB212_42 Depth=1
	ds_read_b32 v7, v0
; %bb.48:                               ;   in Loop: Header=BB212_42 Depth=1
	s_or_b32 exec_lo, exec_lo, s22
	ds_read_b32 v16, v5 offset:1048
	s_mov_b32 s22, exec_lo
	s_waitcnt lgkmcnt(0)
	s_barrier
	buffer_gl0_inv
	v_cmpx_ne_u32_e32 0, v2
	s_cbranch_execz .LBB212_50
; %bb.49:                               ;   in Loop: Header=BB212_42 Depth=1
	v_add_nc_u32_e32 v22, v7, v3
	v_mad_u64_u32 v[17:18], null, s14, v22, 0
	v_mad_u64_u32 v[19:20], null, s4, v22, 0
	v_mov_b32_e32 v2, v18
	v_mov_b32_e32 v7, v20
	v_mad_u64_u32 v[20:21], null, s15, v22, v[2:3]
	v_mad_u64_u32 v[21:22], null, s5, v22, v[7:8]
	v_mov_b32_e32 v18, v20
	v_mov_b32_e32 v20, v21
	v_lshlrev_b64 v[17:18], 1, v[17:18]
	v_lshlrev_b64 v[19:20], 3, v[19:20]
	v_add_co_u32 v17, vcc_lo, s17, v17
	v_add_co_ci_u32_e64 v18, null, s18, v18, vcc_lo
	v_add_co_u32 v19, vcc_lo, s19, v19
	v_add_co_ci_u32_e64 v20, null, s20, v20, vcc_lo
	global_store_short v[17:18], v15, off
	global_store_dwordx2 v[19:20], v[4:5], off
.LBB212_50:                             ;   in Loop: Header=BB212_42 Depth=1
	s_or_b32 exec_lo, exec_lo, s22
	v_mov_b32_e32 v2, v5
	v_cmp_le_u64_e32 vcc_lo, s[10:11], v[1:2]
	s_cbranch_vccnz .LBB212_41
; %bb.51:                               ;   in Loop: Header=BB212_42 Depth=1
	ds_write_b32 v8, v6
	s_waitcnt lgkmcnt(0)
	s_waitcnt_vscnt null, 0x0
	s_barrier
	buffer_gl0_inv
	s_and_saveexec_b32 s22, s2
	s_cbranch_execz .LBB212_53
; %bb.52:                               ;   in Loop: Header=BB212_42 Depth=1
	ds_read2_b32 v[17:18], v10 offset1:1
	ds_read2_b32 v[19:20], v10 offset0:2 offset1:3
	ds_read2_b32 v[21:22], v10 offset0:4 offset1:5
	;; [unrolled: 1-line block ×3, first 2 shown]
	v_cmp_ne_u32_e32 vcc_lo, 0, v11
	; wave barrier
	s_waitcnt lgkmcnt(3)
	v_add_nc_u32_e32 v2, v18, v17
	s_waitcnt lgkmcnt(2)
	v_add3_u32 v2, v2, v19, v20
	s_waitcnt lgkmcnt(1)
	v_add3_u32 v2, v2, v21, v22
	s_waitcnt lgkmcnt(0)
	v_add3_u32 v2, v2, v23, v24
	v_mov_b32_dpp v7, v2 row_shr:1 row_mask:0xf bank_mask:0xf
	v_cndmask_b32_e32 v7, 0, v7, vcc_lo
	v_cmp_lt_u32_e32 vcc_lo, 1, v11
	v_add_nc_u32_e32 v2, v7, v2
	v_mov_b32_dpp v7, v2 row_shr:2 row_mask:0xf bank_mask:0xf
	v_cndmask_b32_e32 v7, 0, v7, vcc_lo
	v_cmp_lt_u32_e32 vcc_lo, 3, v11
	v_add_nc_u32_e32 v2, v2, v7
	;; [unrolled: 4-line block ×3, first 2 shown]
	v_mov_b32_dpp v7, v2 row_shr:8 row_mask:0xf bank_mask:0xf
	v_cndmask_b32_e32 v7, 0, v7, vcc_lo
	v_cmp_gt_i32_e32 vcc_lo, 0, v13
	v_add_nc_u32_e32 v2, v2, v7
	v_cndmask_b32_e32 v18, v13, v9, vcc_lo
	ds_swizzle_b32 v7, v2 offset:swizzle(BROADCAST,32,15)
	v_lshlrev_b32_e32 v18, 2, v18
	s_waitcnt lgkmcnt(0)
	v_and_b32_e32 v7, v12, v7
	v_add_nc_u32_e32 v2, v2, v7
	ds_bpermute_b32 v2, v18, v2
	s_waitcnt lgkmcnt(0)
	v_add_nc_u32_e32 v2, v2, v17
	v_cndmask_b32_e64 v2, v2, v6, s1
	ds_write_b32 v10, v2
	; wave barrier
	ds_read2_b32 v[17:18], v10 offset0:1 offset1:2
	ds_read2_b32 v[19:20], v10 offset0:3 offset1:4
	;; [unrolled: 1-line block ×3, first 2 shown]
	ds_read_b32 v7, v10 offset:28
	s_waitcnt lgkmcnt(3)
	v_add_nc_u32_e32 v2, v17, v2
	v_add_nc_u32_e32 v17, v18, v2
	s_waitcnt lgkmcnt(2)
	v_add_nc_u32_e32 v18, v19, v17
	v_add_nc_u32_e32 v19, v20, v18
	;; [unrolled: 3-line block ×3, first 2 shown]
	s_waitcnt lgkmcnt(0)
	v_add_nc_u32_e32 v7, v7, v21
	ds_write2_b32 v10, v2, v17 offset0:1 offset1:2
	ds_write2_b32 v10, v18, v19 offset0:3 offset1:4
	ds_write2_b32 v10, v20, v21 offset0:5 offset1:6
	ds_write_b32 v10, v7 offset:28
.LBB212_53:                             ;   in Loop: Header=BB212_42 Depth=1
	s_or_b32 exec_lo, exec_lo, s22
	v_mov_b32_e32 v7, 0
	s_waitcnt lgkmcnt(0)
	s_barrier
	buffer_gl0_inv
	s_and_saveexec_b32 s22, s0
; %bb.54:                               ;   in Loop: Header=BB212_42 Depth=1
	ds_read_b32 v7, v0
; %bb.55:                               ;   in Loop: Header=BB212_42 Depth=1
	s_or_b32 exec_lo, exec_lo, s22
	ds_read_b32 v2, v5 offset:1048
	s_mov_b32 s22, exec_lo
	s_waitcnt lgkmcnt(0)
	s_barrier
	buffer_gl0_inv
	v_cmpx_ne_u32_e32 0, v6
	s_cbranch_execz .LBB212_40
; %bb.56:                               ;   in Loop: Header=BB212_42 Depth=1
	v_add_nc_u32_e32 v6, v7, v1
	v_mov_b32_e32 v7, v5
	v_cmp_gt_u64_e32 vcc_lo, s[10:11], v[6:7]
	s_and_b32 exec_lo, exec_lo, vcc_lo
	s_cbranch_execz .LBB212_40
; %bb.57:                               ;   in Loop: Header=BB212_42 Depth=1
	v_mad_u64_u32 v[17:18], null, s14, v6, 0
	v_mad_u64_u32 v[19:20], null, s4, v6, 0
	v_mov_b32_e32 v7, v18
	v_mov_b32_e32 v18, v20
	v_mad_u64_u32 v[20:21], null, s15, v6, v[7:8]
	v_mad_u64_u32 v[6:7], null, s5, v6, v[18:19]
	v_mov_b32_e32 v18, v20
	v_mov_b32_e32 v20, v6
	v_lshlrev_b64 v[6:7], 1, v[17:18]
	v_lshlrev_b64 v[17:18], 3, v[19:20]
	v_add_co_u32 v6, vcc_lo, s17, v6
	v_add_co_ci_u32_e64 v7, null, s18, v7, vcc_lo
	v_add_co_u32 v17, vcc_lo, s19, v17
	v_add_co_ci_u32_e64 v18, null, s20, v18, vcc_lo
	global_store_short v[6:7], v15, off
	global_store_dwordx2 v[17:18], v[4:5], off
	s_branch .LBB212_40
	.p2align	6
.LBB212_58:                             ;   in Loop: Header=BB212_59 Depth=1
	s_add_u32 s12, s12, 4
	s_addc_u32 s13, s13, 0
	s_waitcnt lgkmcnt(0)
	s_add_i32 s35, s3, s35
	s_add_u32 s14, s14, 4
	s_addc_u32 s15, s15, 0
	s_add_i32 s2, s2, 1
	s_cmp_lt_u32 s2, s7
	s_cbranch_scc0 .LBB212_37
.LBB212_59:                             ; =>This Inner Loop Header: Depth=1
	s_load_dword s3, s[12:13], 0x0
	s_cmp_ge_u32 s2, s50
	s_cbranch_scc1 .LBB212_58
; %bb.60:                               ;   in Loop: Header=BB212_59 Depth=1
	s_load_dword s44, s[14:15], 0x0
	s_waitcnt lgkmcnt(0)
	s_add_i32 s19, s3, s19
	s_add_i32 s18, s44, s18
	s_branch .LBB212_58
.LBB212_61:
	s_endpgm
	.section	.rodata,"a",@progbits
	.p2align	6, 0x0
	.amdhsa_kernel _ZN2at6native6mbtopk10gatherTopKIN3c104HalfEmLin1EEEvNS_4cuda6detail10TensorInfoIKT_T0_EESA_SA_bjSA_NS7_IS8_SA_EESA_NS7_IlSA_EESA_jjPS8_PjSF_j
		.amdhsa_group_segment_fixed_size 1068
		.amdhsa_private_segment_fixed_size 0
		.amdhsa_kernarg_size 1592
		.amdhsa_user_sgpr_count 6
		.amdhsa_user_sgpr_private_segment_buffer 1
		.amdhsa_user_sgpr_dispatch_ptr 0
		.amdhsa_user_sgpr_queue_ptr 0
		.amdhsa_user_sgpr_kernarg_segment_ptr 1
		.amdhsa_user_sgpr_dispatch_id 0
		.amdhsa_user_sgpr_flat_scratch_init 0
		.amdhsa_user_sgpr_private_segment_size 0
		.amdhsa_wavefront_size32 1
		.amdhsa_uses_dynamic_stack 0
		.amdhsa_system_sgpr_private_segment_wavefront_offset 0
		.amdhsa_system_sgpr_workgroup_id_x 1
		.amdhsa_system_sgpr_workgroup_id_y 1
		.amdhsa_system_sgpr_workgroup_id_z 1
		.amdhsa_system_sgpr_workgroup_info 0
		.amdhsa_system_vgpr_workitem_id 0
		.amdhsa_next_free_vgpr 25
		.amdhsa_next_free_sgpr 54
		.amdhsa_reserve_vcc 1
		.amdhsa_reserve_flat_scratch 0
		.amdhsa_float_round_mode_32 0
		.amdhsa_float_round_mode_16_64 0
		.amdhsa_float_denorm_mode_32 3
		.amdhsa_float_denorm_mode_16_64 3
		.amdhsa_dx10_clamp 1
		.amdhsa_ieee_mode 1
		.amdhsa_fp16_overflow 0
		.amdhsa_workgroup_processor_mode 1
		.amdhsa_memory_ordered 1
		.amdhsa_forward_progress 1
		.amdhsa_shared_vgpr_count 0
		.amdhsa_exception_fp_ieee_invalid_op 0
		.amdhsa_exception_fp_denorm_src 0
		.amdhsa_exception_fp_ieee_div_zero 0
		.amdhsa_exception_fp_ieee_overflow 0
		.amdhsa_exception_fp_ieee_underflow 0
		.amdhsa_exception_fp_ieee_inexact 0
		.amdhsa_exception_int_div_zero 0
	.end_amdhsa_kernel
	.section	.text._ZN2at6native6mbtopk10gatherTopKIN3c104HalfEmLin1EEEvNS_4cuda6detail10TensorInfoIKT_T0_EESA_SA_bjSA_NS7_IS8_SA_EESA_NS7_IlSA_EESA_jjPS8_PjSF_j,"axG",@progbits,_ZN2at6native6mbtopk10gatherTopKIN3c104HalfEmLin1EEEvNS_4cuda6detail10TensorInfoIKT_T0_EESA_SA_bjSA_NS7_IS8_SA_EESA_NS7_IlSA_EESA_jjPS8_PjSF_j,comdat
.Lfunc_end212:
	.size	_ZN2at6native6mbtopk10gatherTopKIN3c104HalfEmLin1EEEvNS_4cuda6detail10TensorInfoIKT_T0_EESA_SA_bjSA_NS7_IS8_SA_EESA_NS7_IlSA_EESA_jjPS8_PjSF_j, .Lfunc_end212-_ZN2at6native6mbtopk10gatherTopKIN3c104HalfEmLin1EEEvNS_4cuda6detail10TensorInfoIKT_T0_EESA_SA_bjSA_NS7_IS8_SA_EESA_NS7_IlSA_EESA_jjPS8_PjSF_j
                                        ; -- End function
	.set _ZN2at6native6mbtopk10gatherTopKIN3c104HalfEmLin1EEEvNS_4cuda6detail10TensorInfoIKT_T0_EESA_SA_bjSA_NS7_IS8_SA_EESA_NS7_IlSA_EESA_jjPS8_PjSF_j.num_vgpr, 25
	.set _ZN2at6native6mbtopk10gatherTopKIN3c104HalfEmLin1EEEvNS_4cuda6detail10TensorInfoIKT_T0_EESA_SA_bjSA_NS7_IS8_SA_EESA_NS7_IlSA_EESA_jjPS8_PjSF_j.num_agpr, 0
	.set _ZN2at6native6mbtopk10gatherTopKIN3c104HalfEmLin1EEEvNS_4cuda6detail10TensorInfoIKT_T0_EESA_SA_bjSA_NS7_IS8_SA_EESA_NS7_IlSA_EESA_jjPS8_PjSF_j.numbered_sgpr, 54
	.set _ZN2at6native6mbtopk10gatherTopKIN3c104HalfEmLin1EEEvNS_4cuda6detail10TensorInfoIKT_T0_EESA_SA_bjSA_NS7_IS8_SA_EESA_NS7_IlSA_EESA_jjPS8_PjSF_j.num_named_barrier, 0
	.set _ZN2at6native6mbtopk10gatherTopKIN3c104HalfEmLin1EEEvNS_4cuda6detail10TensorInfoIKT_T0_EESA_SA_bjSA_NS7_IS8_SA_EESA_NS7_IlSA_EESA_jjPS8_PjSF_j.private_seg_size, 0
	.set _ZN2at6native6mbtopk10gatherTopKIN3c104HalfEmLin1EEEvNS_4cuda6detail10TensorInfoIKT_T0_EESA_SA_bjSA_NS7_IS8_SA_EESA_NS7_IlSA_EESA_jjPS8_PjSF_j.uses_vcc, 1
	.set _ZN2at6native6mbtopk10gatherTopKIN3c104HalfEmLin1EEEvNS_4cuda6detail10TensorInfoIKT_T0_EESA_SA_bjSA_NS7_IS8_SA_EESA_NS7_IlSA_EESA_jjPS8_PjSF_j.uses_flat_scratch, 0
	.set _ZN2at6native6mbtopk10gatherTopKIN3c104HalfEmLin1EEEvNS_4cuda6detail10TensorInfoIKT_T0_EESA_SA_bjSA_NS7_IS8_SA_EESA_NS7_IlSA_EESA_jjPS8_PjSF_j.has_dyn_sized_stack, 0
	.set _ZN2at6native6mbtopk10gatherTopKIN3c104HalfEmLin1EEEvNS_4cuda6detail10TensorInfoIKT_T0_EESA_SA_bjSA_NS7_IS8_SA_EESA_NS7_IlSA_EESA_jjPS8_PjSF_j.has_recursion, 0
	.set _ZN2at6native6mbtopk10gatherTopKIN3c104HalfEmLin1EEEvNS_4cuda6detail10TensorInfoIKT_T0_EESA_SA_bjSA_NS7_IS8_SA_EESA_NS7_IlSA_EESA_jjPS8_PjSF_j.has_indirect_call, 0
	.section	.AMDGPU.csdata,"",@progbits
; Kernel info:
; codeLenInByte = 3472
; TotalNumSgprs: 56
; NumVgprs: 25
; ScratchSize: 0
; MemoryBound: 0
; FloatMode: 240
; IeeeMode: 1
; LDSByteSize: 1068 bytes/workgroup (compile time only)
; SGPRBlocks: 0
; VGPRBlocks: 3
; NumSGPRsForWavesPerEU: 56
; NumVGPRsForWavesPerEU: 25
; Occupancy: 16
; WaveLimiterHint : 1
; COMPUTE_PGM_RSRC2:SCRATCH_EN: 0
; COMPUTE_PGM_RSRC2:USER_SGPR: 6
; COMPUTE_PGM_RSRC2:TRAP_HANDLER: 0
; COMPUTE_PGM_RSRC2:TGID_X_EN: 1
; COMPUTE_PGM_RSRC2:TGID_Y_EN: 1
; COMPUTE_PGM_RSRC2:TGID_Z_EN: 1
; COMPUTE_PGM_RSRC2:TIDIG_COMP_CNT: 0
	.section	.text._ZN2at6native6sbtopk10gatherTopKIN3c104HalfEmLin1ELb0EEEvNS_4cuda6detail10TensorInfoIKT_T0_EESA_SA_bSA_SA_NS7_IS8_SA_EESA_NS7_IlSA_EESA_PS8_,"axG",@progbits,_ZN2at6native6sbtopk10gatherTopKIN3c104HalfEmLin1ELb0EEEvNS_4cuda6detail10TensorInfoIKT_T0_EESA_SA_bSA_SA_NS7_IS8_SA_EESA_NS7_IlSA_EESA_PS8_,comdat
	.protected	_ZN2at6native6sbtopk10gatherTopKIN3c104HalfEmLin1ELb0EEEvNS_4cuda6detail10TensorInfoIKT_T0_EESA_SA_bSA_SA_NS7_IS8_SA_EESA_NS7_IlSA_EESA_PS8_ ; -- Begin function _ZN2at6native6sbtopk10gatherTopKIN3c104HalfEmLin1ELb0EEEvNS_4cuda6detail10TensorInfoIKT_T0_EESA_SA_bSA_SA_NS7_IS8_SA_EESA_NS7_IlSA_EESA_PS8_
	.globl	_ZN2at6native6sbtopk10gatherTopKIN3c104HalfEmLin1ELb0EEEvNS_4cuda6detail10TensorInfoIKT_T0_EESA_SA_bSA_SA_NS7_IS8_SA_EESA_NS7_IlSA_EESA_PS8_
	.p2align	8
	.type	_ZN2at6native6sbtopk10gatherTopKIN3c104HalfEmLin1ELb0EEEvNS_4cuda6detail10TensorInfoIKT_T0_EESA_SA_bSA_SA_NS7_IS8_SA_EESA_NS7_IlSA_EESA_PS8_,@function
_ZN2at6native6sbtopk10gatherTopKIN3c104HalfEmLin1ELb0EEEvNS_4cuda6detail10TensorInfoIKT_T0_EESA_SA_bSA_SA_NS7_IS8_SA_EESA_NS7_IlSA_EESA_PS8_: ; @_ZN2at6native6sbtopk10gatherTopKIN3c104HalfEmLin1ELb0EEEvNS_4cuda6detail10TensorInfoIKT_T0_EESA_SA_bSA_SA_NS7_IS8_SA_EESA_NS7_IlSA_EESA_PS8_
; %bb.0:
	s_clause 0x1
	s_load_dwordx2 s[14:15], s[4:5], 0x520
	s_load_dwordx4 s[28:31], s[4:5], 0x1b8
	s_add_u32 s12, s4, 0x520
	s_addc_u32 s13, s5, 0
	s_mov_b32 s3, 0
	s_waitcnt lgkmcnt(0)
	s_mul_i32 s0, s15, s8
	s_add_i32 s0, s0, s7
	s_mul_i32 s0, s0, s14
	s_add_i32 s2, s0, s6
	v_cmp_le_u64_e64 s0, s[28:29], s[2:3]
	s_and_b32 vcc_lo, exec_lo, s0
	s_cbranch_vccnz .LBB213_514
; %bb.1:
	s_load_dword s7, s[4:5], 0x198
	s_mov_b64 s[0:1], 0
	s_mov_b64 s[8:9], s[2:3]
	s_waitcnt lgkmcnt(0)
	s_cmp_lt_i32 s7, 2
	s_cbranch_scc1 .LBB213_9
; %bb.2:
	s_mov_b32 s10, 0
	s_add_i32 s0, s7, -1
	s_mov_b32 s1, s10
	s_add_i32 s7, s7, 1
	s_lshl_b64 s[8:9], s[0:1], 3
	s_mov_b64 s[0:1], 0
	s_add_u32 s8, s4, s8
	s_addc_u32 s9, s5, s9
	s_add_u32 s16, s8, 8
	s_addc_u32 s17, s9, 0
	s_mov_b64 s[18:19], s[2:3]
.LBB213_3:                              ; =>This Inner Loop Header: Depth=1
	s_load_dwordx2 s[20:21], s[16:17], 0x0
	s_waitcnt lgkmcnt(0)
	s_or_b64 s[8:9], s[18:19], s[20:21]
	s_mov_b32 s11, s9
                                        ; implicit-def: $sgpr8_sgpr9
	s_cmp_lg_u64 s[10:11], 0
	s_mov_b32 s11, -1
	s_cbranch_scc0 .LBB213_5
; %bb.4:                                ;   in Loop: Header=BB213_3 Depth=1
	v_cvt_f32_u32_e32 v1, s20
	v_cvt_f32_u32_e32 v2, s21
	s_sub_u32 s11, 0, s20
	s_subb_u32 s15, 0, s21
	v_fmac_f32_e32 v1, 0x4f800000, v2
	v_rcp_f32_e32 v1, v1
	v_mul_f32_e32 v1, 0x5f7ffffc, v1
	v_mul_f32_e32 v2, 0x2f800000, v1
	v_trunc_f32_e32 v2, v2
	v_fmac_f32_e32 v1, 0xcf800000, v2
	v_cvt_u32_f32_e32 v2, v2
	v_cvt_u32_f32_e32 v1, v1
	v_readfirstlane_b32 s8, v2
	v_readfirstlane_b32 s9, v1
	s_mul_i32 s22, s11, s8
	s_mul_hi_u32 s24, s11, s9
	s_mul_i32 s23, s15, s9
	s_add_i32 s22, s24, s22
	s_mul_i32 s25, s11, s9
	s_add_i32 s22, s22, s23
	s_mul_hi_u32 s24, s9, s25
	s_mul_i32 s27, s9, s22
	s_mul_hi_u32 s26, s8, s25
	s_mul_i32 s23, s8, s25
	s_mul_hi_u32 s25, s9, s22
	s_add_u32 s24, s24, s27
	s_addc_u32 s25, 0, s25
	s_mul_hi_u32 s28, s8, s22
	s_add_u32 s23, s24, s23
	s_mul_i32 s22, s8, s22
	s_addc_u32 s23, s25, s26
	s_addc_u32 s24, s28, 0
	s_add_u32 s22, s23, s22
	s_addc_u32 s23, 0, s24
	s_add_u32 s9, s9, s22
	s_cselect_b32 s22, -1, 0
	s_mul_hi_u32 s24, s11, s9
	s_cmp_lg_u32 s22, 0
	s_mul_i32 s22, s11, s9
	s_addc_u32 s8, s8, s23
	s_mul_i32 s15, s15, s9
	s_mul_i32 s11, s11, s8
	s_mul_hi_u32 s23, s9, s22
	s_add_i32 s11, s24, s11
	s_mul_hi_u32 s24, s8, s22
	s_add_i32 s11, s11, s15
	s_mul_i32 s15, s8, s22
	s_mul_i32 s26, s9, s11
	s_mul_hi_u32 s25, s9, s11
	s_add_u32 s23, s23, s26
	s_addc_u32 s25, 0, s25
	s_mul_hi_u32 s22, s8, s11
	s_add_u32 s15, s23, s15
	s_mul_i32 s11, s8, s11
	s_addc_u32 s15, s25, s24
	s_addc_u32 s22, s22, 0
	s_add_u32 s11, s15, s11
	s_addc_u32 s15, 0, s22
	s_add_u32 s9, s9, s11
	s_cselect_b32 s11, -1, 0
	s_mul_hi_u32 s22, s18, s9
	s_cmp_lg_u32 s11, 0
	s_mul_hi_u32 s11, s19, s9
	s_addc_u32 s8, s8, s15
	s_mul_i32 s9, s19, s9
	s_mul_i32 s23, s18, s8
	s_mul_hi_u32 s15, s18, s8
	s_add_u32 s22, s22, s23
	s_addc_u32 s15, 0, s15
	s_mul_hi_u32 s24, s19, s8
	s_add_u32 s9, s22, s9
	s_mul_i32 s8, s19, s8
	s_addc_u32 s9, s15, s11
	s_addc_u32 s11, s24, 0
	s_add_u32 s8, s9, s8
	s_addc_u32 s9, 0, s11
	s_mul_hi_u32 s11, s20, s8
	s_mul_i32 s15, s20, s9
	s_mul_i32 s22, s21, s8
	s_add_i32 s11, s11, s15
	s_mul_i32 s15, s20, s8
	s_add_i32 s11, s11, s22
	s_sub_i32 s22, s19, s11
	s_sub_u32 s15, s18, s15
	s_cselect_b32 s23, -1, 0
	s_cmp_lg_u32 s23, 0
	s_subb_u32 s22, s22, s21
	s_sub_u32 s24, s15, s20
	s_cselect_b32 s25, -1, 0
	s_cmp_lg_u32 s25, 0
	s_subb_u32 s22, s22, 0
	s_cmp_ge_u32 s22, s21
	s_cselect_b32 s25, -1, 0
	s_cmp_ge_u32 s24, s20
	s_cselect_b32 s24, -1, 0
	s_cmp_eq_u32 s22, s21
	s_cselect_b32 s22, s24, s25
	s_add_u32 s24, s8, 1
	s_addc_u32 s25, s9, 0
	s_add_u32 s26, s8, 2
	s_addc_u32 s27, s9, 0
	s_cmp_lg_u32 s22, 0
	s_cselect_b32 s22, s26, s24
	s_cselect_b32 s24, s27, s25
	s_cmp_lg_u32 s23, 0
	s_subb_u32 s11, s19, s11
	s_cmp_ge_u32 s11, s21
	s_cselect_b32 s23, -1, 0
	s_cmp_ge_u32 s15, s20
	s_cselect_b32 s15, -1, 0
	s_cmp_eq_u32 s11, s21
	s_cselect_b32 s11, s15, s23
	s_cmp_lg_u32 s11, 0
	s_mov_b32 s11, 0
	s_cselect_b32 s9, s24, s9
	s_cselect_b32 s8, s22, s8
.LBB213_5:                              ;   in Loop: Header=BB213_3 Depth=1
	s_andn2_b32 vcc_lo, exec_lo, s11
	s_cbranch_vccnz .LBB213_7
; %bb.6:                                ;   in Loop: Header=BB213_3 Depth=1
	v_cvt_f32_u32_e32 v1, s20
	s_sub_i32 s9, 0, s20
	v_rcp_iflag_f32_e32 v1, v1
	v_mul_f32_e32 v1, 0x4f7ffffe, v1
	v_cvt_u32_f32_e32 v1, v1
	v_readfirstlane_b32 s8, v1
	s_mul_i32 s9, s9, s8
	s_mul_hi_u32 s9, s8, s9
	s_add_i32 s8, s8, s9
	s_mul_hi_u32 s8, s18, s8
	s_mul_i32 s9, s8, s20
	s_add_i32 s11, s8, 1
	s_sub_i32 s9, s18, s9
	s_sub_i32 s15, s9, s20
	s_cmp_ge_u32 s9, s20
	s_cselect_b32 s8, s11, s8
	s_cselect_b32 s9, s15, s9
	s_add_i32 s11, s8, 1
	s_cmp_ge_u32 s9, s20
	s_mov_b32 s9, s10
	s_cselect_b32 s8, s11, s8
.LBB213_7:                              ;   in Loop: Header=BB213_3 Depth=1
	s_load_dwordx2 s[22:23], s[16:17], 0xc8
	s_mul_i32 s11, s8, s21
	s_mul_hi_u32 s15, s8, s20
	s_mul_i32 s21, s9, s20
	s_add_i32 s11, s15, s11
	s_mul_i32 s15, s8, s20
	s_add_i32 s11, s11, s21
	s_sub_u32 s15, s18, s15
	s_subb_u32 s11, s19, s11
	s_waitcnt lgkmcnt(0)
	s_mul_i32 s11, s22, s11
	s_mul_hi_u32 s18, s22, s15
	s_mul_i32 s19, s23, s15
	s_add_i32 s11, s18, s11
	s_mul_i32 s15, s22, s15
	s_add_i32 s11, s11, s19
	s_add_u32 s0, s15, s0
	s_addc_u32 s1, s11, s1
	s_add_i32 s7, s7, -1
	s_add_u32 s16, s16, -8
	s_addc_u32 s17, s17, -1
	s_cmp_gt_u32 s7, 2
	s_cbranch_scc0 .LBB213_9
; %bb.8:                                ;   in Loop: Header=BB213_3 Depth=1
	s_mov_b64 s[18:19], s[8:9]
	s_branch .LBB213_3
.LBB213_9:
	s_clause 0x1
	s_load_dword s7, s[4:5], 0x360
	s_load_dwordx2 s[10:11], s[4:5], 0xd0
	s_add_u32 s16, s4, 0x1c8
	s_addc_u32 s17, s5, 0
	s_mov_b64 s[28:29], 0
	s_mov_b64 s[34:35], s[2:3]
	s_waitcnt lgkmcnt(0)
	s_cmp_lt_i32 s7, 2
	s_cbranch_scc1 .LBB213_17
; %bb.10:
	s_mov_b32 s18, 0
	s_add_i32 s20, s7, -1
	s_mov_b32 s21, s18
	s_add_i32 s7, s7, 1
	s_lshl_b64 s[20:21], s[20:21], 3
	s_mov_b64 s[22:23], s[2:3]
	s_add_u32 s15, s16, s20
	s_addc_u32 s19, s17, s21
	s_add_u32 s20, s15, 8
	s_addc_u32 s21, s19, 0
.LBB213_11:                             ; =>This Inner Loop Header: Depth=1
	s_load_dwordx2 s[24:25], s[20:21], 0x0
	s_mov_b32 s15, -1
                                        ; implicit-def: $sgpr34_sgpr35
	s_waitcnt lgkmcnt(0)
	s_or_b64 s[26:27], s[22:23], s[24:25]
	s_mov_b32 s19, s27
	s_cmp_lg_u64 s[18:19], 0
	s_cbranch_scc0 .LBB213_13
; %bb.12:                               ;   in Loop: Header=BB213_11 Depth=1
	v_cvt_f32_u32_e32 v1, s24
	v_cvt_f32_u32_e32 v2, s25
	s_sub_u32 s26, 0, s24
	s_subb_u32 s27, 0, s25
	v_fmac_f32_e32 v1, 0x4f800000, v2
	v_rcp_f32_e32 v1, v1
	v_mul_f32_e32 v1, 0x5f7ffffc, v1
	v_mul_f32_e32 v2, 0x2f800000, v1
	v_trunc_f32_e32 v2, v2
	v_fmac_f32_e32 v1, 0xcf800000, v2
	v_cvt_u32_f32_e32 v2, v2
	v_cvt_u32_f32_e32 v1, v1
	v_readfirstlane_b32 s15, v2
	v_readfirstlane_b32 s19, v1
	s_mul_i32 s33, s26, s15
	s_mul_hi_u32 s35, s26, s19
	s_mul_i32 s34, s27, s19
	s_add_i32 s33, s35, s33
	s_mul_i32 s36, s26, s19
	s_add_i32 s33, s33, s34
	s_mul_hi_u32 s35, s19, s36
	s_mul_i32 s38, s19, s33
	s_mul_hi_u32 s37, s15, s36
	s_mul_i32 s34, s15, s36
	s_mul_hi_u32 s36, s19, s33
	s_add_u32 s35, s35, s38
	s_addc_u32 s36, 0, s36
	s_mul_hi_u32 s39, s15, s33
	s_add_u32 s34, s35, s34
	s_mul_i32 s33, s15, s33
	s_addc_u32 s34, s36, s37
	s_addc_u32 s35, s39, 0
	s_add_u32 s33, s34, s33
	s_addc_u32 s34, 0, s35
	s_add_u32 s19, s19, s33
	s_cselect_b32 s33, -1, 0
	s_mul_hi_u32 s35, s26, s19
	s_cmp_lg_u32 s33, 0
	s_mul_i32 s33, s26, s19
	s_addc_u32 s15, s15, s34
	s_mul_i32 s27, s27, s19
	s_mul_i32 s26, s26, s15
	s_mul_hi_u32 s34, s19, s33
	s_add_i32 s26, s35, s26
	s_mul_hi_u32 s35, s15, s33
	s_add_i32 s26, s26, s27
	s_mul_i32 s27, s15, s33
	s_mul_i32 s37, s19, s26
	s_mul_hi_u32 s36, s19, s26
	s_add_u32 s34, s34, s37
	s_addc_u32 s36, 0, s36
	s_mul_hi_u32 s33, s15, s26
	s_add_u32 s27, s34, s27
	s_mul_i32 s26, s15, s26
	s_addc_u32 s27, s36, s35
	s_addc_u32 s33, s33, 0
	s_add_u32 s26, s27, s26
	s_addc_u32 s27, 0, s33
	s_add_u32 s19, s19, s26
	s_cselect_b32 s26, -1, 0
	s_mul_hi_u32 s33, s22, s19
	s_cmp_lg_u32 s26, 0
	s_mul_hi_u32 s26, s23, s19
	s_addc_u32 s15, s15, s27
	s_mul_i32 s19, s23, s19
	s_mul_i32 s34, s22, s15
	s_mul_hi_u32 s27, s22, s15
	s_add_u32 s33, s33, s34
	s_addc_u32 s27, 0, s27
	s_mul_hi_u32 s35, s23, s15
	s_add_u32 s19, s33, s19
	s_mul_i32 s15, s23, s15
	s_addc_u32 s19, s27, s26
	s_addc_u32 s26, s35, 0
	s_add_u32 s15, s19, s15
	s_addc_u32 s19, 0, s26
	s_mul_hi_u32 s26, s24, s15
	s_mul_i32 s27, s24, s19
	s_mul_i32 s33, s25, s15
	s_add_i32 s26, s26, s27
	s_mul_i32 s27, s24, s15
	s_add_i32 s26, s26, s33
	s_sub_i32 s33, s23, s26
	s_sub_u32 s27, s22, s27
	s_cselect_b32 s34, -1, 0
	s_cmp_lg_u32 s34, 0
	s_subb_u32 s33, s33, s25
	s_sub_u32 s35, s27, s24
	s_cselect_b32 s36, -1, 0
	s_cmp_lg_u32 s36, 0
	s_subb_u32 s33, s33, 0
	s_cmp_ge_u32 s33, s25
	s_cselect_b32 s36, -1, 0
	s_cmp_ge_u32 s35, s24
	s_cselect_b32 s35, -1, 0
	s_cmp_eq_u32 s33, s25
	s_cselect_b32 s33, s35, s36
	s_add_u32 s35, s15, 1
	s_addc_u32 s36, s19, 0
	s_add_u32 s37, s15, 2
	s_addc_u32 s38, s19, 0
	s_cmp_lg_u32 s33, 0
	s_cselect_b32 s33, s37, s35
	s_cselect_b32 s35, s38, s36
	s_cmp_lg_u32 s34, 0
	s_subb_u32 s26, s23, s26
	s_cmp_ge_u32 s26, s25
	s_cselect_b32 s34, -1, 0
	s_cmp_ge_u32 s27, s24
	s_cselect_b32 s27, -1, 0
	s_cmp_eq_u32 s26, s25
	s_cselect_b32 s26, s27, s34
	s_cmp_lg_u32 s26, 0
	s_cselect_b32 s35, s35, s19
	s_cselect_b32 s34, s33, s15
	s_mov_b32 s15, 0
.LBB213_13:                             ;   in Loop: Header=BB213_11 Depth=1
	s_andn2_b32 vcc_lo, exec_lo, s15
	s_cbranch_vccnz .LBB213_15
; %bb.14:                               ;   in Loop: Header=BB213_11 Depth=1
	v_cvt_f32_u32_e32 v1, s24
	s_sub_i32 s19, 0, s24
	s_mov_b32 s35, s18
	v_rcp_iflag_f32_e32 v1, v1
	v_mul_f32_e32 v1, 0x4f7ffffe, v1
	v_cvt_u32_f32_e32 v1, v1
	v_readfirstlane_b32 s15, v1
	s_mul_i32 s19, s19, s15
	s_mul_hi_u32 s19, s15, s19
	s_add_i32 s15, s15, s19
	s_mul_hi_u32 s15, s22, s15
	s_mul_i32 s19, s15, s24
	s_add_i32 s26, s15, 1
	s_sub_i32 s19, s22, s19
	s_sub_i32 s27, s19, s24
	s_cmp_ge_u32 s19, s24
	s_cselect_b32 s15, s26, s15
	s_cselect_b32 s19, s27, s19
	s_add_i32 s26, s15, 1
	s_cmp_ge_u32 s19, s24
	s_cselect_b32 s34, s26, s15
.LBB213_15:                             ;   in Loop: Header=BB213_11 Depth=1
	s_load_dwordx2 s[26:27], s[20:21], 0xc8
	s_mul_i32 s15, s34, s25
	s_mul_hi_u32 s19, s34, s24
	s_mul_i32 s25, s35, s24
	s_add_i32 s15, s19, s15
	s_mul_i32 s19, s34, s24
	s_add_i32 s15, s15, s25
	s_sub_u32 s19, s22, s19
	s_subb_u32 s15, s23, s15
	s_waitcnt lgkmcnt(0)
	s_mul_i32 s15, s26, s15
	s_mul_hi_u32 s22, s26, s19
	s_mul_i32 s23, s27, s19
	s_add_i32 s15, s22, s15
	s_mul_i32 s19, s26, s19
	s_add_i32 s15, s15, s23
	s_add_u32 s28, s19, s28
	s_addc_u32 s29, s15, s29
	s_add_i32 s7, s7, -1
	s_add_u32 s20, s20, -8
	s_addc_u32 s21, s21, -1
	s_cmp_gt_u32 s7, 2
	s_cbranch_scc0 .LBB213_17
; %bb.16:                               ;   in Loop: Header=BB213_11 Depth=1
	s_mov_b64 s[22:23], s[34:35]
	s_branch .LBB213_11
.LBB213_17:
	s_clause 0x1
	s_load_dword s7, s[4:5], 0x508
	s_load_dwordx2 s[16:17], s[16:17], 0xd0
                                        ; implicit-def: $vgpr53 : SGPR spill to VGPR lane
	s_add_u32 s15, s4, 0x370
	s_mov_b64 s[44:45], 0
	s_waitcnt lgkmcnt(0)
	v_writelane_b32 v53, s16, 0
	v_writelane_b32 v53, s17, 1
	s_addc_u32 s17, s5, 0
	s_cmp_lt_i32 s7, 2
	s_cbranch_scc1 .LBB213_25
; %bb.18:
	s_mov_b32 s16, 0
	s_add_i32 s18, s7, -1
	s_mov_b32 s19, s16
	s_add_i32 s7, s7, 1
	s_lshl_b64 s[18:19], s[18:19], 3
	s_add_u32 s15, s15, s18
	s_addc_u32 s17, s17, s19
	s_add_u32 s18, s15, 8
	s_addc_u32 s19, s17, 0
.LBB213_19:                             ; =>This Inner Loop Header: Depth=1
	s_load_dwordx2 s[20:21], s[18:19], 0x0
	s_mov_b32 s15, -1
                                        ; implicit-def: $sgpr52_sgpr53
	s_waitcnt lgkmcnt(0)
	s_or_b64 s[22:23], s[2:3], s[20:21]
	s_mov_b32 s17, s23
	s_cmp_lg_u64 s[16:17], 0
	s_cbranch_scc0 .LBB213_21
; %bb.20:                               ;   in Loop: Header=BB213_19 Depth=1
	v_cvt_f32_u32_e32 v1, s20
	v_cvt_f32_u32_e32 v2, s21
	s_sub_u32 s22, 0, s20
	s_subb_u32 s23, 0, s21
	v_fmac_f32_e32 v1, 0x4f800000, v2
	v_rcp_f32_e32 v1, v1
	v_mul_f32_e32 v1, 0x5f7ffffc, v1
	v_mul_f32_e32 v2, 0x2f800000, v1
	v_trunc_f32_e32 v2, v2
	v_fmac_f32_e32 v1, 0xcf800000, v2
	v_cvt_u32_f32_e32 v2, v2
	v_cvt_u32_f32_e32 v1, v1
	v_readfirstlane_b32 s15, v2
	v_readfirstlane_b32 s17, v1
	s_mul_i32 s24, s22, s15
	s_mul_hi_u32 s26, s22, s17
	s_mul_i32 s25, s23, s17
	s_add_i32 s24, s26, s24
	s_mul_i32 s27, s22, s17
	s_add_i32 s24, s24, s25
	s_mul_hi_u32 s26, s17, s27
	s_mul_i32 s36, s17, s24
	s_mul_hi_u32 s33, s15, s27
	s_mul_i32 s25, s15, s27
	s_mul_hi_u32 s27, s17, s24
	s_add_u32 s26, s26, s36
	s_addc_u32 s27, 0, s27
	s_mul_hi_u32 s37, s15, s24
	s_add_u32 s25, s26, s25
	s_mul_i32 s24, s15, s24
	s_addc_u32 s25, s27, s33
	s_addc_u32 s26, s37, 0
	s_add_u32 s24, s25, s24
	s_addc_u32 s25, 0, s26
	s_add_u32 s17, s17, s24
	s_cselect_b32 s24, -1, 0
	s_mul_hi_u32 s26, s22, s17
	s_cmp_lg_u32 s24, 0
	s_mul_i32 s24, s22, s17
	s_addc_u32 s15, s15, s25
	s_mul_i32 s23, s23, s17
	s_mul_i32 s22, s22, s15
	s_mul_hi_u32 s25, s17, s24
	s_add_i32 s22, s26, s22
	s_mul_hi_u32 s26, s15, s24
	s_add_i32 s22, s22, s23
	s_mul_i32 s23, s15, s24
	s_mul_i32 s33, s17, s22
	s_mul_hi_u32 s27, s17, s22
	s_add_u32 s25, s25, s33
	s_addc_u32 s27, 0, s27
	s_mul_hi_u32 s24, s15, s22
	s_add_u32 s23, s25, s23
	s_mul_i32 s22, s15, s22
	s_addc_u32 s23, s27, s26
	s_addc_u32 s24, s24, 0
	s_add_u32 s22, s23, s22
	s_addc_u32 s23, 0, s24
	s_add_u32 s17, s17, s22
	s_cselect_b32 s22, -1, 0
	s_mul_hi_u32 s24, s2, s17
	s_cmp_lg_u32 s22, 0
	s_mul_hi_u32 s22, s3, s17
	s_addc_u32 s15, s15, s23
	s_mul_i32 s17, s3, s17
	s_mul_i32 s25, s2, s15
	s_mul_hi_u32 s23, s2, s15
	s_add_u32 s24, s24, s25
	s_addc_u32 s23, 0, s23
	s_mul_hi_u32 s26, s3, s15
	s_add_u32 s17, s24, s17
	s_mul_i32 s15, s3, s15
	s_addc_u32 s17, s23, s22
	s_addc_u32 s22, s26, 0
	s_add_u32 s15, s17, s15
	s_addc_u32 s17, 0, s22
	s_mul_hi_u32 s22, s20, s15
	s_mul_i32 s23, s20, s17
	s_mul_i32 s24, s21, s15
	s_add_i32 s22, s22, s23
	s_mul_i32 s23, s20, s15
	s_add_i32 s22, s22, s24
	s_sub_i32 s24, s3, s22
	s_sub_u32 s23, s2, s23
	s_cselect_b32 s25, -1, 0
	s_cmp_lg_u32 s25, 0
	s_subb_u32 s24, s24, s21
	s_sub_u32 s26, s23, s20
	s_cselect_b32 s27, -1, 0
	s_cmp_lg_u32 s27, 0
	s_subb_u32 s24, s24, 0
	s_cmp_ge_u32 s24, s21
	s_cselect_b32 s27, -1, 0
	s_cmp_ge_u32 s26, s20
	s_cselect_b32 s26, -1, 0
	s_cmp_eq_u32 s24, s21
	s_cselect_b32 s24, s26, s27
	s_add_u32 s26, s15, 1
	s_addc_u32 s27, s17, 0
	s_add_u32 s33, s15, 2
	s_addc_u32 s36, s17, 0
	s_cmp_lg_u32 s24, 0
	s_cselect_b32 s24, s33, s26
	s_cselect_b32 s26, s36, s27
	s_cmp_lg_u32 s25, 0
	s_subb_u32 s22, s3, s22
	s_cmp_ge_u32 s22, s21
	s_cselect_b32 s25, -1, 0
	s_cmp_ge_u32 s23, s20
	s_cselect_b32 s23, -1, 0
	s_cmp_eq_u32 s22, s21
	s_cselect_b32 s22, s23, s25
	s_cmp_lg_u32 s22, 0
	s_cselect_b32 s53, s26, s17
	s_cselect_b32 s52, s24, s15
	s_mov_b32 s15, 0
.LBB213_21:                             ;   in Loop: Header=BB213_19 Depth=1
	s_andn2_b32 vcc_lo, exec_lo, s15
	s_cbranch_vccnz .LBB213_23
; %bb.22:                               ;   in Loop: Header=BB213_19 Depth=1
	v_cvt_f32_u32_e32 v1, s20
	s_sub_i32 s17, 0, s20
	s_mov_b32 s53, s16
	v_rcp_iflag_f32_e32 v1, v1
	v_mul_f32_e32 v1, 0x4f7ffffe, v1
	v_cvt_u32_f32_e32 v1, v1
	v_readfirstlane_b32 s15, v1
	s_mul_i32 s17, s17, s15
	s_mul_hi_u32 s17, s15, s17
	s_add_i32 s15, s15, s17
	s_mul_hi_u32 s15, s2, s15
	s_mul_i32 s17, s15, s20
	s_add_i32 s22, s15, 1
	s_sub_i32 s17, s2, s17
	s_sub_i32 s23, s17, s20
	s_cmp_ge_u32 s17, s20
	s_cselect_b32 s15, s22, s15
	s_cselect_b32 s17, s23, s17
	s_add_i32 s22, s15, 1
	s_cmp_ge_u32 s17, s20
	s_cselect_b32 s52, s22, s15
.LBB213_23:                             ;   in Loop: Header=BB213_19 Depth=1
	s_load_dwordx2 s[22:23], s[18:19], 0xc8
	s_mul_i32 s15, s52, s21
	s_mul_hi_u32 s17, s52, s20
	s_mul_i32 s21, s53, s20
	s_add_i32 s15, s17, s15
	s_mul_i32 s17, s52, s20
	s_add_i32 s15, s15, s21
	s_sub_u32 s2, s2, s17
	s_subb_u32 s3, s3, s15
	s_waitcnt lgkmcnt(0)
	s_mul_i32 s3, s22, s3
	s_mul_hi_u32 s15, s22, s2
	s_mul_i32 s17, s23, s2
	s_add_i32 s3, s15, s3
	s_mul_i32 s2, s22, s2
	s_add_i32 s3, s3, s17
	s_add_u32 s44, s2, s44
	s_addc_u32 s45, s3, s45
	s_add_i32 s7, s7, -1
	s_add_u32 s18, s18, -8
	s_addc_u32 s19, s19, -1
	s_cmp_gt_u32 s7, 2
	s_cbranch_scc0 .LBB213_26
; %bb.24:                               ;   in Loop: Header=BB213_19 Depth=1
	s_mov_b64 s[2:3], s[52:53]
	s_branch .LBB213_19
.LBB213_25:
	s_mov_b64 s[52:53], s[2:3]
.LBB213_26:
	s_clause 0x2
	s_load_dwordx4 s[36:39], s[4:5], 0x1a0
	s_load_dwordx2 s[98:99], s[4:5], 0x0
	s_load_dwordx2 s[2:3], s[4:5], 0x1c8
	s_mov_b32 s61, 0
	s_waitcnt lgkmcnt(0)
	v_writelane_b32 v53, s2, 2
	v_writelane_b32 v53, s3, 3
	s_load_dwordx2 s[2:3], s[4:5], 0x370
	s_waitcnt lgkmcnt(0)
	v_writelane_b32 v53, s2, 4
	v_writelane_b32 v53, s3, 5
	v_cmp_eq_u32_e64 s3, 0, v0
	s_and_saveexec_b32 s2, s3
	s_cbranch_execz .LBB213_28
; %bb.27:
	v_mov_b32_e32 v1, 0
	v_mov_b32_e32 v3, s36
	;; [unrolled: 1-line block ×4, first 2 shown]
	ds_write_b32 v1, v1 offset:5144
	ds_write_b128 v1, v[1:4] offset:5120
.LBB213_28:
	s_or_b32 exec_lo, exec_lo, s2
	v_mad_u64_u32 v[4:5], null, s30, v0, 0
	s_load_dword s2, s[4:5], 0x1b0
	s_mul_i32 s7, s10, s9
	s_mul_hi_u32 s9, s10, s8
	s_mul_i32 s11, s11, s8
	s_add_i32 s7, s9, s7
	s_mul_i32 s8, s10, s8
	v_mov_b32_e32 v1, v5
	s_add_i32 s9, s7, s11
	s_waitcnt lgkmcnt(0)
	s_lshl_b64 s[8:9], s[8:9], 1
	s_barrier
	v_mad_u64_u32 v[1:2], null, s31, v0, v[1:2]
	s_add_u32 s16, s98, s8
	s_addc_u32 s17, s99, s9
	s_lshl_b64 s[50:51], s[0:1], 1
	buffer_gl0_inv
	s_load_dword s1, s[12:13], 0xc
	v_mbcnt_lo_u32_b32 v42, -1, 0
	v_mov_b32_e32 v5, v1
	s_add_u32 s86, s16, s50
	v_mov_b32_e32 v3, 0
	s_addc_u32 s87, s17, s51
	s_bitcmp1_b32 s2, 0
	v_lshlrev_b64 v[6:7], 1, v[4:5]
	v_cmp_gt_u32_e32 vcc_lo, 32, v0
	v_cmp_gt_i32_e64 s2, 4, v42
	v_add_nc_u32_e32 v2, 2, v0
	v_mov_b32_e32 v1, v3
	s_cselect_b32 s104, -1, 0
	v_lshlrev_b64 v[8:9], v42, -1
	s_and_b32 s89, vcc_lo, s2
	v_add_co_u32 v12, vcc_lo, s86, v6
	v_add_co_ci_u32_e64 v13, null, s87, v7, vcc_lo
	v_cmp_gt_u64_e32 vcc_lo, s[36:37], v[2:3]
	v_cmp_gt_u64_e64 s2, s[36:37], v[0:1]
	s_waitcnt lgkmcnt(0)
	s_and_b32 s33, s1, 0xffff
	v_not_b32_e32 v41, v8
	v_not_b32_e32 v8, v0
	s_xor_b32 s88, s104, -1
	v_cndmask_b32_e64 v2, v2, s36, vcc_lo
	v_writelane_b32 v53, s2, 6
	s_bfe_u32 s2, s33, 0x80008
	v_cndmask_b32_e64 v9, 0, s37, vcc_lo
	s_lshl_b32 s91, s2, 3
	s_bfe_u32 s1, s1, 0xb0005
	s_cmp_gt_u32 s33, 31
	v_add_co_u32 v8, vcc_lo, v2, v8
	s_cselect_b32 s92, -1, 0
	s_add_u32 s93, s33, -1
	s_addc_u32 s94, 0, -1
	v_add_co_ci_u32_e64 v9, null, -1, v9, vcc_lo
	s_add_u32 s95, s93, s36
	s_addc_u32 s63, s94, s37
	s_cmp_lt_u32 s6, s14
	s_movk_i32 s2, 0x3e0
	s_cselect_b32 s6, 12, 18
	v_and_or_b32 v45, v0, s2, 0xc00
	v_cmp_lt_u64_e64 s2, 1, v[8:9]
	s_add_u32 s64, s12, s6
	s_addc_u32 s65, s13, 0
	s_add_i32 s1, s1, -1
	v_lshlrev_b32_e32 v46, 3, v0
	s_and_b32 s1, s1, 0xffff
	v_writelane_b32 v53, s2, 7
	s_bfe_u32 s2, s33, 0x30005
	s_cmp_gt_u32 s1, 6
	v_or_b32_e32 v10, 6, v46
	s_cselect_b32 s1, -1, 0
	v_and_b32_e32 v16, -2, v8
	v_mov_b32_e32 v17, v9
	v_writelane_b32 v53, s1, 8
	v_mad_u64_u32 v[19:20], null, s30, v10, s[16:17]
	v_or_b32_e32 v25, 4, v46
	v_cmp_ne_u64_e64 s1, v[8:9], v[16:17]
	v_writelane_b32 v53, s2, 9
	v_or_b32_e32 v26, 2, v46
	v_add_co_u32 v18, vcc_lo, v16, v0
	v_add_co_ci_u32_e64 v2, null, 0, v9, vcc_lo
	v_writelane_b32 v53, s1, 10
	v_mad_u64_u32 v[21:22], null, s30, v25, s[16:17]
	v_mad_u64_u32 v[23:24], null, s30, v26, s[16:17]
	s_cmp_lg_u32 s2, 0
	v_mov_b32_e32 v2, v20
	s_cselect_b32 s1, -1, 0
	v_lshlrev_b64 v[4:5], 3, v[4:5]
	v_writelane_b32 v53, s1, 11
	s_add_u32 s1, s8, s50
	v_mad_u64_u32 v[10:11], null, s31, v10, v[2:3]
	s_addc_u32 s2, s9, s51
	s_add_u32 s6, s98, s1
	v_mov_b32_e32 v8, v22
	v_mov_b32_e32 v9, v24
	s_addc_u32 s7, s99, s2
	v_writelane_b32 v53, s6, 12
	s_lshl_b64 s[68:69], s[30:31], 1
	s_lshl_b64 s[70:71], s[30:31], 3
	v_mad_u64_u32 v[24:25], null, s31, v25, v[8:9]
	v_mad_u64_u32 v[8:9], null, s31, v26, v[9:10]
	v_writelane_b32 v53, s7, 13
	s_lshl_b32 vcc_hi, s33, 1
	s_add_u32 s1, s98, s50
	v_lshlrev_b32_e32 v43, 1, v0
	s_addc_u32 s2, s99, s51
	v_add_co_u32 v25, vcc_lo, s16, v4
	s_add_u32 s1, s1, s8
	v_add_co_ci_u32_e64 v26, null, s17, v5, vcc_lo
	v_writelane_b32 v53, s8, 14
	s_addc_u32 s2, s2, s9
	v_add_co_u32 v27, vcc_lo, s1, v6
	v_cmp_lt_u64_e64 s90, 0x600, s[36:37]
	s_mul_i32 s6, s31, s33
	s_mul_hi_u32 s7, s30, s33
	v_mov_b32_e32 v29, s38
	v_cmp_eq_u32_e64 s0, 0, v42
	v_lshlrev_b32_e32 v14, 2, v0
	v_mov_b32_e32 v15, v3
	v_cmp_gt_u32_e64 s10, 2, v0
	v_add_nc_u32_e32 v44, 0xc00, v43
	v_mov_b32_e32 v20, v10
	v_mov_b32_e32 v22, v24
	v_mov_b32_e32 v24, v8
	v_lshl_or_b32 v48, v42, 3, 0xc00
	v_add_co_ci_u32_e64 v28, null, s2, v7, vcc_lo
	v_mov_b32_e32 v30, s39
	v_mov_b32_e32 v49, 0x8000
	v_mov_b32_e32 v50, -1
	v_mov_b32_e32 v52, 0
	v_mov_b32_e32 v47, 0
	;; [unrolled: 1-line block ×3, first 2 shown]
	s_add_i32 s7, s7, s6
	s_mul_i32 s6, s30, s33
	s_mov_b32 s96, s30
	s_mov_b32 s97, s31
	s_lshl_b64 s[42:43], s[6:7], 1
	s_mov_b32 s54, 14
	s_movk_i32 s58, 0x3c00
	s_mov_b32 s55, 0
	s_mov_b32 s46, 0
	v_writelane_b32 v53, s9, 15
                                        ; implicit-def: $sgpr59
                                        ; implicit-def: $sgpr57
                                        ; implicit-def: $sgpr56
                                        ; implicit-def: $sgpr8
                                        ; implicit-def: $sgpr47
                                        ; implicit-def: $sgpr41
                                        ; implicit-def: $sgpr48
                                        ; implicit-def: $sgpr1
                                        ; implicit-def: $sgpr40
                                        ; implicit-def: $sgpr7
	s_branch .LBB213_31
.LBB213_29:                             ;   in Loop: Header=BB213_31 Depth=1
	s_or_b32 exec_lo, exec_lo, s11
	v_mov_b32_e32 v30, v5
	v_mov_b32_e32 v29, v4
	s_andn2_b32 s7, s7, exec_lo
	s_and_b32 s9, s9, exec_lo
	s_andn2_b32 s40, s40, exec_lo
	s_or_b32 s7, s7, s9
	s_andn2_b32 s1, s1, exec_lo
	s_andn2_b32 s48, s48, exec_lo
	;; [unrolled: 1-line block ×3, first 2 shown]
	s_orn2_b32 s6, s6, exec_lo
.LBB213_30:                             ;   in Loop: Header=BB213_31 Depth=1
	s_or_b32 exec_lo, exec_lo, s2
	s_and_b32 s2, exec_lo, s6
	s_or_b32 s55, s2, s55
	s_andn2_b32 s2, s47, exec_lo
	s_and_b32 s6, s7, exec_lo
	s_andn2_b32 s8, s8, exec_lo
	s_or_b32 s47, s2, s6
	s_and_b32 s2, s40, exec_lo
	s_andn2_b32 s6, s56, exec_lo
	s_and_b32 s9, s1, exec_lo
	s_or_b32 s8, s8, s2
	s_or_b32 s56, s6, s9
	s_andn2_b32 s2, s57, exec_lo
	s_and_b32 s6, s48, exec_lo
	s_andn2_b32 s9, s59, exec_lo
	s_and_b32 s11, s41, exec_lo
	s_or_b32 s57, s2, s6
	s_or_b32 s59, s9, s11
	s_andn2_b32 exec_lo, exec_lo, s55
	s_cbranch_execz .LBB213_510
.LBB213_31:                             ; =>This Loop Header: Depth=1
                                        ;     Child Loop BB213_36 Depth 2
                                        ;     Child Loop BB213_50 Depth 2
	;; [unrolled: 1-line block ×25, first 2 shown]
	ds_read_b128 v[4:7], v3 offset:5120
	s_waitcnt lgkmcnt(0)
	v_readfirstlane_b32 s73, v5
	v_readfirstlane_b32 s72, v4
	s_cmp_lg_u64 s[72:73], 0
	s_cbranch_scc1 .LBB213_63
; %bb.32:                               ;   in Loop: Header=BB213_31 Depth=1
	s_and_b32 vcc_lo, exec_lo, s90
	s_cbranch_vccz .LBB213_44
; %bb.33:                               ;   in Loop: Header=BB213_31 Depth=1
	v_cmp_gt_u64_e32 vcc_lo, 0x601, v[6:7]
	s_mov_b32 s2, 0
	s_mov_b32 s6, 0
	s_cbranch_vccz .LBB213_45
; %bb.34:                               ;   in Loop: Header=BB213_31 Depth=1
	global_load_ushort v4, v3, s[64:65]
	global_load_ushort v8, v[12:13], off
	v_readlane_b32 s12, v53, 12
	v_readlane_b32 s13, v53, 13
	s_waitcnt vmcnt(1)
	v_and_b32_e32 v2, 0xffff, v4
	v_add_co_u32 v5, s6, v0, v2
	v_add_co_ci_u32_e64 v6, null, 0, 0, s6
	v_readfirstlane_b32 s6, v4
	v_mul_lo_u32 v7, s69, v5
	v_mad_u64_u32 v[4:5], null, s68, v5, s[12:13]
	v_mul_lo_u32 v6, s68, v6
	s_and_b32 s6, 0xffff, s6
	s_mov_b32 s12, 0
	s_mul_i32 s9, s69, s6
	s_mul_hi_u32 s11, s68, s6
	s_mul_i32 s13, s68, s6
	s_add_i32 s11, s11, s9
	v_add3_u32 v5, v7, v5, v6
	v_mov_b32_e32 v7, v1
	v_mov_b32_e32 v6, v0
	s_branch .LBB213_36
.LBB213_35:                             ;   in Loop: Header=BB213_36 Depth=2
	s_or_b32 exec_lo, exec_lo, s9
	v_add_co_u32 v4, vcc_lo, v4, s13
	v_add_co_ci_u32_e64 v5, null, s11, v5, vcc_lo
	v_mov_b32_e32 v8, v9
	s_andn2_b32 exec_lo, exec_lo, s12
	s_cbranch_execz .LBB213_119
.LBB213_36:                             ;   Parent Loop BB213_31 Depth=1
                                        ; =>  This Inner Loop Header: Depth=2
	v_add_co_u32 v6, vcc_lo, v6, v2
	v_add_co_ci_u32_e64 v7, null, 0, v7, vcc_lo
	s_waitcnt lgkmcnt(0)
	v_mov_b32_e32 v10, 0
	v_mov_b32_e32 v9, 0
	s_mov_b32 s9, exec_lo
	v_cmp_le_u64_e32 vcc_lo, s[36:37], v[6:7]
	v_cmpx_gt_u64_e64 s[36:37], v[6:7]
	s_cbranch_execz .LBB213_38
; %bb.37:                               ;   in Loop: Header=BB213_36 Depth=2
	global_load_ushort v9, v[4:5], off
.LBB213_38:                             ;   in Loop: Header=BB213_36 Depth=2
	s_or_b32 exec_lo, exec_lo, s9
	s_waitcnt vmcnt(0)
	v_cmp_lt_i16_e64 s6, -1, v8
	v_cndmask_b32_e64 v11, 0xffff, v49, s6
	v_cmp_o_f16_e64 s6, v8, v8
	v_xor_b32_sdwa v11, v11, v8 dst_sel:DWORD dst_unused:UNUSED_PAD src0_sel:DWORD src1_sel:WORD_0
	v_cndmask_b32_e64 v11, 0xffff, v11, s6
	v_and_b32_e32 v11, v11, v51
	v_cmp_eq_u32_e64 s6, v11, v47
	s_cmp_lg_u32 s6, 0
	s_cselect_b32 s9, -1, 0
	s_and_b32 s9, s0, s9
	s_and_saveexec_b32 s14, s9
	s_cbranch_execz .LBB213_42
; %bb.39:                               ;   in Loop: Header=BB213_36 Depth=2
	s_mov_b32 s17, exec_lo
	s_bcnt1_i32_b32 s15, s6
	v_mbcnt_lo_u32_b32 v10, s17, 0
	s_mov_b32 s16, exec_lo
                                        ; implicit-def: $vgpr11
	v_cmpx_eq_u32_e32 0, v10
; %bb.40:                               ;   in Loop: Header=BB213_36 Depth=2
	s_bcnt1_i32_b32 s9, s17
	s_mul_i32 s9, s15, s9
	v_mov_b32_e32 v11, s9
	ds_add_rtn_u32 v11, v3, v11 offset:5144
; %bb.41:                               ;   in Loop: Header=BB213_36 Depth=2
	s_or_b32 exec_lo, exec_lo, s16
	s_waitcnt lgkmcnt(0)
	v_readfirstlane_b32 s9, v11
	v_mad_u32_u24 v10, s15, v10, s9
.LBB213_42:                             ;   in Loop: Header=BB213_36 Depth=2
	s_or_b32 exec_lo, exec_lo, s14
	ds_bpermute_b32 v10, v3, v10
	s_and_b32 s9, exec_lo, vcc_lo
	s_or_b32 s12, s9, s12
	s_and_saveexec_b32 s9, s6
	s_cbranch_execz .LBB213_35
; %bb.43:                               ;   in Loop: Header=BB213_36 Depth=2
	v_and_b32_e32 v11, s6, v41
	v_bcnt_u32_b32 v11, v11, 0
	v_lshlrev_b32_e32 v11, 1, v11
	s_waitcnt lgkmcnt(0)
	v_lshl_add_u32 v10, v10, 1, v11
	ds_write_b16 v10, v8
	s_branch .LBB213_35
.LBB213_44:                             ;   in Loop: Header=BB213_31 Depth=1
	s_mov_b32 s2, -1
	s_mov_b32 s6, 0
.LBB213_45:                             ;   in Loop: Header=BB213_31 Depth=1
	s_and_b32 vcc_lo, exec_lo, s2
	s_cbranch_vccz .LBB213_61
.LBB213_46:                             ;   in Loop: Header=BB213_31 Depth=1
	s_mov_b32 s9, exec_lo
	v_readlane_b32 s2, v53, 6
	s_and_b32 s2, s9, s2
	s_mov_b32 exec_lo, s2
	s_cbranch_execz .LBB213_58
; %bb.47:                               ;   in Loop: Header=BB213_31 Depth=1
	global_load_ushort v4, v3, s[64:65]
	global_load_ushort v11, v[12:13], off
	v_mov_b32_e32 v8, v0
	s_mov_b32 s11, exec_lo
	s_waitcnt vmcnt(1)
	v_add_nc_u32_sdwa v2, v4, v0 dst_sel:DWORD dst_unused:UNUSED_PAD src0_sel:WORD_0 src1_sel:DWORD
	v_readfirstlane_b32 s2, v4
	v_cmpx_gt_u64_e64 s[36:37], v[2:3]
	s_cbranch_execz .LBB213_57
; %bb.48:                               ;   in Loop: Header=BB213_31 Depth=1
	s_and_b32 s2, s2, 0xffff
	v_readlane_b32 s12, v53, 7
	v_mov_b32_e32 v7, v1
	s_cmp_eq_u32 s2, 1
	v_mov_b32_e32 v5, v3
	v_mov_b32_e32 v6, v0
	;; [unrolled: 1-line block ×3, first 2 shown]
	s_cselect_b32 s6, -1, 0
                                        ; implicit-def: $vgpr8_vgpr9
	s_and_b32 s13, s12, s6
	s_mov_b32 s6, -1
	s_and_saveexec_b32 s12, s13
	s_cbranch_execz .LBB213_52
; %bb.49:                               ;   in Loop: Header=BB213_31 Depth=1
	v_add_co_u32 v4, s6, v2, 1
	v_add_co_ci_u32_e64 v5, null, 0, 0, s6
	v_mov_b32_e32 v8, v16
	s_waitcnt vmcnt(0)
	v_lshlrev_b32_e32 v31, 16, v11
	v_mov_b32_e32 v9, v17
	v_mov_b32_e32 v7, v5
	;; [unrolled: 1-line block ×6, first 2 shown]
	s_mov_b32 s13, 0
.LBB213_50:                             ;   Parent Loop BB213_31 Depth=1
                                        ; =>  This Inner Loop Header: Depth=2
	v_mul_lo_u32 v11, v5, s96
	v_mul_lo_u32 v36, v4, s97
	v_mad_u64_u32 v[32:33], null, v4, s96, 0
	v_mul_lo_u32 v37, v7, s30
	v_mul_lo_u32 v38, v6, s31
	v_mad_u64_u32 v[34:35], null, v6, s30, 0
	v_add3_u32 v33, v33, v36, v11
	v_add3_u32 v35, v35, v38, v37
	v_lshlrev_b64 v[32:33], 1, v[32:33]
	v_lshlrev_b64 v[34:35], 1, v[34:35]
	v_add_co_u32 v32, vcc_lo, s86, v32
	v_add_co_ci_u32_e64 v33, null, s87, v33, vcc_lo
	v_add_co_u32 v34, vcc_lo, s86, v34
	v_add_co_ci_u32_e64 v35, null, s87, v35, vcc_lo
	s_clause 0x1
	global_load_ushort v32, v[32:33], off
	global_load_ushort v11, v[34:35], off
	v_add_co_u32 v8, vcc_lo, v8, -2
	v_add_co_ci_u32_e64 v9, null, -1, v9, vcc_lo
	v_add_co_u32 v6, vcc_lo, v6, 2
	v_add_co_ci_u32_e64 v7, null, 0, v7, vcc_lo
	v_cmp_eq_u64_e64 s6, 0, v[8:9]
	v_add_co_u32 v4, vcc_lo, v4, 2
	v_add_co_ci_u32_e64 v5, null, 0, v5, vcc_lo
	s_or_b32 s13, s6, s13
	s_waitcnt vmcnt(1)
	v_alignbit_b32 v31, v32, v31, 16
	s_waitcnt vmcnt(0)
	v_perm_b32 v32, v11, v32, 0x5040100
	ds_write_b32 v10, v31
	v_add_nc_u32_e32 v10, 4, v10
	v_mov_b32_e32 v31, v32
	s_andn2_b32 exec_lo, exec_lo, s13
	s_cbranch_execnz .LBB213_50
; %bb.51:                               ;   in Loop: Header=BB213_31 Depth=1
	s_or_b32 exec_lo, exec_lo, s13
	v_add_co_u32 v4, vcc_lo, v2, v16
	v_readlane_b32 s6, v53, 10
	v_add_co_ci_u32_e64 v5, null, 0, v17, vcc_lo
	v_add_co_u32 v8, vcc_lo, v4, -1
	v_mov_b32_e32 v6, v18
	s_orn2_b32 s6, s6, exec_lo
	v_add_co_ci_u32_e64 v2, null, -1, v5, vcc_lo
	v_mov_b32_e32 v7, v19
.LBB213_52:                             ;   in Loop: Header=BB213_31 Depth=1
	s_or_b32 exec_lo, exec_lo, s12
	s_and_saveexec_b32 s12, s6
	s_cbranch_execz .LBB213_56
; %bb.53:                               ;   in Loop: Header=BB213_31 Depth=1
	v_readlane_b32 s14, v53, 12
	v_readlane_b32 s15, v53, 13
	v_mul_lo_u32 v2, s68, v5
	v_mul_lo_u32 v7, s69, v4
	s_mul_i32 s6, s69, s2
	s_sub_u32 s13, 0, s2
	v_mad_u64_u32 v[9:10], null, s68, v4, s[14:15]
	s_mul_hi_u32 s15, s68, s2
	s_subb_u32 s14, 0, 0
	s_add_i32 s15, s15, s6
	s_mul_i32 s16, s68, s2
	s_mov_b32 s17, 0
	v_add3_u32 v10, v7, v10, v2
	.p2align	6
.LBB213_54:                             ;   Parent Loop BB213_31 Depth=1
                                        ; =>  This Inner Loop Header: Depth=2
	s_waitcnt vmcnt(0)
	v_mov_b32_e32 v2, v11
	global_load_ushort v11, v[9:10], off
	v_mov_b32_e32 v32, v5
	v_mov_b32_e32 v31, v4
	v_lshlrev_b32_e32 v33, 1, v6
	v_add_co_u32 v4, vcc_lo, v31, s2
	v_add_co_ci_u32_e64 v5, null, 0, v32, vcc_lo
	v_add_co_u32 v9, vcc_lo, v9, s16
	v_add_co_ci_u32_e64 v10, null, s15, v10, vcc_lo
	v_cmp_le_u64_e32 vcc_lo, s[36:37], v[4:5]
	v_add_co_u32 v8, s6, s13, v4
	v_add_co_ci_u32_e64 v6, null, s14, v5, s6
	v_mov_b32_e32 v6, v31
	s_or_b32 s17, vcc_lo, s17
	v_mov_b32_e32 v7, v32
	ds_write_b16 v33, v2
	s_andn2_b32 exec_lo, exec_lo, s17
	s_cbranch_execnz .LBB213_54
; %bb.55:                               ;   in Loop: Header=BB213_31 Depth=1
	s_or_b32 exec_lo, exec_lo, s17
.LBB213_56:                             ;   in Loop: Header=BB213_31 Depth=1
	s_or_b32 exec_lo, exec_lo, s12
.LBB213_57:                             ;   in Loop: Header=BB213_31 Depth=1
	s_or_b32 exec_lo, exec_lo, s11
	v_lshlrev_b32_e32 v2, 1, v8
	s_waitcnt vmcnt(0)
	ds_write_b16 v2, v11
.LBB213_58:                             ;   in Loop: Header=BB213_31 Depth=1
	s_or_b32 exec_lo, exec_lo, s9
	s_waitcnt lgkmcnt(0)
	s_barrier
	buffer_gl0_inv
	s_and_saveexec_b32 s2, s3
; %bb.59:                               ;   in Loop: Header=BB213_31 Depth=1
	v_mov_b32_e32 v4, s36
	v_mov_b32_e32 v5, s37
	ds_write_b64 v3, v[4:5] offset:5120
; %bb.60:                               ;   in Loop: Header=BB213_31 Depth=1
	s_or_b32 exec_lo, exec_lo, s2
	s_waitcnt lgkmcnt(0)
	s_mov_b32 s6, -1
	s_barrier
.LBB213_61:                             ;   in Loop: Header=BB213_31 Depth=1
	s_and_b32 vcc_lo, exec_lo, s6
	s_mov_b64 s[72:73], 0
	s_cbranch_vccz .LBB213_63
; %bb.62:                               ;   in Loop: Header=BB213_31 Depth=1
	buffer_gl0_inv
	ds_read_b64 v[4:5], v3 offset:5120
	s_waitcnt lgkmcnt(0)
	v_readfirstlane_b32 s72, v4
.LBB213_63:                             ;   in Loop: Header=BB213_31 Depth=1
	s_cmp_lt_i32 s72, 1
	s_mov_b32 s2, -1
                                        ; implicit-def: $vgpr4_vgpr5
                                        ; implicit-def: $vgpr8_vgpr9
	s_cbranch_scc1 .LBB213_73
; %bb.64:                               ;   in Loop: Header=BB213_31 Depth=1
	s_and_b32 vcc_lo, exec_lo, s2
	s_cbranch_vccnz .LBB213_87
.LBB213_65:                             ;   in Loop: Header=BB213_31 Depth=1
	s_lshl_b32 s2, s46, 7
	s_and_saveexec_b32 s6, s0
	s_cbranch_execz .LBB213_67
.LBB213_66:                             ;   in Loop: Header=BB213_31 Depth=1
	v_lshl_add_u32 v2, s2, 3, v45
	ds_write_b128 v2, v[4:7]
	ds_write_b128 v2, v[8:11] offset:16
.LBB213_67:                             ;   in Loop: Header=BB213_31 Depth=1
	s_or_b32 exec_lo, exec_lo, s6
	s_waitcnt lgkmcnt(0)
	s_barrier
	buffer_gl0_inv
	s_and_saveexec_b32 s6, s89
	s_cbranch_execz .LBB213_102
; %bb.68:                               ;   in Loop: Header=BB213_31 Depth=1
	v_mov_b32_e32 v4, 0
	v_mov_b32_e32 v5, 0
	s_andn2_b32 vcc_lo, exec_lo, s92
	s_cbranch_vccnz .LBB213_101
; %bb.69:                               ;   in Loop: Header=BB213_31 Depth=1
	v_readlane_b32 s9, v53, 8
	v_mov_b32_e32 v4, 0
	v_mov_b32_e32 v5, 0
	s_andn2_b32 vcc_lo, exec_lo, s9
	s_cbranch_vccnz .LBB213_97
; %bb.70:                               ;   in Loop: Header=BB213_31 Depth=1
	v_lshl_add_u32 v2, s46, 10, v48
	s_mov_b32 s9, 0
	s_inst_prefetch 0x1
	.p2align	6
.LBB213_71:                             ;   Parent Loop BB213_31 Depth=1
                                        ; =>  This Inner Loop Header: Depth=2
	ds_read2_b64 v[6:9], v2 offset1:4
	ds_read2_b64 v[31:34], v2 offset0:8 offset1:12
	ds_read2_b64 v[35:38], v2 offset0:16 offset1:20
	s_add_i32 s9, s9, 8
	s_cmp_eq_u32 s91, s9
	s_waitcnt lgkmcnt(2)
	v_add_co_u32 v4, vcc_lo, v6, v4
	v_add_co_ci_u32_e64 v5, null, v7, v5, vcc_lo
	v_add_co_u32 v8, vcc_lo, v8, v4
	v_add_co_ci_u32_e64 v9, null, v9, v5, vcc_lo
	ds_read2_b64 v[4:7], v2 offset0:24 offset1:28
	s_waitcnt lgkmcnt(2)
	v_add_co_u32 v8, vcc_lo, v31, v8
	v_add_co_ci_u32_e64 v9, null, v32, v9, vcc_lo
	v_add_nc_u32_e32 v2, 0x100, v2
	v_add_co_u32 v8, vcc_lo, v33, v8
	v_add_co_ci_u32_e64 v9, null, v34, v9, vcc_lo
	s_waitcnt lgkmcnt(1)
	v_add_co_u32 v8, vcc_lo, v35, v8
	v_add_co_ci_u32_e64 v9, null, v36, v9, vcc_lo
	v_add_co_u32 v8, vcc_lo, v37, v8
	v_add_co_ci_u32_e64 v9, null, v38, v9, vcc_lo
	s_waitcnt lgkmcnt(0)
	v_add_co_u32 v4, vcc_lo, v4, v8
	v_add_co_ci_u32_e64 v5, null, v5, v9, vcc_lo
	v_add_co_u32 v4, vcc_lo, v6, v4
	v_add_co_ci_u32_e64 v5, null, v7, v5, vcc_lo
	s_cbranch_scc0 .LBB213_71
; %bb.72:                               ;   in Loop: Header=BB213_31 Depth=1
	s_inst_prefetch 0x2
	s_mov_b32 s9, s91
	s_branch .LBB213_98
.LBB213_73:                             ;   in Loop: Header=BB213_31 Depth=1
	global_load_ushort v2, v3, s[64:65]
	s_mov_b32 s12, s61
	s_mov_b32 s13, s37
	s_waitcnt vmcnt(0)
	v_readfirstlane_b32 s2, v2
	s_and_b32 s49, s2, 0xffff
	s_lshl_b32 s62, s49, 2
	s_cmp_lg_u64 s[12:13], 0
	s_cbranch_scc0 .LBB213_96
; %bb.74:                               ;   in Loop: Header=BB213_31 Depth=1
	v_cvt_f32_u32_e32 v2, s62
	s_sub_u32 s9, 0, s62
	s_subb_u32 s11, 0, 0
	v_fmac_f32_e64 v2, 0x4f800000, 0
	v_rcp_f32_e32 v2, v2
	v_mul_f32_e32 v2, 0x5f7ffffc, v2
	v_mul_f32_e32 v4, 0x2f800000, v2
	v_trunc_f32_e32 v4, v4
	v_fmac_f32_e32 v2, 0xcf800000, v4
	v_cvt_u32_f32_e32 v4, v4
	v_cvt_u32_f32_e32 v2, v2
	v_readfirstlane_b32 s2, v4
	v_readfirstlane_b32 s6, v2
	s_mul_i32 s12, s9, s2
	s_mul_hi_u32 s14, s9, s6
	s_mul_i32 s13, s11, s6
	s_add_i32 s12, s14, s12
	s_mul_i32 s15, s9, s6
	s_add_i32 s12, s12, s13
	s_mul_hi_u32 s14, s6, s15
	s_mul_i32 s17, s6, s12
	s_mul_hi_u32 s16, s2, s15
	s_mul_i32 s13, s2, s15
	s_mul_hi_u32 s15, s6, s12
	s_add_u32 s14, s14, s17
	s_addc_u32 s15, 0, s15
	s_mul_hi_u32 s18, s2, s12
	s_add_u32 s13, s14, s13
	s_mul_i32 s12, s2, s12
	s_addc_u32 s13, s15, s16
	s_addc_u32 s14, s18, 0
	s_add_u32 s12, s13, s12
	s_addc_u32 s13, 0, s14
	s_add_u32 s6, s6, s12
	s_cselect_b32 s12, -1, 0
	s_mul_hi_u32 s14, s9, s6
	s_cmp_lg_u32 s12, 0
	s_mul_i32 s12, s9, s6
	s_addc_u32 s2, s2, s13
	s_mul_i32 s11, s11, s6
	s_mul_i32 s9, s9, s2
	s_mul_hi_u32 s13, s6, s12
	s_add_i32 s9, s14, s9
	s_mul_hi_u32 s14, s2, s12
	s_add_i32 s9, s9, s11
	s_mul_i32 s11, s2, s12
	s_mul_i32 s16, s6, s9
	s_mul_hi_u32 s15, s6, s9
	s_add_u32 s13, s13, s16
	s_addc_u32 s15, 0, s15
	s_mul_hi_u32 s12, s2, s9
	s_add_u32 s11, s13, s11
	s_mul_i32 s9, s2, s9
	s_addc_u32 s11, s15, s14
	s_addc_u32 s12, s12, 0
	s_add_u32 s9, s11, s9
	s_addc_u32 s11, 0, s12
	s_add_u32 s6, s6, s9
	s_cselect_b32 s9, -1, 0
	s_mul_hi_u32 s12, s36, s6
	s_cmp_lg_u32 s9, 0
	s_mul_hi_u32 s9, s37, s6
	s_addc_u32 s2, s2, s11
	s_mul_i32 s6, s37, s6
	s_mul_i32 s13, s36, s2
	s_mul_hi_u32 s11, s36, s2
	s_add_u32 s12, s12, s13
	s_addc_u32 s11, 0, s11
	s_mul_hi_u32 s14, s37, s2
	s_add_u32 s6, s12, s6
	s_mul_i32 s2, s37, s2
	s_addc_u32 s6, s11, s9
	s_addc_u32 s9, s14, 0
	s_add_u32 s2, s6, s2
	s_addc_u32 s6, 0, s9
	s_mul_hi_u32 s9, s62, s2
	s_mul_i32 s6, s62, s6
	s_mul_i32 s2, s62, s2
	s_add_i32 s9, s9, s6
	s_sub_u32 s2, s36, s2
	s_cselect_b32 s6, -1, 0
	s_cmp_lg_u32 s6, 0
	s_subb_u32 s6, s37, s9
	s_sub_u32 s9, s2, s62
	s_cselect_b32 s11, -1, 0
	s_cmp_lg_u32 s11, 0
	s_subb_u32 s11, s6, 0
	;; [unrolled: 4-line block ×3, first 2 shown]
	s_cmp_ge_u32 s9, s62
	s_cselect_b32 s14, -1, 0
	s_cmp_eq_u32 s11, 0
	s_cselect_b32 s14, s14, -1
	s_cmp_lg_u32 s14, 0
	s_cselect_b32 s11, s13, s11
	s_cselect_b32 s9, s12, s9
	s_cmp_ge_u32 s2, s62
	s_cselect_b32 s12, -1, 0
	s_cmp_eq_u32 s6, 0
	s_cselect_b32 s12, s12, -1
	s_cmp_lg_u32 s12, 0
	s_cselect_b32 s13, s11, s6
	s_cselect_b32 s12, s9, s2
	s_cbranch_execnz .LBB213_76
.LBB213_75:                             ;   in Loop: Header=BB213_31 Depth=1
	v_cvt_f32_u32_e32 v2, s62
	s_sub_i32 s6, 0, s62
	v_rcp_iflag_f32_e32 v2, v2
	v_mul_f32_e32 v2, 0x4f7ffffe, v2
	v_cvt_u32_f32_e32 v2, v2
	v_readfirstlane_b32 s2, v2
	s_mul_i32 s6, s6, s2
	s_mul_hi_u32 s6, s2, s6
	s_add_i32 s2, s2, s6
	s_mul_hi_u32 s2, s36, s2
	s_mul_i32 s2, s2, s62
	s_sub_i32 s2, s36, s2
	s_sub_i32 s6, s2, s62
	s_cmp_ge_u32 s2, s62
	s_cselect_b32 s2, s6, s2
	s_sub_i32 s6, s2, s62
	s_cmp_ge_u32 s2, s62
	s_cselect_b32 s60, s6, s2
	s_mov_b64 s[12:13], s[60:61]
.LBB213_76:                             ;   in Loop: Header=BB213_31 Depth=1
	v_mov_b32_e32 v4, 0
	v_mov_b32_e32 v6, 0
	;; [unrolled: 1-line block ×8, first 2 shown]
	s_sub_u32 s74, s36, s12
	s_subb_u32 s75, s37, s13
	s_mov_b32 s60, exec_lo
	v_cmpx_gt_u64_e64 s[74:75], v[14:15]
	s_cbranch_execz .LBB213_80
; %bb.77:                               ;   in Loop: Header=BB213_31 Depth=1
	v_mov_b32_e32 v32, v26
	v_mov_b32_e32 v34, v24
	;; [unrolled: 1-line block ×10, first 2 shown]
	s_mul_i32 s2, s71, s49
	s_mul_hi_u32 s6, s70, s49
	s_mul_i32 s84, s70, s49
	s_add_i32 s73, s6, s2
	s_mov_b64 s[76:77], 0
	s_mov_b32 s85, 0
	s_mov_b64 s[78:79], 0
	s_mov_b64 s[80:81], 0
	;; [unrolled: 1-line block ×3, first 2 shown]
.LBB213_78:                             ;   Parent Loop BB213_31 Depth=1
                                        ; =>  This Inner Loop Header: Depth=2
	v_add_co_u32 v4, vcc_lo, v31, s50
	v_add_co_ci_u32_e64 v5, null, s51, v32, vcc_lo
	global_load_ushort v2, v[4:5], off
	v_add_co_u32 v4, vcc_lo, v33, s50
	v_add_co_ci_u32_e64 v5, null, s51, v34, vcc_lo
	global_load_ushort v6, v[4:5], off
	;; [unrolled: 3-line block ×4, first 2 shown]
	s_waitcnt vmcnt(3)
	v_cmp_lt_i16_e32 vcc_lo, -1, v2
	v_cmp_o_f16_e64 s6, v2, v2
	v_cndmask_b32_e32 v5, 0xffff, v49, vcc_lo
	s_waitcnt vmcnt(2)
	v_cmp_lt_i16_e32 vcc_lo, -1, v6
	v_cmp_o_f16_e64 s9, v6, v6
	v_xor_b32_sdwa v2, v5, v2 dst_sel:DWORD dst_unused:UNUSED_PAD src0_sel:DWORD src1_sel:WORD_0
	v_cndmask_b32_e32 v5, 0xffff, v49, vcc_lo
	v_cndmask_b32_e64 v2, 0xffff, v2, s6
	s_waitcnt vmcnt(1)
	v_cmp_lt_i16_e32 vcc_lo, -1, v7
	v_cmp_o_f16_e64 s11, v7, v7
	v_xor_b32_sdwa v5, v5, v6 dst_sel:DWORD dst_unused:UNUSED_PAD src0_sel:DWORD src1_sel:WORD_0
	v_cndmask_b32_e32 v6, 0xffff, v49, vcc_lo
	v_cndmask_b32_e64 v5, 0xffff, v5, s9
	;; [unrolled: 6-line block ×3, first 2 shown]
	v_xor_b32_sdwa v4, v7, v4 dst_sel:DWORD dst_unused:UNUSED_PAD src0_sel:DWORD src1_sel:WORD_0
	v_and_b32_e32 v7, v2, v51
	v_bfe_u32 v2, v2, s54, 2
	v_cndmask_b32_e64 v4, 0xffff, v4, s12
	v_cmp_eq_u32_e32 vcc_lo, v7, v47
	v_cmp_eq_u32_e64 s12, 0, v2
	v_cmp_eq_u32_e64 s13, 1, v2
	;; [unrolled: 1-line block ×4, first 2 shown]
	v_bfe_u32 v2, v5, s54, 2
	v_and_b32_e32 v7, v5, v51
	s_and_b32 s2, vcc_lo, s12
	v_cmp_eq_u32_e64 s16, 0, v2
	v_cmp_eq_u32_e64 s17, 1, v2
	;; [unrolled: 1-line block ×4, first 2 shown]
	v_bfe_u32 v2, v6, s54, 2
	v_cmp_eq_u32_e64 s6, v7, v47
	v_and_b32_e32 v7, v6, v51
	v_cmp_eq_u32_e64 s20, 0, v2
	v_cmp_eq_u32_e64 s21, 1, v2
	;; [unrolled: 1-line block ×4, first 2 shown]
	v_bfe_u32 v2, v4, s54, 2
	v_cmp_eq_u32_e64 s9, v7, v47
	v_and_b32_e32 v7, v4, v51
	v_cmp_eq_u32_e64 s24, 0, v2
	v_cmp_eq_u32_e64 s25, 1, v2
	;; [unrolled: 1-line block ×4, first 2 shown]
	v_cndmask_b32_e64 v2, 0, 1, s2
	s_and_b32 s2, s6, s16
	v_cmp_eq_u32_e64 s11, v7, v47
	v_cmp_ne_u32_e64 s12, 0, v2
	v_cndmask_b32_e64 v2, 0, 1, s2
	s_and_b32 s2, s9, s20
	v_cmp_ne_u32_e64 s16, 0, v2
	v_cndmask_b32_e64 v2, 0, 1, s2
	s_and_b32 s2, s11, s24
	v_cmp_ne_u32_e64 s20, 0, v2
	v_cndmask_b32_e64 v2, 0, 1, s2
	s_bcnt1_i32_b32 s2, s12
	s_bcnt1_i32_b32 s12, s16
	;; [unrolled: 1-line block ×3, first 2 shown]
	v_cmp_ne_u32_e64 s24, 0, v2
	s_add_i32 s2, s12, s2
	s_add_i32 s2, s2, s16
	s_bcnt1_i32_b32 s20, s24
	s_add_i32 s2, s2, s20
	s_add_u32 s82, s82, s2
	s_addc_u32 s83, s83, 0
	s_and_b32 s2, vcc_lo, s13
	v_mov_b32_e32 v4, s82
	v_cndmask_b32_e64 v2, 0, 1, s2
	s_and_b32 s2, s6, s17
	v_mov_b32_e32 v5, s83
	v_cmp_ne_u32_e64 s12, 0, v2
	v_cndmask_b32_e64 v2, 0, 1, s2
	s_and_b32 s2, s9, s21
	v_cmp_ne_u32_e64 s13, 0, v2
	v_cndmask_b32_e64 v2, 0, 1, s2
	s_and_b32 s2, s11, s25
	v_cmp_ne_u32_e64 s16, 0, v2
	v_cndmask_b32_e64 v2, 0, 1, s2
	s_bcnt1_i32_b32 s2, s12
	s_bcnt1_i32_b32 s12, s13
	;; [unrolled: 1-line block ×3, first 2 shown]
	v_cmp_ne_u32_e64 s17, 0, v2
	s_add_i32 s2, s12, s2
	s_add_i32 s2, s2, s13
	s_bcnt1_i32_b32 s16, s17
	s_add_i32 s2, s2, s16
	s_add_u32 s80, s80, s2
	s_addc_u32 s81, s81, 0
	s_and_b32 s2, vcc_lo, s14
	v_mov_b32_e32 v6, s80
	v_cndmask_b32_e64 v2, 0, 1, s2
	s_and_b32 s2, s6, s18
	v_mov_b32_e32 v7, s81
	v_cmp_ne_u32_e64 s12, 0, v2
	v_cndmask_b32_e64 v2, 0, 1, s2
	s_and_b32 s2, s9, s22
	v_cmp_ne_u32_e64 s13, 0, v2
	v_cndmask_b32_e64 v2, 0, 1, s2
	s_and_b32 s2, s11, s26
	v_cmp_ne_u32_e64 s14, 0, v2
	v_cndmask_b32_e64 v2, 0, 1, s2
	s_bcnt1_i32_b32 s2, s12
	s_bcnt1_i32_b32 s12, s13
	;; [unrolled: 1-line block ×3, first 2 shown]
	v_cmp_ne_u32_e64 s16, 0, v2
	s_add_i32 s2, s12, s2
	v_add_co_u32 v39, s12, v39, s62
	s_add_i32 s2, s2, s13
	s_bcnt1_i32_b32 s14, s16
	v_add_co_ci_u32_e64 v40, null, 0, v40, s12
	s_add_i32 s2, s2, s14
	v_add_co_u32 v37, s13, v37, s84
	s_add_u32 s78, s78, s2
	s_addc_u32 s79, s79, 0
	s_and_b32 s2, vcc_lo, s15
	v_cmp_le_u64_e64 s12, s[74:75], v[39:40]
	v_cndmask_b32_e64 v2, 0, 1, s2
	s_and_b32 s2, s6, s19
	v_add_co_u32 v35, s14, v35, s84
	v_add_co_u32 v33, s15, v33, s84
	v_cmp_ne_u32_e32 vcc_lo, 0, v2
	v_cndmask_b32_e64 v2, 0, 1, s2
	s_and_b32 s2, s9, s23
	v_add_co_u32 v31, s16, v31, s84
	v_mov_b32_e32 v8, s78
	v_cmp_ne_u32_e64 s6, 0, v2
	v_cndmask_b32_e64 v2, 0, 1, s2
	s_and_b32 s2, s11, s27
	v_add_co_ci_u32_e64 v38, null, s73, v38, s13
	s_bcnt1_i32_b32 s6, s6
	v_cmp_ne_u32_e64 s9, 0, v2
	v_cndmask_b32_e64 v2, 0, 1, s2
	s_bcnt1_i32_b32 s2, vcc_lo
	v_add_co_ci_u32_e64 v36, null, s73, v36, s14
	s_bcnt1_i32_b32 s9, s9
	v_cmp_ne_u32_e64 s11, 0, v2
	s_add_i32 s2, s6, s2
	v_add_co_ci_u32_e64 v34, null, s73, v34, s15
	s_add_i32 s2, s2, s9
	s_bcnt1_i32_b32 s11, s11
	v_add_co_ci_u32_e64 v32, null, s73, v32, s16
	s_add_i32 s2, s2, s11
	v_mov_b32_e32 v9, s79
	s_add_u32 s76, s76, s2
	s_addc_u32 s77, s77, 0
	v_mov_b32_e32 v10, s76
	v_mov_b32_e32 v11, s77
	s_or_b32 s85, s12, s85
	s_andn2_b32 exec_lo, exec_lo, s85
	s_cbranch_execnz .LBB213_78
; %bb.79:                               ;   in Loop: Header=BB213_31 Depth=1
	s_or_b32 exec_lo, exec_lo, s85
.LBB213_80:                             ;   in Loop: Header=BB213_31 Depth=1
	s_or_b32 exec_lo, exec_lo, s60
	v_add_co_u32 v31, s2, s74, v0
	v_add_co_ci_u32_e64 v32, null, s75, 0, s2
	s_mov_b32 s2, exec_lo
	v_cmpx_gt_u64_e64 s[36:37], v[31:32]
	s_cbranch_execz .LBB213_86
; %bb.81:                               ;   in Loop: Header=BB213_31 Depth=1
	v_mul_lo_u32 v2, v32, s30
	v_mul_lo_u32 v35, v31, s31
	v_mad_u64_u32 v[33:34], null, v31, s30, 0
	s_mov_b32 s13, 0
	v_add3_u32 v34, v34, v35, v2
	v_lshlrev_b64 v[33:34], 1, v[33:34]
	v_add_co_u32 v33, vcc_lo, s86, v33
	v_add_co_ci_u32_e64 v34, null, s87, v34, vcc_lo
	global_load_ushort v33, v[33:34], off
	s_branch .LBB213_83
.LBB213_82:                             ;   in Loop: Header=BB213_83 Depth=2
	s_or_b32 exec_lo, exec_lo, s9
	s_waitcnt vmcnt(0)
	v_cmp_lt_i16_e64 s6, -1, v33
	s_and_b32 s9, exec_lo, vcc_lo
	s_or_b32 s13, s9, s13
	v_cndmask_b32_e64 v34, 0xffff, v49, s6
	v_cmp_o_f16_e64 s6, v33, v33
	v_xor_b32_sdwa v34, v34, v33 dst_sel:DWORD dst_unused:UNUSED_PAD src0_sel:DWORD src1_sel:WORD_0
	v_cndmask_b32_e64 v33, 0xffff, v34, s6
	v_and_b32_e32 v34, v33, v51
	v_bfe_u32 v33, v33, s54, 2
	v_cmp_eq_u32_e32 vcc_lo, v34, v47
	v_cmp_eq_u32_e64 s6, 0, v33
	v_cmp_eq_u32_e64 s9, 1, v33
	;; [unrolled: 1-line block ×4, first 2 shown]
	s_and_b32 s6, vcc_lo, s6
	v_cndmask_b32_e64 v33, 0, 1, s6
	s_and_b32 s6, vcc_lo, s9
	v_cndmask_b32_e64 v34, 0, 1, s6
	;; [unrolled: 2-line block ×3, first 2 shown]
	s_and_b32 s6, vcc_lo, s12
	v_cmp_ne_u32_e32 vcc_lo, 0, v33
	v_cndmask_b32_e64 v36, 0, 1, s6
	v_cmp_ne_u32_e64 s6, 0, v34
	v_cmp_ne_u32_e64 s9, 0, v35
	v_mov_b32_e32 v33, v2
	s_bcnt1_i32_b32 s12, vcc_lo
	v_cmp_ne_u32_e64 s11, 0, v36
	s_bcnt1_i32_b32 s6, s6
	v_add_co_u32 v4, vcc_lo, v4, s12
	s_bcnt1_i32_b32 s9, s9
	v_add_co_ci_u32_e64 v5, null, 0, v5, vcc_lo
	v_add_co_u32 v6, vcc_lo, v6, s6
	v_add_co_ci_u32_e64 v7, null, 0, v7, vcc_lo
	v_add_co_u32 v8, vcc_lo, v8, s9
	s_bcnt1_i32_b32 s6, s11
	v_add_co_ci_u32_e64 v9, null, 0, v9, vcc_lo
	v_add_co_u32 v10, vcc_lo, v10, s6
	v_add_co_ci_u32_e64 v11, null, 0, v11, vcc_lo
	s_andn2_b32 exec_lo, exec_lo, s13
	s_cbranch_execz .LBB213_85
.LBB213_83:                             ;   Parent Loop BB213_31 Depth=1
                                        ; =>  This Inner Loop Header: Depth=2
	v_add_co_u32 v31, vcc_lo, v31, s49
	v_add_co_ci_u32_e64 v32, null, 0, v32, vcc_lo
	v_mov_b32_e32 v2, 0
	s_mov_b32 s9, exec_lo
	v_cmp_le_u64_e32 vcc_lo, s[36:37], v[31:32]
	v_cmpx_gt_u64_e64 s[36:37], v[31:32]
	s_cbranch_execz .LBB213_82
; %bb.84:                               ;   in Loop: Header=BB213_83 Depth=2
	v_mul_lo_u32 v2, v32, s30
	v_mul_lo_u32 v36, v31, s31
	v_mad_u64_u32 v[34:35], null, v31, s30, 0
	v_add3_u32 v35, v35, v36, v2
	v_lshlrev_b64 v[34:35], 1, v[34:35]
	v_add_co_u32 v34, s6, s86, v34
	v_add_co_ci_u32_e64 v35, null, s87, v35, s6
	global_load_ushort v2, v[34:35], off
	s_branch .LBB213_82
.LBB213_85:                             ;   in Loop: Header=BB213_31 Depth=1
	s_or_b32 exec_lo, exec_lo, s13
.LBB213_86:                             ;   in Loop: Header=BB213_31 Depth=1
	s_or_b32 exec_lo, exec_lo, s2
	s_branch .LBB213_65
.LBB213_87:                             ;   in Loop: Header=BB213_31 Depth=1
	global_load_ushort v2, v3, s[64:65]
	v_mov_b32_e32 v6, 0
	v_mov_b32_e32 v8, 0
	;; [unrolled: 1-line block ×6, first 2 shown]
	s_mov_b32 s62, exec_lo
	s_waitcnt vmcnt(0)
	v_readfirstlane_b32 s2, v2
	s_and_b32 s49, 0xffff, s2
	s_lshl_b32 s60, s49, 2
	v_cvt_f32_u32_e32 v4, s60
	s_sub_i32 s6, 0, s60
	v_rcp_iflag_f32_e32 v4, v4
	v_mul_f32_e32 v4, 0x4f7ffffe, v4
	v_cvt_u32_f32_e32 v4, v4
	v_readfirstlane_b32 s2, v4
	v_mov_b32_e32 v4, 0
	v_mov_b32_e32 v5, 0
	s_mul_i32 s6, s6, s2
	s_mul_hi_u32 s6, s2, s6
	s_add_i32 s2, s2, s6
	s_mul_hi_u32 s2, s72, s2
	s_mul_i32 s6, s2, s60
	s_add_i32 s9, s2, 1
	s_sub_i32 s6, s72, s6
	s_sub_i32 s11, s6, s60
	s_cmp_ge_u32 s6, s60
	s_cselect_b32 s2, s9, s2
	s_cselect_b32 s6, s11, s6
	s_add_i32 s9, s2, 1
	s_cmp_ge_u32 s6, s60
	s_cselect_b32 s2, s9, s2
	s_mul_hi_u32 s75, s49, s2
	s_mul_i32 s74, s49, s2
	s_lshl_b64 s[76:77], s[74:75], 2
	v_cmpx_gt_u64_e64 s[76:77], v[14:15]
	s_cbranch_execz .LBB213_91
; %bb.88:                               ;   in Loop: Header=BB213_31 Depth=1
	v_mov_b32_e32 v32, v15
	v_mov_b32_e32 v33, v46
	;; [unrolled: 1-line block ×3, first 2 shown]
	s_lshl_b32 s73, s49, 3
	s_mov_b64 s[78:79], 0
	s_mov_b32 s75, 0
	s_mov_b64 s[80:81], 0
	s_mov_b64 s[82:83], 0
	;; [unrolled: 1-line block ×3, first 2 shown]
.LBB213_89:                             ;   Parent Loop BB213_31 Depth=1
                                        ; =>  This Inner Loop Header: Depth=2
	ds_read_b64 v[4:5], v33
	v_add_nc_u32_e32 v33, s73, v33
	s_waitcnt lgkmcnt(0)
	v_cmp_lt_i16_e32 vcc_lo, -1, v4
	v_cmp_gt_i16_sdwa s6, v4, v50 src0_sel:WORD_1 src1_sel:DWORD
	v_cmp_lt_i16_e64 s9, -1, v5
	v_cmp_gt_i16_sdwa s11, v5, v50 src0_sel:WORD_1 src1_sel:DWORD
	v_cmp_o_f16_e64 s15, v4, v4
	v_cndmask_b32_e32 v6, 0xffff, v49, vcc_lo
	v_cndmask_b32_e64 v7, 0xffff, v49, s6
	v_cmp_o_f16_sdwa s12, v4, v4 src0_sel:WORD_1 src1_sel:WORD_1
	v_cndmask_b32_e64 v8, 0xffff, v49, s11
	v_cmp_o_f16_e64 s13, v5, v5
	v_xor_b32_sdwa v6, v6, v4 dst_sel:DWORD dst_unused:UNUSED_PAD src0_sel:DWORD src1_sel:WORD_0
	v_xor_b32_sdwa v4, v7, v4 dst_sel:DWORD dst_unused:UNUSED_PAD src0_sel:DWORD src1_sel:WORD_1
	v_cndmask_b32_e64 v7, 0xffff, v49, s9
	v_cmp_o_f16_sdwa s14, v5, v5 src0_sel:WORD_1 src1_sel:WORD_1
	v_cndmask_b32_e64 v6, 0xffff, v6, s15
	v_cndmask_b32_e64 v4, 0xffff, v4, s12
	v_xor_b32_sdwa v7, v7, v5 dst_sel:DWORD dst_unused:UNUSED_PAD src0_sel:DWORD src1_sel:WORD_0
	v_xor_b32_sdwa v5, v8, v5 dst_sel:DWORD dst_unused:UNUSED_PAD src0_sel:DWORD src1_sel:WORD_1
	v_and_b32_e32 v8, v6, v51
	v_bfe_u32 v6, v6, s54, 2
	v_cndmask_b32_e64 v7, 0xffff, v7, s13
	v_cndmask_b32_e64 v5, 0xffff, v5, s14
	v_cmp_eq_u32_e32 vcc_lo, v8, v47
	v_and_b32_e32 v8, v4, v51
	v_bfe_u32 v4, v4, s54, 2
	v_cmp_eq_u32_e64 s12, 0, v6
	v_cmp_eq_u32_e64 s13, 1, v6
	;; [unrolled: 1-line block ×8, first 2 shown]
	v_bfe_u32 v4, v7, s54, 2
	v_and_b32_e32 v8, v7, v51
	s_and_b32 s2, vcc_lo, s12
	v_cmp_eq_u32_e64 s15, 3, v6
	v_cmp_eq_u32_e64 s20, 0, v4
	;; [unrolled: 1-line block ×5, first 2 shown]
	v_bfe_u32 v4, v5, s54, 2
	v_cmp_eq_u32_e64 s9, v8, v47
	v_and_b32_e32 v8, v5, v51
	v_cmp_eq_u32_e64 s24, 0, v4
	v_cmp_eq_u32_e64 s25, 1, v4
	;; [unrolled: 1-line block ×4, first 2 shown]
	v_cndmask_b32_e64 v4, 0, 1, s2
	s_and_b32 s2, s6, s16
	v_cmp_eq_u32_e64 s11, v8, v47
	v_cmp_ne_u32_e64 s12, 0, v4
	v_cndmask_b32_e64 v4, 0, 1, s2
	s_and_b32 s2, s9, s20
	v_cmp_ne_u32_e64 s16, 0, v4
	v_cndmask_b32_e64 v4, 0, 1, s2
	s_and_b32 s2, s11, s24
	v_cmp_ne_u32_e64 s20, 0, v4
	v_cndmask_b32_e64 v4, 0, 1, s2
	s_bcnt1_i32_b32 s2, s12
	s_bcnt1_i32_b32 s12, s16
	;; [unrolled: 1-line block ×3, first 2 shown]
	v_cmp_ne_u32_e64 s24, 0, v4
	s_add_i32 s2, s12, s2
	s_add_i32 s2, s2, s16
	s_bcnt1_i32_b32 s20, s24
	s_add_i32 s2, s2, s20
	s_add_u32 s84, s84, s2
	s_addc_u32 s85, s85, 0
	s_and_b32 s2, vcc_lo, s13
	v_cndmask_b32_e64 v4, 0, 1, s2
	s_and_b32 s2, s6, s17
	v_cmp_ne_u32_e64 s12, 0, v4
	v_cndmask_b32_e64 v4, 0, 1, s2
	s_and_b32 s2, s9, s21
	v_cmp_ne_u32_e64 s13, 0, v4
	;; [unrolled: 3-line block ×3, first 2 shown]
	v_cndmask_b32_e64 v4, 0, 1, s2
	s_bcnt1_i32_b32 s2, s12
	s_bcnt1_i32_b32 s12, s13
	;; [unrolled: 1-line block ×3, first 2 shown]
	v_cmp_ne_u32_e64 s17, 0, v4
	s_add_i32 s2, s12, s2
	s_add_i32 s2, s2, s13
	s_bcnt1_i32_b32 s16, s17
	s_add_i32 s2, s2, s16
	s_add_u32 s82, s82, s2
	s_addc_u32 s83, s83, 0
	s_and_b32 s2, vcc_lo, s14
	v_mov_b32_e32 v6, s82
	v_cndmask_b32_e64 v4, 0, 1, s2
	s_and_b32 s2, s6, s18
	v_mov_b32_e32 v7, s83
	v_cmp_ne_u32_e64 s12, 0, v4
	v_cndmask_b32_e64 v4, 0, 1, s2
	s_and_b32 s2, s9, s22
	v_cmp_ne_u32_e64 s13, 0, v4
	v_cndmask_b32_e64 v4, 0, 1, s2
	s_and_b32 s2, s11, s26
	v_cmp_ne_u32_e64 s14, 0, v4
	v_cndmask_b32_e64 v4, 0, 1, s2
	s_bcnt1_i32_b32 s2, s12
	s_bcnt1_i32_b32 s12, s13
	;; [unrolled: 1-line block ×3, first 2 shown]
	v_cmp_ne_u32_e64 s16, 0, v4
	s_add_i32 s2, s12, s2
	v_add_co_u32 v31, s12, v31, s60
	s_add_i32 s2, s2, s13
	s_bcnt1_i32_b32 s14, s16
	v_add_co_ci_u32_e64 v32, null, 0, v32, s12
	s_add_i32 s2, s2, s14
	s_add_u32 s80, s80, s2
	s_addc_u32 s81, s81, 0
	s_and_b32 s2, vcc_lo, s15
	v_cmp_le_u64_e64 s12, s[76:77], v[31:32]
	v_cndmask_b32_e64 v4, 0, 1, s2
	s_and_b32 s2, s6, s19
	v_mov_b32_e32 v8, s80
	v_mov_b32_e32 v9, s81
	v_cmp_ne_u32_e32 vcc_lo, 0, v4
	v_cndmask_b32_e64 v4, 0, 1, s2
	s_and_b32 s2, s9, s23
	v_cmp_ne_u32_e64 s6, 0, v4
	v_cndmask_b32_e64 v4, 0, 1, s2
	s_and_b32 s2, s11, s27
	s_bcnt1_i32_b32 s6, s6
	v_cmp_ne_u32_e64 s9, 0, v4
	v_cndmask_b32_e64 v4, 0, 1, s2
	s_bcnt1_i32_b32 s2, vcc_lo
	s_add_i32 s2, s6, s2
	s_bcnt1_i32_b32 s9, s9
	v_cmp_ne_u32_e64 s11, 0, v4
	s_add_i32 s2, s2, s9
	v_mov_b32_e32 v4, s84
	v_mov_b32_e32 v5, s85
	s_bcnt1_i32_b32 s11, s11
	s_add_i32 s2, s2, s11
	s_add_u32 s78, s78, s2
	s_addc_u32 s79, s79, 0
	v_mov_b32_e32 v10, s78
	v_mov_b32_e32 v11, s79
	s_or_b32 s75, s12, s75
	s_andn2_b32 exec_lo, exec_lo, s75
	s_cbranch_execnz .LBB213_89
; %bb.90:                               ;   in Loop: Header=BB213_31 Depth=1
	s_or_b32 exec_lo, exec_lo, s75
.LBB213_91:                             ;   in Loop: Header=BB213_31 Depth=1
	s_or_b32 exec_lo, exec_lo, s62
	v_add_co_u32 v31, s2, s76, v0
	v_and_b32_e32 v2, 0xffff, v2
	v_add_co_ci_u32_e64 v32, null, s77, 0, s2
	s_and_b32 s60, s72, 0x7fffffff
	s_mov_b32 s2, exec_lo
	v_cmpx_gt_u64_e64 s[60:61], v[31:32]
	s_cbranch_execz .LBB213_95
; %bb.92:                               ;   in Loop: Header=BB213_31 Depth=1
	v_lshl_add_u32 v33, s74, 3, v43
	s_lshl_b32 s15, s49, 1
	s_mov_b32 s14, 0
.LBB213_93:                             ;   Parent Loop BB213_31 Depth=1
                                        ; =>  This Inner Loop Header: Depth=2
	ds_read_u16 v34, v33
	v_add_co_u32 v31, vcc_lo, v31, v2
	v_add_co_ci_u32_e64 v32, null, 0, v32, vcc_lo
	v_add_nc_u32_e32 v33, s15, v33
	v_cmp_le_u64_e32 vcc_lo, s[60:61], v[31:32]
	s_waitcnt lgkmcnt(0)
	v_cmp_lt_i16_e64 s6, -1, v34
	v_cndmask_b32_e64 v35, 0xffff, v49, s6
	v_cmp_o_f16_e64 s6, v34, v34
	v_xor_b32_sdwa v35, v35, v34 dst_sel:DWORD dst_unused:UNUSED_PAD src0_sel:DWORD src1_sel:WORD_0
	v_cndmask_b32_e64 v34, 0xffff, v35, s6
	v_and_b32_e32 v35, v34, v51
	v_bfe_u32 v34, v34, s54, 2
	v_cmp_eq_u32_e64 s6, v35, v47
	v_cmp_eq_u32_e64 s9, 0, v34
	;; [unrolled: 1-line block ×5, first 2 shown]
	s_and_b32 s9, s6, s9
	v_cndmask_b32_e64 v34, 0, 1, s9
	s_and_b32 s9, s6, s11
	v_cndmask_b32_e64 v35, 0, 1, s9
	s_and_b32 s9, s6, s12
	s_and_b32 s6, s6, s13
	v_cndmask_b32_e64 v36, 0, 1, s9
	v_cndmask_b32_e64 v37, 0, 1, s6
	v_cmp_ne_u32_e64 s6, 0, v34
	v_cmp_ne_u32_e64 s9, 0, v35
	v_cmp_ne_u32_e64 s11, 0, v36
	v_cmp_ne_u32_e64 s12, 0, v37
	s_bcnt1_i32_b32 s6, s6
	s_bcnt1_i32_b32 s9, s9
	v_add_co_u32 v4, s6, v4, s6
	s_bcnt1_i32_b32 s11, s11
	v_add_co_ci_u32_e64 v5, null, 0, v5, s6
	v_add_co_u32 v6, s6, v6, s9
	s_bcnt1_i32_b32 s12, s12
	v_add_co_ci_u32_e64 v7, null, 0, v7, s6
	v_add_co_u32 v8, s6, v8, s11
	v_add_co_ci_u32_e64 v9, null, 0, v9, s6
	v_add_co_u32 v10, s6, v10, s12
	v_add_co_ci_u32_e64 v11, null, 0, v11, s6
	s_or_b32 s14, vcc_lo, s14
	s_andn2_b32 exec_lo, exec_lo, s14
	s_cbranch_execnz .LBB213_93
; %bb.94:                               ;   in Loop: Header=BB213_31 Depth=1
	s_or_b32 exec_lo, exec_lo, s14
.LBB213_95:                             ;   in Loop: Header=BB213_31 Depth=1
	s_or_b32 exec_lo, exec_lo, s2
	s_lshl_b32 s2, s46, 7
	s_and_saveexec_b32 s6, s0
	s_cbranch_execnz .LBB213_66
	s_branch .LBB213_67
.LBB213_96:                             ;   in Loop: Header=BB213_31 Depth=1
                                        ; implicit-def: $sgpr12_sgpr13
	s_branch .LBB213_75
.LBB213_97:                             ;   in Loop: Header=BB213_31 Depth=1
	s_mov_b32 s9, 0
.LBB213_98:                             ;   in Loop: Header=BB213_31 Depth=1
	v_readlane_b32 s11, v53, 11
	s_andn2_b32 vcc_lo, exec_lo, s11
	s_cbranch_vccnz .LBB213_101
; %bb.99:                               ;   in Loop: Header=BB213_31 Depth=1
	s_lshl_b32 s11, s46, 10
	s_lshl_b32 s9, s9, 5
	v_add3_u32 v2, s11, s9, v48
	v_readlane_b32 s9, v53, 9
.LBB213_100:                            ;   Parent Loop BB213_31 Depth=1
                                        ; =>  This Inner Loop Header: Depth=2
	ds_read_b64 v[6:7], v2
	v_add_nc_u32_e32 v2, 32, v2
	s_add_i32 s9, s9, -1
	s_cmp_lg_u32 s9, 0
	s_waitcnt lgkmcnt(0)
	v_add_co_u32 v4, vcc_lo, v6, v4
	v_add_co_ci_u32_e64 v5, null, v7, v5, vcc_lo
	s_cbranch_scc1 .LBB213_100
.LBB213_101:                            ;   in Loop: Header=BB213_31 Depth=1
	v_add_lshl_u32 v2, s2, v42, 3
	ds_write_b64 v2, v[4:5] offset:3072
.LBB213_102:                            ;   in Loop: Header=BB213_31 Depth=1
	s_or_b32 exec_lo, exec_lo, s6
	s_lshl_b32 s2, s2, 3
	s_waitcnt lgkmcnt(0)
	v_mov_b32_e32 v2, s2
	s_barrier
	buffer_gl0_inv
	v_cmp_eq_u64_e64 s9, 1, v[29:30]
	s_lshl_b32 s11, 3, s54
	ds_read_b128 v[4:7], v2 offset:3072
	ds_read_b128 v[8:11], v2 offset:3088
	s_mov_b32 s75, -1
	s_not_b32 s26, s11
	s_mov_b32 s27, 0
	s_andn2_b32 vcc_lo, exec_lo, s88
	s_mov_b32 s72, 0
	s_mov_b32 s49, 0
                                        ; implicit-def: $sgpr73
                                        ; implicit-def: $sgpr74
                                        ; implicit-def: $vgpr2
	s_waitcnt lgkmcnt(1)
	v_readfirstlane_b32 s13, v5
	v_readfirstlane_b32 s12, v4
	;; [unrolled: 1-line block ×4, first 2 shown]
	s_waitcnt lgkmcnt(0)
	v_readfirstlane_b32 s17, v9
	v_readfirstlane_b32 s16, v8
	;; [unrolled: 1-line block ×4, first 2 shown]
                                        ; implicit-def: $vgpr4_vgpr5
                                        ; implicit-def: $vgpr10
                                        ; implicit-def: $vgpr11
                                        ; implicit-def: $vgpr8
	s_cbranch_vccnz .LBB213_305
; %bb.103:                              ;   in Loop: Header=BB213_31 Depth=1
	s_cmp_eq_u64 s[12:13], 1
	v_mov_b32_e32 v10, v47
	v_mov_b32_e32 v11, v51
	;; [unrolled: 1-line block ×3, first 2 shown]
	s_cselect_b32 s2, -1, 0
                                        ; implicit-def: $sgpr74
                                        ; implicit-def: $sgpr73
	s_and_b32 s77, s2, s9
	s_mov_b32 s2, -1
	s_and_saveexec_b32 s49, s77
	s_cbranch_execz .LBB213_140
; %bb.104:                              ;   in Loop: Header=BB213_31 Depth=1
	ds_read_b64 v[4:5], v3 offset:5120
	s_waitcnt lgkmcnt(0)
	s_barrier
	buffer_gl0_inv
	v_readfirstlane_b32 s20, v4
	v_readfirstlane_b32 s21, v5
	s_and_saveexec_b32 s2, s10
; %bb.105:                              ;   in Loop: Header=BB213_31 Depth=1
	ds_write_b16 v44, v3
; %bb.106:                              ;   in Loop: Header=BB213_31 Depth=1
	s_or_b32 exec_lo, exec_lo, s2
	v_and_b32_e32 v10, s26, v47
	v_or_b32_e32 v11, s11, v51
	s_mov_b32 s73, -1
	s_mov_b32 s74, 0
	s_cmp_eq_u64 s[20:21], 0
	s_mov_b32 s24, 0
	s_mov_b32 s2, -1
	s_waitcnt lgkmcnt(0)
	s_barrier
	buffer_gl0_inv
                                        ; implicit-def: $vgpr8
	s_cbranch_scc1 .LBB213_124
; %bb.107:                              ;   in Loop: Header=BB213_31 Depth=1
	s_add_u32 s2, s20, s93
	s_addc_u32 s23, s21, s94
	s_mov_b32 s22, s61
	s_cmp_lg_u64 s[22:23], 0
	s_cbranch_scc0 .LBB213_167
; %bb.108:                              ;   in Loop: Header=BB213_31 Depth=1
	v_cvt_f32_u32_e32 v2, s33
	s_sub_u32 s24, 0, s33
	s_subb_u32 s25, 0, 0
	v_fmac_f32_e64 v2, 0x4f800000, 0
	v_rcp_f32_e32 v2, v2
	v_mul_f32_e32 v2, 0x5f7ffffc, v2
	v_mul_f32_e32 v4, 0x2f800000, v2
	v_trunc_f32_e32 v4, v4
	v_fmac_f32_e32 v2, 0xcf800000, v4
	v_cvt_u32_f32_e32 v4, v4
	v_cvt_u32_f32_e32 v2, v2
	v_readfirstlane_b32 s6, v4
	v_readfirstlane_b32 s22, v2
	s_mul_i32 s60, s24, s6
	s_mul_hi_u32 s66, s24, s22
	s_mul_i32 s62, s25, s22
	s_add_i32 s60, s66, s60
	s_mul_i32 s67, s24, s22
	s_add_i32 s60, s60, s62
	s_mul_hi_u32 s66, s22, s67
	s_mul_i32 s75, s22, s60
	s_mul_hi_u32 s72, s6, s67
	s_mul_i32 s62, s6, s67
	s_mul_hi_u32 s67, s22, s60
	s_add_u32 s66, s66, s75
	s_addc_u32 s67, 0, s67
	s_mul_hi_u32 s76, s6, s60
	s_add_u32 s62, s66, s62
	s_mul_i32 s60, s6, s60
	s_addc_u32 s62, s67, s72
	s_addc_u32 s66, s76, 0
	s_add_u32 s60, s62, s60
	s_addc_u32 s62, 0, s66
	s_add_u32 s22, s22, s60
	s_cselect_b32 s60, -1, 0
	s_mul_hi_u32 s66, s24, s22
	s_cmp_lg_u32 s60, 0
	s_mul_i32 s60, s24, s22
	s_addc_u32 s6, s6, s62
	s_mul_i32 s25, s25, s22
	s_mul_i32 s24, s24, s6
	s_mul_hi_u32 s62, s22, s60
	s_add_i32 s24, s66, s24
	s_mul_hi_u32 s66, s6, s60
	s_add_i32 s24, s24, s25
	s_mul_i32 s25, s6, s60
	s_mul_i32 s72, s22, s24
	s_mul_hi_u32 s67, s22, s24
	s_add_u32 s62, s62, s72
	s_addc_u32 s67, 0, s67
	s_mul_hi_u32 s60, s6, s24
	s_add_u32 s25, s62, s25
	s_mul_i32 s24, s6, s24
	s_addc_u32 s25, s67, s66
	s_addc_u32 s60, s60, 0
	s_add_u32 s24, s25, s24
	s_addc_u32 s25, 0, s60
	s_add_u32 s22, s22, s24
	s_cselect_b32 s24, -1, 0
	s_mul_hi_u32 s60, s2, s22
	s_cmp_lg_u32 s24, 0
	s_mul_hi_u32 s24, s23, s22
	s_addc_u32 s6, s6, s25
	s_mul_i32 s22, s23, s22
	s_mul_i32 s62, s2, s6
	s_mul_hi_u32 s25, s2, s6
	s_add_u32 s60, s60, s62
	s_addc_u32 s25, 0, s25
	s_mul_hi_u32 s66, s23, s6
	s_add_u32 s22, s60, s22
	s_mul_i32 s6, s23, s6
	s_addc_u32 s22, s25, s24
	s_addc_u32 s24, s66, 0
	s_add_u32 s6, s22, s6
	s_addc_u32 s22, 0, s24
	s_mul_hi_u32 s24, s33, s6
	s_mul_i32 s22, s33, s22
	s_mul_i32 s6, s33, s6
	s_add_i32 s24, s24, s22
	s_sub_u32 s6, s2, s6
	s_cselect_b32 s22, -1, 0
	s_cmp_lg_u32 s22, 0
	s_subb_u32 s22, s23, s24
	s_sub_u32 s24, s6, s33
	s_cselect_b32 s25, -1, 0
	s_cmp_lg_u32 s25, 0
	s_subb_u32 s25, s22, 0
	;; [unrolled: 4-line block ×3, first 2 shown]
	s_cmp_ge_u32 s24, s33
	s_cselect_b32 s66, -1, 0
	s_cmp_eq_u32 s25, 0
	s_cselect_b32 s66, s66, -1
	s_cmp_lg_u32 s66, 0
	s_cselect_b32 s25, s62, s25
	s_cselect_b32 s24, s60, s24
	s_cmp_ge_u32 s6, s33
	s_cselect_b32 s60, -1, 0
	s_cmp_eq_u32 s22, 0
	s_cselect_b32 s60, s60, -1
	s_cmp_lg_u32 s60, 0
	s_cselect_b32 s25, s25, s22
	s_cselect_b32 s24, s24, s6
	s_cbranch_execnz .LBB213_110
.LBB213_109:                            ;   in Loop: Header=BB213_31 Depth=1
	v_cvt_f32_u32_e32 v2, s33
	s_sub_i32 s22, 0, s33
	v_rcp_iflag_f32_e32 v2, v2
	v_mul_f32_e32 v2, 0x4f7ffffe, v2
	v_cvt_u32_f32_e32 v2, v2
	v_readfirstlane_b32 s6, v2
	s_mul_i32 s22, s22, s6
	s_mul_hi_u32 s22, s6, s22
	s_add_i32 s6, s6, s22
	s_mul_hi_u32 s6, s2, s6
	s_mul_i32 s6, s6, s33
	s_sub_i32 s6, s2, s6
	s_sub_i32 s22, s6, s33
	s_cmp_ge_u32 s6, s33
	s_cselect_b32 s6, s22, s6
	s_sub_i32 s22, s6, s33
	s_cmp_ge_u32 s6, s33
	s_cselect_b32 s60, s22, s6
	s_mov_b64 s[24:25], s[60:61]
.LBB213_110:                            ;   in Loop: Header=BB213_31 Depth=1
	s_sub_u32 s22, s2, s24
	s_subb_u32 s23, s23, s25
	s_mov_b32 s2, 0
	s_mov_b32 s24, 0
	s_mov_b32 s6, exec_lo
                                        ; implicit-def: $vgpr8
	v_cmpx_gt_u64_e64 s[22:23], v[0:1]
	s_cbranch_execz .LBB213_123
; %bb.111:                              ;   in Loop: Header=BB213_31 Depth=1
	v_mov_b32_e32 v5, v1
	v_mov_b32_e32 v2, v43
	;; [unrolled: 1-line block ×3, first 2 shown]
                                        ; implicit-def: $sgpr25
	s_branch .LBB213_115
.LBB213_112:                            ;   in Loop: Header=BB213_115 Depth=2
	s_or_b32 exec_lo, exec_lo, s60
	s_waitcnt lgkmcnt(0)
	s_barrier
	buffer_gl0_inv
	ds_read_b32 v6, v3 offset:3072
	s_waitcnt lgkmcnt(0)
	s_barrier
	buffer_gl0_inv
	v_cmp_neq_f16_e32 vcc_lo, 0, v6
	s_cbranch_vccnz .LBB213_118
; %bb.113:                              ;   in Loop: Header=BB213_115 Depth=2
	v_add_co_u32 v4, vcc_lo, v4, s33
	v_add_co_ci_u32_e64 v5, null, 0, v5, vcc_lo
	v_add_nc_u32_e32 v2, vcc_hi, v2
	s_mov_b32 s60, 0
	v_cmp_le_u64_e32 vcc_lo, s[22:23], v[4:5]
	s_orn2_b32 s62, vcc_lo, exec_lo
.LBB213_114:                            ;   in Loop: Header=BB213_115 Depth=2
	s_and_b32 s62, exec_lo, s62
	s_or_b32 s24, s62, s24
	s_andn2_b32 s25, s25, exec_lo
	s_and_b32 s60, s60, exec_lo
	s_or_b32 s25, s25, s60
	s_andn2_b32 exec_lo, exec_lo, s24
	s_cbranch_execz .LBB213_122
.LBB213_115:                            ;   Parent Loop BB213_31 Depth=1
                                        ; =>  This Inner Loop Header: Depth=2
	s_mov_b32 s60, exec_lo
	v_cmpx_gt_u64_e64 s[20:21], v[4:5]
	s_cbranch_execz .LBB213_112
; %bb.116:                              ;   in Loop: Header=BB213_115 Depth=2
	ds_read_u16 v6, v2
	s_waitcnt lgkmcnt(0)
	v_cmp_lt_i16_e32 vcc_lo, -1, v6
	v_cndmask_b32_e32 v7, 0xffff, v49, vcc_lo
	v_cmp_o_f16_e32 vcc_lo, v6, v6
	v_xor_b32_sdwa v7, v7, v6 dst_sel:DWORD dst_unused:UNUSED_PAD src0_sel:DWORD src1_sel:WORD_0
	v_cndmask_b32_e32 v7, 0xffff, v7, vcc_lo
	v_and_b32_e32 v7, v7, v11
	v_cmp_eq_u32_e32 vcc_lo, v7, v10
	s_and_b32 exec_lo, exec_lo, vcc_lo
	s_cbranch_execz .LBB213_112
; %bb.117:                              ;   in Loop: Header=BB213_115 Depth=2
	v_perm_b32 v6, v6, s58, 0x5040100
	ds_write_b32 v3, v6 offset:3072
	s_branch .LBB213_112
.LBB213_118:                            ;   in Loop: Header=BB213_115 Depth=2
	s_mov_b32 s62, -1
	s_mov_b32 s60, -1
                                        ; implicit-def: $vgpr4_vgpr5
                                        ; implicit-def: $vgpr2
	s_branch .LBB213_114
.LBB213_119:                            ;   in Loop: Header=BB213_31 Depth=1
	s_or_b32 exec_lo, exec_lo, s12
	s_waitcnt lgkmcnt(0)
	s_barrier
	buffer_gl0_inv
	s_and_saveexec_b32 s6, s3
	s_cbranch_execz .LBB213_121
; %bb.120:                              ;   in Loop: Header=BB213_31 Depth=1
	ds_read_b32 v4, v3 offset:5144
	s_waitcnt lgkmcnt(0)
	v_ashrrev_i32_e32 v5, 31, v4
	ds_write_b64 v3, v[4:5] offset:5120
.LBB213_121:                            ;   in Loop: Header=BB213_31 Depth=1
	s_or_b32 exec_lo, exec_lo, s6
	s_waitcnt lgkmcnt(0)
	s_mov_b32 s6, -1
	s_barrier
	s_and_b32 vcc_lo, exec_lo, s2
	s_cbranch_vccnz .LBB213_46
	s_branch .LBB213_61
.LBB213_122:                            ;   in Loop: Header=BB213_31 Depth=1
	s_or_b32 exec_lo, exec_lo, s24
	v_lshrrev_b32_e32 v8, 16, v6
	s_and_b32 s24, s25, exec_lo
.LBB213_123:                            ;   in Loop: Header=BB213_31 Depth=1
	s_or_b32 exec_lo, exec_lo, s6
.LBB213_124:                            ;   in Loop: Header=BB213_31 Depth=1
	s_and_b32 vcc_lo, exec_lo, s2
	s_cbranch_vccz .LBB213_139
; %bb.125:                              ;   in Loop: Header=BB213_31 Depth=1
	s_mov_b32 s62, s61
	s_cmp_lg_u64 s[62:63], 0
	s_cbranch_scc0 .LBB213_168
; %bb.126:                              ;   in Loop: Header=BB213_31 Depth=1
	v_cvt_f32_u32_e32 v2, s33
	s_sub_u32 s20, 0, s33
	s_subb_u32 s21, 0, 0
	v_fmac_f32_e64 v2, 0x4f800000, 0
	v_rcp_f32_e32 v2, v2
	v_mul_f32_e32 v2, 0x5f7ffffc, v2
	v_mul_f32_e32 v4, 0x2f800000, v2
	v_trunc_f32_e32 v4, v4
	v_fmac_f32_e32 v2, 0xcf800000, v4
	v_cvt_u32_f32_e32 v4, v4
	v_cvt_u32_f32_e32 v2, v2
	v_readfirstlane_b32 s2, v4
	v_readfirstlane_b32 s6, v2
	s_mul_i32 s22, s20, s2
	s_mul_hi_u32 s25, s20, s6
	s_mul_i32 s23, s21, s6
	s_add_i32 s22, s25, s22
	s_mul_i32 s60, s20, s6
	s_add_i32 s22, s22, s23
	s_mul_hi_u32 s25, s6, s60
	s_mul_i32 s66, s6, s22
	s_mul_hi_u32 s62, s2, s60
	s_mul_i32 s23, s2, s60
	s_mul_hi_u32 s60, s6, s22
	s_add_u32 s25, s25, s66
	s_addc_u32 s60, 0, s60
	s_mul_hi_u32 s67, s2, s22
	s_add_u32 s23, s25, s23
	s_mul_i32 s22, s2, s22
	s_addc_u32 s23, s60, s62
	s_addc_u32 s25, s67, 0
	s_add_u32 s22, s23, s22
	s_addc_u32 s23, 0, s25
	s_add_u32 s6, s6, s22
	s_cselect_b32 s22, -1, 0
	s_mul_hi_u32 s25, s20, s6
	s_cmp_lg_u32 s22, 0
	s_mul_i32 s22, s20, s6
	s_addc_u32 s2, s2, s23
	s_mul_i32 s21, s21, s6
	s_mul_i32 s20, s20, s2
	s_mul_hi_u32 s23, s6, s22
	s_add_i32 s20, s25, s20
	s_mul_hi_u32 s25, s2, s22
	s_add_i32 s20, s20, s21
	s_mul_i32 s21, s2, s22
	s_mul_i32 s62, s6, s20
	s_mul_hi_u32 s60, s6, s20
	s_add_u32 s23, s23, s62
	s_addc_u32 s60, 0, s60
	s_mul_hi_u32 s22, s2, s20
	s_add_u32 s21, s23, s21
	s_mul_i32 s20, s2, s20
	s_addc_u32 s21, s60, s25
	s_addc_u32 s22, s22, 0
	s_add_u32 s20, s21, s20
	s_addc_u32 s21, 0, s22
	s_add_u32 s6, s6, s20
	s_cselect_b32 s20, -1, 0
	s_mul_hi_u32 s22, s95, s6
	s_cmp_lg_u32 s20, 0
	s_mul_hi_u32 s20, s63, s6
	s_addc_u32 s2, s2, s21
	s_mul_i32 s6, s63, s6
	s_mul_i32 s23, s95, s2
	s_mul_hi_u32 s21, s95, s2
	s_add_u32 s22, s22, s23
	s_addc_u32 s21, 0, s21
	s_mul_hi_u32 s25, s63, s2
	s_add_u32 s6, s22, s6
	s_mul_i32 s2, s63, s2
	s_addc_u32 s6, s21, s20
	s_addc_u32 s20, s25, 0
	s_add_u32 s2, s6, s2
	s_addc_u32 s6, 0, s20
	s_mul_hi_u32 s20, s33, s2
	s_mul_i32 s6, s33, s6
	s_mul_i32 s2, s33, s2
	s_add_i32 s20, s20, s6
	s_sub_u32 s2, s95, s2
	s_cselect_b32 s6, -1, 0
	s_cmp_lg_u32 s6, 0
	s_subb_u32 s6, s63, s20
	s_sub_u32 s20, s2, s33
	s_cselect_b32 s21, -1, 0
	s_cmp_lg_u32 s21, 0
	s_subb_u32 s21, s6, 0
	;; [unrolled: 4-line block ×3, first 2 shown]
	s_cmp_ge_u32 s20, s33
	s_cselect_b32 s25, -1, 0
	s_cmp_eq_u32 s21, 0
	s_cselect_b32 s25, s25, -1
	s_cmp_lg_u32 s25, 0
	s_cselect_b32 s21, s23, s21
	s_cselect_b32 s20, s22, s20
	s_cmp_ge_u32 s2, s33
	s_cselect_b32 s22, -1, 0
	s_cmp_eq_u32 s6, 0
	s_cselect_b32 s22, s22, -1
	s_cmp_lg_u32 s22, 0
	s_cselect_b32 s21, s21, s6
	s_cselect_b32 s20, s20, s2
	s_cbranch_execnz .LBB213_128
.LBB213_127:                            ;   in Loop: Header=BB213_31 Depth=1
	v_cvt_f32_u32_e32 v2, s33
	s_sub_i32 s6, 0, s33
	v_rcp_iflag_f32_e32 v2, v2
	v_mul_f32_e32 v2, 0x4f7ffffe, v2
	v_cvt_u32_f32_e32 v2, v2
	v_readfirstlane_b32 s2, v2
	s_mul_i32 s6, s6, s2
	s_mul_hi_u32 s6, s2, s6
	s_add_i32 s2, s2, s6
	s_mul_hi_u32 s2, s95, s2
	s_mul_i32 s2, s2, s33
	s_sub_i32 s2, s95, s2
	s_sub_i32 s6, s2, s33
	s_cmp_ge_u32 s2, s33
	s_cselect_b32 s2, s6, s2
	s_sub_i32 s6, s2, s33
	s_cmp_ge_u32 s2, s33
	s_cselect_b32 s60, s6, s2
	s_mov_b64 s[20:21], s[60:61]
.LBB213_128:                            ;   in Loop: Header=BB213_31 Depth=1
	s_sub_u32 s20, s95, s20
	s_subb_u32 s21, s63, s21
	s_mov_b32 s2, exec_lo
                                        ; implicit-def: $vgpr8
	v_cmpx_gt_u64_e64 s[20:21], v[0:1]
	s_cbranch_execz .LBB213_138
; %bb.129:                              ;   in Loop: Header=BB213_31 Depth=1
	v_mov_b32_e32 v4, v27
	v_mov_b32_e32 v7, v1
	;; [unrolled: 1-line block ×4, first 2 shown]
	s_mov_b32 s22, 0
                                        ; implicit-def: $sgpr23
	s_branch .LBB213_133
.LBB213_130:                            ;   in Loop: Header=BB213_133 Depth=2
	s_or_b32 exec_lo, exec_lo, s6
	s_waitcnt lgkmcnt(0)
	s_barrier
	buffer_gl0_inv
	ds_read_b32 v2, v3 offset:3072
	s_waitcnt lgkmcnt(0)
	s_barrier
	buffer_gl0_inv
	v_cmp_neq_f16_e32 vcc_lo, 0, v2
	s_cbranch_vccnz .LBB213_136
; %bb.131:                              ;   in Loop: Header=BB213_133 Depth=2
	v_add_co_u32 v6, vcc_lo, v6, s33
	v_add_co_ci_u32_e64 v7, null, 0, v7, vcc_lo
	v_add_co_u32 v4, s6, v4, s42
	v_add_co_ci_u32_e64 v5, null, s43, v5, s6
	v_cmp_le_u64_e32 vcc_lo, s[20:21], v[6:7]
	s_mov_b32 s6, 0
	s_orn2_b32 s25, vcc_lo, exec_lo
.LBB213_132:                            ;   in Loop: Header=BB213_133 Depth=2
	s_and_b32 s25, exec_lo, s25
	s_or_b32 s22, s25, s22
	s_andn2_b32 s23, s23, exec_lo
	s_and_b32 s6, s6, exec_lo
	s_or_b32 s23, s23, s6
	s_andn2_b32 exec_lo, exec_lo, s22
	s_cbranch_execz .LBB213_137
.LBB213_133:                            ;   Parent Loop BB213_31 Depth=1
                                        ; =>  This Inner Loop Header: Depth=2
	s_mov_b32 s6, exec_lo
	v_cmpx_gt_u64_e64 s[36:37], v[6:7]
	s_cbranch_execz .LBB213_130
; %bb.134:                              ;   in Loop: Header=BB213_133 Depth=2
	global_load_ushort v2, v[4:5], off
	s_waitcnt vmcnt(0)
	v_cmp_lt_i16_e32 vcc_lo, -1, v2
	v_cndmask_b32_e32 v8, 0xffff, v49, vcc_lo
	v_cmp_o_f16_e32 vcc_lo, v2, v2
	v_xor_b32_sdwa v8, v8, v2 dst_sel:DWORD dst_unused:UNUSED_PAD src0_sel:DWORD src1_sel:WORD_0
	v_cndmask_b32_e32 v8, 0xffff, v8, vcc_lo
	v_and_b32_e32 v8, v8, v11
	v_cmp_eq_u32_e32 vcc_lo, v8, v10
	s_and_b32 exec_lo, exec_lo, vcc_lo
	s_cbranch_execz .LBB213_130
; %bb.135:                              ;   in Loop: Header=BB213_133 Depth=2
	v_perm_b32 v2, v2, s58, 0x5040100
	ds_write_b32 v3, v2 offset:3072
	s_branch .LBB213_130
.LBB213_136:                            ;   in Loop: Header=BB213_133 Depth=2
	s_mov_b32 s25, -1
	s_mov_b32 s6, -1
                                        ; implicit-def: $vgpr6_vgpr7
                                        ; implicit-def: $vgpr4_vgpr5
	s_branch .LBB213_132
.LBB213_137:                            ;   in Loop: Header=BB213_31 Depth=1
	s_or_b32 exec_lo, exec_lo, s22
	v_lshrrev_b32_e32 v8, 16, v2
	s_andn2_b32 s6, s24, exec_lo
	s_and_b32 s20, s23, exec_lo
	s_or_b32 s24, s6, s20
.LBB213_138:                            ;   in Loop: Header=BB213_31 Depth=1
	s_or_b32 exec_lo, exec_lo, s2
	s_mov_b32 s73, 0
	s_mov_b32 s74, -1
.LBB213_139:                            ;   in Loop: Header=BB213_31 Depth=1
	s_orn2_b32 s2, s24, exec_lo
.LBB213_140:                            ;   in Loop: Header=BB213_31 Depth=1
	s_or_b32 exec_lo, exec_lo, s49
	s_mov_b32 s75, 0
	s_mov_b32 s72, 0
	;; [unrolled: 1-line block ×3, first 2 shown]
                                        ; implicit-def: $vgpr4_vgpr5
                                        ; implicit-def: $vgpr2
	s_and_saveexec_b32 s76, s2
	s_cbranch_execz .LBB213_304
; %bb.141:                              ;   in Loop: Header=BB213_31 Depth=1
	v_mov_b32_e32 v4, 1
	v_mov_b32_e32 v5, 0
	;; [unrolled: 1-line block ×3, first 2 shown]
	s_xor_b32 s20, s77, -1
	s_mov_b32 s6, 0
	s_and_saveexec_b32 s2, s20
	s_cbranch_execz .LBB213_150
; %bb.142:                              ;   in Loop: Header=BB213_31 Depth=1
	s_mov_b32 s6, exec_lo
	v_cmpx_ge_u64_e64 s[12:13], v[29:30]
	s_xor_b32 s6, exec_lo, s6
	s_cbranch_execz .LBB213_147
; %bb.143:                              ;   in Loop: Header=BB213_31 Depth=1
	ds_read_b64 v[4:5], v3 offset:5120
	v_and_b32_e32 v10, s26, v10
	v_or_b32_e32 v11, s11, v11
	s_waitcnt lgkmcnt(0)
	v_cmp_ne_u64_e32 vcc_lo, 0, v[4:5]
	s_cbranch_vccnz .LBB213_147
; %bb.144:                              ;   in Loop: Header=BB213_31 Depth=1
	s_and_saveexec_b32 s20, s3
; %bb.145:                              ;   in Loop: Header=BB213_31 Depth=1
	v_mov_b32_e32 v4, s12
	v_mov_b32_e32 v5, s13
	ds_write_b64 v3, v[4:5] offset:5128
; %bb.146:                              ;   in Loop: Header=BB213_31 Depth=1
	s_or_b32 exec_lo, exec_lo, s20
	s_waitcnt lgkmcnt(0)
	s_barrier
	buffer_gl0_inv
.LBB213_147:                            ;   in Loop: Header=BB213_31 Depth=1
	s_or_saveexec_b32 s6, s6
	v_mov_b32_e32 v4, v29
	v_mov_b32_e32 v2, 8
	;; [unrolled: 1-line block ×3, first 2 shown]
	s_mov_b32 s20, 0
	s_xor_b32 exec_lo, exec_lo, s6
; %bb.148:                              ;   in Loop: Header=BB213_31 Depth=1
	v_sub_co_u32 v4, vcc_lo, v29, s12
	v_subrev_co_ci_u32_e64 v5, null, s13, v30, vcc_lo
	v_mov_b32_e32 v2, 0
	s_mov_b32 s20, exec_lo
; %bb.149:                              ;   in Loop: Header=BB213_31 Depth=1
	s_or_b32 exec_lo, exec_lo, s6
	s_and_b32 s6, s20, exec_lo
.LBB213_150:                            ;   in Loop: Header=BB213_31 Depth=1
	s_or_b32 exec_lo, exec_lo, s2
	s_mov_b32 s2, -1
                                        ; implicit-def: $sgpr72
                                        ; implicit-def: $sgpr77
	s_and_saveexec_b32 s20, s6
	s_xor_b32 s49, exec_lo, s20
	s_cbranch_execz .LBB213_301
; %bb.151:                              ;   in Loop: Header=BB213_31 Depth=1
	v_cmp_eq_u64_e32 vcc_lo, 1, v[4:5]
	s_cmp_eq_u64 s[14:15], 1
                                        ; implicit-def: $sgpr77
                                        ; implicit-def: $sgpr72
	s_cselect_b32 s2, -1, 0
	s_and_b32 s79, s2, vcc_lo
	s_mov_b32 s2, -1
	s_and_saveexec_b32 s78, s79
	s_cbranch_execz .LBB213_187
; %bb.152:                              ;   in Loop: Header=BB213_31 Depth=1
	ds_read_b64 v[6:7], v3 offset:5120
	s_waitcnt lgkmcnt(0)
	s_barrier
	buffer_gl0_inv
	v_readfirstlane_b32 s20, v6
	v_readfirstlane_b32 s21, v7
	s_and_saveexec_b32 s2, s10
; %bb.153:                              ;   in Loop: Header=BB213_31 Depth=1
	ds_write_b16 v44, v3
; %bb.154:                              ;   in Loop: Header=BB213_31 Depth=1
	s_or_b32 exec_lo, exec_lo, s2
	s_lshl_b32 s2, 1, s54
	v_or_b32_e32 v11, s11, v11
	v_and_or_b32 v10, v10, s26, s2
	s_mov_b32 s72, -1
	s_mov_b32 s77, 0
	s_cmp_eq_u64 s[20:21], 0
	s_mov_b32 s24, 0
	s_mov_b32 s2, -1
	s_waitcnt lgkmcnt(0)
	s_barrier
	buffer_gl0_inv
                                        ; implicit-def: $vgpr8
	s_cbranch_scc1 .LBB213_171
; %bb.155:                              ;   in Loop: Header=BB213_31 Depth=1
	s_add_u32 s6, s20, s93
	s_addc_u32 s23, s21, s94
	s_mov_b32 s22, s61
	s_cmp_lg_u64 s[22:23], 0
	s_cbranch_scc0 .LBB213_214
; %bb.156:                              ;   in Loop: Header=BB213_31 Depth=1
	v_cvt_f32_u32_e32 v6, s33
	s_sub_u32 s24, 0, s33
	s_subb_u32 s25, 0, 0
	v_fmac_f32_e64 v6, 0x4f800000, 0
	v_rcp_f32_e32 v6, v6
	v_mul_f32_e32 v6, 0x5f7ffffc, v6
	v_mul_f32_e32 v7, 0x2f800000, v6
	v_trunc_f32_e32 v7, v7
	v_fmac_f32_e32 v6, 0xcf800000, v7
	v_cvt_u32_f32_e32 v7, v7
	v_cvt_u32_f32_e32 v6, v6
	v_readfirstlane_b32 s2, v7
	v_readfirstlane_b32 s22, v6
	s_mul_i32 s60, s24, s2
	s_mul_hi_u32 s66, s24, s22
	s_mul_i32 s62, s25, s22
	s_add_i32 s60, s66, s60
	s_mul_i32 s67, s24, s22
	s_add_i32 s60, s60, s62
	s_mul_hi_u32 s66, s22, s67
	s_mul_i32 s81, s22, s60
	s_mul_hi_u32 s80, s2, s67
	s_mul_i32 s62, s2, s67
	s_mul_hi_u32 s67, s22, s60
	s_add_u32 s66, s66, s81
	s_addc_u32 s67, 0, s67
	s_mul_hi_u32 s82, s2, s60
	s_add_u32 s62, s66, s62
	s_mul_i32 s60, s2, s60
	s_addc_u32 s62, s67, s80
	s_addc_u32 s66, s82, 0
	s_add_u32 s60, s62, s60
	s_addc_u32 s62, 0, s66
	s_add_u32 s22, s22, s60
	s_cselect_b32 s60, -1, 0
	s_mul_hi_u32 s66, s24, s22
	s_cmp_lg_u32 s60, 0
	s_mul_i32 s60, s24, s22
	s_addc_u32 s2, s2, s62
	s_mul_i32 s25, s25, s22
	s_mul_i32 s24, s24, s2
	s_mul_hi_u32 s62, s22, s60
	s_add_i32 s24, s66, s24
	s_mul_hi_u32 s66, s2, s60
	s_add_i32 s24, s24, s25
	s_mul_i32 s25, s2, s60
	s_mul_i32 s80, s22, s24
	s_mul_hi_u32 s67, s22, s24
	s_add_u32 s62, s62, s80
	s_addc_u32 s67, 0, s67
	s_mul_hi_u32 s60, s2, s24
	s_add_u32 s25, s62, s25
	s_mul_i32 s24, s2, s24
	s_addc_u32 s25, s67, s66
	s_addc_u32 s60, s60, 0
	s_add_u32 s24, s25, s24
	s_addc_u32 s25, 0, s60
	s_add_u32 s22, s22, s24
	s_cselect_b32 s24, -1, 0
	s_mul_hi_u32 s60, s6, s22
	s_cmp_lg_u32 s24, 0
	s_mul_hi_u32 s24, s23, s22
	s_addc_u32 s2, s2, s25
	s_mul_i32 s22, s23, s22
	s_mul_i32 s62, s6, s2
	s_mul_hi_u32 s25, s6, s2
	s_add_u32 s60, s60, s62
	s_addc_u32 s25, 0, s25
	s_mul_hi_u32 s66, s23, s2
	s_add_u32 s22, s60, s22
	s_mul_i32 s2, s23, s2
	s_addc_u32 s22, s25, s24
	s_addc_u32 s24, s66, 0
	s_add_u32 s2, s22, s2
	s_addc_u32 s22, 0, s24
	s_mul_hi_u32 s24, s33, s2
	s_mul_i32 s22, s33, s22
	s_mul_i32 s2, s33, s2
	s_add_i32 s24, s24, s22
	s_sub_u32 s2, s6, s2
	s_cselect_b32 s22, -1, 0
	s_cmp_lg_u32 s22, 0
	s_subb_u32 s22, s23, s24
	s_sub_u32 s24, s2, s33
	s_cselect_b32 s25, -1, 0
	s_cmp_lg_u32 s25, 0
	s_subb_u32 s25, s22, 0
	;; [unrolled: 4-line block ×3, first 2 shown]
	s_cmp_ge_u32 s24, s33
	s_cselect_b32 s66, -1, 0
	s_cmp_eq_u32 s25, 0
	s_cselect_b32 s66, s66, -1
	s_cmp_lg_u32 s66, 0
	s_cselect_b32 s25, s62, s25
	s_cselect_b32 s24, s60, s24
	s_cmp_ge_u32 s2, s33
	s_cselect_b32 s60, -1, 0
	s_cmp_eq_u32 s22, 0
	s_cselect_b32 s60, s60, -1
	s_cmp_lg_u32 s60, 0
	s_cselect_b32 s25, s25, s22
	s_cselect_b32 s24, s24, s2
	s_cbranch_execnz .LBB213_158
.LBB213_157:                            ;   in Loop: Header=BB213_31 Depth=1
	v_cvt_f32_u32_e32 v6, s33
	s_sub_i32 s22, 0, s33
	v_rcp_iflag_f32_e32 v6, v6
	v_mul_f32_e32 v6, 0x4f7ffffe, v6
	v_cvt_u32_f32_e32 v6, v6
	v_readfirstlane_b32 s2, v6
	s_mul_i32 s22, s22, s2
	s_mul_hi_u32 s22, s2, s22
	s_add_i32 s2, s2, s22
	s_mul_hi_u32 s2, s6, s2
	s_mul_i32 s2, s2, s33
	s_sub_i32 s2, s6, s2
	s_sub_i32 s22, s2, s33
	s_cmp_ge_u32 s2, s33
	s_cselect_b32 s2, s22, s2
	s_sub_i32 s22, s2, s33
	s_cmp_ge_u32 s2, s33
	s_cselect_b32 s60, s22, s2
	s_mov_b64 s[24:25], s[60:61]
.LBB213_158:                            ;   in Loop: Header=BB213_31 Depth=1
	s_sub_u32 s22, s6, s24
	s_subb_u32 s23, s23, s25
	s_mov_b32 s2, 0
	s_mov_b32 s24, 0
	s_mov_b32 s6, exec_lo
                                        ; implicit-def: $vgpr8
	v_cmpx_gt_u64_e64 s[22:23], v[0:1]
	s_cbranch_execz .LBB213_170
; %bb.159:                              ;   in Loop: Header=BB213_31 Depth=1
	v_mov_b32_e32 v7, v1
	v_mov_b32_e32 v8, v43
	;; [unrolled: 1-line block ×3, first 2 shown]
                                        ; implicit-def: $sgpr25
	s_branch .LBB213_163
.LBB213_160:                            ;   in Loop: Header=BB213_163 Depth=2
	s_or_b32 exec_lo, exec_lo, s60
	s_waitcnt lgkmcnt(0)
	s_barrier
	buffer_gl0_inv
	ds_read_b32 v9, v3 offset:3072
	s_waitcnt lgkmcnt(0)
	s_barrier
	buffer_gl0_inv
	v_cmp_neq_f16_e32 vcc_lo, 0, v9
	s_cbranch_vccnz .LBB213_166
; %bb.161:                              ;   in Loop: Header=BB213_163 Depth=2
	v_add_co_u32 v6, vcc_lo, v6, s33
	v_add_co_ci_u32_e64 v7, null, 0, v7, vcc_lo
	v_add_nc_u32_e32 v8, vcc_hi, v8
	s_mov_b32 s60, 0
	v_cmp_le_u64_e32 vcc_lo, s[22:23], v[6:7]
	s_orn2_b32 s62, vcc_lo, exec_lo
.LBB213_162:                            ;   in Loop: Header=BB213_163 Depth=2
	s_and_b32 s62, exec_lo, s62
	s_or_b32 s24, s62, s24
	s_andn2_b32 s25, s25, exec_lo
	s_and_b32 s60, s60, exec_lo
	s_or_b32 s25, s25, s60
	s_andn2_b32 exec_lo, exec_lo, s24
	s_cbranch_execz .LBB213_169
.LBB213_163:                            ;   Parent Loop BB213_31 Depth=1
                                        ; =>  This Inner Loop Header: Depth=2
	s_mov_b32 s60, exec_lo
	v_cmpx_gt_u64_e64 s[20:21], v[6:7]
	s_cbranch_execz .LBB213_160
; %bb.164:                              ;   in Loop: Header=BB213_163 Depth=2
	ds_read_u16 v9, v8
	s_waitcnt lgkmcnt(0)
	v_cmp_lt_i16_e32 vcc_lo, -1, v9
	v_cndmask_b32_e32 v31, 0xffff, v49, vcc_lo
	v_cmp_o_f16_e32 vcc_lo, v9, v9
	v_xor_b32_sdwa v31, v31, v9 dst_sel:DWORD dst_unused:UNUSED_PAD src0_sel:DWORD src1_sel:WORD_0
	v_cndmask_b32_e32 v31, 0xffff, v31, vcc_lo
	v_and_b32_e32 v31, v31, v11
	v_cmp_eq_u32_e32 vcc_lo, v31, v10
	s_and_b32 exec_lo, exec_lo, vcc_lo
	s_cbranch_execz .LBB213_160
; %bb.165:                              ;   in Loop: Header=BB213_163 Depth=2
	v_perm_b32 v9, v9, s58, 0x5040100
	ds_write_b32 v3, v9 offset:3072
	s_branch .LBB213_160
.LBB213_166:                            ;   in Loop: Header=BB213_163 Depth=2
	s_mov_b32 s62, -1
	s_mov_b32 s60, -1
                                        ; implicit-def: $vgpr6_vgpr7
                                        ; implicit-def: $vgpr8
	s_branch .LBB213_162
.LBB213_167:                            ;   in Loop: Header=BB213_31 Depth=1
                                        ; implicit-def: $sgpr24_sgpr25
	s_branch .LBB213_109
.LBB213_168:                            ;   in Loop: Header=BB213_31 Depth=1
                                        ; implicit-def: $sgpr20_sgpr21
	s_branch .LBB213_127
.LBB213_169:                            ;   in Loop: Header=BB213_31 Depth=1
	s_or_b32 exec_lo, exec_lo, s24
	v_lshrrev_b32_e32 v8, 16, v9
	s_and_b32 s24, s25, exec_lo
.LBB213_170:                            ;   in Loop: Header=BB213_31 Depth=1
	s_or_b32 exec_lo, exec_lo, s6
.LBB213_171:                            ;   in Loop: Header=BB213_31 Depth=1
	s_and_b32 vcc_lo, exec_lo, s2
	s_cbranch_vccz .LBB213_186
; %bb.172:                              ;   in Loop: Header=BB213_31 Depth=1
	s_mov_b32 s62, s61
	s_cmp_lg_u64 s[62:63], 0
	s_cbranch_scc0 .LBB213_215
; %bb.173:                              ;   in Loop: Header=BB213_31 Depth=1
	v_cvt_f32_u32_e32 v6, s33
	s_sub_u32 s20, 0, s33
	s_subb_u32 s21, 0, 0
	v_fmac_f32_e64 v6, 0x4f800000, 0
	v_rcp_f32_e32 v6, v6
	v_mul_f32_e32 v6, 0x5f7ffffc, v6
	v_mul_f32_e32 v7, 0x2f800000, v6
	v_trunc_f32_e32 v7, v7
	v_fmac_f32_e32 v6, 0xcf800000, v7
	v_cvt_u32_f32_e32 v7, v7
	v_cvt_u32_f32_e32 v6, v6
	v_readfirstlane_b32 s2, v7
	v_readfirstlane_b32 s6, v6
	s_mul_i32 s22, s20, s2
	s_mul_hi_u32 s25, s20, s6
	s_mul_i32 s23, s21, s6
	s_add_i32 s22, s25, s22
	s_mul_i32 s60, s20, s6
	s_add_i32 s22, s22, s23
	s_mul_hi_u32 s25, s6, s60
	s_mul_i32 s66, s6, s22
	s_mul_hi_u32 s62, s2, s60
	s_mul_i32 s23, s2, s60
	s_mul_hi_u32 s60, s6, s22
	s_add_u32 s25, s25, s66
	s_addc_u32 s60, 0, s60
	s_mul_hi_u32 s67, s2, s22
	s_add_u32 s23, s25, s23
	s_mul_i32 s22, s2, s22
	s_addc_u32 s23, s60, s62
	s_addc_u32 s25, s67, 0
	s_add_u32 s22, s23, s22
	s_addc_u32 s23, 0, s25
	s_add_u32 s6, s6, s22
	s_cselect_b32 s22, -1, 0
	s_mul_hi_u32 s25, s20, s6
	s_cmp_lg_u32 s22, 0
	s_mul_i32 s22, s20, s6
	s_addc_u32 s2, s2, s23
	s_mul_i32 s21, s21, s6
	s_mul_i32 s20, s20, s2
	s_mul_hi_u32 s23, s6, s22
	s_add_i32 s20, s25, s20
	s_mul_hi_u32 s25, s2, s22
	s_add_i32 s20, s20, s21
	s_mul_i32 s21, s2, s22
	s_mul_i32 s62, s6, s20
	s_mul_hi_u32 s60, s6, s20
	s_add_u32 s23, s23, s62
	s_addc_u32 s60, 0, s60
	s_mul_hi_u32 s22, s2, s20
	s_add_u32 s21, s23, s21
	s_mul_i32 s20, s2, s20
	s_addc_u32 s21, s60, s25
	s_addc_u32 s22, s22, 0
	s_add_u32 s20, s21, s20
	s_addc_u32 s21, 0, s22
	s_add_u32 s6, s6, s20
	s_cselect_b32 s20, -1, 0
	s_mul_hi_u32 s22, s95, s6
	s_cmp_lg_u32 s20, 0
	s_mul_hi_u32 s20, s63, s6
	s_addc_u32 s2, s2, s21
	s_mul_i32 s6, s63, s6
	s_mul_i32 s23, s95, s2
	s_mul_hi_u32 s21, s95, s2
	s_add_u32 s22, s22, s23
	s_addc_u32 s21, 0, s21
	s_mul_hi_u32 s25, s63, s2
	s_add_u32 s6, s22, s6
	s_mul_i32 s2, s63, s2
	s_addc_u32 s6, s21, s20
	s_addc_u32 s20, s25, 0
	s_add_u32 s2, s6, s2
	s_addc_u32 s6, 0, s20
	s_mul_hi_u32 s20, s33, s2
	s_mul_i32 s6, s33, s6
	s_mul_i32 s2, s33, s2
	s_add_i32 s20, s20, s6
	s_sub_u32 s2, s95, s2
	s_cselect_b32 s6, -1, 0
	s_cmp_lg_u32 s6, 0
	s_subb_u32 s6, s63, s20
	s_sub_u32 s20, s2, s33
	s_cselect_b32 s21, -1, 0
	s_cmp_lg_u32 s21, 0
	s_subb_u32 s21, s6, 0
	;; [unrolled: 4-line block ×3, first 2 shown]
	s_cmp_ge_u32 s20, s33
	s_cselect_b32 s25, -1, 0
	s_cmp_eq_u32 s21, 0
	s_cselect_b32 s25, s25, -1
	s_cmp_lg_u32 s25, 0
	s_cselect_b32 s21, s23, s21
	s_cselect_b32 s20, s22, s20
	s_cmp_ge_u32 s2, s33
	s_cselect_b32 s22, -1, 0
	s_cmp_eq_u32 s6, 0
	s_cselect_b32 s22, s22, -1
	s_cmp_lg_u32 s22, 0
	s_cselect_b32 s21, s21, s6
	s_cselect_b32 s20, s20, s2
	s_cbranch_execnz .LBB213_175
.LBB213_174:                            ;   in Loop: Header=BB213_31 Depth=1
	v_cvt_f32_u32_e32 v6, s33
	s_sub_i32 s6, 0, s33
	v_rcp_iflag_f32_e32 v6, v6
	v_mul_f32_e32 v6, 0x4f7ffffe, v6
	v_cvt_u32_f32_e32 v6, v6
	v_readfirstlane_b32 s2, v6
	s_mul_i32 s6, s6, s2
	s_mul_hi_u32 s6, s2, s6
	s_add_i32 s2, s2, s6
	s_mul_hi_u32 s2, s95, s2
	s_mul_i32 s2, s2, s33
	s_sub_i32 s2, s95, s2
	s_sub_i32 s6, s2, s33
	s_cmp_ge_u32 s2, s33
	s_cselect_b32 s2, s6, s2
	s_sub_i32 s6, s2, s33
	s_cmp_ge_u32 s2, s33
	s_cselect_b32 s60, s6, s2
	s_mov_b64 s[20:21], s[60:61]
.LBB213_175:                            ;   in Loop: Header=BB213_31 Depth=1
	s_sub_u32 s20, s95, s20
	s_subb_u32 s21, s63, s21
	s_mov_b32 s2, exec_lo
                                        ; implicit-def: $vgpr8
	v_cmpx_gt_u64_e64 s[20:21], v[0:1]
	s_cbranch_execz .LBB213_185
; %bb.176:                              ;   in Loop: Header=BB213_31 Depth=1
	v_mov_b32_e32 v6, v27
	v_mov_b32_e32 v9, v1
	;; [unrolled: 1-line block ×4, first 2 shown]
	s_mov_b32 s22, 0
                                        ; implicit-def: $sgpr23
	s_branch .LBB213_180
.LBB213_177:                            ;   in Loop: Header=BB213_180 Depth=2
	s_or_b32 exec_lo, exec_lo, s6
	s_waitcnt lgkmcnt(0)
	s_barrier
	buffer_gl0_inv
	ds_read_b32 v31, v3 offset:3072
	s_waitcnt lgkmcnt(0)
	s_barrier
	buffer_gl0_inv
	v_cmp_eq_f16_e32 vcc_lo, 0, v31
	s_cbranch_vccz .LBB213_183
; %bb.178:                              ;   in Loop: Header=BB213_180 Depth=2
	v_add_co_u32 v8, vcc_lo, v8, s33
	v_add_co_ci_u32_e64 v9, null, 0, v9, vcc_lo
	v_add_co_u32 v6, s6, v6, s42
	v_add_co_ci_u32_e64 v7, null, s43, v7, s6
	v_cmp_le_u64_e32 vcc_lo, s[20:21], v[8:9]
	s_mov_b32 s6, 0
	s_orn2_b32 s25, vcc_lo, exec_lo
.LBB213_179:                            ;   in Loop: Header=BB213_180 Depth=2
	s_and_b32 s25, exec_lo, s25
	s_or_b32 s22, s25, s22
	s_andn2_b32 s23, s23, exec_lo
	s_and_b32 s6, s6, exec_lo
	s_or_b32 s23, s23, s6
	s_andn2_b32 exec_lo, exec_lo, s22
	s_cbranch_execz .LBB213_184
.LBB213_180:                            ;   Parent Loop BB213_31 Depth=1
                                        ; =>  This Inner Loop Header: Depth=2
	s_mov_b32 s6, exec_lo
	v_cmpx_gt_u64_e64 s[36:37], v[8:9]
	s_cbranch_execz .LBB213_177
; %bb.181:                              ;   in Loop: Header=BB213_180 Depth=2
	global_load_ushort v31, v[6:7], off
	s_waitcnt vmcnt(0)
	v_cmp_lt_i16_e32 vcc_lo, -1, v31
	v_cndmask_b32_e32 v32, 0xffff, v49, vcc_lo
	v_cmp_o_f16_e32 vcc_lo, v31, v31
	v_xor_b32_sdwa v32, v32, v31 dst_sel:DWORD dst_unused:UNUSED_PAD src0_sel:DWORD src1_sel:WORD_0
	v_cndmask_b32_e32 v32, 0xffff, v32, vcc_lo
	v_and_b32_e32 v32, v32, v11
	v_cmp_eq_u32_e32 vcc_lo, v32, v10
	s_and_b32 exec_lo, exec_lo, vcc_lo
	s_cbranch_execz .LBB213_177
; %bb.182:                              ;   in Loop: Header=BB213_180 Depth=2
	v_perm_b32 v31, v31, s58, 0x5040100
	ds_write_b32 v3, v31 offset:3072
	s_branch .LBB213_177
.LBB213_183:                            ;   in Loop: Header=BB213_180 Depth=2
	s_mov_b32 s25, -1
	s_mov_b32 s6, -1
                                        ; implicit-def: $vgpr8_vgpr9
                                        ; implicit-def: $vgpr6_vgpr7
	s_branch .LBB213_179
.LBB213_184:                            ;   in Loop: Header=BB213_31 Depth=1
	s_or_b32 exec_lo, exec_lo, s22
	v_lshrrev_b32_e32 v8, 16, v31
	s_andn2_b32 s6, s24, exec_lo
	s_and_b32 s20, s23, exec_lo
	s_or_b32 s24, s6, s20
.LBB213_185:                            ;   in Loop: Header=BB213_31 Depth=1
	s_or_b32 exec_lo, exec_lo, s2
	s_mov_b32 s72, 0
	s_mov_b32 s77, -1
.LBB213_186:                            ;   in Loop: Header=BB213_31 Depth=1
	s_orn2_b32 s2, s24, exec_lo
.LBB213_187:                            ;   in Loop: Header=BB213_31 Depth=1
	s_or_b32 exec_lo, exec_lo, s78
	s_mov_b32 s6, 0
	s_and_saveexec_b32 s78, s2
	s_cbranch_execz .LBB213_300
; %bb.188:                              ;   in Loop: Header=BB213_31 Depth=1
	v_mov_b32_e32 v6, 1
	v_mov_b32_e32 v7, 0
	v_mov_b32_e32 v2, 1
	s_xor_b32 s20, s79, -1
	s_and_saveexec_b32 s2, s20
	s_cbranch_execz .LBB213_197
; %bb.189:                              ;   in Loop: Header=BB213_31 Depth=1
	s_mov_b32 s6, exec_lo
	v_cmpx_ge_u64_e64 s[14:15], v[4:5]
	s_xor_b32 s6, exec_lo, s6
	s_cbranch_execz .LBB213_194
; %bb.190:                              ;   in Loop: Header=BB213_31 Depth=1
	ds_read_b64 v[6:7], v3 offset:5120
	s_lshl_b32 s20, 1, s54
	v_or_b32_e32 v11, s11, v11
	v_and_or_b32 v10, v10, s26, s20
	s_waitcnt lgkmcnt(0)
	v_cmp_ne_u64_e32 vcc_lo, 0, v[6:7]
	s_cbranch_vccnz .LBB213_194
; %bb.191:                              ;   in Loop: Header=BB213_31 Depth=1
	s_and_saveexec_b32 s20, s3
; %bb.192:                              ;   in Loop: Header=BB213_31 Depth=1
	v_mov_b32_e32 v6, s14
	v_mov_b32_e32 v7, s15
	ds_write_b64 v3, v[6:7] offset:5128
; %bb.193:                              ;   in Loop: Header=BB213_31 Depth=1
	s_or_b32 exec_lo, exec_lo, s20
	s_waitcnt lgkmcnt(0)
	s_barrier
	buffer_gl0_inv
.LBB213_194:                            ;   in Loop: Header=BB213_31 Depth=1
	s_or_saveexec_b32 s6, s6
	v_mov_b32_e32 v2, 8
	s_mov_b32 s20, 0
	s_xor_b32 exec_lo, exec_lo, s6
; %bb.195:                              ;   in Loop: Header=BB213_31 Depth=1
	v_sub_co_u32 v4, vcc_lo, v4, s14
	v_subrev_co_ci_u32_e64 v5, null, s15, v5, vcc_lo
	v_mov_b32_e32 v2, 0
	s_mov_b32 s20, exec_lo
; %bb.196:                              ;   in Loop: Header=BB213_31 Depth=1
	s_or_b32 exec_lo, exec_lo, s6
	v_mov_b32_e32 v7, v5
	v_mov_b32_e32 v6, v4
	s_and_b32 s6, s20, exec_lo
.LBB213_197:                            ;   in Loop: Header=BB213_31 Depth=1
	s_or_b32 exec_lo, exec_lo, s2
	s_mov_b32 s2, -1
                                        ; implicit-def: $sgpr80
                                        ; implicit-def: $sgpr81
	s_and_saveexec_b32 s79, s6
	s_cbranch_execz .LBB213_299
; %bb.198:                              ;   in Loop: Header=BB213_31 Depth=1
	v_cmp_eq_u64_e32 vcc_lo, 1, v[6:7]
	s_cmp_eq_u64 s[16:17], 1
                                        ; implicit-def: $sgpr81
                                        ; implicit-def: $sgpr80
	s_cselect_b32 s2, -1, 0
	s_and_b32 s83, s2, vcc_lo
	s_mov_b32 s2, -1
	s_and_saveexec_b32 s82, s83
	s_cbranch_execz .LBB213_234
; %bb.199:                              ;   in Loop: Header=BB213_31 Depth=1
	ds_read_b64 v[4:5], v3 offset:5120
	s_waitcnt lgkmcnt(0)
	s_barrier
	buffer_gl0_inv
	v_readfirstlane_b32 s20, v4
	v_readfirstlane_b32 s21, v5
	s_and_saveexec_b32 s2, s10
; %bb.200:                              ;   in Loop: Header=BB213_31 Depth=1
	ds_write_b16 v44, v3
; %bb.201:                              ;   in Loop: Header=BB213_31 Depth=1
	s_or_b32 exec_lo, exec_lo, s2
	s_lshl_b32 s2, 2, s54
	v_or_b32_e32 v11, s11, v11
	v_and_or_b32 v10, v10, s26, s2
	s_mov_b32 s80, -1
	s_mov_b32 s81, 0
	s_cmp_eq_u64 s[20:21], 0
	s_mov_b32 s24, 0
	s_mov_b32 s2, -1
	s_waitcnt lgkmcnt(0)
	s_barrier
	buffer_gl0_inv
                                        ; implicit-def: $vgpr8
	s_cbranch_scc1 .LBB213_218
; %bb.202:                              ;   in Loop: Header=BB213_31 Depth=1
	s_add_u32 s6, s20, s93
	s_addc_u32 s23, s21, s94
	s_mov_b32 s22, s61
	s_cmp_lg_u64 s[22:23], 0
	s_cbranch_scc0 .LBB213_251
; %bb.203:                              ;   in Loop: Header=BB213_31 Depth=1
	v_cvt_f32_u32_e32 v4, s33
	s_sub_u32 s24, 0, s33
	s_subb_u32 s25, 0, 0
	v_fmac_f32_e64 v4, 0x4f800000, 0
	v_rcp_f32_e32 v4, v4
	v_mul_f32_e32 v4, 0x5f7ffffc, v4
	v_mul_f32_e32 v5, 0x2f800000, v4
	v_trunc_f32_e32 v5, v5
	v_fmac_f32_e32 v4, 0xcf800000, v5
	v_cvt_u32_f32_e32 v5, v5
	v_cvt_u32_f32_e32 v4, v4
	v_readfirstlane_b32 s2, v5
	v_readfirstlane_b32 s22, v4
	s_mul_i32 s60, s24, s2
	s_mul_hi_u32 s66, s24, s22
	s_mul_i32 s62, s25, s22
	s_add_i32 s60, s66, s60
	s_mul_i32 s67, s24, s22
	s_add_i32 s60, s60, s62
	s_mul_hi_u32 s66, s22, s67
	s_mul_i32 s85, s22, s60
	s_mul_hi_u32 s84, s2, s67
	s_mul_i32 s62, s2, s67
	s_mul_hi_u32 s67, s22, s60
	s_add_u32 s66, s66, s85
	s_addc_u32 s67, 0, s67
	s_mul_hi_u32 vcc_lo, s2, s60
	s_add_u32 s62, s66, s62
	s_mul_i32 s60, s2, s60
	s_addc_u32 s62, s67, s84
	s_addc_u32 s66, vcc_lo, 0
	s_add_u32 s60, s62, s60
	s_addc_u32 s62, 0, s66
	s_add_u32 s22, s22, s60
	s_cselect_b32 s60, -1, 0
	s_mul_hi_u32 s66, s24, s22
	s_cmp_lg_u32 s60, 0
	s_mul_i32 s60, s24, s22
	s_addc_u32 s2, s2, s62
	s_mul_i32 s25, s25, s22
	s_mul_i32 s24, s24, s2
	s_mul_hi_u32 s62, s22, s60
	s_add_i32 s24, s66, s24
	s_mul_hi_u32 s66, s2, s60
	s_add_i32 s24, s24, s25
	s_mul_i32 s25, s2, s60
	s_mul_i32 s84, s22, s24
	s_mul_hi_u32 s67, s22, s24
	s_add_u32 s62, s62, s84
	s_addc_u32 s67, 0, s67
	s_mul_hi_u32 s60, s2, s24
	s_add_u32 s25, s62, s25
	s_mul_i32 s24, s2, s24
	s_addc_u32 s25, s67, s66
	s_addc_u32 s60, s60, 0
	s_add_u32 s24, s25, s24
	s_addc_u32 s25, 0, s60
	s_add_u32 s22, s22, s24
	s_cselect_b32 s24, -1, 0
	s_mul_hi_u32 s60, s6, s22
	s_cmp_lg_u32 s24, 0
	s_mul_hi_u32 s24, s23, s22
	s_addc_u32 s2, s2, s25
	s_mul_i32 s22, s23, s22
	s_mul_i32 s62, s6, s2
	s_mul_hi_u32 s25, s6, s2
	s_add_u32 s60, s60, s62
	s_addc_u32 s25, 0, s25
	s_mul_hi_u32 s66, s23, s2
	s_add_u32 s22, s60, s22
	s_mul_i32 s2, s23, s2
	s_addc_u32 s22, s25, s24
	s_addc_u32 s24, s66, 0
	s_add_u32 s2, s22, s2
	s_addc_u32 s22, 0, s24
	s_mul_hi_u32 s24, s33, s2
	s_mul_i32 s22, s33, s22
	s_mul_i32 s2, s33, s2
	s_add_i32 s24, s24, s22
	s_sub_u32 s2, s6, s2
	s_cselect_b32 s22, -1, 0
	s_cmp_lg_u32 s22, 0
	s_subb_u32 s22, s23, s24
	s_sub_u32 s24, s2, s33
	s_cselect_b32 s25, -1, 0
	s_cmp_lg_u32 s25, 0
	s_subb_u32 s25, s22, 0
	;; [unrolled: 4-line block ×3, first 2 shown]
	s_cmp_ge_u32 s24, s33
	s_cselect_b32 s66, -1, 0
	s_cmp_eq_u32 s25, 0
	s_cselect_b32 s66, s66, -1
	s_cmp_lg_u32 s66, 0
	s_cselect_b32 s25, s62, s25
	s_cselect_b32 s24, s60, s24
	s_cmp_ge_u32 s2, s33
	s_cselect_b32 s60, -1, 0
	s_cmp_eq_u32 s22, 0
	s_cselect_b32 s60, s60, -1
	s_cmp_lg_u32 s60, 0
	s_cselect_b32 s25, s25, s22
	s_cselect_b32 s24, s24, s2
	s_cbranch_execnz .LBB213_205
.LBB213_204:                            ;   in Loop: Header=BB213_31 Depth=1
	v_cvt_f32_u32_e32 v4, s33
	s_sub_i32 s22, 0, s33
	v_rcp_iflag_f32_e32 v4, v4
	v_mul_f32_e32 v4, 0x4f7ffffe, v4
	v_cvt_u32_f32_e32 v4, v4
	v_readfirstlane_b32 s2, v4
	s_mul_i32 s22, s22, s2
	s_mul_hi_u32 s22, s2, s22
	s_add_i32 s2, s2, s22
	s_mul_hi_u32 s2, s6, s2
	s_mul_i32 s2, s2, s33
	s_sub_i32 s2, s6, s2
	s_sub_i32 s22, s2, s33
	s_cmp_ge_u32 s2, s33
	s_cselect_b32 s2, s22, s2
	s_sub_i32 s22, s2, s33
	s_cmp_ge_u32 s2, s33
	s_cselect_b32 s60, s22, s2
	s_mov_b64 s[24:25], s[60:61]
.LBB213_205:                            ;   in Loop: Header=BB213_31 Depth=1
	s_sub_u32 s22, s6, s24
	s_subb_u32 s23, s23, s25
	s_mov_b32 s2, 0
	s_mov_b32 s24, 0
	s_mov_b32 s6, exec_lo
                                        ; implicit-def: $vgpr8
	v_cmpx_gt_u64_e64 s[22:23], v[0:1]
	s_cbranch_execz .LBB213_217
; %bb.206:                              ;   in Loop: Header=BB213_31 Depth=1
	v_mov_b32_e32 v5, v1
	v_mov_b32_e32 v8, v43
	;; [unrolled: 1-line block ×3, first 2 shown]
                                        ; implicit-def: $sgpr25
	s_branch .LBB213_210
.LBB213_207:                            ;   in Loop: Header=BB213_210 Depth=2
	s_or_b32 exec_lo, exec_lo, s60
	s_waitcnt lgkmcnt(0)
	s_barrier
	buffer_gl0_inv
	ds_read_b32 v9, v3 offset:3072
	s_waitcnt lgkmcnt(0)
	s_barrier
	buffer_gl0_inv
	v_cmp_neq_f16_e32 vcc_lo, 0, v9
	s_cbranch_vccnz .LBB213_213
; %bb.208:                              ;   in Loop: Header=BB213_210 Depth=2
	v_add_co_u32 v4, vcc_lo, v4, s33
	v_add_co_ci_u32_e64 v5, null, 0, v5, vcc_lo
	v_add_nc_u32_e32 v8, vcc_hi, v8
	s_mov_b32 s60, 0
	v_cmp_le_u64_e32 vcc_lo, s[22:23], v[4:5]
	s_orn2_b32 s62, vcc_lo, exec_lo
.LBB213_209:                            ;   in Loop: Header=BB213_210 Depth=2
	s_and_b32 s62, exec_lo, s62
	s_or_b32 s24, s62, s24
	s_andn2_b32 s25, s25, exec_lo
	s_and_b32 s60, s60, exec_lo
	s_or_b32 s25, s25, s60
	s_andn2_b32 exec_lo, exec_lo, s24
	s_cbranch_execz .LBB213_216
.LBB213_210:                            ;   Parent Loop BB213_31 Depth=1
                                        ; =>  This Inner Loop Header: Depth=2
	s_mov_b32 s60, exec_lo
	v_cmpx_gt_u64_e64 s[20:21], v[4:5]
	s_cbranch_execz .LBB213_207
; %bb.211:                              ;   in Loop: Header=BB213_210 Depth=2
	ds_read_u16 v9, v8
	s_waitcnt lgkmcnt(0)
	v_cmp_lt_i16_e32 vcc_lo, -1, v9
	v_cndmask_b32_e32 v31, 0xffff, v49, vcc_lo
	v_cmp_o_f16_e32 vcc_lo, v9, v9
	v_xor_b32_sdwa v31, v31, v9 dst_sel:DWORD dst_unused:UNUSED_PAD src0_sel:DWORD src1_sel:WORD_0
	v_cndmask_b32_e32 v31, 0xffff, v31, vcc_lo
	v_and_b32_e32 v31, v31, v11
	v_cmp_eq_u32_e32 vcc_lo, v31, v10
	s_and_b32 exec_lo, exec_lo, vcc_lo
	s_cbranch_execz .LBB213_207
; %bb.212:                              ;   in Loop: Header=BB213_210 Depth=2
	v_perm_b32 v9, v9, s58, 0x5040100
	ds_write_b32 v3, v9 offset:3072
	s_branch .LBB213_207
.LBB213_213:                            ;   in Loop: Header=BB213_210 Depth=2
	s_mov_b32 s62, -1
	s_mov_b32 s60, -1
                                        ; implicit-def: $vgpr4_vgpr5
                                        ; implicit-def: $vgpr8
	s_branch .LBB213_209
.LBB213_214:                            ;   in Loop: Header=BB213_31 Depth=1
                                        ; implicit-def: $sgpr24_sgpr25
	s_andn2_b32 vcc_lo, exec_lo, s2
	s_cbranch_vccz .LBB213_157
	s_branch .LBB213_158
.LBB213_215:                            ;   in Loop: Header=BB213_31 Depth=1
                                        ; implicit-def: $sgpr20_sgpr21
	s_branch .LBB213_174
.LBB213_216:                            ;   in Loop: Header=BB213_31 Depth=1
	s_or_b32 exec_lo, exec_lo, s24
	v_lshrrev_b32_e32 v8, 16, v9
	s_and_b32 s24, s25, exec_lo
.LBB213_217:                            ;   in Loop: Header=BB213_31 Depth=1
	s_or_b32 exec_lo, exec_lo, s6
.LBB213_218:                            ;   in Loop: Header=BB213_31 Depth=1
	s_and_b32 vcc_lo, exec_lo, s2
	s_cbranch_vccz .LBB213_233
; %bb.219:                              ;   in Loop: Header=BB213_31 Depth=1
	s_mov_b32 s62, s61
	s_cmp_lg_u64 s[62:63], 0
	s_cbranch_scc0 .LBB213_252
; %bb.220:                              ;   in Loop: Header=BB213_31 Depth=1
	v_cvt_f32_u32_e32 v4, s33
	s_sub_u32 s20, 0, s33
	s_subb_u32 s21, 0, 0
	v_fmac_f32_e64 v4, 0x4f800000, 0
	v_rcp_f32_e32 v4, v4
	v_mul_f32_e32 v4, 0x5f7ffffc, v4
	v_mul_f32_e32 v5, 0x2f800000, v4
	v_trunc_f32_e32 v5, v5
	v_fmac_f32_e32 v4, 0xcf800000, v5
	v_cvt_u32_f32_e32 v5, v5
	v_cvt_u32_f32_e32 v4, v4
	v_readfirstlane_b32 s2, v5
	v_readfirstlane_b32 s6, v4
	s_mul_i32 s22, s20, s2
	s_mul_hi_u32 s25, s20, s6
	s_mul_i32 s23, s21, s6
	s_add_i32 s22, s25, s22
	s_mul_i32 s60, s20, s6
	s_add_i32 s22, s22, s23
	s_mul_hi_u32 s25, s6, s60
	s_mul_i32 s66, s6, s22
	s_mul_hi_u32 s62, s2, s60
	s_mul_i32 s23, s2, s60
	s_mul_hi_u32 s60, s6, s22
	s_add_u32 s25, s25, s66
	s_addc_u32 s60, 0, s60
	s_mul_hi_u32 s67, s2, s22
	s_add_u32 s23, s25, s23
	s_mul_i32 s22, s2, s22
	s_addc_u32 s23, s60, s62
	s_addc_u32 s25, s67, 0
	s_add_u32 s22, s23, s22
	s_addc_u32 s23, 0, s25
	s_add_u32 s6, s6, s22
	s_cselect_b32 s22, -1, 0
	s_mul_hi_u32 s25, s20, s6
	s_cmp_lg_u32 s22, 0
	s_mul_i32 s22, s20, s6
	s_addc_u32 s2, s2, s23
	s_mul_i32 s21, s21, s6
	s_mul_i32 s20, s20, s2
	s_mul_hi_u32 s23, s6, s22
	s_add_i32 s20, s25, s20
	s_mul_hi_u32 s25, s2, s22
	s_add_i32 s20, s20, s21
	s_mul_i32 s21, s2, s22
	s_mul_i32 s62, s6, s20
	s_mul_hi_u32 s60, s6, s20
	s_add_u32 s23, s23, s62
	s_addc_u32 s60, 0, s60
	s_mul_hi_u32 s22, s2, s20
	s_add_u32 s21, s23, s21
	s_mul_i32 s20, s2, s20
	s_addc_u32 s21, s60, s25
	s_addc_u32 s22, s22, 0
	s_add_u32 s20, s21, s20
	s_addc_u32 s21, 0, s22
	s_add_u32 s6, s6, s20
	s_cselect_b32 s20, -1, 0
	s_mul_hi_u32 s22, s95, s6
	s_cmp_lg_u32 s20, 0
	s_mul_hi_u32 s20, s63, s6
	s_addc_u32 s2, s2, s21
	s_mul_i32 s6, s63, s6
	s_mul_i32 s23, s95, s2
	s_mul_hi_u32 s21, s95, s2
	s_add_u32 s22, s22, s23
	s_addc_u32 s21, 0, s21
	s_mul_hi_u32 s25, s63, s2
	s_add_u32 s6, s22, s6
	s_mul_i32 s2, s63, s2
	s_addc_u32 s6, s21, s20
	s_addc_u32 s20, s25, 0
	s_add_u32 s2, s6, s2
	s_addc_u32 s6, 0, s20
	s_mul_hi_u32 s20, s33, s2
	s_mul_i32 s6, s33, s6
	s_mul_i32 s2, s33, s2
	s_add_i32 s20, s20, s6
	s_sub_u32 s2, s95, s2
	s_cselect_b32 s6, -1, 0
	s_cmp_lg_u32 s6, 0
	s_subb_u32 s6, s63, s20
	s_sub_u32 s20, s2, s33
	s_cselect_b32 s21, -1, 0
	s_cmp_lg_u32 s21, 0
	s_subb_u32 s21, s6, 0
	;; [unrolled: 4-line block ×3, first 2 shown]
	s_cmp_ge_u32 s20, s33
	s_cselect_b32 s25, -1, 0
	s_cmp_eq_u32 s21, 0
	s_cselect_b32 s25, s25, -1
	s_cmp_lg_u32 s25, 0
	s_cselect_b32 s21, s23, s21
	s_cselect_b32 s20, s22, s20
	s_cmp_ge_u32 s2, s33
	s_cselect_b32 s22, -1, 0
	s_cmp_eq_u32 s6, 0
	s_cselect_b32 s22, s22, -1
	s_cmp_lg_u32 s22, 0
	s_cselect_b32 s21, s21, s6
	s_cselect_b32 s20, s20, s2
	s_cbranch_execnz .LBB213_222
.LBB213_221:                            ;   in Loop: Header=BB213_31 Depth=1
	v_cvt_f32_u32_e32 v4, s33
	s_sub_i32 s6, 0, s33
	v_rcp_iflag_f32_e32 v4, v4
	v_mul_f32_e32 v4, 0x4f7ffffe, v4
	v_cvt_u32_f32_e32 v4, v4
	v_readfirstlane_b32 s2, v4
	s_mul_i32 s6, s6, s2
	s_mul_hi_u32 s6, s2, s6
	s_add_i32 s2, s2, s6
	s_mul_hi_u32 s2, s95, s2
	s_mul_i32 s2, s2, s33
	s_sub_i32 s2, s95, s2
	s_sub_i32 s6, s2, s33
	s_cmp_ge_u32 s2, s33
	s_cselect_b32 s2, s6, s2
	s_sub_i32 s6, s2, s33
	s_cmp_ge_u32 s2, s33
	s_cselect_b32 s60, s6, s2
	s_mov_b64 s[20:21], s[60:61]
.LBB213_222:                            ;   in Loop: Header=BB213_31 Depth=1
	s_sub_u32 s20, s95, s20
	s_subb_u32 s21, s63, s21
	s_mov_b32 s2, exec_lo
                                        ; implicit-def: $vgpr8
	v_cmpx_gt_u64_e64 s[20:21], v[0:1]
	s_cbranch_execz .LBB213_232
; %bb.223:                              ;   in Loop: Header=BB213_31 Depth=1
	v_mov_b32_e32 v4, v27
	v_mov_b32_e32 v9, v1
	;; [unrolled: 1-line block ×4, first 2 shown]
	s_mov_b32 s22, 0
                                        ; implicit-def: $sgpr23
	s_branch .LBB213_227
.LBB213_224:                            ;   in Loop: Header=BB213_227 Depth=2
	s_or_b32 exec_lo, exec_lo, s6
	s_waitcnt lgkmcnt(0)
	s_barrier
	buffer_gl0_inv
	ds_read_b32 v31, v3 offset:3072
	s_waitcnt lgkmcnt(0)
	s_barrier
	buffer_gl0_inv
	v_cmp_eq_f16_e32 vcc_lo, 0, v31
	s_cbranch_vccz .LBB213_230
; %bb.225:                              ;   in Loop: Header=BB213_227 Depth=2
	v_add_co_u32 v8, vcc_lo, v8, s33
	v_add_co_ci_u32_e64 v9, null, 0, v9, vcc_lo
	v_add_co_u32 v4, s6, v4, s42
	v_add_co_ci_u32_e64 v5, null, s43, v5, s6
	v_cmp_le_u64_e32 vcc_lo, s[20:21], v[8:9]
	s_mov_b32 s6, 0
	s_orn2_b32 s25, vcc_lo, exec_lo
.LBB213_226:                            ;   in Loop: Header=BB213_227 Depth=2
	s_and_b32 s25, exec_lo, s25
	s_or_b32 s22, s25, s22
	s_andn2_b32 s23, s23, exec_lo
	s_and_b32 s6, s6, exec_lo
	s_or_b32 s23, s23, s6
	s_andn2_b32 exec_lo, exec_lo, s22
	s_cbranch_execz .LBB213_231
.LBB213_227:                            ;   Parent Loop BB213_31 Depth=1
                                        ; =>  This Inner Loop Header: Depth=2
	s_mov_b32 s6, exec_lo
	v_cmpx_gt_u64_e64 s[36:37], v[8:9]
	s_cbranch_execz .LBB213_224
; %bb.228:                              ;   in Loop: Header=BB213_227 Depth=2
	global_load_ushort v31, v[4:5], off
	s_waitcnt vmcnt(0)
	v_cmp_lt_i16_e32 vcc_lo, -1, v31
	v_cndmask_b32_e32 v32, 0xffff, v49, vcc_lo
	v_cmp_o_f16_e32 vcc_lo, v31, v31
	v_xor_b32_sdwa v32, v32, v31 dst_sel:DWORD dst_unused:UNUSED_PAD src0_sel:DWORD src1_sel:WORD_0
	v_cndmask_b32_e32 v32, 0xffff, v32, vcc_lo
	v_and_b32_e32 v32, v32, v11
	v_cmp_eq_u32_e32 vcc_lo, v32, v10
	s_and_b32 exec_lo, exec_lo, vcc_lo
	s_cbranch_execz .LBB213_224
; %bb.229:                              ;   in Loop: Header=BB213_227 Depth=2
	v_perm_b32 v31, v31, s58, 0x5040100
	ds_write_b32 v3, v31 offset:3072
	s_branch .LBB213_224
.LBB213_230:                            ;   in Loop: Header=BB213_227 Depth=2
	s_mov_b32 s25, -1
	s_mov_b32 s6, -1
                                        ; implicit-def: $vgpr8_vgpr9
                                        ; implicit-def: $vgpr4_vgpr5
	s_branch .LBB213_226
.LBB213_231:                            ;   in Loop: Header=BB213_31 Depth=1
	s_or_b32 exec_lo, exec_lo, s22
	v_lshrrev_b32_e32 v8, 16, v31
	s_andn2_b32 s6, s24, exec_lo
	s_and_b32 s20, s23, exec_lo
	s_or_b32 s24, s6, s20
.LBB213_232:                            ;   in Loop: Header=BB213_31 Depth=1
	s_or_b32 exec_lo, exec_lo, s2
	s_mov_b32 s80, 0
	s_mov_b32 s81, -1
.LBB213_233:                            ;   in Loop: Header=BB213_31 Depth=1
	s_orn2_b32 s2, s24, exec_lo
.LBB213_234:                            ;   in Loop: Header=BB213_31 Depth=1
	s_or_b32 exec_lo, exec_lo, s82
	s_mov_b32 s6, 0
	s_and_saveexec_b32 s82, s2
	s_cbranch_execz .LBB213_298
; %bb.235:                              ;   in Loop: Header=BB213_31 Depth=1
	v_mov_b32_e32 v4, 1
	v_mov_b32_e32 v5, 0
	v_mov_b32_e32 v2, 1
	s_xor_b32 s6, s83, -1
	s_mov_b32 s20, 0
	s_and_saveexec_b32 s2, s6
	s_cbranch_execz .LBB213_244
; %bb.236:                              ;   in Loop: Header=BB213_31 Depth=1
	s_mov_b32 s6, exec_lo
	v_cmpx_ge_u64_e64 s[16:17], v[6:7]
	s_xor_b32 s6, exec_lo, s6
	s_cbranch_execz .LBB213_241
; %bb.237:                              ;   in Loop: Header=BB213_31 Depth=1
	ds_read_b64 v[4:5], v3 offset:5120
	s_lshl_b32 s20, 2, s54
	v_or_b32_e32 v11, s11, v11
	v_and_or_b32 v10, v10, s26, s20
	s_waitcnt lgkmcnt(0)
	v_cmp_ne_u64_e32 vcc_lo, 0, v[4:5]
	s_cbranch_vccnz .LBB213_241
; %bb.238:                              ;   in Loop: Header=BB213_31 Depth=1
	s_and_saveexec_b32 s20, s3
; %bb.239:                              ;   in Loop: Header=BB213_31 Depth=1
	v_mov_b32_e32 v4, s16
	v_mov_b32_e32 v5, s17
	ds_write_b64 v3, v[4:5] offset:5128
; %bb.240:                              ;   in Loop: Header=BB213_31 Depth=1
	s_or_b32 exec_lo, exec_lo, s20
	s_waitcnt lgkmcnt(0)
	s_barrier
	buffer_gl0_inv
.LBB213_241:                            ;   in Loop: Header=BB213_31 Depth=1
	s_or_saveexec_b32 s6, s6
	v_mov_b32_e32 v2, 8
	s_mov_b32 s20, 0
	s_xor_b32 exec_lo, exec_lo, s6
; %bb.242:                              ;   in Loop: Header=BB213_31 Depth=1
	v_sub_co_u32 v6, vcc_lo, v6, s16
	v_subrev_co_ci_u32_e64 v7, null, s17, v7, vcc_lo
	v_mov_b32_e32 v2, 0
	s_mov_b32 s20, exec_lo
; %bb.243:                              ;   in Loop: Header=BB213_31 Depth=1
	s_or_b32 exec_lo, exec_lo, s6
	v_mov_b32_e32 v4, v6
	v_mov_b32_e32 v5, v7
	s_and_b32 s20, s20, exec_lo
.LBB213_244:                            ;   in Loop: Header=BB213_31 Depth=1
	s_or_b32 exec_lo, exec_lo, s2
	s_mov_b32 s2, -1
                                        ; implicit-def: $sgpr62
                                        ; implicit-def: $sgpr6
	s_and_saveexec_b32 s83, s20
	s_cbranch_execz .LBB213_297
; %bb.245:                              ;   in Loop: Header=BB213_31 Depth=1
	v_cmp_eq_u64_e32 vcc_lo, 1, v[4:5]
	s_cmp_eq_u64 s[18:19], 1
	s_mov_b32 s20, -1
	s_cselect_b32 s2, -1, 0
                                        ; implicit-def: $sgpr62
                                        ; implicit-def: $sgpr6
	s_and_b32 s84, s2, vcc_lo
	s_and_saveexec_b32 s85, s84
	s_cbranch_execz .LBB213_285
; %bb.246:                              ;   in Loop: Header=BB213_31 Depth=1
	ds_read_b64 v[6:7], v3 offset:5120
	s_waitcnt lgkmcnt(0)
	s_barrier
	buffer_gl0_inv
	v_readfirstlane_b32 s20, v6
	v_readfirstlane_b32 s21, v7
	s_and_saveexec_b32 s2, s10
; %bb.247:                              ;   in Loop: Header=BB213_31 Depth=1
	ds_write_b16 v44, v3
; %bb.248:                              ;   in Loop: Header=BB213_31 Depth=1
	s_or_b32 exec_lo, exec_lo, s2
	v_or_b32_e32 v10, s11, v10
	v_or_b32_e32 v11, s11, v11
	s_mov_b32 s6, -1
	s_mov_b32 s62, 0
	s_cmp_eq_u64 s[20:21], 0
	s_mov_b32 s24, 0
	s_mov_b32 s2, -1
	s_waitcnt lgkmcnt(0)
	s_barrier
	buffer_gl0_inv
                                        ; implicit-def: $vgpr8
	s_cbranch_scc1 .LBB213_267
; %bb.249:                              ;   in Loop: Header=BB213_31 Depth=1
	v_writelane_b32 v53, s84, 16
	s_add_u32 s2, s20, s93
	s_addc_u32 s23, s21, s94
	s_mov_b32 s22, s61
	s_cmp_lg_u64 s[22:23], 0
	v_writelane_b32 v53, s104, 17
	s_cbranch_scc0 .LBB213_253
; %bb.250:                              ;   in Loop: Header=BB213_31 Depth=1
	v_cvt_f32_u32_e32 v6, s33
	s_sub_u32 s25, 0, s33
	s_subb_u32 s60, 0, 0
	v_fmac_f32_e64 v6, 0x4f800000, 0
	v_rcp_f32_e32 v6, v6
	v_mul_f32_e32 v6, 0x5f7ffffc, v6
	v_mul_f32_e32 v7, 0x2f800000, v6
	v_trunc_f32_e32 v7, v7
	v_fmac_f32_e32 v6, 0xcf800000, v7
	v_cvt_u32_f32_e32 v7, v7
	v_cvt_u32_f32_e32 v6, v6
	v_readfirstlane_b32 s22, v7
	v_readfirstlane_b32 s24, v6
	s_mul_i32 s66, s25, s22
	s_mul_hi_u32 vcc_lo, s25, s24
	s_mul_i32 s67, s60, s24
	s_add_i32 s66, vcc_lo, s66
	s_mul_i32 s98, s25, s24
	s_add_i32 s66, s66, s67
	s_mul_hi_u32 vcc_lo, s24, s98
	s_mul_i32 s99, s24, s66
	s_mul_hi_u32 s84, s22, s98
	s_mul_i32 s67, s22, s98
	s_mul_hi_u32 s98, s24, s66
	s_add_u32 s99, vcc_lo, s99
	s_addc_u32 s98, 0, s98
	s_mul_hi_u32 s104, s22, s66
	s_add_u32 s67, s99, s67
	s_mul_i32 s66, s22, s66
	s_addc_u32 s67, s98, s84
	s_addc_u32 s84, s104, 0
	s_add_u32 s66, s67, s66
	s_addc_u32 s67, 0, s84
	s_add_u32 s24, s24, s66
	s_cselect_b32 s66, -1, 0
	s_mul_hi_u32 s84, s25, s24
	s_cmp_lg_u32 s66, 0
	s_mul_i32 s66, s25, s24
	s_addc_u32 s22, s22, s67
	s_mul_i32 s60, s60, s24
	s_mul_i32 s25, s25, s22
	s_mul_hi_u32 s67, s24, s66
	s_add_i32 s25, s84, s25
	s_mul_hi_u32 s84, s22, s66
	s_add_i32 s25, s25, s60
	s_mul_i32 s60, s22, s66
	s_mul_i32 s99, s24, s25
	s_mul_hi_u32 s98, s24, s25
	s_add_u32 s67, s67, s99
	s_addc_u32 s98, 0, s98
	s_mul_hi_u32 s66, s22, s25
	s_add_u32 s60, s67, s60
	s_mul_i32 s25, s22, s25
	s_addc_u32 s60, s98, s84
	s_addc_u32 s66, s66, 0
	s_add_u32 s25, s60, s25
	s_addc_u32 s60, 0, s66
	s_add_u32 s24, s24, s25
	s_cselect_b32 s25, -1, 0
	s_mul_hi_u32 s66, s2, s24
	s_cmp_lg_u32 s25, 0
	s_mul_hi_u32 s25, s23, s24
	s_addc_u32 s22, s22, s60
	s_mul_i32 s24, s23, s24
	s_mul_i32 s67, s2, s22
	s_mul_hi_u32 s60, s2, s22
	s_add_u32 s66, s66, s67
	s_addc_u32 s60, 0, s60
	s_mul_hi_u32 s84, s23, s22
	s_add_u32 s24, s66, s24
	s_mul_i32 s22, s23, s22
	s_addc_u32 s24, s60, s25
	s_addc_u32 s25, s84, 0
	s_add_u32 s22, s24, s22
	s_addc_u32 s24, 0, s25
	s_mul_hi_u32 s25, s33, s22
	s_mul_i32 s24, s33, s24
	s_mul_i32 s22, s33, s22
	s_add_i32 s25, s25, s24
	s_sub_u32 s22, s2, s22
	s_cselect_b32 s24, -1, 0
	s_cmp_lg_u32 s24, 0
	s_subb_u32 s24, s23, s25
	s_sub_u32 s25, s22, s33
	s_cselect_b32 s60, -1, 0
	s_cmp_lg_u32 s60, 0
	s_subb_u32 s60, s24, 0
	;; [unrolled: 4-line block ×3, first 2 shown]
	s_cmp_ge_u32 s25, s33
	s_cselect_b32 s84, -1, 0
	s_cmp_eq_u32 s60, 0
	s_cselect_b32 s84, s84, -1
	s_cmp_lg_u32 s84, 0
	s_cselect_b32 s60, s67, s60
	s_cselect_b32 s66, s66, s25
	s_cmp_ge_u32 s22, s33
	s_cselect_b32 s25, -1, 0
	s_cmp_eq_u32 s24, 0
	s_cselect_b32 s25, s25, -1
	s_cmp_lg_u32 s25, 0
	s_cselect_b32 s25, s60, s24
	s_cselect_b32 s24, s66, s22
	s_mov_b32 s22, 0
	s_branch .LBB213_254
.LBB213_251:                            ;   in Loop: Header=BB213_31 Depth=1
                                        ; implicit-def: $sgpr24_sgpr25
	s_andn2_b32 vcc_lo, exec_lo, s2
	s_cbranch_vccz .LBB213_204
	s_branch .LBB213_205
.LBB213_252:                            ;   in Loop: Header=BB213_31 Depth=1
                                        ; implicit-def: $sgpr20_sgpr21
	s_branch .LBB213_221
.LBB213_253:                            ;   in Loop: Header=BB213_31 Depth=1
	s_mov_b32 s22, -1
                                        ; implicit-def: $sgpr24_sgpr25
.LBB213_254:                            ;   in Loop: Header=BB213_31 Depth=1
	s_andn2_b32 vcc_lo, exec_lo, s22
	s_cbranch_vccnz .LBB213_256
; %bb.255:                              ;   in Loop: Header=BB213_31 Depth=1
	v_cvt_f32_u32_e32 v6, s33
	s_sub_i32 s24, 0, s33
	v_rcp_iflag_f32_e32 v6, v6
	v_mul_f32_e32 v6, 0x4f7ffffe, v6
	v_cvt_u32_f32_e32 v6, v6
	v_readfirstlane_b32 s22, v6
	s_mul_i32 s24, s24, s22
	s_mul_hi_u32 s24, s22, s24
	s_add_i32 s22, s22, s24
	s_mul_hi_u32 s22, s2, s22
	s_mul_i32 s22, s22, s33
	s_sub_i32 s22, s2, s22
	s_sub_i32 s24, s22, s33
	s_cmp_ge_u32 s22, s33
	s_cselect_b32 s22, s24, s22
	s_sub_i32 s24, s22, s33
	s_cmp_ge_u32 s22, s33
	s_cselect_b32 s60, s24, s22
	s_mov_b64 s[24:25], s[60:61]
.LBB213_256:                            ;   in Loop: Header=BB213_31 Depth=1
	s_sub_u32 s22, s2, s24
	s_subb_u32 s23, s23, s25
	s_mov_b32 s2, 0
	s_mov_b32 s24, 0
	s_mov_b32 s25, exec_lo
                                        ; implicit-def: $vgpr8
	v_cmpx_gt_u64_e64 s[22:23], v[0:1]
	s_load_dwordx2 s[98:99], s[4:5], 0x0
	v_readlane_b32 s104, v53, 17
	v_readlane_b32 s84, v53, 16
	s_cbranch_execz .LBB213_266
; %bb.257:                              ;   in Loop: Header=BB213_31 Depth=1
	v_mov_b32_e32 v7, v1
	v_mov_b32_e32 v8, v43
	;; [unrolled: 1-line block ×3, first 2 shown]
                                        ; implicit-def: $sgpr60
	s_branch .LBB213_261
.LBB213_258:                            ;   in Loop: Header=BB213_261 Depth=2
	s_or_b32 exec_lo, exec_lo, s66
	s_waitcnt lgkmcnt(0)
	s_barrier
	buffer_gl0_inv
	ds_read_b32 v9, v3 offset:3072
	s_waitcnt lgkmcnt(0)
	s_barrier
	buffer_gl0_inv
	v_cmp_neq_f16_e32 vcc_lo, 0, v9
	s_cbranch_vccnz .LBB213_264
; %bb.259:                              ;   in Loop: Header=BB213_261 Depth=2
	v_add_co_u32 v6, vcc_lo, v6, s33
	v_add_co_ci_u32_e64 v7, null, 0, v7, vcc_lo
	v_add_nc_u32_e32 v8, vcc_hi, v8
	s_mov_b32 s66, 0
	v_cmp_le_u64_e32 vcc_lo, s[22:23], v[6:7]
	s_orn2_b32 s67, vcc_lo, exec_lo
.LBB213_260:                            ;   in Loop: Header=BB213_261 Depth=2
	s_and_b32 s67, exec_lo, s67
	s_or_b32 s24, s67, s24
	s_andn2_b32 s60, s60, exec_lo
	s_and_b32 s66, s66, exec_lo
	s_or_b32 s60, s60, s66
	s_andn2_b32 exec_lo, exec_lo, s24
	s_cbranch_execz .LBB213_265
.LBB213_261:                            ;   Parent Loop BB213_31 Depth=1
                                        ; =>  This Inner Loop Header: Depth=2
	s_mov_b32 s66, exec_lo
	v_cmpx_gt_u64_e64 s[20:21], v[6:7]
	s_cbranch_execz .LBB213_258
; %bb.262:                              ;   in Loop: Header=BB213_261 Depth=2
	ds_read_u16 v9, v8
	s_waitcnt lgkmcnt(0)
	v_cmp_lt_i16_e32 vcc_lo, -1, v9
	v_cndmask_b32_e32 v31, 0xffff, v49, vcc_lo
	v_cmp_o_f16_e32 vcc_lo, v9, v9
	v_xor_b32_sdwa v31, v31, v9 dst_sel:DWORD dst_unused:UNUSED_PAD src0_sel:DWORD src1_sel:WORD_0
	v_cndmask_b32_e32 v31, 0xffff, v31, vcc_lo
	v_and_b32_e32 v31, v31, v11
	v_cmp_eq_u32_e32 vcc_lo, v31, v10
	s_and_b32 exec_lo, exec_lo, vcc_lo
	s_cbranch_execz .LBB213_258
; %bb.263:                              ;   in Loop: Header=BB213_261 Depth=2
	v_perm_b32 v9, v9, s58, 0x5040100
	ds_write_b32 v3, v9 offset:3072
	s_branch .LBB213_258
.LBB213_264:                            ;   in Loop: Header=BB213_261 Depth=2
	s_mov_b32 s67, -1
	s_mov_b32 s66, -1
                                        ; implicit-def: $vgpr6_vgpr7
                                        ; implicit-def: $vgpr8
	s_branch .LBB213_260
.LBB213_265:                            ;   in Loop: Header=BB213_31 Depth=1
	s_or_b32 exec_lo, exec_lo, s24
	v_lshrrev_b32_e32 v8, 16, v9
	s_and_b32 s24, s60, exec_lo
.LBB213_266:                            ;   in Loop: Header=BB213_31 Depth=1
	s_or_b32 exec_lo, exec_lo, s25
.LBB213_267:                            ;   in Loop: Header=BB213_31 Depth=1
	s_and_b32 vcc_lo, exec_lo, s2
	s_cbranch_vccz .LBB213_284
; %bb.268:                              ;   in Loop: Header=BB213_31 Depth=1
	s_mov_b32 s62, s61
	s_cmp_lg_u64 s[62:63], 0
	s_cbranch_scc0 .LBB213_270
; %bb.269:                              ;   in Loop: Header=BB213_31 Depth=1
	v_cvt_f32_u32_e32 v6, s33
	s_sub_u32 s20, 0, s33
	s_subb_u32 s21, 0, 0
	v_fmac_f32_e64 v6, 0x4f800000, 0
	v_rcp_f32_e32 v6, v6
	v_mul_f32_e32 v6, 0x5f7ffffc, v6
	v_mul_f32_e32 v7, 0x2f800000, v6
	v_trunc_f32_e32 v7, v7
	v_fmac_f32_e32 v6, 0xcf800000, v7
	v_cvt_u32_f32_e32 v7, v7
	v_cvt_u32_f32_e32 v6, v6
	v_readfirstlane_b32 s2, v7
	v_readfirstlane_b32 s6, v6
	s_mul_i32 s22, s20, s2
	s_mul_hi_u32 s25, s20, s6
	s_mul_i32 s23, s21, s6
	s_add_i32 s22, s25, s22
	s_mul_i32 s60, s20, s6
	s_add_i32 s22, s22, s23
	s_mul_hi_u32 s25, s6, s60
	s_mul_i32 s66, s6, s22
	s_mul_hi_u32 s62, s2, s60
	s_mul_i32 s23, s2, s60
	s_mul_hi_u32 s60, s6, s22
	s_add_u32 s25, s25, s66
	s_addc_u32 s60, 0, s60
	s_mul_hi_u32 s67, s2, s22
	s_add_u32 s23, s25, s23
	s_mul_i32 s22, s2, s22
	s_addc_u32 s23, s60, s62
	s_addc_u32 s25, s67, 0
	s_add_u32 s22, s23, s22
	s_addc_u32 s23, 0, s25
	s_add_u32 s6, s6, s22
	s_cselect_b32 s22, -1, 0
	s_mul_hi_u32 s25, s20, s6
	s_cmp_lg_u32 s22, 0
	s_mul_i32 s22, s20, s6
	s_addc_u32 s2, s2, s23
	s_mul_i32 s21, s21, s6
	s_mul_i32 s20, s20, s2
	s_mul_hi_u32 s23, s6, s22
	s_add_i32 s20, s25, s20
	s_mul_hi_u32 s25, s2, s22
	s_add_i32 s20, s20, s21
	s_mul_i32 s21, s2, s22
	s_mul_i32 s62, s6, s20
	s_mul_hi_u32 s60, s6, s20
	s_add_u32 s23, s23, s62
	s_addc_u32 s60, 0, s60
	s_mul_hi_u32 s22, s2, s20
	s_add_u32 s21, s23, s21
	s_mul_i32 s20, s2, s20
	s_addc_u32 s21, s60, s25
	s_addc_u32 s22, s22, 0
	s_add_u32 s20, s21, s20
	s_addc_u32 s21, 0, s22
	s_add_u32 s6, s6, s20
	s_cselect_b32 s20, -1, 0
	s_mul_hi_u32 s22, s95, s6
	s_cmp_lg_u32 s20, 0
	s_mul_hi_u32 s20, s63, s6
	s_addc_u32 s2, s2, s21
	s_mul_i32 s6, s63, s6
	s_mul_i32 s23, s95, s2
	s_mul_hi_u32 s21, s95, s2
	s_add_u32 s22, s22, s23
	s_addc_u32 s21, 0, s21
	s_mul_hi_u32 s25, s63, s2
	s_add_u32 s6, s22, s6
	s_mul_i32 s2, s63, s2
	s_addc_u32 s6, s21, s20
	s_addc_u32 s20, s25, 0
	s_add_u32 s2, s6, s2
	s_addc_u32 s6, 0, s20
	s_mul_hi_u32 s20, s33, s2
	s_mul_i32 s6, s33, s6
	s_mul_i32 s2, s33, s2
	s_add_i32 s20, s20, s6
	s_sub_u32 s2, s95, s2
	s_cselect_b32 s6, -1, 0
	s_cmp_lg_u32 s6, 0
	s_subb_u32 s6, s63, s20
	s_sub_u32 s20, s2, s33
	s_cselect_b32 s21, -1, 0
	s_cmp_lg_u32 s21, 0
	s_subb_u32 s21, s6, 0
	;; [unrolled: 4-line block ×3, first 2 shown]
	s_cmp_ge_u32 s20, s33
	s_cselect_b32 s25, -1, 0
	s_cmp_eq_u32 s21, 0
	s_cselect_b32 s25, s25, -1
	s_cmp_lg_u32 s25, 0
	s_cselect_b32 s21, s23, s21
	s_cselect_b32 s20, s22, s20
	s_cmp_ge_u32 s2, s33
	s_cselect_b32 s22, -1, 0
	s_cmp_eq_u32 s6, 0
	s_cselect_b32 s22, s22, -1
	s_cmp_lg_u32 s22, 0
	s_cselect_b32 s21, s21, s6
	s_cselect_b32 s20, s20, s2
	s_mov_b32 s2, 0
	s_branch .LBB213_271
.LBB213_270:                            ;   in Loop: Header=BB213_31 Depth=1
	s_mov_b32 s2, -1
                                        ; implicit-def: $sgpr20_sgpr21
.LBB213_271:                            ;   in Loop: Header=BB213_31 Depth=1
	s_andn2_b32 vcc_lo, exec_lo, s2
	s_cbranch_vccnz .LBB213_273
; %bb.272:                              ;   in Loop: Header=BB213_31 Depth=1
	v_cvt_f32_u32_e32 v6, s33
	s_sub_i32 s6, 0, s33
	v_rcp_iflag_f32_e32 v6, v6
	v_mul_f32_e32 v6, 0x4f7ffffe, v6
	v_cvt_u32_f32_e32 v6, v6
	v_readfirstlane_b32 s2, v6
	s_mul_i32 s6, s6, s2
	s_mul_hi_u32 s6, s2, s6
	s_add_i32 s2, s2, s6
	s_mul_hi_u32 s2, s95, s2
	s_mul_i32 s2, s2, s33
	s_sub_i32 s2, s95, s2
	s_sub_i32 s6, s2, s33
	s_cmp_ge_u32 s2, s33
	s_cselect_b32 s2, s6, s2
	s_sub_i32 s6, s2, s33
	s_cmp_ge_u32 s2, s33
	s_cselect_b32 s60, s6, s2
	s_mov_b64 s[20:21], s[60:61]
.LBB213_273:                            ;   in Loop: Header=BB213_31 Depth=1
	s_sub_u32 s20, s95, s20
	s_subb_u32 s21, s63, s21
	s_mov_b32 s2, exec_lo
                                        ; implicit-def: $vgpr8
	v_cmpx_gt_u64_e64 s[20:21], v[0:1]
	s_cbranch_execz .LBB213_283
; %bb.274:                              ;   in Loop: Header=BB213_31 Depth=1
	v_mov_b32_e32 v6, v27
	v_mov_b32_e32 v9, v1
	;; [unrolled: 1-line block ×4, first 2 shown]
	s_mov_b32 s22, 0
                                        ; implicit-def: $sgpr23
	s_branch .LBB213_278
.LBB213_275:                            ;   in Loop: Header=BB213_278 Depth=2
	s_or_b32 exec_lo, exec_lo, s6
	s_waitcnt lgkmcnt(0)
	s_barrier
	buffer_gl0_inv
	ds_read_b32 v31, v3 offset:3072
	s_waitcnt lgkmcnt(0)
	s_barrier
	buffer_gl0_inv
	v_cmp_eq_f16_e32 vcc_lo, 0, v31
	s_cbranch_vccz .LBB213_281
; %bb.276:                              ;   in Loop: Header=BB213_278 Depth=2
	v_add_co_u32 v8, vcc_lo, v8, s33
	v_add_co_ci_u32_e64 v9, null, 0, v9, vcc_lo
	v_add_co_u32 v6, s6, v6, s42
	v_add_co_ci_u32_e64 v7, null, s43, v7, s6
	v_cmp_le_u64_e32 vcc_lo, s[20:21], v[8:9]
	s_mov_b32 s6, 0
	s_orn2_b32 s25, vcc_lo, exec_lo
.LBB213_277:                            ;   in Loop: Header=BB213_278 Depth=2
	s_and_b32 s25, exec_lo, s25
	s_or_b32 s22, s25, s22
	s_andn2_b32 s23, s23, exec_lo
	s_and_b32 s6, s6, exec_lo
	s_or_b32 s23, s23, s6
	s_andn2_b32 exec_lo, exec_lo, s22
	s_cbranch_execz .LBB213_282
.LBB213_278:                            ;   Parent Loop BB213_31 Depth=1
                                        ; =>  This Inner Loop Header: Depth=2
	s_mov_b32 s6, exec_lo
	v_cmpx_gt_u64_e64 s[36:37], v[8:9]
	s_cbranch_execz .LBB213_275
; %bb.279:                              ;   in Loop: Header=BB213_278 Depth=2
	global_load_ushort v31, v[6:7], off
	s_waitcnt vmcnt(0)
	v_cmp_lt_i16_e32 vcc_lo, -1, v31
	v_cndmask_b32_e32 v32, 0xffff, v49, vcc_lo
	v_cmp_o_f16_e32 vcc_lo, v31, v31
	v_xor_b32_sdwa v32, v32, v31 dst_sel:DWORD dst_unused:UNUSED_PAD src0_sel:DWORD src1_sel:WORD_0
	v_cndmask_b32_e32 v32, 0xffff, v32, vcc_lo
	v_and_b32_e32 v32, v32, v11
	v_cmp_eq_u32_e32 vcc_lo, v32, v10
	s_and_b32 exec_lo, exec_lo, vcc_lo
	s_cbranch_execz .LBB213_275
; %bb.280:                              ;   in Loop: Header=BB213_278 Depth=2
	v_perm_b32 v31, v31, s58, 0x5040100
	ds_write_b32 v3, v31 offset:3072
	s_branch .LBB213_275
.LBB213_281:                            ;   in Loop: Header=BB213_278 Depth=2
	s_mov_b32 s25, -1
	s_mov_b32 s6, -1
                                        ; implicit-def: $vgpr8_vgpr9
                                        ; implicit-def: $vgpr6_vgpr7
	s_branch .LBB213_277
.LBB213_282:                            ;   in Loop: Header=BB213_31 Depth=1
	s_or_b32 exec_lo, exec_lo, s22
	v_lshrrev_b32_e32 v8, 16, v31
	s_andn2_b32 s6, s24, exec_lo
	s_and_b32 s20, s23, exec_lo
	s_or_b32 s24, s6, s20
.LBB213_283:                            ;   in Loop: Header=BB213_31 Depth=1
	s_or_b32 exec_lo, exec_lo, s2
	s_mov_b32 s6, 0
	s_mov_b32 s62, -1
.LBB213_284:                            ;   in Loop: Header=BB213_31 Depth=1
	s_orn2_b32 s20, s24, exec_lo
.LBB213_285:                            ;   in Loop: Header=BB213_31 Depth=1
	s_or_b32 exec_lo, exec_lo, s85
	s_mov_b32 s21, 0
	s_and_saveexec_b32 s2, s20
	s_cbranch_execz .LBB213_296
; %bb.286:                              ;   in Loop: Header=BB213_31 Depth=1
	v_mov_b32_e32 v6, 1
	v_mov_b32_e32 v7, 0
	;; [unrolled: 1-line block ×3, first 2 shown]
	s_xor_b32 s21, s84, -1
	s_and_saveexec_b32 s20, s21
	s_cbranch_execz .LBB213_295
; %bb.287:                              ;   in Loop: Header=BB213_31 Depth=1
	s_mov_b32 s21, exec_lo
	v_cmpx_ge_u64_e64 s[18:19], v[4:5]
	s_xor_b32 s21, exec_lo, s21
	s_cbranch_execz .LBB213_292
; %bb.288:                              ;   in Loop: Header=BB213_31 Depth=1
	ds_read_b64 v[6:7], v3 offset:5120
	v_or_b32_e32 v10, s11, v10
	v_or_b32_e32 v11, s11, v11
	s_waitcnt lgkmcnt(0)
	v_cmp_ne_u64_e32 vcc_lo, 0, v[6:7]
	s_cbranch_vccnz .LBB213_292
; %bb.289:                              ;   in Loop: Header=BB213_31 Depth=1
	s_and_saveexec_b32 s22, s3
; %bb.290:                              ;   in Loop: Header=BB213_31 Depth=1
	v_mov_b32_e32 v6, s18
	v_mov_b32_e32 v7, s19
	ds_write_b64 v3, v[6:7] offset:5128
; %bb.291:                              ;   in Loop: Header=BB213_31 Depth=1
	s_or_b32 exec_lo, exec_lo, s22
	s_waitcnt lgkmcnt(0)
	s_barrier
	buffer_gl0_inv
.LBB213_292:                            ;   in Loop: Header=BB213_31 Depth=1
	s_andn2_saveexec_b32 s21, s21
; %bb.293:                              ;   in Loop: Header=BB213_31 Depth=1
	v_sub_co_u32 v4, vcc_lo, v4, s18
	v_subrev_co_ci_u32_e64 v5, null, s19, v5, vcc_lo
; %bb.294:                              ;   in Loop: Header=BB213_31 Depth=1
	s_or_b32 exec_lo, exec_lo, s21
	v_mov_b32_e32 v7, v5
	v_mov_b32_e32 v2, 8
	;; [unrolled: 1-line block ×3, first 2 shown]
.LBB213_295:                            ;   in Loop: Header=BB213_31 Depth=1
	s_or_b32 exec_lo, exec_lo, s20
	v_mov_b32_e32 v4, v6
	v_mov_b32_e32 v5, v7
	s_mov_b32 s21, exec_lo
.LBB213_296:                            ;   in Loop: Header=BB213_31 Depth=1
	s_or_b32 exec_lo, exec_lo, s2
	s_orn2_b32 s2, s21, exec_lo
.LBB213_297:                            ;   in Loop: Header=BB213_31 Depth=1
	s_or_b32 exec_lo, exec_lo, s83
	v_mov_b32_e32 v7, v5
	v_mov_b32_e32 v6, v4
	s_andn2_b32 s20, s81, exec_lo
	s_and_b32 s21, s62, exec_lo
	s_andn2_b32 s22, s80, exec_lo
	s_and_b32 s6, s6, exec_lo
	s_or_b32 s81, s20, s21
	s_or_b32 s80, s22, s6
	s_and_b32 s6, s2, exec_lo
.LBB213_298:                            ;   in Loop: Header=BB213_31 Depth=1
	s_or_b32 exec_lo, exec_lo, s82
	s_orn2_b32 s2, s6, exec_lo
.LBB213_299:                            ;   in Loop: Header=BB213_31 Depth=1
	s_or_b32 exec_lo, exec_lo, s79
	v_mov_b32_e32 v4, v6
	v_mov_b32_e32 v5, v7
	s_andn2_b32 s6, s77, exec_lo
	s_and_b32 s20, s81, exec_lo
	s_andn2_b32 s21, s72, exec_lo
	s_and_b32 s22, s80, exec_lo
	s_or_b32 s77, s6, s20
	s_or_b32 s72, s21, s22
	s_and_b32 s6, s2, exec_lo
.LBB213_300:                            ;   in Loop: Header=BB213_31 Depth=1
	s_or_b32 exec_lo, exec_lo, s78
	s_orn2_b32 s2, s6, exec_lo
.LBB213_301:                            ;   in Loop: Header=BB213_31 Depth=1
	s_or_b32 exec_lo, exec_lo, s49
	s_mov_b32 s6, 0
	s_mov_b32 s20, 0
	s_and_saveexec_b32 s21, s2
	s_xor_b32 s2, exec_lo, s21
; %bb.302:                              ;   in Loop: Header=BB213_31 Depth=1
	v_cmp_ne_u32_e32 vcc_lo, 8, v2
	v_cmp_eq_u32_e64 s6, 8, v2
	s_and_b32 s20, vcc_lo, exec_lo
	s_and_b32 s6, s6, exec_lo
; %bb.303:                              ;   in Loop: Header=BB213_31 Depth=1
	s_or_b32 exec_lo, exec_lo, s2
	s_andn2_b32 s2, s74, exec_lo
	s_and_b32 s21, s77, exec_lo
	s_andn2_b32 s22, s73, exec_lo
	s_and_b32 s23, s72, exec_lo
	s_or_b32 s74, s2, s21
	s_or_b32 s73, s22, s23
	s_and_b32 s49, s20, exec_lo
	s_and_b32 s72, s6, exec_lo
.LBB213_304:                            ;   in Loop: Header=BB213_31 Depth=1
	s_or_b32 exec_lo, exec_lo, s76
.LBB213_305:                            ;   in Loop: Header=BB213_31 Depth=1
	s_and_b32 vcc_lo, exec_lo, s75
	s_cbranch_vccz .LBB213_322
; %bb.306:                              ;   in Loop: Header=BB213_31 Depth=1
	s_cmp_eq_u64 s[18:19], 1
                                        ; implicit-def: $sgpr27
	s_cselect_b32 s2, -1, 0
	s_and_b32 s73, s2, s9
	s_mov_b32 s2, -1
                                        ; implicit-def: $sgpr9
	s_and_saveexec_b32 s74, s73
	s_cbranch_execz .LBB213_341
; %bb.307:                              ;   in Loop: Header=BB213_31 Depth=1
	ds_read_b64 v[4:5], v3 offset:5120
	s_waitcnt lgkmcnt(0)
	s_barrier
	buffer_gl0_inv
	v_readfirstlane_b32 s20, v4
	v_readfirstlane_b32 s21, v5
	s_and_saveexec_b32 s2, s10
; %bb.308:                              ;   in Loop: Header=BB213_31 Depth=1
	ds_write_b16 v44, v3
; %bb.309:                              ;   in Loop: Header=BB213_31 Depth=1
	s_or_b32 exec_lo, exec_lo, s2
	v_or_b32_e32 v47, s11, v47
	v_or_b32_e32 v51, s11, v51
	s_mov_b32 s27, -1
	s_mov_b32 s9, 0
	s_cmp_eq_u64 s[20:21], 0
	s_mov_b32 s24, 0
	s_mov_b32 s2, -1
	s_waitcnt lgkmcnt(0)
	s_barrier
	buffer_gl0_inv
                                        ; implicit-def: $vgpr52
	s_cbranch_scc1 .LBB213_325
; %bb.310:                              ;   in Loop: Header=BB213_31 Depth=1
	s_add_u32 s6, s20, s93
	s_addc_u32 s23, s21, s94
	s_mov_b32 s22, s61
	s_cmp_lg_u64 s[22:23], 0
	s_cbranch_scc0 .LBB213_368
; %bb.311:                              ;   in Loop: Header=BB213_31 Depth=1
	v_cvt_f32_u32_e32 v2, s33
	s_sub_u32 s24, 0, s33
	s_subb_u32 s25, 0, 0
	v_fmac_f32_e64 v2, 0x4f800000, 0
	v_rcp_f32_e32 v2, v2
	v_mul_f32_e32 v2, 0x5f7ffffc, v2
	v_mul_f32_e32 v4, 0x2f800000, v2
	v_trunc_f32_e32 v4, v4
	v_fmac_f32_e32 v2, 0xcf800000, v4
	v_cvt_u32_f32_e32 v4, v4
	v_cvt_u32_f32_e32 v2, v2
	v_readfirstlane_b32 s2, v4
	v_readfirstlane_b32 s22, v2
	s_mul_i32 s60, s24, s2
	s_mul_hi_u32 s66, s24, s22
	s_mul_i32 s62, s25, s22
	s_add_i32 s60, s66, s60
	s_mul_i32 s67, s24, s22
	s_add_i32 s60, s60, s62
	s_mul_hi_u32 s66, s22, s67
	s_mul_i32 s76, s22, s60
	s_mul_hi_u32 s75, s2, s67
	s_mul_i32 s62, s2, s67
	s_mul_hi_u32 s67, s22, s60
	s_add_u32 s66, s66, s76
	s_addc_u32 s67, 0, s67
	s_mul_hi_u32 s77, s2, s60
	s_add_u32 s62, s66, s62
	s_mul_i32 s60, s2, s60
	s_addc_u32 s62, s67, s75
	s_addc_u32 s66, s77, 0
	s_add_u32 s60, s62, s60
	s_addc_u32 s62, 0, s66
	s_add_u32 s22, s22, s60
	s_cselect_b32 s60, -1, 0
	s_mul_hi_u32 s66, s24, s22
	s_cmp_lg_u32 s60, 0
	s_mul_i32 s60, s24, s22
	s_addc_u32 s2, s2, s62
	s_mul_i32 s25, s25, s22
	s_mul_i32 s24, s24, s2
	s_mul_hi_u32 s62, s22, s60
	s_add_i32 s24, s66, s24
	s_mul_hi_u32 s66, s2, s60
	s_add_i32 s24, s24, s25
	s_mul_i32 s25, s2, s60
	s_mul_i32 s75, s22, s24
	s_mul_hi_u32 s67, s22, s24
	s_add_u32 s62, s62, s75
	s_addc_u32 s67, 0, s67
	s_mul_hi_u32 s60, s2, s24
	s_add_u32 s25, s62, s25
	s_mul_i32 s24, s2, s24
	s_addc_u32 s25, s67, s66
	s_addc_u32 s60, s60, 0
	s_add_u32 s24, s25, s24
	s_addc_u32 s25, 0, s60
	s_add_u32 s22, s22, s24
	s_cselect_b32 s24, -1, 0
	s_mul_hi_u32 s60, s6, s22
	s_cmp_lg_u32 s24, 0
	s_mul_hi_u32 s24, s23, s22
	s_addc_u32 s2, s2, s25
	s_mul_i32 s22, s23, s22
	s_mul_i32 s62, s6, s2
	s_mul_hi_u32 s25, s6, s2
	s_add_u32 s60, s60, s62
	s_addc_u32 s25, 0, s25
	s_mul_hi_u32 s66, s23, s2
	s_add_u32 s22, s60, s22
	s_mul_i32 s2, s23, s2
	s_addc_u32 s22, s25, s24
	s_addc_u32 s24, s66, 0
	s_add_u32 s2, s22, s2
	s_addc_u32 s22, 0, s24
	s_mul_hi_u32 s24, s33, s2
	s_mul_i32 s22, s33, s22
	s_mul_i32 s2, s33, s2
	s_add_i32 s24, s24, s22
	s_sub_u32 s2, s6, s2
	s_cselect_b32 s22, -1, 0
	s_cmp_lg_u32 s22, 0
	s_subb_u32 s22, s23, s24
	s_sub_u32 s24, s2, s33
	s_cselect_b32 s25, -1, 0
	s_cmp_lg_u32 s25, 0
	s_subb_u32 s25, s22, 0
	;; [unrolled: 4-line block ×3, first 2 shown]
	s_cmp_ge_u32 s24, s33
	s_cselect_b32 s66, -1, 0
	s_cmp_eq_u32 s25, 0
	s_cselect_b32 s66, s66, -1
	s_cmp_lg_u32 s66, 0
	s_cselect_b32 s25, s62, s25
	s_cselect_b32 s24, s60, s24
	s_cmp_ge_u32 s2, s33
	s_cselect_b32 s60, -1, 0
	s_cmp_eq_u32 s22, 0
	s_cselect_b32 s60, s60, -1
	s_cmp_lg_u32 s60, 0
	s_cselect_b32 s25, s25, s22
	s_cselect_b32 s24, s24, s2
	s_cbranch_execnz .LBB213_313
.LBB213_312:                            ;   in Loop: Header=BB213_31 Depth=1
	v_cvt_f32_u32_e32 v2, s33
	s_sub_i32 s22, 0, s33
	v_rcp_iflag_f32_e32 v2, v2
	v_mul_f32_e32 v2, 0x4f7ffffe, v2
	v_cvt_u32_f32_e32 v2, v2
	v_readfirstlane_b32 s2, v2
	s_mul_i32 s22, s22, s2
	s_mul_hi_u32 s22, s2, s22
	s_add_i32 s2, s2, s22
	s_mul_hi_u32 s2, s6, s2
	s_mul_i32 s2, s2, s33
	s_sub_i32 s2, s6, s2
	s_sub_i32 s22, s2, s33
	s_cmp_ge_u32 s2, s33
	s_cselect_b32 s2, s22, s2
	s_sub_i32 s22, s2, s33
	s_cmp_ge_u32 s2, s33
	s_cselect_b32 s60, s22, s2
	s_mov_b64 s[24:25], s[60:61]
.LBB213_313:                            ;   in Loop: Header=BB213_31 Depth=1
	s_sub_u32 s22, s6, s24
	s_subb_u32 s23, s23, s25
	s_mov_b32 s2, 0
	s_mov_b32 s24, 0
	s_mov_b32 s6, exec_lo
                                        ; implicit-def: $vgpr52
	v_cmpx_gt_u64_e64 s[22:23], v[0:1]
	s_cbranch_execz .LBB213_324
; %bb.314:                              ;   in Loop: Header=BB213_31 Depth=1
	v_mov_b32_e32 v5, v1
	v_mov_b32_e32 v2, v43
	;; [unrolled: 1-line block ×3, first 2 shown]
                                        ; implicit-def: $sgpr25
	s_branch .LBB213_318
.LBB213_315:                            ;   in Loop: Header=BB213_318 Depth=2
	s_or_b32 exec_lo, exec_lo, s60
	s_waitcnt lgkmcnt(0)
	s_barrier
	buffer_gl0_inv
	ds_read_b32 v6, v3 offset:3072
	s_waitcnt lgkmcnt(0)
	s_barrier
	buffer_gl0_inv
	v_cmp_neq_f16_e32 vcc_lo, 0, v6
	s_cbranch_vccnz .LBB213_321
; %bb.316:                              ;   in Loop: Header=BB213_318 Depth=2
	v_add_co_u32 v4, vcc_lo, v4, s33
	v_add_co_ci_u32_e64 v5, null, 0, v5, vcc_lo
	v_add_nc_u32_e32 v2, vcc_hi, v2
	s_mov_b32 s60, 0
	v_cmp_le_u64_e32 vcc_lo, s[22:23], v[4:5]
	s_orn2_b32 s62, vcc_lo, exec_lo
.LBB213_317:                            ;   in Loop: Header=BB213_318 Depth=2
	s_and_b32 s62, exec_lo, s62
	s_or_b32 s24, s62, s24
	s_andn2_b32 s25, s25, exec_lo
	s_and_b32 s60, s60, exec_lo
	s_or_b32 s25, s25, s60
	s_andn2_b32 exec_lo, exec_lo, s24
	s_cbranch_execz .LBB213_323
.LBB213_318:                            ;   Parent Loop BB213_31 Depth=1
                                        ; =>  This Inner Loop Header: Depth=2
	s_mov_b32 s60, exec_lo
	v_cmpx_gt_u64_e64 s[20:21], v[4:5]
	s_cbranch_execz .LBB213_315
; %bb.319:                              ;   in Loop: Header=BB213_318 Depth=2
	ds_read_u16 v6, v2
	s_waitcnt lgkmcnt(0)
	v_cmp_lt_i16_e32 vcc_lo, -1, v6
	v_cndmask_b32_e32 v7, 0xffff, v49, vcc_lo
	v_cmp_o_f16_e32 vcc_lo, v6, v6
	v_xor_b32_sdwa v7, v7, v6 dst_sel:DWORD dst_unused:UNUSED_PAD src0_sel:DWORD src1_sel:WORD_0
	v_cndmask_b32_e32 v7, 0xffff, v7, vcc_lo
	v_and_b32_e32 v7, v7, v51
	v_cmp_eq_u32_e32 vcc_lo, v7, v47
	s_and_b32 exec_lo, exec_lo, vcc_lo
	s_cbranch_execz .LBB213_315
; %bb.320:                              ;   in Loop: Header=BB213_318 Depth=2
	v_perm_b32 v6, v6, s58, 0x5040100
	ds_write_b32 v3, v6 offset:3072
	s_branch .LBB213_315
.LBB213_321:                            ;   in Loop: Header=BB213_318 Depth=2
	s_mov_b32 s62, -1
	s_mov_b32 s60, -1
                                        ; implicit-def: $vgpr4_vgpr5
                                        ; implicit-def: $vgpr2
	s_branch .LBB213_317
.LBB213_322:                            ;   in Loop: Header=BB213_31 Depth=1
	v_mov_b32_e32 v47, v10
	v_mov_b32_e32 v51, v11
	;; [unrolled: 1-line block ×3, first 2 shown]
	s_mov_b32 s9, 0
	s_and_saveexec_b32 s2, s72
	s_cbranch_execnz .LBB213_506
	s_branch .LBB213_507
.LBB213_323:                            ;   in Loop: Header=BB213_31 Depth=1
	s_or_b32 exec_lo, exec_lo, s24
	v_lshrrev_b32_e32 v52, 16, v6
	s_and_b32 s24, s25, exec_lo
.LBB213_324:                            ;   in Loop: Header=BB213_31 Depth=1
	s_or_b32 exec_lo, exec_lo, s6
.LBB213_325:                            ;   in Loop: Header=BB213_31 Depth=1
	s_and_b32 vcc_lo, exec_lo, s2
	s_cbranch_vccz .LBB213_340
; %bb.326:                              ;   in Loop: Header=BB213_31 Depth=1
	s_mov_b32 s62, s61
	s_cmp_lg_u64 s[62:63], 0
	s_cbranch_scc0 .LBB213_369
; %bb.327:                              ;   in Loop: Header=BB213_31 Depth=1
	v_cvt_f32_u32_e32 v2, s33
	s_sub_u32 s9, 0, s33
	s_subb_u32 s20, 0, 0
	v_fmac_f32_e64 v2, 0x4f800000, 0
	v_rcp_f32_e32 v2, v2
	v_mul_f32_e32 v2, 0x5f7ffffc, v2
	v_mul_f32_e32 v4, 0x2f800000, v2
	v_trunc_f32_e32 v4, v4
	v_fmac_f32_e32 v2, 0xcf800000, v4
	v_cvt_u32_f32_e32 v4, v4
	v_cvt_u32_f32_e32 v2, v2
	v_readfirstlane_b32 s2, v4
	v_readfirstlane_b32 s6, v2
	s_mul_i32 s21, s9, s2
	s_mul_hi_u32 s23, s9, s6
	s_mul_i32 s22, s20, s6
	s_add_i32 s21, s23, s21
	s_mul_i32 s25, s9, s6
	s_add_i32 s21, s21, s22
	s_mul_hi_u32 s23, s6, s25
	s_mul_i32 s60, s6, s21
	s_mul_hi_u32 s27, s2, s25
	s_mul_i32 s22, s2, s25
	s_mul_hi_u32 s25, s6, s21
	s_add_u32 s23, s23, s60
	s_addc_u32 s25, 0, s25
	s_mul_hi_u32 s62, s2, s21
	s_add_u32 s22, s23, s22
	s_mul_i32 s21, s2, s21
	s_addc_u32 s22, s25, s27
	s_addc_u32 s23, s62, 0
	s_add_u32 s21, s22, s21
	s_addc_u32 s22, 0, s23
	s_add_u32 s6, s6, s21
	s_cselect_b32 s21, -1, 0
	s_mul_hi_u32 s23, s9, s6
	s_cmp_lg_u32 s21, 0
	s_mul_i32 s21, s9, s6
	s_addc_u32 s2, s2, s22
	s_mul_i32 s20, s20, s6
	s_mul_i32 s9, s9, s2
	s_mul_hi_u32 s22, s6, s21
	s_add_i32 s9, s23, s9
	s_mul_hi_u32 s23, s2, s21
	s_add_i32 s9, s9, s20
	s_mul_i32 s20, s2, s21
	s_mul_i32 s27, s6, s9
	s_mul_hi_u32 s25, s6, s9
	s_add_u32 s22, s22, s27
	s_addc_u32 s25, 0, s25
	s_mul_hi_u32 s21, s2, s9
	s_add_u32 s20, s22, s20
	s_mul_i32 s9, s2, s9
	s_addc_u32 s20, s25, s23
	s_addc_u32 s21, s21, 0
	s_add_u32 s9, s20, s9
	s_addc_u32 s20, 0, s21
	s_add_u32 s6, s6, s9
	s_cselect_b32 s9, -1, 0
	s_mul_hi_u32 s21, s95, s6
	s_cmp_lg_u32 s9, 0
	s_mul_hi_u32 s9, s63, s6
	s_addc_u32 s2, s2, s20
	s_mul_i32 s6, s63, s6
	s_mul_i32 s22, s95, s2
	s_mul_hi_u32 s20, s95, s2
	s_add_u32 s21, s21, s22
	s_addc_u32 s20, 0, s20
	s_mul_hi_u32 s23, s63, s2
	s_add_u32 s6, s21, s6
	s_mul_i32 s2, s63, s2
	s_addc_u32 s6, s20, s9
	s_addc_u32 s9, s23, 0
	s_add_u32 s2, s6, s2
	s_addc_u32 s6, 0, s9
	s_mul_hi_u32 s9, s33, s2
	s_mul_i32 s6, s33, s6
	s_mul_i32 s2, s33, s2
	s_add_i32 s9, s9, s6
	s_sub_u32 s2, s95, s2
	s_cselect_b32 s6, -1, 0
	s_cmp_lg_u32 s6, 0
	s_subb_u32 s6, s63, s9
	s_sub_u32 s9, s2, s33
	s_cselect_b32 s20, -1, 0
	s_cmp_lg_u32 s20, 0
	s_subb_u32 s20, s6, 0
	;; [unrolled: 4-line block ×3, first 2 shown]
	s_cmp_ge_u32 s9, s33
	s_cselect_b32 s23, -1, 0
	s_cmp_eq_u32 s20, 0
	s_cselect_b32 s23, s23, -1
	s_cmp_lg_u32 s23, 0
	s_cselect_b32 s20, s22, s20
	s_cselect_b32 s9, s21, s9
	s_cmp_ge_u32 s2, s33
	s_cselect_b32 s21, -1, 0
	s_cmp_eq_u32 s6, 0
	s_cselect_b32 s21, s21, -1
	s_cmp_lg_u32 s21, 0
	s_cselect_b32 s21, s20, s6
	s_cselect_b32 s20, s9, s2
	s_cbranch_execnz .LBB213_329
.LBB213_328:                            ;   in Loop: Header=BB213_31 Depth=1
	v_cvt_f32_u32_e32 v2, s33
	s_sub_i32 s6, 0, s33
	v_rcp_iflag_f32_e32 v2, v2
	v_mul_f32_e32 v2, 0x4f7ffffe, v2
	v_cvt_u32_f32_e32 v2, v2
	v_readfirstlane_b32 s2, v2
	s_mul_i32 s6, s6, s2
	s_mul_hi_u32 s6, s2, s6
	s_add_i32 s2, s2, s6
	s_mul_hi_u32 s2, s95, s2
	s_mul_i32 s2, s2, s33
	s_sub_i32 s2, s95, s2
	s_sub_i32 s6, s2, s33
	s_cmp_ge_u32 s2, s33
	s_cselect_b32 s2, s6, s2
	s_sub_i32 s6, s2, s33
	s_cmp_ge_u32 s2, s33
	s_cselect_b32 s60, s6, s2
	s_mov_b64 s[20:21], s[60:61]
.LBB213_329:                            ;   in Loop: Header=BB213_31 Depth=1
	s_sub_u32 s20, s95, s20
	s_subb_u32 s21, s63, s21
	s_mov_b32 s2, exec_lo
                                        ; implicit-def: $vgpr52
	v_cmpx_gt_u64_e64 s[20:21], v[0:1]
	s_cbranch_execz .LBB213_339
; %bb.330:                              ;   in Loop: Header=BB213_31 Depth=1
	v_mov_b32_e32 v4, v27
	v_mov_b32_e32 v7, v1
	;; [unrolled: 1-line block ×4, first 2 shown]
	s_mov_b32 s9, 0
                                        ; implicit-def: $sgpr22
	s_branch .LBB213_334
.LBB213_331:                            ;   in Loop: Header=BB213_334 Depth=2
	s_or_b32 exec_lo, exec_lo, s6
	s_waitcnt lgkmcnt(0)
	s_barrier
	buffer_gl0_inv
	ds_read_b32 v2, v3 offset:3072
	s_waitcnt lgkmcnt(0)
	s_barrier
	buffer_gl0_inv
	v_cmp_neq_f16_e32 vcc_lo, 0, v2
	s_cbranch_vccnz .LBB213_337
; %bb.332:                              ;   in Loop: Header=BB213_334 Depth=2
	v_add_co_u32 v6, vcc_lo, v6, s33
	v_add_co_ci_u32_e64 v7, null, 0, v7, vcc_lo
	v_add_co_u32 v4, s6, v4, s42
	v_add_co_ci_u32_e64 v5, null, s43, v5, s6
	v_cmp_le_u64_e32 vcc_lo, s[20:21], v[6:7]
	s_mov_b32 s6, 0
	s_orn2_b32 s23, vcc_lo, exec_lo
.LBB213_333:                            ;   in Loop: Header=BB213_334 Depth=2
	s_and_b32 s23, exec_lo, s23
	s_or_b32 s9, s23, s9
	s_andn2_b32 s22, s22, exec_lo
	s_and_b32 s6, s6, exec_lo
	s_or_b32 s22, s22, s6
	s_andn2_b32 exec_lo, exec_lo, s9
	s_cbranch_execz .LBB213_338
.LBB213_334:                            ;   Parent Loop BB213_31 Depth=1
                                        ; =>  This Inner Loop Header: Depth=2
	s_mov_b32 s6, exec_lo
	v_cmpx_gt_u64_e64 s[36:37], v[6:7]
	s_cbranch_execz .LBB213_331
; %bb.335:                              ;   in Loop: Header=BB213_334 Depth=2
	global_load_ushort v2, v[4:5], off
	s_waitcnt vmcnt(0)
	v_cmp_lt_i16_e32 vcc_lo, -1, v2
	v_cndmask_b32_e32 v8, 0xffff, v49, vcc_lo
	v_cmp_o_f16_e32 vcc_lo, v2, v2
	v_xor_b32_sdwa v8, v8, v2 dst_sel:DWORD dst_unused:UNUSED_PAD src0_sel:DWORD src1_sel:WORD_0
	v_cndmask_b32_e32 v8, 0xffff, v8, vcc_lo
	v_and_b32_e32 v8, v8, v51
	v_cmp_eq_u32_e32 vcc_lo, v8, v47
	s_and_b32 exec_lo, exec_lo, vcc_lo
	s_cbranch_execz .LBB213_331
; %bb.336:                              ;   in Loop: Header=BB213_334 Depth=2
	v_perm_b32 v2, v2, s58, 0x5040100
	ds_write_b32 v3, v2 offset:3072
	s_branch .LBB213_331
.LBB213_337:                            ;   in Loop: Header=BB213_334 Depth=2
	s_mov_b32 s23, -1
	s_mov_b32 s6, -1
                                        ; implicit-def: $vgpr6_vgpr7
                                        ; implicit-def: $vgpr4_vgpr5
	s_branch .LBB213_333
.LBB213_338:                            ;   in Loop: Header=BB213_31 Depth=1
	s_or_b32 exec_lo, exec_lo, s9
	s_andn2_b32 s6, s24, exec_lo
	s_and_b32 s9, s22, exec_lo
	v_lshrrev_b32_e32 v52, 16, v2
	s_or_b32 s24, s6, s9
.LBB213_339:                            ;   in Loop: Header=BB213_31 Depth=1
	s_or_b32 exec_lo, exec_lo, s2
	s_mov_b32 s27, 0
	s_mov_b32 s9, -1
.LBB213_340:                            ;   in Loop: Header=BB213_31 Depth=1
	s_orn2_b32 s2, s24, exec_lo
.LBB213_341:                            ;   in Loop: Header=BB213_31 Depth=1
	s_or_b32 exec_lo, exec_lo, s74
                                        ; implicit-def: $vgpr4_vgpr5
                                        ; implicit-def: $vgpr2
	s_and_saveexec_b32 s24, s2
	s_cbranch_execz .LBB213_505
; %bb.342:                              ;   in Loop: Header=BB213_31 Depth=1
	v_mov_b32_e32 v4, 1
	v_mov_b32_e32 v5, 0
	;; [unrolled: 1-line block ×3, first 2 shown]
	s_xor_b32 s20, s73, -1
	s_mov_b32 s6, 0
	s_and_saveexec_b32 s2, s20
	s_cbranch_execz .LBB213_351
; %bb.343:                              ;   in Loop: Header=BB213_31 Depth=1
	s_mov_b32 s6, exec_lo
	v_cmpx_ge_u64_e64 s[18:19], v[29:30]
	s_xor_b32 s6, exec_lo, s6
	s_cbranch_execz .LBB213_348
; %bb.344:                              ;   in Loop: Header=BB213_31 Depth=1
	ds_read_b64 v[4:5], v3 offset:5120
	v_or_b32_e32 v47, s11, v47
	v_or_b32_e32 v51, s11, v51
	s_waitcnt lgkmcnt(0)
	v_cmp_ne_u64_e32 vcc_lo, 0, v[4:5]
	s_cbranch_vccnz .LBB213_348
; %bb.345:                              ;   in Loop: Header=BB213_31 Depth=1
	s_and_saveexec_b32 s20, s3
; %bb.346:                              ;   in Loop: Header=BB213_31 Depth=1
	v_mov_b32_e32 v4, s18
	v_mov_b32_e32 v5, s19
	ds_write_b64 v3, v[4:5] offset:5128
; %bb.347:                              ;   in Loop: Header=BB213_31 Depth=1
	s_or_b32 exec_lo, exec_lo, s20
	s_waitcnt lgkmcnt(0)
	s_barrier
	buffer_gl0_inv
.LBB213_348:                            ;   in Loop: Header=BB213_31 Depth=1
	s_or_saveexec_b32 s6, s6
	v_mov_b32_e32 v2, 5
	s_mov_b32 s20, 0
	s_xor_b32 exec_lo, exec_lo, s6
; %bb.349:                              ;   in Loop: Header=BB213_31 Depth=1
	v_sub_co_u32 v29, vcc_lo, v29, s18
	v_subrev_co_ci_u32_e64 v30, null, s19, v30, vcc_lo
	v_mov_b32_e32 v2, 0
	s_mov_b32 s20, exec_lo
; %bb.350:                              ;   in Loop: Header=BB213_31 Depth=1
	s_or_b32 exec_lo, exec_lo, s6
	v_mov_b32_e32 v4, v29
	v_mov_b32_e32 v5, v30
	s_and_b32 s6, s20, exec_lo
.LBB213_351:                            ;   in Loop: Header=BB213_31 Depth=1
	s_or_b32 exec_lo, exec_lo, s2
	s_mov_b32 s2, -1
                                        ; implicit-def: $sgpr73
                                        ; implicit-def: $sgpr74
	s_and_saveexec_b32 s18, s6
	s_xor_b32 s25, exec_lo, s18
	s_cbranch_execz .LBB213_502
; %bb.352:                              ;   in Loop: Header=BB213_31 Depth=1
	v_cmp_eq_u64_e32 vcc_lo, 1, v[4:5]
	s_cmp_eq_u64 s[16:17], 1
                                        ; implicit-def: $sgpr74
                                        ; implicit-def: $sgpr73
	s_cselect_b32 s2, -1, 0
	s_and_b32 s75, s2, vcc_lo
	s_mov_b32 s2, -1
	s_and_saveexec_b32 s76, s75
	s_cbranch_execz .LBB213_388
; %bb.353:                              ;   in Loop: Header=BB213_31 Depth=1
	ds_read_b64 v[6:7], v3 offset:5120
	s_waitcnt lgkmcnt(0)
	s_barrier
	buffer_gl0_inv
	v_readfirstlane_b32 s18, v6
	v_readfirstlane_b32 s19, v7
	s_and_saveexec_b32 s2, s10
; %bb.354:                              ;   in Loop: Header=BB213_31 Depth=1
	ds_write_b16 v44, v3
; %bb.355:                              ;   in Loop: Header=BB213_31 Depth=1
	s_or_b32 exec_lo, exec_lo, s2
	s_lshl_b32 s2, 2, s54
	v_or_b32_e32 v51, s11, v51
	v_and_or_b32 v47, v47, s26, s2
	s_mov_b32 s73, -1
	s_mov_b32 s74, 0
	s_cmp_eq_u64 s[18:19], 0
	s_mov_b32 s22, 0
	s_mov_b32 s2, -1
	s_waitcnt lgkmcnt(0)
	s_barrier
	buffer_gl0_inv
                                        ; implicit-def: $vgpr52
	s_cbranch_scc1 .LBB213_372
; %bb.356:                              ;   in Loop: Header=BB213_31 Depth=1
	s_add_u32 s6, s18, s93
	s_addc_u32 s21, s19, s94
	s_mov_b32 s20, s61
	s_cmp_lg_u64 s[20:21], 0
	s_cbranch_scc0 .LBB213_415
; %bb.357:                              ;   in Loop: Header=BB213_31 Depth=1
	v_cvt_f32_u32_e32 v6, s33
	s_sub_u32 s22, 0, s33
	s_subb_u32 s23, 0, 0
	v_fmac_f32_e64 v6, 0x4f800000, 0
	v_rcp_f32_e32 v6, v6
	v_mul_f32_e32 v6, 0x5f7ffffc, v6
	v_mul_f32_e32 v7, 0x2f800000, v6
	v_trunc_f32_e32 v7, v7
	v_fmac_f32_e32 v6, 0xcf800000, v7
	v_cvt_u32_f32_e32 v7, v7
	v_cvt_u32_f32_e32 v6, v6
	v_readfirstlane_b32 s2, v7
	v_readfirstlane_b32 s20, v6
	s_mul_i32 s60, s22, s2
	s_mul_hi_u32 s66, s22, s20
	s_mul_i32 s62, s23, s20
	s_add_i32 s60, s66, s60
	s_mul_i32 s67, s22, s20
	s_add_i32 s60, s60, s62
	s_mul_hi_u32 s66, s20, s67
	s_mul_i32 s78, s20, s60
	s_mul_hi_u32 s77, s2, s67
	s_mul_i32 s62, s2, s67
	s_mul_hi_u32 s67, s20, s60
	s_add_u32 s66, s66, s78
	s_addc_u32 s67, 0, s67
	s_mul_hi_u32 s79, s2, s60
	s_add_u32 s62, s66, s62
	s_mul_i32 s60, s2, s60
	s_addc_u32 s62, s67, s77
	s_addc_u32 s66, s79, 0
	s_add_u32 s60, s62, s60
	s_addc_u32 s62, 0, s66
	s_add_u32 s20, s20, s60
	s_cselect_b32 s60, -1, 0
	s_mul_hi_u32 s66, s22, s20
	s_cmp_lg_u32 s60, 0
	s_mul_i32 s60, s22, s20
	s_addc_u32 s2, s2, s62
	s_mul_i32 s23, s23, s20
	s_mul_i32 s22, s22, s2
	s_mul_hi_u32 s62, s20, s60
	s_add_i32 s22, s66, s22
	s_mul_hi_u32 s66, s2, s60
	s_add_i32 s22, s22, s23
	s_mul_i32 s23, s2, s60
	s_mul_i32 s77, s20, s22
	s_mul_hi_u32 s67, s20, s22
	s_add_u32 s62, s62, s77
	s_addc_u32 s67, 0, s67
	s_mul_hi_u32 s60, s2, s22
	s_add_u32 s23, s62, s23
	s_mul_i32 s22, s2, s22
	s_addc_u32 s23, s67, s66
	s_addc_u32 s60, s60, 0
	s_add_u32 s22, s23, s22
	s_addc_u32 s23, 0, s60
	s_add_u32 s20, s20, s22
	s_cselect_b32 s22, -1, 0
	s_mul_hi_u32 s60, s6, s20
	s_cmp_lg_u32 s22, 0
	s_mul_hi_u32 s22, s21, s20
	s_addc_u32 s2, s2, s23
	s_mul_i32 s20, s21, s20
	s_mul_i32 s62, s6, s2
	s_mul_hi_u32 s23, s6, s2
	s_add_u32 s60, s60, s62
	s_addc_u32 s23, 0, s23
	s_mul_hi_u32 s66, s21, s2
	s_add_u32 s20, s60, s20
	s_mul_i32 s2, s21, s2
	s_addc_u32 s20, s23, s22
	s_addc_u32 s22, s66, 0
	s_add_u32 s2, s20, s2
	s_addc_u32 s20, 0, s22
	s_mul_hi_u32 s22, s33, s2
	s_mul_i32 s20, s33, s20
	s_mul_i32 s2, s33, s2
	s_add_i32 s22, s22, s20
	s_sub_u32 s2, s6, s2
	s_cselect_b32 s20, -1, 0
	s_cmp_lg_u32 s20, 0
	s_subb_u32 s20, s21, s22
	s_sub_u32 s22, s2, s33
	s_cselect_b32 s23, -1, 0
	s_cmp_lg_u32 s23, 0
	s_subb_u32 s23, s20, 0
	;; [unrolled: 4-line block ×3, first 2 shown]
	s_cmp_ge_u32 s22, s33
	s_cselect_b32 s66, -1, 0
	s_cmp_eq_u32 s23, 0
	s_cselect_b32 s66, s66, -1
	s_cmp_lg_u32 s66, 0
	s_cselect_b32 s23, s62, s23
	s_cselect_b32 s22, s60, s22
	s_cmp_ge_u32 s2, s33
	s_cselect_b32 s60, -1, 0
	s_cmp_eq_u32 s20, 0
	s_cselect_b32 s60, s60, -1
	s_cmp_lg_u32 s60, 0
	s_cselect_b32 s23, s23, s20
	s_cselect_b32 s22, s22, s2
	s_cbranch_execnz .LBB213_359
.LBB213_358:                            ;   in Loop: Header=BB213_31 Depth=1
	v_cvt_f32_u32_e32 v6, s33
	s_sub_i32 s20, 0, s33
	v_rcp_iflag_f32_e32 v6, v6
	v_mul_f32_e32 v6, 0x4f7ffffe, v6
	v_cvt_u32_f32_e32 v6, v6
	v_readfirstlane_b32 s2, v6
	s_mul_i32 s20, s20, s2
	s_mul_hi_u32 s20, s2, s20
	s_add_i32 s2, s2, s20
	s_mul_hi_u32 s2, s6, s2
	s_mul_i32 s2, s2, s33
	s_sub_i32 s2, s6, s2
	s_sub_i32 s20, s2, s33
	s_cmp_ge_u32 s2, s33
	s_cselect_b32 s2, s20, s2
	s_sub_i32 s20, s2, s33
	s_cmp_ge_u32 s2, s33
	s_cselect_b32 s60, s20, s2
	s_mov_b64 s[22:23], s[60:61]
.LBB213_359:                            ;   in Loop: Header=BB213_31 Depth=1
	s_sub_u32 s20, s6, s22
	s_subb_u32 s21, s21, s23
	s_mov_b32 s2, 0
	s_mov_b32 s22, 0
	s_mov_b32 s6, exec_lo
                                        ; implicit-def: $vgpr52
	v_cmpx_gt_u64_e64 s[20:21], v[0:1]
	s_cbranch_execz .LBB213_371
; %bb.360:                              ;   in Loop: Header=BB213_31 Depth=1
	v_mov_b32_e32 v7, v1
	v_mov_b32_e32 v8, v43
	;; [unrolled: 1-line block ×3, first 2 shown]
                                        ; implicit-def: $sgpr23
	s_branch .LBB213_364
.LBB213_361:                            ;   in Loop: Header=BB213_364 Depth=2
	s_or_b32 exec_lo, exec_lo, s60
	s_waitcnt lgkmcnt(0)
	s_barrier
	buffer_gl0_inv
	ds_read_b32 v9, v3 offset:3072
	s_waitcnt lgkmcnt(0)
	s_barrier
	buffer_gl0_inv
	v_cmp_neq_f16_e32 vcc_lo, 0, v9
	s_cbranch_vccnz .LBB213_367
; %bb.362:                              ;   in Loop: Header=BB213_364 Depth=2
	v_add_co_u32 v6, vcc_lo, v6, s33
	v_add_co_ci_u32_e64 v7, null, 0, v7, vcc_lo
	v_add_nc_u32_e32 v8, vcc_hi, v8
	s_mov_b32 s60, 0
	v_cmp_le_u64_e32 vcc_lo, s[20:21], v[6:7]
	s_orn2_b32 s62, vcc_lo, exec_lo
.LBB213_363:                            ;   in Loop: Header=BB213_364 Depth=2
	s_and_b32 s62, exec_lo, s62
	s_or_b32 s22, s62, s22
	s_andn2_b32 s23, s23, exec_lo
	s_and_b32 s60, s60, exec_lo
	s_or_b32 s23, s23, s60
	s_andn2_b32 exec_lo, exec_lo, s22
	s_cbranch_execz .LBB213_370
.LBB213_364:                            ;   Parent Loop BB213_31 Depth=1
                                        ; =>  This Inner Loop Header: Depth=2
	s_mov_b32 s60, exec_lo
	v_cmpx_gt_u64_e64 s[18:19], v[6:7]
	s_cbranch_execz .LBB213_361
; %bb.365:                              ;   in Loop: Header=BB213_364 Depth=2
	ds_read_u16 v9, v8
	s_waitcnt lgkmcnt(0)
	v_cmp_lt_i16_e32 vcc_lo, -1, v9
	v_cndmask_b32_e32 v10, 0xffff, v49, vcc_lo
	v_cmp_o_f16_e32 vcc_lo, v9, v9
	v_xor_b32_sdwa v10, v10, v9 dst_sel:DWORD dst_unused:UNUSED_PAD src0_sel:DWORD src1_sel:WORD_0
	v_cndmask_b32_e32 v10, 0xffff, v10, vcc_lo
	v_and_b32_e32 v10, v10, v51
	v_cmp_eq_u32_e32 vcc_lo, v10, v47
	s_and_b32 exec_lo, exec_lo, vcc_lo
	s_cbranch_execz .LBB213_361
; %bb.366:                              ;   in Loop: Header=BB213_364 Depth=2
	v_perm_b32 v9, v9, s58, 0x5040100
	ds_write_b32 v3, v9 offset:3072
	s_branch .LBB213_361
.LBB213_367:                            ;   in Loop: Header=BB213_364 Depth=2
	s_mov_b32 s62, -1
	s_mov_b32 s60, -1
                                        ; implicit-def: $vgpr6_vgpr7
                                        ; implicit-def: $vgpr8
	s_branch .LBB213_363
.LBB213_368:                            ;   in Loop: Header=BB213_31 Depth=1
                                        ; implicit-def: $sgpr24_sgpr25
	s_andn2_b32 vcc_lo, exec_lo, s2
	s_cbranch_vccz .LBB213_312
	s_branch .LBB213_313
.LBB213_369:                            ;   in Loop: Header=BB213_31 Depth=1
                                        ; implicit-def: $sgpr20_sgpr21
	s_branch .LBB213_328
.LBB213_370:                            ;   in Loop: Header=BB213_31 Depth=1
	s_or_b32 exec_lo, exec_lo, s22
	v_lshrrev_b32_e32 v52, 16, v9
	s_and_b32 s22, s23, exec_lo
.LBB213_371:                            ;   in Loop: Header=BB213_31 Depth=1
	s_or_b32 exec_lo, exec_lo, s6
.LBB213_372:                            ;   in Loop: Header=BB213_31 Depth=1
	s_and_b32 vcc_lo, exec_lo, s2
	s_cbranch_vccz .LBB213_387
; %bb.373:                              ;   in Loop: Header=BB213_31 Depth=1
	s_mov_b32 s62, s61
	s_cmp_lg_u64 s[62:63], 0
	s_cbranch_scc0 .LBB213_416
; %bb.374:                              ;   in Loop: Header=BB213_31 Depth=1
	v_cvt_f32_u32_e32 v6, s33
	s_sub_u32 s18, 0, s33
	s_subb_u32 s19, 0, 0
	v_fmac_f32_e64 v6, 0x4f800000, 0
	v_rcp_f32_e32 v6, v6
	v_mul_f32_e32 v6, 0x5f7ffffc, v6
	v_mul_f32_e32 v7, 0x2f800000, v6
	v_trunc_f32_e32 v7, v7
	v_fmac_f32_e32 v6, 0xcf800000, v7
	v_cvt_u32_f32_e32 v7, v7
	v_cvt_u32_f32_e32 v6, v6
	v_readfirstlane_b32 s2, v7
	v_readfirstlane_b32 s6, v6
	s_mul_i32 s20, s18, s2
	s_mul_hi_u32 s23, s18, s6
	s_mul_i32 s21, s19, s6
	s_add_i32 s20, s23, s20
	s_mul_i32 s60, s18, s6
	s_add_i32 s20, s20, s21
	s_mul_hi_u32 s23, s6, s60
	s_mul_i32 s66, s6, s20
	s_mul_hi_u32 s62, s2, s60
	s_mul_i32 s21, s2, s60
	s_mul_hi_u32 s60, s6, s20
	s_add_u32 s23, s23, s66
	s_addc_u32 s60, 0, s60
	s_mul_hi_u32 s67, s2, s20
	s_add_u32 s21, s23, s21
	s_mul_i32 s20, s2, s20
	s_addc_u32 s21, s60, s62
	s_addc_u32 s23, s67, 0
	s_add_u32 s20, s21, s20
	s_addc_u32 s21, 0, s23
	s_add_u32 s6, s6, s20
	s_cselect_b32 s20, -1, 0
	s_mul_hi_u32 s23, s18, s6
	s_cmp_lg_u32 s20, 0
	s_mul_i32 s20, s18, s6
	s_addc_u32 s2, s2, s21
	s_mul_i32 s19, s19, s6
	s_mul_i32 s18, s18, s2
	s_mul_hi_u32 s21, s6, s20
	s_add_i32 s18, s23, s18
	s_mul_hi_u32 s23, s2, s20
	s_add_i32 s18, s18, s19
	s_mul_i32 s19, s2, s20
	s_mul_i32 s62, s6, s18
	s_mul_hi_u32 s60, s6, s18
	s_add_u32 s21, s21, s62
	s_addc_u32 s60, 0, s60
	s_mul_hi_u32 s20, s2, s18
	s_add_u32 s19, s21, s19
	s_mul_i32 s18, s2, s18
	s_addc_u32 s19, s60, s23
	s_addc_u32 s20, s20, 0
	s_add_u32 s18, s19, s18
	s_addc_u32 s19, 0, s20
	s_add_u32 s6, s6, s18
	s_cselect_b32 s18, -1, 0
	s_mul_hi_u32 s20, s95, s6
	s_cmp_lg_u32 s18, 0
	s_mul_hi_u32 s18, s63, s6
	s_addc_u32 s2, s2, s19
	s_mul_i32 s6, s63, s6
	s_mul_i32 s21, s95, s2
	s_mul_hi_u32 s19, s95, s2
	s_add_u32 s20, s20, s21
	s_addc_u32 s19, 0, s19
	s_mul_hi_u32 s23, s63, s2
	s_add_u32 s6, s20, s6
	s_mul_i32 s2, s63, s2
	s_addc_u32 s6, s19, s18
	s_addc_u32 s18, s23, 0
	s_add_u32 s2, s6, s2
	s_addc_u32 s6, 0, s18
	s_mul_hi_u32 s18, s33, s2
	s_mul_i32 s6, s33, s6
	s_mul_i32 s2, s33, s2
	s_add_i32 s18, s18, s6
	s_sub_u32 s2, s95, s2
	s_cselect_b32 s6, -1, 0
	s_cmp_lg_u32 s6, 0
	s_subb_u32 s6, s63, s18
	s_sub_u32 s18, s2, s33
	s_cselect_b32 s19, -1, 0
	s_cmp_lg_u32 s19, 0
	s_subb_u32 s19, s6, 0
	;; [unrolled: 4-line block ×3, first 2 shown]
	s_cmp_ge_u32 s18, s33
	s_cselect_b32 s23, -1, 0
	s_cmp_eq_u32 s19, 0
	s_cselect_b32 s23, s23, -1
	s_cmp_lg_u32 s23, 0
	s_cselect_b32 s19, s21, s19
	s_cselect_b32 s18, s20, s18
	s_cmp_ge_u32 s2, s33
	s_cselect_b32 s20, -1, 0
	s_cmp_eq_u32 s6, 0
	s_cselect_b32 s20, s20, -1
	s_cmp_lg_u32 s20, 0
	s_cselect_b32 s19, s19, s6
	s_cselect_b32 s18, s18, s2
	s_cbranch_execnz .LBB213_376
.LBB213_375:                            ;   in Loop: Header=BB213_31 Depth=1
	v_cvt_f32_u32_e32 v6, s33
	s_sub_i32 s6, 0, s33
	v_rcp_iflag_f32_e32 v6, v6
	v_mul_f32_e32 v6, 0x4f7ffffe, v6
	v_cvt_u32_f32_e32 v6, v6
	v_readfirstlane_b32 s2, v6
	s_mul_i32 s6, s6, s2
	s_mul_hi_u32 s6, s2, s6
	s_add_i32 s2, s2, s6
	s_mul_hi_u32 s2, s95, s2
	s_mul_i32 s2, s2, s33
	s_sub_i32 s2, s95, s2
	s_sub_i32 s6, s2, s33
	s_cmp_ge_u32 s2, s33
	s_cselect_b32 s2, s6, s2
	s_sub_i32 s6, s2, s33
	s_cmp_ge_u32 s2, s33
	s_cselect_b32 s60, s6, s2
	s_mov_b64 s[18:19], s[60:61]
.LBB213_376:                            ;   in Loop: Header=BB213_31 Depth=1
	s_sub_u32 s18, s95, s18
	s_subb_u32 s19, s63, s19
	s_mov_b32 s2, exec_lo
                                        ; implicit-def: $vgpr52
	v_cmpx_gt_u64_e64 s[18:19], v[0:1]
	s_cbranch_execz .LBB213_386
; %bb.377:                              ;   in Loop: Header=BB213_31 Depth=1
	v_mov_b32_e32 v6, v27
	v_mov_b32_e32 v9, v1
	;; [unrolled: 1-line block ×4, first 2 shown]
	s_mov_b32 s20, 0
                                        ; implicit-def: $sgpr21
	s_branch .LBB213_381
.LBB213_378:                            ;   in Loop: Header=BB213_381 Depth=2
	s_or_b32 exec_lo, exec_lo, s6
	s_waitcnt lgkmcnt(0)
	s_barrier
	buffer_gl0_inv
	ds_read_b32 v10, v3 offset:3072
	s_waitcnt lgkmcnt(0)
	s_barrier
	buffer_gl0_inv
	v_cmp_eq_f16_e32 vcc_lo, 0, v10
	s_cbranch_vccz .LBB213_384
; %bb.379:                              ;   in Loop: Header=BB213_381 Depth=2
	v_add_co_u32 v8, vcc_lo, v8, s33
	v_add_co_ci_u32_e64 v9, null, 0, v9, vcc_lo
	v_add_co_u32 v6, s6, v6, s42
	v_add_co_ci_u32_e64 v7, null, s43, v7, s6
	v_cmp_le_u64_e32 vcc_lo, s[18:19], v[8:9]
	s_mov_b32 s6, 0
	s_orn2_b32 s23, vcc_lo, exec_lo
.LBB213_380:                            ;   in Loop: Header=BB213_381 Depth=2
	s_and_b32 s23, exec_lo, s23
	s_or_b32 s20, s23, s20
	s_andn2_b32 s21, s21, exec_lo
	s_and_b32 s6, s6, exec_lo
	s_or_b32 s21, s21, s6
	s_andn2_b32 exec_lo, exec_lo, s20
	s_cbranch_execz .LBB213_385
.LBB213_381:                            ;   Parent Loop BB213_31 Depth=1
                                        ; =>  This Inner Loop Header: Depth=2
	s_mov_b32 s6, exec_lo
	v_cmpx_gt_u64_e64 s[36:37], v[8:9]
	s_cbranch_execz .LBB213_378
; %bb.382:                              ;   in Loop: Header=BB213_381 Depth=2
	global_load_ushort v10, v[6:7], off
	s_waitcnt vmcnt(0)
	v_cmp_lt_i16_e32 vcc_lo, -1, v10
	v_cndmask_b32_e32 v11, 0xffff, v49, vcc_lo
	v_cmp_o_f16_e32 vcc_lo, v10, v10
	v_xor_b32_sdwa v11, v11, v10 dst_sel:DWORD dst_unused:UNUSED_PAD src0_sel:DWORD src1_sel:WORD_0
	v_cndmask_b32_e32 v11, 0xffff, v11, vcc_lo
	v_and_b32_e32 v11, v11, v51
	v_cmp_eq_u32_e32 vcc_lo, v11, v47
	s_and_b32 exec_lo, exec_lo, vcc_lo
	s_cbranch_execz .LBB213_378
; %bb.383:                              ;   in Loop: Header=BB213_381 Depth=2
	v_perm_b32 v10, v10, s58, 0x5040100
	ds_write_b32 v3, v10 offset:3072
	s_branch .LBB213_378
.LBB213_384:                            ;   in Loop: Header=BB213_381 Depth=2
	s_mov_b32 s23, -1
	s_mov_b32 s6, -1
                                        ; implicit-def: $vgpr8_vgpr9
                                        ; implicit-def: $vgpr6_vgpr7
	s_branch .LBB213_380
.LBB213_385:                            ;   in Loop: Header=BB213_31 Depth=1
	s_or_b32 exec_lo, exec_lo, s20
	v_lshrrev_b32_e32 v52, 16, v10
	s_andn2_b32 s6, s22, exec_lo
	s_and_b32 s18, s21, exec_lo
	s_or_b32 s22, s6, s18
.LBB213_386:                            ;   in Loop: Header=BB213_31 Depth=1
	s_or_b32 exec_lo, exec_lo, s2
	s_mov_b32 s73, 0
	s_mov_b32 s74, -1
.LBB213_387:                            ;   in Loop: Header=BB213_31 Depth=1
	s_orn2_b32 s2, s22, exec_lo
.LBB213_388:                            ;   in Loop: Header=BB213_31 Depth=1
	s_or_b32 exec_lo, exec_lo, s76
	s_mov_b32 s6, 0
	s_and_saveexec_b32 s22, s2
	s_cbranch_execz .LBB213_501
; %bb.389:                              ;   in Loop: Header=BB213_31 Depth=1
	v_mov_b32_e32 v6, 1
	v_mov_b32_e32 v7, 0
	;; [unrolled: 1-line block ×3, first 2 shown]
	s_xor_b32 s18, s75, -1
	s_and_saveexec_b32 s2, s18
	s_cbranch_execz .LBB213_398
; %bb.390:                              ;   in Loop: Header=BB213_31 Depth=1
	s_mov_b32 s6, exec_lo
	v_cmpx_ge_u64_e64 s[16:17], v[4:5]
	s_xor_b32 s6, exec_lo, s6
	s_cbranch_execz .LBB213_395
; %bb.391:                              ;   in Loop: Header=BB213_31 Depth=1
	ds_read_b64 v[6:7], v3 offset:5120
	s_lshl_b32 s18, 2, s54
	v_or_b32_e32 v51, s11, v51
	v_and_or_b32 v47, v47, s26, s18
	s_waitcnt lgkmcnt(0)
	v_cmp_ne_u64_e32 vcc_lo, 0, v[6:7]
	s_cbranch_vccnz .LBB213_395
; %bb.392:                              ;   in Loop: Header=BB213_31 Depth=1
	s_and_saveexec_b32 s18, s3
; %bb.393:                              ;   in Loop: Header=BB213_31 Depth=1
	v_mov_b32_e32 v6, s16
	v_mov_b32_e32 v7, s17
	ds_write_b64 v3, v[6:7] offset:5128
; %bb.394:                              ;   in Loop: Header=BB213_31 Depth=1
	s_or_b32 exec_lo, exec_lo, s18
	s_waitcnt lgkmcnt(0)
	s_barrier
	buffer_gl0_inv
.LBB213_395:                            ;   in Loop: Header=BB213_31 Depth=1
	s_or_saveexec_b32 s6, s6
	v_mov_b32_e32 v2, 5
	s_mov_b32 s18, 0
	s_xor_b32 exec_lo, exec_lo, s6
; %bb.396:                              ;   in Loop: Header=BB213_31 Depth=1
	v_sub_co_u32 v4, vcc_lo, v4, s16
	v_subrev_co_ci_u32_e64 v5, null, s17, v5, vcc_lo
	v_mov_b32_e32 v2, 0
	s_mov_b32 s18, exec_lo
; %bb.397:                              ;   in Loop: Header=BB213_31 Depth=1
	s_or_b32 exec_lo, exec_lo, s6
	v_mov_b32_e32 v7, v5
	v_mov_b32_e32 v6, v4
	s_and_b32 s6, s18, exec_lo
.LBB213_398:                            ;   in Loop: Header=BB213_31 Depth=1
	s_or_b32 exec_lo, exec_lo, s2
	s_mov_b32 s2, -1
                                        ; implicit-def: $sgpr75
                                        ; implicit-def: $sgpr76
	s_and_saveexec_b32 s23, s6
	s_cbranch_execz .LBB213_500
; %bb.399:                              ;   in Loop: Header=BB213_31 Depth=1
	v_cmp_eq_u64_e32 vcc_lo, 1, v[6:7]
	s_cmp_eq_u64 s[14:15], 1
                                        ; implicit-def: $sgpr76
                                        ; implicit-def: $sgpr75
	s_cselect_b32 s2, -1, 0
	s_and_b32 s77, s2, vcc_lo
	s_mov_b32 s2, -1
	s_and_saveexec_b32 s78, s77
	s_cbranch_execz .LBB213_435
; %bb.400:                              ;   in Loop: Header=BB213_31 Depth=1
	ds_read_b64 v[4:5], v3 offset:5120
	s_waitcnt lgkmcnt(0)
	s_barrier
	buffer_gl0_inv
	v_readfirstlane_b32 s16, v4
	v_readfirstlane_b32 s17, v5
	s_and_saveexec_b32 s2, s10
; %bb.401:                              ;   in Loop: Header=BB213_31 Depth=1
	ds_write_b16 v44, v3
; %bb.402:                              ;   in Loop: Header=BB213_31 Depth=1
	s_or_b32 exec_lo, exec_lo, s2
	s_lshl_b32 s2, 1, s54
	v_or_b32_e32 v51, s11, v51
	v_and_or_b32 v47, v47, s26, s2
	s_mov_b32 s75, -1
	s_mov_b32 s76, 0
	s_cmp_eq_u64 s[16:17], 0
	s_mov_b32 s20, 0
	s_mov_b32 s2, -1
	s_waitcnt lgkmcnt(0)
	s_barrier
	buffer_gl0_inv
                                        ; implicit-def: $vgpr52
	s_cbranch_scc1 .LBB213_419
; %bb.403:                              ;   in Loop: Header=BB213_31 Depth=1
	s_add_u32 s6, s16, s93
	s_addc_u32 s19, s17, s94
	s_mov_b32 s18, s61
	s_cmp_lg_u64 s[18:19], 0
	s_cbranch_scc0 .LBB213_452
; %bb.404:                              ;   in Loop: Header=BB213_31 Depth=1
	v_cvt_f32_u32_e32 v4, s33
	s_sub_u32 s20, 0, s33
	s_subb_u32 s21, 0, 0
	v_fmac_f32_e64 v4, 0x4f800000, 0
	v_rcp_f32_e32 v4, v4
	v_mul_f32_e32 v4, 0x5f7ffffc, v4
	v_mul_f32_e32 v5, 0x2f800000, v4
	v_trunc_f32_e32 v5, v5
	v_fmac_f32_e32 v4, 0xcf800000, v5
	v_cvt_u32_f32_e32 v5, v5
	v_cvt_u32_f32_e32 v4, v4
	v_readfirstlane_b32 s2, v5
	v_readfirstlane_b32 s18, v4
	s_mul_i32 s60, s20, s2
	s_mul_hi_u32 s66, s20, s18
	s_mul_i32 s62, s21, s18
	s_add_i32 s60, s66, s60
	s_mul_i32 s67, s20, s18
	s_add_i32 s60, s60, s62
	s_mul_hi_u32 s66, s18, s67
	s_mul_i32 s80, s18, s60
	s_mul_hi_u32 s79, s2, s67
	s_mul_i32 s62, s2, s67
	s_mul_hi_u32 s67, s18, s60
	s_add_u32 s66, s66, s80
	s_addc_u32 s67, 0, s67
	s_mul_hi_u32 s81, s2, s60
	s_add_u32 s62, s66, s62
	s_mul_i32 s60, s2, s60
	s_addc_u32 s62, s67, s79
	s_addc_u32 s66, s81, 0
	s_add_u32 s60, s62, s60
	s_addc_u32 s62, 0, s66
	s_add_u32 s18, s18, s60
	s_cselect_b32 s60, -1, 0
	s_mul_hi_u32 s66, s20, s18
	s_cmp_lg_u32 s60, 0
	s_mul_i32 s60, s20, s18
	s_addc_u32 s2, s2, s62
	s_mul_i32 s21, s21, s18
	s_mul_i32 s20, s20, s2
	s_mul_hi_u32 s62, s18, s60
	s_add_i32 s20, s66, s20
	s_mul_hi_u32 s66, s2, s60
	s_add_i32 s20, s20, s21
	s_mul_i32 s21, s2, s60
	s_mul_i32 s79, s18, s20
	s_mul_hi_u32 s67, s18, s20
	s_add_u32 s62, s62, s79
	s_addc_u32 s67, 0, s67
	s_mul_hi_u32 s60, s2, s20
	s_add_u32 s21, s62, s21
	s_mul_i32 s20, s2, s20
	s_addc_u32 s21, s67, s66
	s_addc_u32 s60, s60, 0
	s_add_u32 s20, s21, s20
	s_addc_u32 s21, 0, s60
	s_add_u32 s18, s18, s20
	s_cselect_b32 s20, -1, 0
	s_mul_hi_u32 s60, s6, s18
	s_cmp_lg_u32 s20, 0
	s_mul_hi_u32 s20, s19, s18
	s_addc_u32 s2, s2, s21
	s_mul_i32 s18, s19, s18
	s_mul_i32 s62, s6, s2
	s_mul_hi_u32 s21, s6, s2
	s_add_u32 s60, s60, s62
	s_addc_u32 s21, 0, s21
	s_mul_hi_u32 s66, s19, s2
	s_add_u32 s18, s60, s18
	s_mul_i32 s2, s19, s2
	s_addc_u32 s18, s21, s20
	s_addc_u32 s20, s66, 0
	s_add_u32 s2, s18, s2
	s_addc_u32 s18, 0, s20
	s_mul_hi_u32 s20, s33, s2
	s_mul_i32 s18, s33, s18
	s_mul_i32 s2, s33, s2
	s_add_i32 s20, s20, s18
	s_sub_u32 s2, s6, s2
	s_cselect_b32 s18, -1, 0
	s_cmp_lg_u32 s18, 0
	s_subb_u32 s18, s19, s20
	s_sub_u32 s20, s2, s33
	s_cselect_b32 s21, -1, 0
	s_cmp_lg_u32 s21, 0
	s_subb_u32 s21, s18, 0
	;; [unrolled: 4-line block ×3, first 2 shown]
	s_cmp_ge_u32 s20, s33
	s_cselect_b32 s66, -1, 0
	s_cmp_eq_u32 s21, 0
	s_cselect_b32 s66, s66, -1
	s_cmp_lg_u32 s66, 0
	s_cselect_b32 s21, s62, s21
	s_cselect_b32 s20, s60, s20
	s_cmp_ge_u32 s2, s33
	s_cselect_b32 s60, -1, 0
	s_cmp_eq_u32 s18, 0
	s_cselect_b32 s60, s60, -1
	s_cmp_lg_u32 s60, 0
	s_cselect_b32 s21, s21, s18
	s_cselect_b32 s20, s20, s2
	s_cbranch_execnz .LBB213_406
.LBB213_405:                            ;   in Loop: Header=BB213_31 Depth=1
	v_cvt_f32_u32_e32 v4, s33
	s_sub_i32 s18, 0, s33
	v_rcp_iflag_f32_e32 v4, v4
	v_mul_f32_e32 v4, 0x4f7ffffe, v4
	v_cvt_u32_f32_e32 v4, v4
	v_readfirstlane_b32 s2, v4
	s_mul_i32 s18, s18, s2
	s_mul_hi_u32 s18, s2, s18
	s_add_i32 s2, s2, s18
	s_mul_hi_u32 s2, s6, s2
	s_mul_i32 s2, s2, s33
	s_sub_i32 s2, s6, s2
	s_sub_i32 s18, s2, s33
	s_cmp_ge_u32 s2, s33
	s_cselect_b32 s2, s18, s2
	s_sub_i32 s18, s2, s33
	s_cmp_ge_u32 s2, s33
	s_cselect_b32 s60, s18, s2
	s_mov_b64 s[20:21], s[60:61]
.LBB213_406:                            ;   in Loop: Header=BB213_31 Depth=1
	s_sub_u32 s18, s6, s20
	s_subb_u32 s19, s19, s21
	s_mov_b32 s2, 0
	s_mov_b32 s20, 0
	s_mov_b32 s6, exec_lo
                                        ; implicit-def: $vgpr52
	v_cmpx_gt_u64_e64 s[18:19], v[0:1]
	s_cbranch_execz .LBB213_418
; %bb.407:                              ;   in Loop: Header=BB213_31 Depth=1
	v_mov_b32_e32 v5, v1
	v_mov_b32_e32 v8, v43
	v_mov_b32_e32 v4, v0
                                        ; implicit-def: $sgpr21
	s_branch .LBB213_411
.LBB213_408:                            ;   in Loop: Header=BB213_411 Depth=2
	s_or_b32 exec_lo, exec_lo, s60
	s_waitcnt lgkmcnt(0)
	s_barrier
	buffer_gl0_inv
	ds_read_b32 v9, v3 offset:3072
	s_waitcnt lgkmcnt(0)
	s_barrier
	buffer_gl0_inv
	v_cmp_neq_f16_e32 vcc_lo, 0, v9
	s_cbranch_vccnz .LBB213_414
; %bb.409:                              ;   in Loop: Header=BB213_411 Depth=2
	v_add_co_u32 v4, vcc_lo, v4, s33
	v_add_co_ci_u32_e64 v5, null, 0, v5, vcc_lo
	v_add_nc_u32_e32 v8, vcc_hi, v8
	s_mov_b32 s60, 0
	v_cmp_le_u64_e32 vcc_lo, s[18:19], v[4:5]
	s_orn2_b32 s62, vcc_lo, exec_lo
.LBB213_410:                            ;   in Loop: Header=BB213_411 Depth=2
	s_and_b32 s62, exec_lo, s62
	s_or_b32 s20, s62, s20
	s_andn2_b32 s21, s21, exec_lo
	s_and_b32 s60, s60, exec_lo
	s_or_b32 s21, s21, s60
	s_andn2_b32 exec_lo, exec_lo, s20
	s_cbranch_execz .LBB213_417
.LBB213_411:                            ;   Parent Loop BB213_31 Depth=1
                                        ; =>  This Inner Loop Header: Depth=2
	s_mov_b32 s60, exec_lo
	v_cmpx_gt_u64_e64 s[16:17], v[4:5]
	s_cbranch_execz .LBB213_408
; %bb.412:                              ;   in Loop: Header=BB213_411 Depth=2
	ds_read_u16 v9, v8
	s_waitcnt lgkmcnt(0)
	v_cmp_lt_i16_e32 vcc_lo, -1, v9
	v_cndmask_b32_e32 v10, 0xffff, v49, vcc_lo
	v_cmp_o_f16_e32 vcc_lo, v9, v9
	v_xor_b32_sdwa v10, v10, v9 dst_sel:DWORD dst_unused:UNUSED_PAD src0_sel:DWORD src1_sel:WORD_0
	v_cndmask_b32_e32 v10, 0xffff, v10, vcc_lo
	v_and_b32_e32 v10, v10, v51
	v_cmp_eq_u32_e32 vcc_lo, v10, v47
	s_and_b32 exec_lo, exec_lo, vcc_lo
	s_cbranch_execz .LBB213_408
; %bb.413:                              ;   in Loop: Header=BB213_411 Depth=2
	v_perm_b32 v9, v9, s58, 0x5040100
	ds_write_b32 v3, v9 offset:3072
	s_branch .LBB213_408
.LBB213_414:                            ;   in Loop: Header=BB213_411 Depth=2
	s_mov_b32 s62, -1
	s_mov_b32 s60, -1
                                        ; implicit-def: $vgpr4_vgpr5
                                        ; implicit-def: $vgpr8
	s_branch .LBB213_410
.LBB213_415:                            ;   in Loop: Header=BB213_31 Depth=1
                                        ; implicit-def: $sgpr22_sgpr23
	s_andn2_b32 vcc_lo, exec_lo, s2
	s_cbranch_vccz .LBB213_358
	s_branch .LBB213_359
.LBB213_416:                            ;   in Loop: Header=BB213_31 Depth=1
                                        ; implicit-def: $sgpr18_sgpr19
	s_branch .LBB213_375
.LBB213_417:                            ;   in Loop: Header=BB213_31 Depth=1
	s_or_b32 exec_lo, exec_lo, s20
	v_lshrrev_b32_e32 v52, 16, v9
	s_and_b32 s20, s21, exec_lo
.LBB213_418:                            ;   in Loop: Header=BB213_31 Depth=1
	s_or_b32 exec_lo, exec_lo, s6
.LBB213_419:                            ;   in Loop: Header=BB213_31 Depth=1
	s_and_b32 vcc_lo, exec_lo, s2
	s_cbranch_vccz .LBB213_434
; %bb.420:                              ;   in Loop: Header=BB213_31 Depth=1
	s_mov_b32 s62, s61
	s_cmp_lg_u64 s[62:63], 0
	s_cbranch_scc0 .LBB213_453
; %bb.421:                              ;   in Loop: Header=BB213_31 Depth=1
	v_cvt_f32_u32_e32 v4, s33
	s_sub_u32 s16, 0, s33
	s_subb_u32 s17, 0, 0
	v_fmac_f32_e64 v4, 0x4f800000, 0
	v_rcp_f32_e32 v4, v4
	v_mul_f32_e32 v4, 0x5f7ffffc, v4
	v_mul_f32_e32 v5, 0x2f800000, v4
	v_trunc_f32_e32 v5, v5
	v_fmac_f32_e32 v4, 0xcf800000, v5
	v_cvt_u32_f32_e32 v5, v5
	v_cvt_u32_f32_e32 v4, v4
	v_readfirstlane_b32 s2, v5
	v_readfirstlane_b32 s6, v4
	s_mul_i32 s18, s16, s2
	s_mul_hi_u32 s21, s16, s6
	s_mul_i32 s19, s17, s6
	s_add_i32 s18, s21, s18
	s_mul_i32 s60, s16, s6
	s_add_i32 s18, s18, s19
	s_mul_hi_u32 s21, s6, s60
	s_mul_i32 s66, s6, s18
	s_mul_hi_u32 s62, s2, s60
	s_mul_i32 s19, s2, s60
	s_mul_hi_u32 s60, s6, s18
	s_add_u32 s21, s21, s66
	s_addc_u32 s60, 0, s60
	s_mul_hi_u32 s67, s2, s18
	s_add_u32 s19, s21, s19
	s_mul_i32 s18, s2, s18
	s_addc_u32 s19, s60, s62
	s_addc_u32 s21, s67, 0
	s_add_u32 s18, s19, s18
	s_addc_u32 s19, 0, s21
	s_add_u32 s6, s6, s18
	s_cselect_b32 s18, -1, 0
	s_mul_hi_u32 s21, s16, s6
	s_cmp_lg_u32 s18, 0
	s_mul_i32 s18, s16, s6
	s_addc_u32 s2, s2, s19
	s_mul_i32 s17, s17, s6
	s_mul_i32 s16, s16, s2
	s_mul_hi_u32 s19, s6, s18
	s_add_i32 s16, s21, s16
	s_mul_hi_u32 s21, s2, s18
	s_add_i32 s16, s16, s17
	s_mul_i32 s17, s2, s18
	s_mul_i32 s62, s6, s16
	s_mul_hi_u32 s60, s6, s16
	s_add_u32 s19, s19, s62
	s_addc_u32 s60, 0, s60
	s_mul_hi_u32 s18, s2, s16
	s_add_u32 s17, s19, s17
	s_mul_i32 s16, s2, s16
	s_addc_u32 s17, s60, s21
	s_addc_u32 s18, s18, 0
	s_add_u32 s16, s17, s16
	s_addc_u32 s17, 0, s18
	s_add_u32 s6, s6, s16
	s_cselect_b32 s16, -1, 0
	s_mul_hi_u32 s18, s95, s6
	s_cmp_lg_u32 s16, 0
	s_mul_hi_u32 s16, s63, s6
	s_addc_u32 s2, s2, s17
	s_mul_i32 s6, s63, s6
	s_mul_i32 s19, s95, s2
	s_mul_hi_u32 s17, s95, s2
	s_add_u32 s18, s18, s19
	s_addc_u32 s17, 0, s17
	s_mul_hi_u32 s21, s63, s2
	s_add_u32 s6, s18, s6
	s_mul_i32 s2, s63, s2
	s_addc_u32 s6, s17, s16
	s_addc_u32 s16, s21, 0
	s_add_u32 s2, s6, s2
	s_addc_u32 s6, 0, s16
	s_mul_hi_u32 s16, s33, s2
	s_mul_i32 s6, s33, s6
	s_mul_i32 s2, s33, s2
	s_add_i32 s16, s16, s6
	s_sub_u32 s2, s95, s2
	s_cselect_b32 s6, -1, 0
	s_cmp_lg_u32 s6, 0
	s_subb_u32 s6, s63, s16
	s_sub_u32 s16, s2, s33
	s_cselect_b32 s17, -1, 0
	s_cmp_lg_u32 s17, 0
	s_subb_u32 s17, s6, 0
	s_sub_u32 s18, s16, s33
	s_cselect_b32 s19, -1, 0
	s_cmp_lg_u32 s19, 0
	s_subb_u32 s19, s17, 0
	s_cmp_ge_u32 s16, s33
	s_cselect_b32 s21, -1, 0
	s_cmp_eq_u32 s17, 0
	s_cselect_b32 s21, s21, -1
	s_cmp_lg_u32 s21, 0
	s_cselect_b32 s17, s19, s17
	s_cselect_b32 s16, s18, s16
	s_cmp_ge_u32 s2, s33
	s_cselect_b32 s18, -1, 0
	s_cmp_eq_u32 s6, 0
	s_cselect_b32 s18, s18, -1
	s_cmp_lg_u32 s18, 0
	s_cselect_b32 s17, s17, s6
	s_cselect_b32 s16, s16, s2
	s_cbranch_execnz .LBB213_423
.LBB213_422:                            ;   in Loop: Header=BB213_31 Depth=1
	v_cvt_f32_u32_e32 v4, s33
	s_sub_i32 s6, 0, s33
	v_rcp_iflag_f32_e32 v4, v4
	v_mul_f32_e32 v4, 0x4f7ffffe, v4
	v_cvt_u32_f32_e32 v4, v4
	v_readfirstlane_b32 s2, v4
	s_mul_i32 s6, s6, s2
	s_mul_hi_u32 s6, s2, s6
	s_add_i32 s2, s2, s6
	s_mul_hi_u32 s2, s95, s2
	s_mul_i32 s2, s2, s33
	s_sub_i32 s2, s95, s2
	s_sub_i32 s6, s2, s33
	s_cmp_ge_u32 s2, s33
	s_cselect_b32 s2, s6, s2
	s_sub_i32 s6, s2, s33
	s_cmp_ge_u32 s2, s33
	s_cselect_b32 s60, s6, s2
	s_mov_b64 s[16:17], s[60:61]
.LBB213_423:                            ;   in Loop: Header=BB213_31 Depth=1
	s_sub_u32 s16, s95, s16
	s_subb_u32 s17, s63, s17
	s_mov_b32 s2, exec_lo
                                        ; implicit-def: $vgpr52
	v_cmpx_gt_u64_e64 s[16:17], v[0:1]
	s_cbranch_execz .LBB213_433
; %bb.424:                              ;   in Loop: Header=BB213_31 Depth=1
	v_mov_b32_e32 v4, v27
	v_mov_b32_e32 v9, v1
	;; [unrolled: 1-line block ×4, first 2 shown]
	s_mov_b32 s18, 0
                                        ; implicit-def: $sgpr19
	s_branch .LBB213_428
.LBB213_425:                            ;   in Loop: Header=BB213_428 Depth=2
	s_or_b32 exec_lo, exec_lo, s6
	s_waitcnt lgkmcnt(0)
	s_barrier
	buffer_gl0_inv
	ds_read_b32 v10, v3 offset:3072
	s_waitcnt lgkmcnt(0)
	s_barrier
	buffer_gl0_inv
	v_cmp_eq_f16_e32 vcc_lo, 0, v10
	s_cbranch_vccz .LBB213_431
; %bb.426:                              ;   in Loop: Header=BB213_428 Depth=2
	v_add_co_u32 v8, vcc_lo, v8, s33
	v_add_co_ci_u32_e64 v9, null, 0, v9, vcc_lo
	v_add_co_u32 v4, s6, v4, s42
	v_add_co_ci_u32_e64 v5, null, s43, v5, s6
	v_cmp_le_u64_e32 vcc_lo, s[16:17], v[8:9]
	s_mov_b32 s6, 0
	s_orn2_b32 s21, vcc_lo, exec_lo
.LBB213_427:                            ;   in Loop: Header=BB213_428 Depth=2
	s_and_b32 s21, exec_lo, s21
	s_or_b32 s18, s21, s18
	s_andn2_b32 s19, s19, exec_lo
	s_and_b32 s6, s6, exec_lo
	s_or_b32 s19, s19, s6
	s_andn2_b32 exec_lo, exec_lo, s18
	s_cbranch_execz .LBB213_432
.LBB213_428:                            ;   Parent Loop BB213_31 Depth=1
                                        ; =>  This Inner Loop Header: Depth=2
	s_mov_b32 s6, exec_lo
	v_cmpx_gt_u64_e64 s[36:37], v[8:9]
	s_cbranch_execz .LBB213_425
; %bb.429:                              ;   in Loop: Header=BB213_428 Depth=2
	global_load_ushort v10, v[4:5], off
	s_waitcnt vmcnt(0)
	v_cmp_lt_i16_e32 vcc_lo, -1, v10
	v_cndmask_b32_e32 v11, 0xffff, v49, vcc_lo
	v_cmp_o_f16_e32 vcc_lo, v10, v10
	v_xor_b32_sdwa v11, v11, v10 dst_sel:DWORD dst_unused:UNUSED_PAD src0_sel:DWORD src1_sel:WORD_0
	v_cndmask_b32_e32 v11, 0xffff, v11, vcc_lo
	v_and_b32_e32 v11, v11, v51
	v_cmp_eq_u32_e32 vcc_lo, v11, v47
	s_and_b32 exec_lo, exec_lo, vcc_lo
	s_cbranch_execz .LBB213_425
; %bb.430:                              ;   in Loop: Header=BB213_428 Depth=2
	v_perm_b32 v10, v10, s58, 0x5040100
	ds_write_b32 v3, v10 offset:3072
	s_branch .LBB213_425
.LBB213_431:                            ;   in Loop: Header=BB213_428 Depth=2
	s_mov_b32 s21, -1
	s_mov_b32 s6, -1
                                        ; implicit-def: $vgpr8_vgpr9
                                        ; implicit-def: $vgpr4_vgpr5
	s_branch .LBB213_427
.LBB213_432:                            ;   in Loop: Header=BB213_31 Depth=1
	s_or_b32 exec_lo, exec_lo, s18
	v_lshrrev_b32_e32 v52, 16, v10
	s_andn2_b32 s6, s20, exec_lo
	s_and_b32 s16, s19, exec_lo
	s_or_b32 s20, s6, s16
.LBB213_433:                            ;   in Loop: Header=BB213_31 Depth=1
	s_or_b32 exec_lo, exec_lo, s2
	s_mov_b32 s75, 0
	s_mov_b32 s76, -1
.LBB213_434:                            ;   in Loop: Header=BB213_31 Depth=1
	s_orn2_b32 s2, s20, exec_lo
.LBB213_435:                            ;   in Loop: Header=BB213_31 Depth=1
	s_or_b32 exec_lo, exec_lo, s78
	s_mov_b32 s6, 0
	s_and_saveexec_b32 s20, s2
	s_cbranch_execz .LBB213_499
; %bb.436:                              ;   in Loop: Header=BB213_31 Depth=1
	v_mov_b32_e32 v4, 1
	v_mov_b32_e32 v5, 0
	;; [unrolled: 1-line block ×3, first 2 shown]
	s_xor_b32 s6, s77, -1
	s_mov_b32 s16, 0
	s_and_saveexec_b32 s2, s6
	s_cbranch_execz .LBB213_445
; %bb.437:                              ;   in Loop: Header=BB213_31 Depth=1
	s_mov_b32 s6, exec_lo
	v_cmpx_ge_u64_e64 s[14:15], v[6:7]
	s_xor_b32 s6, exec_lo, s6
	s_cbranch_execz .LBB213_442
; %bb.438:                              ;   in Loop: Header=BB213_31 Depth=1
	ds_read_b64 v[4:5], v3 offset:5120
	s_lshl_b32 s16, 1, s54
	v_or_b32_e32 v51, s11, v51
	v_and_or_b32 v47, v47, s26, s16
	s_waitcnt lgkmcnt(0)
	v_cmp_ne_u64_e32 vcc_lo, 0, v[4:5]
	s_cbranch_vccnz .LBB213_442
; %bb.439:                              ;   in Loop: Header=BB213_31 Depth=1
	s_and_saveexec_b32 s16, s3
; %bb.440:                              ;   in Loop: Header=BB213_31 Depth=1
	v_mov_b32_e32 v4, s14
	v_mov_b32_e32 v5, s15
	ds_write_b64 v3, v[4:5] offset:5128
; %bb.441:                              ;   in Loop: Header=BB213_31 Depth=1
	s_or_b32 exec_lo, exec_lo, s16
	s_waitcnt lgkmcnt(0)
	s_barrier
	buffer_gl0_inv
.LBB213_442:                            ;   in Loop: Header=BB213_31 Depth=1
	s_or_saveexec_b32 s6, s6
	v_mov_b32_e32 v2, 5
	s_mov_b32 s16, 0
	s_xor_b32 exec_lo, exec_lo, s6
; %bb.443:                              ;   in Loop: Header=BB213_31 Depth=1
	v_sub_co_u32 v6, vcc_lo, v6, s14
	v_subrev_co_ci_u32_e64 v7, null, s15, v7, vcc_lo
	v_mov_b32_e32 v2, 0
	s_mov_b32 s16, exec_lo
; %bb.444:                              ;   in Loop: Header=BB213_31 Depth=1
	s_or_b32 exec_lo, exec_lo, s6
	v_mov_b32_e32 v4, v6
	v_mov_b32_e32 v5, v7
	s_and_b32 s16, s16, exec_lo
.LBB213_445:                            ;   in Loop: Header=BB213_31 Depth=1
	s_or_b32 exec_lo, exec_lo, s2
	s_mov_b32 s2, -1
                                        ; implicit-def: $sgpr62
                                        ; implicit-def: $sgpr6
	s_and_saveexec_b32 s21, s16
	s_cbranch_execz .LBB213_498
; %bb.446:                              ;   in Loop: Header=BB213_31 Depth=1
	v_cmp_eq_u64_e32 vcc_lo, 1, v[4:5]
	s_cmp_eq_u64 s[12:13], 1
	s_mov_b32 s14, -1
	s_cselect_b32 s2, -1, 0
                                        ; implicit-def: $sgpr62
                                        ; implicit-def: $sgpr6
	s_and_b32 s77, s2, vcc_lo
	s_and_saveexec_b32 s78, s77
	s_cbranch_execz .LBB213_486
; %bb.447:                              ;   in Loop: Header=BB213_31 Depth=1
	ds_read_b64 v[6:7], v3 offset:5120
	s_waitcnt lgkmcnt(0)
	s_barrier
	buffer_gl0_inv
	v_readfirstlane_b32 s14, v6
	v_readfirstlane_b32 s15, v7
	s_and_saveexec_b32 s2, s10
; %bb.448:                              ;   in Loop: Header=BB213_31 Depth=1
	ds_write_b16 v44, v3
; %bb.449:                              ;   in Loop: Header=BB213_31 Depth=1
	s_or_b32 exec_lo, exec_lo, s2
	v_and_b32_e32 v47, s26, v47
	v_or_b32_e32 v51, s11, v51
	s_mov_b32 s6, -1
	s_mov_b32 s62, 0
	s_cmp_eq_u64 s[14:15], 0
	s_mov_b32 s18, 0
	s_mov_b32 s2, -1
	s_waitcnt lgkmcnt(0)
	s_barrier
	buffer_gl0_inv
                                        ; implicit-def: $vgpr52
	s_cbranch_scc1 .LBB213_468
; %bb.450:                              ;   in Loop: Header=BB213_31 Depth=1
	s_add_u32 s79, s14, s93
	s_addc_u32 s17, s15, s94
	s_mov_b32 s16, s61
	s_cmp_lg_u64 s[16:17], 0
	s_cbranch_scc0 .LBB213_454
; %bb.451:                              ;   in Loop: Header=BB213_31 Depth=1
	v_cvt_f32_u32_e32 v6, s33
	s_sub_u32 s18, 0, s33
	s_subb_u32 s19, 0, 0
	v_fmac_f32_e64 v6, 0x4f800000, 0
	v_rcp_f32_e32 v6, v6
	v_mul_f32_e32 v6, 0x5f7ffffc, v6
	v_mul_f32_e32 v7, 0x2f800000, v6
	v_trunc_f32_e32 v7, v7
	v_fmac_f32_e32 v6, 0xcf800000, v7
	v_cvt_u32_f32_e32 v7, v7
	v_cvt_u32_f32_e32 v6, v6
	v_readfirstlane_b32 s2, v7
	v_readfirstlane_b32 s16, v6
	s_mul_i32 s60, s18, s2
	s_mul_hi_u32 s67, s18, s16
	s_mul_i32 s66, s19, s16
	s_add_i32 s60, s67, s60
	s_mul_i32 s80, s18, s16
	s_add_i32 s60, s60, s66
	s_mul_hi_u32 s67, s16, s80
	s_mul_i32 s82, s16, s60
	s_mul_hi_u32 s81, s2, s80
	s_mul_i32 s66, s2, s80
	s_mul_hi_u32 s80, s16, s60
	s_add_u32 s67, s67, s82
	s_addc_u32 s80, 0, s80
	s_mul_hi_u32 s83, s2, s60
	s_add_u32 s66, s67, s66
	s_mul_i32 s60, s2, s60
	s_addc_u32 s66, s80, s81
	s_addc_u32 s67, s83, 0
	s_add_u32 s60, s66, s60
	s_addc_u32 s66, 0, s67
	s_add_u32 s16, s16, s60
	s_cselect_b32 s60, -1, 0
	s_mul_hi_u32 s67, s18, s16
	s_cmp_lg_u32 s60, 0
	s_mul_i32 s60, s18, s16
	s_addc_u32 s2, s2, s66
	s_mul_i32 s19, s19, s16
	s_mul_i32 s18, s18, s2
	s_mul_hi_u32 s66, s16, s60
	s_add_i32 s18, s67, s18
	s_mul_hi_u32 s67, s2, s60
	s_add_i32 s18, s18, s19
	s_mul_i32 s19, s2, s60
	s_mul_i32 s81, s16, s18
	s_mul_hi_u32 s80, s16, s18
	s_add_u32 s66, s66, s81
	s_addc_u32 s80, 0, s80
	s_mul_hi_u32 s60, s2, s18
	s_add_u32 s19, s66, s19
	s_mul_i32 s18, s2, s18
	s_addc_u32 s19, s80, s67
	s_addc_u32 s60, s60, 0
	s_add_u32 s18, s19, s18
	s_addc_u32 s19, 0, s60
	s_add_u32 s16, s16, s18
	s_cselect_b32 s18, -1, 0
	s_mul_hi_u32 s60, s79, s16
	s_cmp_lg_u32 s18, 0
	s_mul_hi_u32 s18, s17, s16
	s_addc_u32 s2, s2, s19
	s_mul_i32 s16, s17, s16
	s_mul_i32 s66, s79, s2
	s_mul_hi_u32 s19, s79, s2
	s_add_u32 s60, s60, s66
	s_addc_u32 s19, 0, s19
	s_mul_hi_u32 s67, s17, s2
	s_add_u32 s16, s60, s16
	s_mul_i32 s2, s17, s2
	s_addc_u32 s16, s19, s18
	s_addc_u32 s18, s67, 0
	s_add_u32 s2, s16, s2
	s_addc_u32 s16, 0, s18
	s_mul_hi_u32 s18, s33, s2
	s_mul_i32 s16, s33, s16
	s_mul_i32 s2, s33, s2
	s_add_i32 s18, s18, s16
	s_sub_u32 s2, s79, s2
	s_cselect_b32 s16, -1, 0
	s_cmp_lg_u32 s16, 0
	s_subb_u32 s16, s17, s18
	s_sub_u32 s18, s2, s33
	s_cselect_b32 s19, -1, 0
	s_cmp_lg_u32 s19, 0
	s_subb_u32 s19, s16, 0
	;; [unrolled: 4-line block ×3, first 2 shown]
	s_cmp_ge_u32 s18, s33
	s_cselect_b32 s67, -1, 0
	s_cmp_eq_u32 s19, 0
	s_cselect_b32 s67, s67, -1
	s_cmp_lg_u32 s67, 0
	s_cselect_b32 s19, s66, s19
	s_cselect_b32 s18, s60, s18
	s_cmp_ge_u32 s2, s33
	s_cselect_b32 s60, -1, 0
	s_cmp_eq_u32 s16, 0
	s_cselect_b32 s60, s60, -1
	s_cmp_lg_u32 s60, 0
	s_cselect_b32 s19, s19, s16
	s_cselect_b32 s18, s18, s2
	s_mov_b32 s2, 0
	s_branch .LBB213_455
.LBB213_452:                            ;   in Loop: Header=BB213_31 Depth=1
                                        ; implicit-def: $sgpr20_sgpr21
	s_andn2_b32 vcc_lo, exec_lo, s2
	s_cbranch_vccz .LBB213_405
	s_branch .LBB213_406
.LBB213_453:                            ;   in Loop: Header=BB213_31 Depth=1
                                        ; implicit-def: $sgpr16_sgpr17
	s_branch .LBB213_422
.LBB213_454:                            ;   in Loop: Header=BB213_31 Depth=1
                                        ; implicit-def: $sgpr18_sgpr19
.LBB213_455:                            ;   in Loop: Header=BB213_31 Depth=1
	s_andn2_b32 vcc_lo, exec_lo, s2
	s_cbranch_vccnz .LBB213_457
; %bb.456:                              ;   in Loop: Header=BB213_31 Depth=1
	v_cvt_f32_u32_e32 v6, s33
	s_sub_i32 s16, 0, s33
	v_rcp_iflag_f32_e32 v6, v6
	v_mul_f32_e32 v6, 0x4f7ffffe, v6
	v_cvt_u32_f32_e32 v6, v6
	v_readfirstlane_b32 s2, v6
	s_mul_i32 s16, s16, s2
	s_mul_hi_u32 s16, s2, s16
	s_add_i32 s2, s2, s16
	s_mul_hi_u32 s2, s79, s2
	s_mul_i32 s2, s2, s33
	s_sub_i32 s2, s79, s2
	s_sub_i32 s16, s2, s33
	s_cmp_ge_u32 s2, s33
	s_cselect_b32 s2, s16, s2
	s_sub_i32 s16, s2, s33
	s_cmp_ge_u32 s2, s33
	s_cselect_b32 s60, s16, s2
	s_mov_b64 s[18:19], s[60:61]
.LBB213_457:                            ;   in Loop: Header=BB213_31 Depth=1
	s_sub_u32 s16, s79, s18
	s_subb_u32 s17, s17, s19
	s_mov_b32 s2, 0
	s_mov_b32 s18, 0
	s_mov_b32 s19, exec_lo
                                        ; implicit-def: $vgpr52
	v_cmpx_gt_u64_e64 s[16:17], v[0:1]
	s_cbranch_execz .LBB213_467
; %bb.458:                              ;   in Loop: Header=BB213_31 Depth=1
	v_mov_b32_e32 v7, v1
	v_mov_b32_e32 v8, v43
	;; [unrolled: 1-line block ×3, first 2 shown]
                                        ; implicit-def: $sgpr60
	s_branch .LBB213_462
.LBB213_459:                            ;   in Loop: Header=BB213_462 Depth=2
	s_or_b32 exec_lo, exec_lo, s79
	s_waitcnt lgkmcnt(0)
	s_barrier
	buffer_gl0_inv
	ds_read_b32 v9, v3 offset:3072
	s_waitcnt lgkmcnt(0)
	s_barrier
	buffer_gl0_inv
	v_cmp_neq_f16_e32 vcc_lo, 0, v9
	s_cbranch_vccnz .LBB213_465
; %bb.460:                              ;   in Loop: Header=BB213_462 Depth=2
	v_add_co_u32 v6, vcc_lo, v6, s33
	v_add_co_ci_u32_e64 v7, null, 0, v7, vcc_lo
	v_add_nc_u32_e32 v8, vcc_hi, v8
	s_mov_b32 s66, 0
	v_cmp_le_u64_e32 vcc_lo, s[16:17], v[6:7]
	s_orn2_b32 s67, vcc_lo, exec_lo
.LBB213_461:                            ;   in Loop: Header=BB213_462 Depth=2
	s_and_b32 s67, exec_lo, s67
	s_or_b32 s18, s67, s18
	s_andn2_b32 s60, s60, exec_lo
	s_and_b32 s66, s66, exec_lo
	s_or_b32 s60, s60, s66
	s_andn2_b32 exec_lo, exec_lo, s18
	s_cbranch_execz .LBB213_466
.LBB213_462:                            ;   Parent Loop BB213_31 Depth=1
                                        ; =>  This Inner Loop Header: Depth=2
	s_mov_b32 s79, exec_lo
	v_cmpx_gt_u64_e64 s[14:15], v[6:7]
	s_cbranch_execz .LBB213_459
; %bb.463:                              ;   in Loop: Header=BB213_462 Depth=2
	ds_read_u16 v9, v8
	s_waitcnt lgkmcnt(0)
	v_cmp_lt_i16_e32 vcc_lo, -1, v9
	v_cndmask_b32_e32 v10, 0xffff, v49, vcc_lo
	v_cmp_o_f16_e32 vcc_lo, v9, v9
	v_xor_b32_sdwa v10, v10, v9 dst_sel:DWORD dst_unused:UNUSED_PAD src0_sel:DWORD src1_sel:WORD_0
	v_cndmask_b32_e32 v10, 0xffff, v10, vcc_lo
	v_and_b32_e32 v10, v10, v51
	v_cmp_eq_u32_e32 vcc_lo, v10, v47
	s_and_b32 exec_lo, exec_lo, vcc_lo
	s_cbranch_execz .LBB213_459
; %bb.464:                              ;   in Loop: Header=BB213_462 Depth=2
	v_perm_b32 v9, v9, s58, 0x5040100
	ds_write_b32 v3, v9 offset:3072
	s_branch .LBB213_459
.LBB213_465:                            ;   in Loop: Header=BB213_462 Depth=2
	s_mov_b32 s67, -1
	s_mov_b32 s66, -1
                                        ; implicit-def: $vgpr6_vgpr7
                                        ; implicit-def: $vgpr8
	s_branch .LBB213_461
.LBB213_466:                            ;   in Loop: Header=BB213_31 Depth=1
	s_or_b32 exec_lo, exec_lo, s18
	v_lshrrev_b32_e32 v52, 16, v9
	s_and_b32 s18, s60, exec_lo
.LBB213_467:                            ;   in Loop: Header=BB213_31 Depth=1
	s_or_b32 exec_lo, exec_lo, s19
.LBB213_468:                            ;   in Loop: Header=BB213_31 Depth=1
	s_and_b32 vcc_lo, exec_lo, s2
	s_cbranch_vccz .LBB213_485
; %bb.469:                              ;   in Loop: Header=BB213_31 Depth=1
	s_mov_b32 s62, s61
	s_cmp_lg_u64 s[62:63], 0
	s_cbranch_scc0 .LBB213_471
; %bb.470:                              ;   in Loop: Header=BB213_31 Depth=1
	v_cvt_f32_u32_e32 v6, s33
	s_sub_u32 s14, 0, s33
	s_subb_u32 s15, 0, 0
	v_fmac_f32_e64 v6, 0x4f800000, 0
	v_rcp_f32_e32 v6, v6
	v_mul_f32_e32 v6, 0x5f7ffffc, v6
	v_mul_f32_e32 v7, 0x2f800000, v6
	v_trunc_f32_e32 v7, v7
	v_fmac_f32_e32 v6, 0xcf800000, v7
	v_cvt_u32_f32_e32 v7, v7
	v_cvt_u32_f32_e32 v6, v6
	v_readfirstlane_b32 s2, v7
	v_readfirstlane_b32 s6, v6
	s_mul_i32 s16, s14, s2
	s_mul_hi_u32 s19, s14, s6
	s_mul_i32 s17, s15, s6
	s_add_i32 s16, s19, s16
	s_mul_i32 s60, s14, s6
	s_add_i32 s16, s16, s17
	s_mul_hi_u32 s19, s6, s60
	s_mul_i32 s66, s6, s16
	s_mul_hi_u32 s62, s2, s60
	s_mul_i32 s17, s2, s60
	s_mul_hi_u32 s60, s6, s16
	s_add_u32 s19, s19, s66
	s_addc_u32 s60, 0, s60
	s_mul_hi_u32 s67, s2, s16
	s_add_u32 s17, s19, s17
	s_mul_i32 s16, s2, s16
	s_addc_u32 s17, s60, s62
	s_addc_u32 s19, s67, 0
	s_add_u32 s16, s17, s16
	s_addc_u32 s17, 0, s19
	s_add_u32 s6, s6, s16
	s_cselect_b32 s16, -1, 0
	s_mul_hi_u32 s19, s14, s6
	s_cmp_lg_u32 s16, 0
	s_mul_i32 s16, s14, s6
	s_addc_u32 s2, s2, s17
	s_mul_i32 s15, s15, s6
	s_mul_i32 s14, s14, s2
	s_mul_hi_u32 s17, s6, s16
	s_add_i32 s14, s19, s14
	s_mul_hi_u32 s19, s2, s16
	s_add_i32 s14, s14, s15
	s_mul_i32 s15, s2, s16
	s_mul_i32 s62, s6, s14
	s_mul_hi_u32 s60, s6, s14
	s_add_u32 s17, s17, s62
	s_addc_u32 s60, 0, s60
	s_mul_hi_u32 s16, s2, s14
	s_add_u32 s15, s17, s15
	s_mul_i32 s14, s2, s14
	s_addc_u32 s15, s60, s19
	s_addc_u32 s16, s16, 0
	s_add_u32 s14, s15, s14
	s_addc_u32 s15, 0, s16
	s_add_u32 s6, s6, s14
	s_cselect_b32 s14, -1, 0
	s_mul_hi_u32 s16, s95, s6
	s_cmp_lg_u32 s14, 0
	s_mul_hi_u32 s14, s63, s6
	s_addc_u32 s2, s2, s15
	s_mul_i32 s6, s63, s6
	s_mul_i32 s17, s95, s2
	s_mul_hi_u32 s15, s95, s2
	s_add_u32 s16, s16, s17
	s_addc_u32 s15, 0, s15
	s_mul_hi_u32 s19, s63, s2
	s_add_u32 s6, s16, s6
	s_mul_i32 s2, s63, s2
	s_addc_u32 s6, s15, s14
	s_addc_u32 s14, s19, 0
	s_add_u32 s2, s6, s2
	s_addc_u32 s6, 0, s14
	s_mul_hi_u32 s14, s33, s2
	s_mul_i32 s6, s33, s6
	s_mul_i32 s2, s33, s2
	s_add_i32 s14, s14, s6
	s_sub_u32 s2, s95, s2
	s_cselect_b32 s6, -1, 0
	s_cmp_lg_u32 s6, 0
	s_subb_u32 s6, s63, s14
	s_sub_u32 s14, s2, s33
	s_cselect_b32 s15, -1, 0
	s_cmp_lg_u32 s15, 0
	s_subb_u32 s15, s6, 0
	;; [unrolled: 4-line block ×3, first 2 shown]
	s_cmp_ge_u32 s14, s33
	s_cselect_b32 s19, -1, 0
	s_cmp_eq_u32 s15, 0
	s_cselect_b32 s19, s19, -1
	s_cmp_lg_u32 s19, 0
	s_cselect_b32 s15, s17, s15
	s_cselect_b32 s14, s16, s14
	s_cmp_ge_u32 s2, s33
	s_cselect_b32 s16, -1, 0
	s_cmp_eq_u32 s6, 0
	s_cselect_b32 s16, s16, -1
	s_cmp_lg_u32 s16, 0
	s_cselect_b32 s15, s15, s6
	s_cselect_b32 s14, s14, s2
	s_mov_b32 s2, 0
	s_branch .LBB213_472
.LBB213_471:                            ;   in Loop: Header=BB213_31 Depth=1
	s_mov_b32 s2, -1
                                        ; implicit-def: $sgpr14_sgpr15
.LBB213_472:                            ;   in Loop: Header=BB213_31 Depth=1
	s_andn2_b32 vcc_lo, exec_lo, s2
	s_cbranch_vccnz .LBB213_474
; %bb.473:                              ;   in Loop: Header=BB213_31 Depth=1
	v_cvt_f32_u32_e32 v6, s33
	s_sub_i32 s6, 0, s33
	v_rcp_iflag_f32_e32 v6, v6
	v_mul_f32_e32 v6, 0x4f7ffffe, v6
	v_cvt_u32_f32_e32 v6, v6
	v_readfirstlane_b32 s2, v6
	s_mul_i32 s6, s6, s2
	s_mul_hi_u32 s6, s2, s6
	s_add_i32 s2, s2, s6
	s_mul_hi_u32 s2, s95, s2
	s_mul_i32 s2, s2, s33
	s_sub_i32 s2, s95, s2
	s_sub_i32 s6, s2, s33
	s_cmp_ge_u32 s2, s33
	s_cselect_b32 s2, s6, s2
	s_sub_i32 s6, s2, s33
	s_cmp_ge_u32 s2, s33
	s_cselect_b32 s60, s6, s2
	s_mov_b64 s[14:15], s[60:61]
.LBB213_474:                            ;   in Loop: Header=BB213_31 Depth=1
	s_sub_u32 s14, s95, s14
	s_subb_u32 s15, s63, s15
	s_mov_b32 s2, exec_lo
                                        ; implicit-def: $vgpr52
	v_cmpx_gt_u64_e64 s[14:15], v[0:1]
	s_cbranch_execz .LBB213_484
; %bb.475:                              ;   in Loop: Header=BB213_31 Depth=1
	v_mov_b32_e32 v6, v27
	v_mov_b32_e32 v9, v1
	;; [unrolled: 1-line block ×4, first 2 shown]
	s_mov_b32 s16, 0
                                        ; implicit-def: $sgpr17
	s_branch .LBB213_479
.LBB213_476:                            ;   in Loop: Header=BB213_479 Depth=2
	s_or_b32 exec_lo, exec_lo, s6
	s_waitcnt lgkmcnt(0)
	s_barrier
	buffer_gl0_inv
	ds_read_b32 v10, v3 offset:3072
	s_waitcnt lgkmcnt(0)
	s_barrier
	buffer_gl0_inv
	v_cmp_eq_f16_e32 vcc_lo, 0, v10
	s_cbranch_vccz .LBB213_482
; %bb.477:                              ;   in Loop: Header=BB213_479 Depth=2
	v_add_co_u32 v8, vcc_lo, v8, s33
	v_add_co_ci_u32_e64 v9, null, 0, v9, vcc_lo
	v_add_co_u32 v6, s6, v6, s42
	v_add_co_ci_u32_e64 v7, null, s43, v7, s6
	v_cmp_le_u64_e32 vcc_lo, s[14:15], v[8:9]
	s_mov_b32 s6, 0
	s_orn2_b32 s19, vcc_lo, exec_lo
.LBB213_478:                            ;   in Loop: Header=BB213_479 Depth=2
	s_and_b32 s19, exec_lo, s19
	s_or_b32 s16, s19, s16
	s_andn2_b32 s17, s17, exec_lo
	s_and_b32 s6, s6, exec_lo
	s_or_b32 s17, s17, s6
	s_andn2_b32 exec_lo, exec_lo, s16
	s_cbranch_execz .LBB213_483
.LBB213_479:                            ;   Parent Loop BB213_31 Depth=1
                                        ; =>  This Inner Loop Header: Depth=2
	s_mov_b32 s6, exec_lo
	v_cmpx_gt_u64_e64 s[36:37], v[8:9]
	s_cbranch_execz .LBB213_476
; %bb.480:                              ;   in Loop: Header=BB213_479 Depth=2
	global_load_ushort v10, v[6:7], off
	s_waitcnt vmcnt(0)
	v_cmp_lt_i16_e32 vcc_lo, -1, v10
	v_cndmask_b32_e32 v11, 0xffff, v49, vcc_lo
	v_cmp_o_f16_e32 vcc_lo, v10, v10
	v_xor_b32_sdwa v11, v11, v10 dst_sel:DWORD dst_unused:UNUSED_PAD src0_sel:DWORD src1_sel:WORD_0
	v_cndmask_b32_e32 v11, 0xffff, v11, vcc_lo
	v_and_b32_e32 v11, v11, v51
	v_cmp_eq_u32_e32 vcc_lo, v11, v47
	s_and_b32 exec_lo, exec_lo, vcc_lo
	s_cbranch_execz .LBB213_476
; %bb.481:                              ;   in Loop: Header=BB213_479 Depth=2
	v_perm_b32 v10, v10, s58, 0x5040100
	ds_write_b32 v3, v10 offset:3072
	s_branch .LBB213_476
.LBB213_482:                            ;   in Loop: Header=BB213_479 Depth=2
	s_mov_b32 s19, -1
	s_mov_b32 s6, -1
                                        ; implicit-def: $vgpr8_vgpr9
                                        ; implicit-def: $vgpr6_vgpr7
	s_branch .LBB213_478
.LBB213_483:                            ;   in Loop: Header=BB213_31 Depth=1
	s_or_b32 exec_lo, exec_lo, s16
	v_lshrrev_b32_e32 v52, 16, v10
	s_andn2_b32 s6, s18, exec_lo
	s_and_b32 s14, s17, exec_lo
	s_or_b32 s18, s6, s14
.LBB213_484:                            ;   in Loop: Header=BB213_31 Depth=1
	s_or_b32 exec_lo, exec_lo, s2
	s_mov_b32 s6, 0
	s_mov_b32 s62, -1
.LBB213_485:                            ;   in Loop: Header=BB213_31 Depth=1
	s_orn2_b32 s14, s18, exec_lo
.LBB213_486:                            ;   in Loop: Header=BB213_31 Depth=1
	s_or_b32 exec_lo, exec_lo, s78
	s_mov_b32 s15, 0
	s_and_saveexec_b32 s2, s14
	s_cbranch_execz .LBB213_497
; %bb.487:                              ;   in Loop: Header=BB213_31 Depth=1
	v_mov_b32_e32 v6, 1
	v_mov_b32_e32 v7, 0
	;; [unrolled: 1-line block ×3, first 2 shown]
	s_xor_b32 s15, s77, -1
	s_and_saveexec_b32 s14, s15
	s_cbranch_execz .LBB213_496
; %bb.488:                              ;   in Loop: Header=BB213_31 Depth=1
	s_mov_b32 s15, exec_lo
	v_cmpx_ge_u64_e64 s[12:13], v[4:5]
	s_xor_b32 s15, exec_lo, s15
	s_cbranch_execz .LBB213_493
; %bb.489:                              ;   in Loop: Header=BB213_31 Depth=1
	ds_read_b64 v[6:7], v3 offset:5120
	v_and_b32_e32 v47, s26, v47
	v_or_b32_e32 v51, s11, v51
	s_waitcnt lgkmcnt(0)
	v_cmp_ne_u64_e32 vcc_lo, 0, v[6:7]
	s_cbranch_vccnz .LBB213_493
; %bb.490:                              ;   in Loop: Header=BB213_31 Depth=1
	s_and_saveexec_b32 s11, s3
; %bb.491:                              ;   in Loop: Header=BB213_31 Depth=1
	v_mov_b32_e32 v6, s12
	v_mov_b32_e32 v7, s13
	ds_write_b64 v3, v[6:7] offset:5128
; %bb.492:                              ;   in Loop: Header=BB213_31 Depth=1
	s_or_b32 exec_lo, exec_lo, s11
	s_waitcnt lgkmcnt(0)
	s_barrier
	buffer_gl0_inv
.LBB213_493:                            ;   in Loop: Header=BB213_31 Depth=1
	s_andn2_saveexec_b32 s11, s15
; %bb.494:                              ;   in Loop: Header=BB213_31 Depth=1
	v_sub_co_u32 v4, vcc_lo, v4, s12
	v_subrev_co_ci_u32_e64 v5, null, s13, v5, vcc_lo
; %bb.495:                              ;   in Loop: Header=BB213_31 Depth=1
	s_or_b32 exec_lo, exec_lo, s11
	v_mov_b32_e32 v7, v5
	v_mov_b32_e32 v2, 5
	v_mov_b32_e32 v6, v4
.LBB213_496:                            ;   in Loop: Header=BB213_31 Depth=1
	s_or_b32 exec_lo, exec_lo, s14
	v_mov_b32_e32 v4, v6
	v_mov_b32_e32 v5, v7
	s_mov_b32 s15, exec_lo
.LBB213_497:                            ;   in Loop: Header=BB213_31 Depth=1
	s_or_b32 exec_lo, exec_lo, s2
	s_orn2_b32 s2, s15, exec_lo
.LBB213_498:                            ;   in Loop: Header=BB213_31 Depth=1
	s_or_b32 exec_lo, exec_lo, s21
	s_andn2_b32 s11, s76, exec_lo
	s_and_b32 s12, s62, exec_lo
	s_andn2_b32 s13, s75, exec_lo
	s_and_b32 s6, s6, exec_lo
	v_mov_b32_e32 v7, v5
	v_mov_b32_e32 v6, v4
	s_or_b32 s76, s11, s12
	s_or_b32 s75, s13, s6
	s_and_b32 s6, s2, exec_lo
.LBB213_499:                            ;   in Loop: Header=BB213_31 Depth=1
	s_or_b32 exec_lo, exec_lo, s20
	s_orn2_b32 s2, s6, exec_lo
.LBB213_500:                            ;   in Loop: Header=BB213_31 Depth=1
	s_or_b32 exec_lo, exec_lo, s23
	s_andn2_b32 s6, s74, exec_lo
	s_and_b32 s11, s76, exec_lo
	s_andn2_b32 s12, s73, exec_lo
	s_and_b32 s13, s75, exec_lo
	v_mov_b32_e32 v4, v6
	v_mov_b32_e32 v5, v7
	s_or_b32 s74, s6, s11
	s_or_b32 s73, s12, s13
	s_and_b32 s6, s2, exec_lo
.LBB213_501:                            ;   in Loop: Header=BB213_31 Depth=1
	s_or_b32 exec_lo, exec_lo, s22
	s_orn2_b32 s2, s6, exec_lo
.LBB213_502:                            ;   in Loop: Header=BB213_31 Depth=1
	s_or_b32 exec_lo, exec_lo, s25
	s_mov_b32 s6, s72
	s_mov_b32 s11, s49
	s_and_saveexec_b32 s12, s2
; %bb.503:                              ;   in Loop: Header=BB213_31 Depth=1
	v_cmp_ne_u32_e32 vcc_lo, 5, v2
	v_cmp_eq_u32_e64 s6, 5, v2
	s_andn2_b32 s2, s49, exec_lo
	s_andn2_b32 s13, s72, exec_lo
	s_and_b32 s11, vcc_lo, exec_lo
	s_and_b32 s6, s6, exec_lo
	s_or_b32 s11, s2, s11
	s_or_b32 s6, s13, s6
; %bb.504:                              ;   in Loop: Header=BB213_31 Depth=1
	s_or_b32 exec_lo, exec_lo, s12
	s_andn2_b32 s2, s9, exec_lo
	s_and_b32 s9, s74, exec_lo
	s_andn2_b32 s12, s27, exec_lo
	s_and_b32 s13, s73, exec_lo
	s_or_b32 s9, s2, s9
	s_or_b32 s27, s12, s13
	s_andn2_b32 s2, s49, exec_lo
	s_and_b32 s11, s11, exec_lo
	s_andn2_b32 s12, s72, exec_lo
	s_and_b32 s6, s6, exec_lo
	s_or_b32 s49, s2, s11
	s_or_b32 s72, s12, s6
.LBB213_505:                            ;   in Loop: Header=BB213_31 Depth=1
	s_or_b32 exec_lo, exec_lo, s24
	s_mov_b32 s73, 0
	s_mov_b32 s74, 0
	s_and_saveexec_b32 s2, s72
.LBB213_506:                            ;   in Loop: Header=BB213_31 Depth=1
	v_mov_b32_e32 v2, 0
	s_or_b32 s49, s49, exec_lo
.LBB213_507:                            ;   in Loop: Header=BB213_31 Depth=1
	s_or_b32 exec_lo, exec_lo, s2
	s_andn2_b32 s2, s40, exec_lo
	s_and_b32 s9, s9, exec_lo
	s_andn2_b32 s1, s1, exec_lo
	s_and_b32 s11, s27, exec_lo
	v_mov_b32_e32 v30, v5
	v_mov_b32_e32 v29, v4
	s_or_b32 s40, s2, s9
	s_or_b32 s1, s1, s11
	s_andn2_b32 s2, s48, exec_lo
	s_and_b32 s9, s74, exec_lo
	s_andn2_b32 s11, s41, exec_lo
	s_and_b32 s12, s73, exec_lo
	s_mov_b32 s6, -1
	s_andn2_b32 s7, s7, exec_lo
	s_or_b32 s48, s2, s9
	s_or_b32 s41, s11, s12
	s_and_saveexec_b32 s2, s49
	s_xor_b32 s2, exec_lo, s2
	s_cbranch_execz .LBB213_30
; %bb.508:                              ;   in Loop: Header=BB213_31 Depth=1
	s_mov_b32 s9, -1
	s_mov_b32 s11, exec_lo
	v_cmpx_eq_u32_e32 0, v2
	s_cbranch_execz .LBB213_29
; %bb.509:                              ;   in Loop: Header=BB213_31 Depth=1
	s_xor_b32 s46, s46, 1
	s_add_i32 s12, s54, -2
	s_cmp_eq_u32 s54, 0
	s_mov_b32 s54, s12
	s_cselect_b32 s6, -1, 0
	s_xor_b32 s9, exec_lo, -1
	s_orn2_b32 s6, s6, exec_lo
	s_branch .LBB213_29
.LBB213_510:
	s_or_b32 exec_lo, exec_lo, s55
	s_xor_b32 s2, s8, -1
	s_xor_b32 s7, s56, -1
	;; [unrolled: 1-line block ×5, first 2 shown]
	s_mov_b32 s6, 0
	s_and_saveexec_b32 s10, s9
	s_xor_b32 s12, exec_lo, s10
	s_cbranch_execnz .LBB213_515
; %bb.511:
	s_andn2_saveexec_b32 s0, s12
	s_cbranch_execnz .LBB213_534
.LBB213_512:
	s_or_b32 exec_lo, exec_lo, s0
	s_and_saveexec_b32 s0, s6
.LBB213_513:
	; divergent unreachable
.LBB213_514:
	s_endpgm
.LBB213_515:
	s_and_saveexec_b32 s9, s8
	s_xor_b32 s13, exec_lo, s9
	s_cbranch_execz .LBB213_532
; %bb.516:
	s_and_saveexec_b32 s8, s7
	s_xor_b32 s14, exec_lo, s8
	s_cbranch_execz .LBB213_530
; %bb.517:
	;; [unrolled: 4-line block ×3, first 2 shown]
	s_and_saveexec_b32 s2, s1
	s_xor_b32 s1, exec_lo, s2
; %bb.519:
	v_and_b32_e32 v2, 0x8000, v47
	v_mov_b32_e32 v3, 0xffff
	v_cmp_eq_u32_e32 vcc_lo, 0, v2
	v_cndmask_b32_e32 v2, 0x8000, v3, vcc_lo
	v_xor_b32_e32 v52, v2, v47
; %bb.520:
	s_or_b32 exec_lo, exec_lo, s1
	s_and_saveexec_b32 s1, s3
; %bb.521:
	v_mov_b32_e32 v2, 0
	v_mov_b32_e32 v3, v2
	ds_write_b64 v2, v[2:3] offset:5136
; %bb.522:
	s_or_b32 exec_lo, exec_lo, s1
	v_mov_b32_e32 v18, 0
	s_waitcnt lgkmcnt(0)
	s_barrier
	buffer_gl0_inv
	s_mov_b32 s1, exec_lo
	v_readlane_b32 s2, v53, 6
	s_and_b32 s2, s1, s2
	s_mov_b32 exec_lo, s2
	s_cbranch_execz .LBB213_524
; %bb.523:
	global_load_ushort v18, v[12:13], off
.LBB213_524:
	s_or_b32 exec_lo, exec_lo, s1
	s_load_dwordx2 s[18:19], s[4:5], 0x440
	v_readlane_b32 s8, v53, 0
	v_readlane_b32 s9, v53, 1
	s_add_u32 s1, s36, 31
	s_addc_u32 s7, s37, 0
	s_and_b32 s6, s1, 0xffffffe0
	s_mul_i32 s1, s8, s35
	s_mul_hi_u32 s3, s8, s34
	s_mul_i32 s8, s8, s34
	s_add_i32 s1, s3, s1
	s_mul_i32 s3, s9, s34
	v_mov_b32_e32 v17, 0x8000
	s_add_i32 s9, s1, s3
	v_cmp_lt_i16_e32 vcc_lo, -1, v52
	s_lshl_b64 s[16:17], s[8:9], 1
	s_clause 0x1
	s_load_dwordx2 s[8:9], s[4:5], 0x368
	s_load_dwordx2 s[10:11], s[4:5], 0x510
	v_readlane_b32 s4, v53, 2
	v_readlane_b32 s5, v53, 3
	v_cndmask_b32_e32 v2, 0xffff, v17, vcc_lo
	v_cmp_o_f16_e32 vcc_lo, v52, v52
	s_waitcnt lgkmcnt(0)
	s_mul_i32 s1, s18, s53
	s_mul_hi_u32 s3, s18, s52
	v_readlane_b32 s20, v53, 4
	s_add_i32 s1, s3, s1
	s_mul_i32 s3, s19, s52
	v_xor_b32_sdwa v2, v2, v52 dst_sel:DWORD dst_unused:UNUSED_PAD src0_sel:DWORD src1_sel:WORD_0
	s_add_i32 s19, s1, s3
	s_add_u32 s1, s4, s16
	s_addc_u32 s3, s5, s17
	s_lshl_b64 s[16:17], s[28:29], 1
	s_mul_i32 s18, s18, s52
	v_readlane_b32 s21, v53, 5
	s_add_u32 s5, s1, s16
	s_addc_u32 s16, s3, s17
	s_lshl_b64 s[18:19], s[18:19], 3
	v_cndmask_b32_e32 v16, 0xffff, v2, vcc_lo
	s_add_u32 s1, s20, s18
	v_cmp_gt_u64_e32 vcc_lo, s[6:7], v[0:1]
	s_addc_u32 s3, s21, s19
	s_lshl_b64 s[18:19], s[44:45], 3
	s_mov_b32 s2, -1
	s_add_u32 s17, s1, s18
	s_addc_u32 s18, s3, s19
	s_mov_b32 s1, 0
	s_mov_b32 s3, 0
	s_and_saveexec_b32 s19, vcc_lo
	s_cbranch_execnz .LBB213_535
; %bb.525:
	s_or_b32 exec_lo, exec_lo, s19
	s_and_saveexec_b32 s4, s2
	s_cbranch_execnz .LBB213_552
.LBB213_526:
	s_or_b32 exec_lo, exec_lo, s4
	s_and_saveexec_b32 s0, s3
	s_xor_b32 s0, exec_lo, s0
	s_cbranch_execnz .LBB213_575
.LBB213_527:
	s_or_b32 exec_lo, exec_lo, s0
	s_and_b32 s6, s1, exec_lo
.LBB213_528:
	s_andn2_saveexec_b32 s0, s15
	s_cbranch_execnz .LBB213_577
.LBB213_529:
	s_or_b32 exec_lo, exec_lo, s0
	s_and_b32 s6, s6, exec_lo
.LBB213_530:
	s_andn2_saveexec_b32 s0, s14
	s_cbranch_execnz .LBB213_576
.LBB213_531:
	s_or_b32 exec_lo, exec_lo, s0
	s_and_b32 s6, s6, exec_lo
.LBB213_532:
	s_andn2_saveexec_b32 s0, s13
	s_cbranch_execnz .LBB213_571
.LBB213_533:
	s_or_b32 exec_lo, exec_lo, s0
	s_and_b32 s6, s6, exec_lo
	s_andn2_saveexec_b32 s0, s12
	s_cbranch_execz .LBB213_512
.LBB213_534:
	s_or_b32 s6, s6, exec_lo
	s_trap 2
	s_or_b32 exec_lo, exec_lo, s0
	s_and_saveexec_b32 s0, s6
	s_cbranch_execnz .LBB213_513
	s_branch .LBB213_514
.LBB213_535:
	v_add_co_u32 v2, s2, v0, s33
	v_add_co_ci_u32_e64 v3, null, 0, 0, s2
	v_readlane_b32 s20, v53, 14
	v_mul_lo_u32 v4, s31, v2
	v_readlane_b32 s21, v53, 15
	v_mul_lo_u32 v5, s30, v3
	v_mad_u64_u32 v[2:3], null, s30, v2, 0
	s_add_u32 s2, s98, s50
	s_addc_u32 s3, s99, s51
	s_add_u32 s2, s2, s20
	s_addc_u32 s4, s3, s21
	v_mov_b32_e32 v11, v1
	v_mov_b32_e32 v10, v0
	v_add3_u32 v3, v3, v5, v4
	s_mov_b32 s20, 0
                                        ; implicit-def: $sgpr21
                                        ; implicit-def: $vgpr8_vgpr9
	v_lshlrev_b64 v[4:5], 1, v[2:3]
	v_mov_b32_e32 v3, 0
	v_add_co_u32 v4, s3, s2, v4
	v_add_co_ci_u32_e64 v5, null, s4, v5, s3
	s_branch .LBB213_537
.LBB213_536:                            ;   in Loop: Header=BB213_537 Depth=1
	s_or_b32 exec_lo, exec_lo, s22
	s_xor_b32 s3, s4, -1
	s_and_b32 s2, exec_lo, s2
	v_mov_b32_e32 v11, v7
	v_mov_b32_e32 v10, v6
	s_or_b32 s20, s2, s20
	s_waitcnt vmcnt(0)
	v_mov_b32_e32 v18, v19
	s_andn2_b32 s2, s21, exec_lo
	s_and_b32 s3, s3, exec_lo
	s_or_b32 s21, s2, s3
	s_andn2_b32 exec_lo, exec_lo, s20
	s_cbranch_execz .LBB213_551
.LBB213_537:                            ; =>This Inner Loop Header: Depth=1
	v_add_co_u32 v6, s3, v10, s33
	v_add_co_ci_u32_e64 v7, null, 0, v11, s3
	v_mov_b32_e32 v19, 0
	s_mov_b32 s2, exec_lo
	v_cmpx_gt_u64_e64 s[36:37], v[6:7]
	s_cbranch_execz .LBB213_539
; %bb.538:                              ;   in Loop: Header=BB213_537 Depth=1
	global_load_ushort v19, v[4:5], off
.LBB213_539:                            ;   in Loop: Header=BB213_537 Depth=1
	s_or_b32 exec_lo, exec_lo, s2
	s_mov_b32 s22, 0
	s_mov_b32 s2, exec_lo
	v_cmpx_gt_u64_e64 s[36:37], v[10:11]
	s_cbranch_execz .LBB213_541
; %bb.540:                              ;   in Loop: Header=BB213_537 Depth=1
	s_waitcnt vmcnt(0)
	v_cmp_lt_i16_e64 s3, -1, v18
	v_cndmask_b32_e64 v2, 0xffff, v17, s3
	v_cmp_o_f16_e64 s3, v18, v18
	v_xor_b32_sdwa v2, v2, v18 dst_sel:DWORD dst_unused:UNUSED_PAD src0_sel:DWORD src1_sel:WORD_0
	v_cndmask_b32_e64 v2, 0xffff, v2, s3
	v_cmp_gt_u32_e64 s3, v2, v16
	v_cndmask_b32_e64 v14, 0, 1, s3
	v_cmp_lt_u32_e64 s3, v2, v16
	v_cndmask_b32_e64 v2, 0, 1, s3
	v_cndmask_b32_e64 v2, v2, v14, s104
	v_and_b32_e32 v2, 1, v2
	v_cmp_eq_u32_e64 s3, 1, v2
	s_and_b32 s22, s3, exec_lo
.LBB213_541:                            ;   in Loop: Header=BB213_537 Depth=1
	s_or_b32 exec_lo, exec_lo, s2
	v_cndmask_b32_e64 v2, 0, 1, s22
	v_cmp_ne_u32_e64 s3, 0, v2
	s_cmp_lg_u32 s3, 0
	s_cselect_b32 s2, -1, 0
	s_and_b32 s4, s0, s2
	s_and_saveexec_b32 s2, s4
	s_cbranch_execz .LBB213_545
; %bb.542:                              ;   in Loop: Header=BB213_537 Depth=1
	s_mov_b32 s25, exec_lo
	s_bcnt1_i32_b32 s23, s3
	v_mbcnt_lo_u32_b32 v14, s25, 0
	s_mov_b32 s24, exec_lo
                                        ; implicit-def: $vgpr8_vgpr9
	v_cmpx_eq_u32_e32 0, v14
	s_cbranch_execz .LBB213_544
; %bb.543:                              ;   in Loop: Header=BB213_537 Depth=1
	s_bcnt1_i32_b32 s4, s25
	s_mul_i32 s4, s23, s4
	v_mov_b32_e32 v2, s4
	s_waitcnt lgkmcnt(0)
	ds_add_rtn_u64 v[8:9], v3, v[2:3] offset:5136
.LBB213_544:                            ;   in Loop: Header=BB213_537 Depth=1
	s_or_b32 exec_lo, exec_lo, s24
	s_waitcnt lgkmcnt(0)
	v_readfirstlane_b32 s25, v9
	v_readfirstlane_b32 s24, v8
	v_mad_u64_u32 v[8:9], null, s23, v14, s[24:25]
.LBB213_545:                            ;   in Loop: Header=BB213_537 Depth=1
	s_or_b32 exec_lo, exec_lo, s2
	s_waitcnt lgkmcnt(1)
	ds_bpermute_b32 v8, v3, v8
	s_waitcnt lgkmcnt(1)
	ds_bpermute_b32 v9, v3, v9
	s_mov_b32 s2, -1
	s_mov_b32 s23, -1
	s_and_saveexec_b32 s4, s22
	s_cbranch_execz .LBB213_549
; %bb.546:                              ;   in Loop: Header=BB213_537 Depth=1
	v_and_b32_e32 v2, s3, v41
	s_mov_b32 s22, 0
	s_mov_b32 s23, exec_lo
	v_bcnt_u32_b32 v2, v2, 0
	s_waitcnt lgkmcnt(1)
	v_add_co_u32 v14, s3, v8, v2
	s_waitcnt lgkmcnt(0)
	v_add_co_ci_u32_e64 v15, null, 0, v9, s3
	v_cmpx_gt_u64_e64 s[38:39], v[14:15]
	s_cbranch_execz .LBB213_548
; %bb.547:                              ;   in Loop: Header=BB213_537 Depth=1
	v_mul_lo_u32 v2, v15, s8
	v_mul_lo_u32 v22, v14, s9
	v_mad_u64_u32 v[20:21], null, v14, s8, 0
	v_mul_lo_u32 v23, v15, s10
	v_mul_lo_u32 v24, v14, s11
	v_mad_u64_u32 v[14:15], null, v14, s10, 0
	s_mov_b32 s22, exec_lo
	v_add3_u32 v21, v21, v22, v2
	v_add3_u32 v15, v15, v24, v23
	v_lshlrev_b64 v[20:21], 1, v[20:21]
	v_lshlrev_b64 v[14:15], 3, v[14:15]
	v_add_co_u32 v20, s3, s5, v20
	v_add_co_ci_u32_e64 v21, null, s16, v21, s3
	v_add_co_u32 v14, s3, s17, v14
	v_add_co_ci_u32_e64 v15, null, s18, v15, s3
	s_waitcnt vmcnt(0)
	global_store_short v[20:21], v18, off
	global_store_dwordx2 v[14:15], v[10:11], off
.LBB213_548:                            ;   in Loop: Header=BB213_537 Depth=1
	s_or_b32 exec_lo, exec_lo, s23
	s_orn2_b32 s23, s22, exec_lo
.LBB213_549:                            ;   in Loop: Header=BB213_537 Depth=1
	s_or_b32 exec_lo, exec_lo, s4
	s_mov_b32 s4, -1
	s_and_saveexec_b32 s22, s23
	s_cbranch_execz .LBB213_536
; %bb.550:                              ;   in Loop: Header=BB213_537 Depth=1
	v_cmp_le_u64_e64 s3, s[6:7], v[6:7]
	v_add_co_u32 v4, s4, v4, s42
	v_add_co_ci_u32_e64 v5, null, s43, v5, s4
	s_xor_b32 s4, exec_lo, -1
	s_orn2_b32 s2, s3, exec_lo
	s_branch .LBB213_536
.LBB213_551:
	s_or_b32 exec_lo, exec_lo, s20
	s_mov_b32 s3, exec_lo
	s_orn2_b32 s2, s21, exec_lo
	s_or_b32 exec_lo, exec_lo, s19
	s_and_saveexec_b32 s4, s2
	s_cbranch_execz .LBB213_526
.LBB213_552:
	v_mov_b32_e32 v14, 0
	s_waitcnt vmcnt(0) lgkmcnt(0)
	s_waitcnt_vscnt null, 0x0
	s_barrier
	buffer_gl0_inv
	s_mov_b32 s1, exec_lo
	v_readlane_b32 s2, v53, 6
	s_and_b32 s2, s1, s2
	s_mov_b32 exec_lo, s2
	s_cbranch_execz .LBB213_554
; %bb.553:
	global_load_ushort v14, v[12:13], off
.LBB213_554:
	s_or_b32 exec_lo, exec_lo, s1
	s_mov_b32 s1, 0
	s_and_saveexec_b32 s2, vcc_lo
	s_cbranch_execz .LBB213_574
; %bb.555:
	v_add_co_u32 v2, s1, v0, s33
	v_add_co_ci_u32_e64 v3, null, 0, 0, s1
	v_readlane_b32 s20, v53, 14
	v_mul_lo_u32 v4, s31, v2
	v_readlane_b32 s21, v53, 15
	v_mul_lo_u32 v5, s30, v3
	v_mad_u64_u32 v[2:3], null, s30, v2, 0
	s_add_u32 s1, s98, s50
	s_addc_u32 s19, s99, s51
	s_add_u32 s1, s1, s20
	s_addc_u32 s19, s19, s21
	v_mov_b32_e32 v12, 0x8000
                                        ; implicit-def: $sgpr20
                                        ; implicit-def: $vgpr8_vgpr9
	v_add3_u32 v3, v3, v5, v4
	v_mov_b32_e32 v5, 0
	v_lshlrev_b64 v[2:3], 1, v[2:3]
	v_add_co_u32 v2, vcc_lo, s1, v2
	v_add_co_ci_u32_e64 v3, null, s19, v3, vcc_lo
	s_mov_b32 s19, 0
	s_branch .LBB213_558
.LBB213_556:                            ;   in Loop: Header=BB213_558 Depth=1
	s_or_b32 exec_lo, exec_lo, s22
	s_orn2_b32 s24, s23, exec_lo
	s_orn2_b32 s23, s1, exec_lo
.LBB213_557:                            ;   in Loop: Header=BB213_558 Depth=1
	s_or_b32 exec_lo, exec_lo, s21
	s_xor_b32 s1, s24, -1
	s_and_b32 s21, exec_lo, s23
	v_mov_b32_e32 v0, v6
	v_mov_b32_e32 v1, v7
	s_or_b32 s19, s21, s19
	v_mov_b32_e32 v14, v13
	s_andn2_b32 s20, s20, exec_lo
	s_and_b32 s1, s1, exec_lo
	s_or_b32 s20, s20, s1
	s_andn2_b32 exec_lo, exec_lo, s19
	s_cbranch_execz .LBB213_572
.LBB213_558:                            ; =>This Inner Loop Header: Depth=1
	v_add_co_u32 v6, vcc_lo, v0, s33
	v_add_co_ci_u32_e64 v7, null, 0, v1, vcc_lo
	v_mov_b32_e32 v13, 0
	s_mov_b32 s1, exec_lo
	v_cmpx_gt_u64_e64 s[36:37], v[6:7]
	s_cbranch_execz .LBB213_560
; %bb.559:                              ;   in Loop: Header=BB213_558 Depth=1
	global_load_ushort v13, v[2:3], off
.LBB213_560:                            ;   in Loop: Header=BB213_558 Depth=1
	s_or_b32 exec_lo, exec_lo, s1
	s_waitcnt vmcnt(0)
	v_cmp_lt_i16_e32 vcc_lo, -1, v14
	v_cndmask_b32_e32 v4, 0xffff, v12, vcc_lo
	v_cmp_o_f16_e32 vcc_lo, v14, v14
	v_xor_b32_sdwa v4, v4, v14 dst_sel:DWORD dst_unused:UNUSED_PAD src0_sel:DWORD src1_sel:WORD_0
	v_cndmask_b32_e32 v4, 0xffff, v4, vcc_lo
	v_cmp_gt_u64_e32 vcc_lo, s[36:37], v[0:1]
	v_cmp_eq_u32_e64 s1, v4, v16
	s_and_b32 s22, vcc_lo, s1
	v_cndmask_b32_e64 v4, 0, 1, s22
	v_cmp_ne_u32_e32 vcc_lo, 0, v4
	s_cmp_lg_u32 vcc_lo, 0
	s_cselect_b32 s1, -1, 0
	s_and_b32 s1, s0, s1
	s_and_saveexec_b32 s21, s1
	s_cbranch_execz .LBB213_564
; %bb.561:                              ;   in Loop: Header=BB213_558 Depth=1
	s_mov_b32 s25, exec_lo
	s_bcnt1_i32_b32 s23, vcc_lo
	v_mbcnt_lo_u32_b32 v10, s25, 0
	s_mov_b32 s24, exec_lo
                                        ; implicit-def: $vgpr8_vgpr9
	v_cmpx_eq_u32_e32 0, v10
; %bb.562:                              ;   in Loop: Header=BB213_558 Depth=1
	s_bcnt1_i32_b32 s1, s25
	s_mul_i32 s1, s23, s1
	v_mov_b32_e32 v4, s1
	ds_add_rtn_u64 v[8:9], v5, v[4:5] offset:5136
; %bb.563:                              ;   in Loop: Header=BB213_558 Depth=1
	s_or_b32 exec_lo, exec_lo, s24
	s_waitcnt lgkmcnt(0)
	v_readfirstlane_b32 s25, v9
	v_readfirstlane_b32 s24, v8
	v_mad_u64_u32 v[8:9], null, s23, v10, s[24:25]
.LBB213_564:                            ;   in Loop: Header=BB213_558 Depth=1
	s_or_b32 exec_lo, exec_lo, s21
	ds_bpermute_b32 v8, v5, v8
	ds_bpermute_b32 v9, v5, v9
	s_cmp_eq_u32 vcc_lo, 0
	s_mov_b32 s23, -1
	s_cselect_b32 s21, -1, 0
	s_mov_b32 s24, -1
	s_waitcnt lgkmcnt(0)
	v_cmp_gt_u64_e64 s1, s[38:39], v[8:9]
	s_or_b32 s1, s21, s1
	s_and_saveexec_b32 s21, s1
	s_cbranch_execz .LBB213_557
; %bb.565:                              ;   in Loop: Header=BB213_558 Depth=1
	v_and_b32_e32 v4, vcc_lo, v41
	v_sub_co_u32 v10, vcc_lo, s38, v8
	v_sub_co_ci_u32_e64 v11, null, s39, v9, vcc_lo
	v_bcnt_u32_b32 v4, v4, 0
	s_mov_b32 s1, -1
	v_bcnt_u32_b32 v4, 0, v4
	v_cmp_gt_u64_e32 vcc_lo, v[10:11], v[4:5]
	s_and_b32 s25, s22, vcc_lo
	s_and_saveexec_b32 s22, s25
	s_cbranch_execz .LBB213_569
; %bb.566:                              ;   in Loop: Header=BB213_558 Depth=1
	v_add_co_u32 v10, vcc_lo, v8, v4
	v_add_co_ci_u32_e64 v11, null, 0, v9, vcc_lo
	s_mov_b32 s24, 0
	s_mov_b32 s23, exec_lo
	v_cmpx_gt_u64_e64 s[38:39], v[10:11]
; %bb.567:                              ;   in Loop: Header=BB213_558 Depth=1
	v_mul_lo_u32 v4, v11, s8
	v_mul_lo_u32 v15, v10, s9
	v_mad_u64_u32 v[17:18], null, v10, s8, 0
	v_mul_lo_u32 v19, v11, s10
	v_mul_lo_u32 v20, v10, s11
	v_mad_u64_u32 v[10:11], null, v10, s10, 0
	s_mov_b32 s24, exec_lo
	v_add3_u32 v18, v18, v15, v4
	v_add3_u32 v11, v11, v20, v19
	v_lshlrev_b64 v[17:18], 1, v[17:18]
	v_lshlrev_b64 v[10:11], 3, v[10:11]
	v_add_co_u32 v17, vcc_lo, s5, v17
	v_add_co_ci_u32_e64 v18, null, s16, v18, vcc_lo
	v_add_co_u32 v10, vcc_lo, s17, v10
	v_add_co_ci_u32_e64 v11, null, s18, v11, vcc_lo
	global_store_short v[17:18], v14, off
	global_store_dwordx2 v[10:11], v[0:1], off
; %bb.568:                              ;   in Loop: Header=BB213_558 Depth=1
	s_or_b32 exec_lo, exec_lo, s23
	s_xor_b32 s23, exec_lo, -1
	s_orn2_b32 s24, s24, exec_lo
.LBB213_569:                            ;   in Loop: Header=BB213_558 Depth=1
	s_or_b32 exec_lo, exec_lo, s22
	s_and_saveexec_b32 s22, s24
	s_cbranch_execz .LBB213_556
; %bb.570:                              ;   in Loop: Header=BB213_558 Depth=1
	v_cmp_le_u64_e32 vcc_lo, s[6:7], v[6:7]
	v_add_co_u32 v2, s1, v2, s42
	v_add_co_ci_u32_e64 v3, null, s43, v3, s1
	s_or_b32 s23, s23, exec_lo
	s_orn2_b32 s1, vcc_lo, exec_lo
	s_branch .LBB213_556
.LBB213_571:
	s_or_b32 s6, s6, exec_lo
	s_trap 2
	s_branch .LBB213_533
.LBB213_572:
	s_or_b32 exec_lo, exec_lo, s19
	s_mov_b32 s0, 0
	s_and_saveexec_b32 s1, s20
	s_xor_b32 s1, exec_lo, s1
	s_cbranch_execnz .LBB213_578
.LBB213_573:
	s_or_b32 exec_lo, exec_lo, s1
	s_and_b32 s1, s0, exec_lo
.LBB213_574:
	s_or_b32 exec_lo, exec_lo, s2
	s_and_b32 s1, s1, exec_lo
	s_andn2_b32 s3, s3, exec_lo
	s_or_b32 exec_lo, exec_lo, s4
	s_and_saveexec_b32 s0, s3
	s_xor_b32 s0, exec_lo, s0
	s_cbranch_execz .LBB213_527
.LBB213_575:
	s_or_b32 s1, s1, exec_lo
	s_trap 2
	s_branch .LBB213_527
.LBB213_576:
	s_or_b32 s6, s6, exec_lo
	s_trap 2
	s_branch .LBB213_531
.LBB213_577:
	s_or_b32 s6, s6, exec_lo
	s_trap 2
	s_branch .LBB213_529
.LBB213_578:
	s_mov_b32 s0, exec_lo
	s_trap 2
	s_branch .LBB213_573
	.section	.rodata,"a",@progbits
	.p2align	6, 0x0
	.amdhsa_kernel _ZN2at6native6sbtopk10gatherTopKIN3c104HalfEmLin1ELb0EEEvNS_4cuda6detail10TensorInfoIKT_T0_EESA_SA_bSA_SA_NS7_IS8_SA_EESA_NS7_IlSA_EESA_PS8_
		.amdhsa_group_segment_fixed_size 5152
		.amdhsa_private_segment_fixed_size 0
		.amdhsa_kernarg_size 1568
		.amdhsa_user_sgpr_count 6
		.amdhsa_user_sgpr_private_segment_buffer 1
		.amdhsa_user_sgpr_dispatch_ptr 0
		.amdhsa_user_sgpr_queue_ptr 0
		.amdhsa_user_sgpr_kernarg_segment_ptr 1
		.amdhsa_user_sgpr_dispatch_id 0
		.amdhsa_user_sgpr_flat_scratch_init 0
		.amdhsa_user_sgpr_private_segment_size 0
		.amdhsa_wavefront_size32 1
		.amdhsa_uses_dynamic_stack 0
		.amdhsa_system_sgpr_private_segment_wavefront_offset 0
		.amdhsa_system_sgpr_workgroup_id_x 1
		.amdhsa_system_sgpr_workgroup_id_y 1
		.amdhsa_system_sgpr_workgroup_id_z 1
		.amdhsa_system_sgpr_workgroup_info 0
		.amdhsa_system_vgpr_workitem_id 0
		.amdhsa_next_free_vgpr 54
		.amdhsa_next_free_sgpr 105
		.amdhsa_reserve_vcc 1
		.amdhsa_reserve_flat_scratch 0
		.amdhsa_float_round_mode_32 0
		.amdhsa_float_round_mode_16_64 0
		.amdhsa_float_denorm_mode_32 3
		.amdhsa_float_denorm_mode_16_64 3
		.amdhsa_dx10_clamp 1
		.amdhsa_ieee_mode 1
		.amdhsa_fp16_overflow 0
		.amdhsa_workgroup_processor_mode 1
		.amdhsa_memory_ordered 1
		.amdhsa_forward_progress 1
		.amdhsa_shared_vgpr_count 0
		.amdhsa_exception_fp_ieee_invalid_op 0
		.amdhsa_exception_fp_denorm_src 0
		.amdhsa_exception_fp_ieee_div_zero 0
		.amdhsa_exception_fp_ieee_overflow 0
		.amdhsa_exception_fp_ieee_underflow 0
		.amdhsa_exception_fp_ieee_inexact 0
		.amdhsa_exception_int_div_zero 0
	.end_amdhsa_kernel
	.section	.text._ZN2at6native6sbtopk10gatherTopKIN3c104HalfEmLin1ELb0EEEvNS_4cuda6detail10TensorInfoIKT_T0_EESA_SA_bSA_SA_NS7_IS8_SA_EESA_NS7_IlSA_EESA_PS8_,"axG",@progbits,_ZN2at6native6sbtopk10gatherTopKIN3c104HalfEmLin1ELb0EEEvNS_4cuda6detail10TensorInfoIKT_T0_EESA_SA_bSA_SA_NS7_IS8_SA_EESA_NS7_IlSA_EESA_PS8_,comdat
.Lfunc_end213:
	.size	_ZN2at6native6sbtopk10gatherTopKIN3c104HalfEmLin1ELb0EEEvNS_4cuda6detail10TensorInfoIKT_T0_EESA_SA_bSA_SA_NS7_IS8_SA_EESA_NS7_IlSA_EESA_PS8_, .Lfunc_end213-_ZN2at6native6sbtopk10gatherTopKIN3c104HalfEmLin1ELb0EEEvNS_4cuda6detail10TensorInfoIKT_T0_EESA_SA_bSA_SA_NS7_IS8_SA_EESA_NS7_IlSA_EESA_PS8_
                                        ; -- End function
	.set _ZN2at6native6sbtopk10gatherTopKIN3c104HalfEmLin1ELb0EEEvNS_4cuda6detail10TensorInfoIKT_T0_EESA_SA_bSA_SA_NS7_IS8_SA_EESA_NS7_IlSA_EESA_PS8_.num_vgpr, 54
	.set _ZN2at6native6sbtopk10gatherTopKIN3c104HalfEmLin1ELb0EEEvNS_4cuda6detail10TensorInfoIKT_T0_EESA_SA_bSA_SA_NS7_IS8_SA_EESA_NS7_IlSA_EESA_PS8_.num_agpr, 0
	.set _ZN2at6native6sbtopk10gatherTopKIN3c104HalfEmLin1ELb0EEEvNS_4cuda6detail10TensorInfoIKT_T0_EESA_SA_bSA_SA_NS7_IS8_SA_EESA_NS7_IlSA_EESA_PS8_.numbered_sgpr, 105
	.set _ZN2at6native6sbtopk10gatherTopKIN3c104HalfEmLin1ELb0EEEvNS_4cuda6detail10TensorInfoIKT_T0_EESA_SA_bSA_SA_NS7_IS8_SA_EESA_NS7_IlSA_EESA_PS8_.num_named_barrier, 0
	.set _ZN2at6native6sbtopk10gatherTopKIN3c104HalfEmLin1ELb0EEEvNS_4cuda6detail10TensorInfoIKT_T0_EESA_SA_bSA_SA_NS7_IS8_SA_EESA_NS7_IlSA_EESA_PS8_.private_seg_size, 0
	.set _ZN2at6native6sbtopk10gatherTopKIN3c104HalfEmLin1ELb0EEEvNS_4cuda6detail10TensorInfoIKT_T0_EESA_SA_bSA_SA_NS7_IS8_SA_EESA_NS7_IlSA_EESA_PS8_.uses_vcc, 1
	.set _ZN2at6native6sbtopk10gatherTopKIN3c104HalfEmLin1ELb0EEEvNS_4cuda6detail10TensorInfoIKT_T0_EESA_SA_bSA_SA_NS7_IS8_SA_EESA_NS7_IlSA_EESA_PS8_.uses_flat_scratch, 0
	.set _ZN2at6native6sbtopk10gatherTopKIN3c104HalfEmLin1ELb0EEEvNS_4cuda6detail10TensorInfoIKT_T0_EESA_SA_bSA_SA_NS7_IS8_SA_EESA_NS7_IlSA_EESA_PS8_.has_dyn_sized_stack, 0
	.set _ZN2at6native6sbtopk10gatherTopKIN3c104HalfEmLin1ELb0EEEvNS_4cuda6detail10TensorInfoIKT_T0_EESA_SA_bSA_SA_NS7_IS8_SA_EESA_NS7_IlSA_EESA_PS8_.has_recursion, 0
	.set _ZN2at6native6sbtopk10gatherTopKIN3c104HalfEmLin1ELb0EEEvNS_4cuda6detail10TensorInfoIKT_T0_EESA_SA_bSA_SA_NS7_IS8_SA_EESA_NS7_IlSA_EESA_PS8_.has_indirect_call, 0
	.section	.AMDGPU.csdata,"",@progbits
; Kernel info:
; codeLenInByte = 28672
; TotalNumSgprs: 107
; NumVgprs: 54
; ScratchSize: 0
; MemoryBound: 0
; FloatMode: 240
; IeeeMode: 1
; LDSByteSize: 5152 bytes/workgroup (compile time only)
; SGPRBlocks: 0
; VGPRBlocks: 6
; NumSGPRsForWavesPerEU: 107
; NumVGPRsForWavesPerEU: 54
; Occupancy: 16
; WaveLimiterHint : 1
; COMPUTE_PGM_RSRC2:SCRATCH_EN: 0
; COMPUTE_PGM_RSRC2:USER_SGPR: 6
; COMPUTE_PGM_RSRC2:TRAP_HANDLER: 0
; COMPUTE_PGM_RSRC2:TGID_X_EN: 1
; COMPUTE_PGM_RSRC2:TGID_Y_EN: 1
; COMPUTE_PGM_RSRC2:TGID_Z_EN: 1
; COMPUTE_PGM_RSRC2:TIDIG_COMP_CNT: 0
	.section	.text._ZN2at6native6mbtopk23computeBlockDigitCountsIN3c108BFloat16EmjLi1EEEvNS_4cuda6detail10TensorInfoIKT_T0_EEjPjjSA_iijT1_PSD_Ps,"axG",@progbits,_ZN2at6native6mbtopk23computeBlockDigitCountsIN3c108BFloat16EmjLi1EEEvNS_4cuda6detail10TensorInfoIKT_T0_EEjPjjSA_iijT1_PSD_Ps,comdat
	.protected	_ZN2at6native6mbtopk23computeBlockDigitCountsIN3c108BFloat16EmjLi1EEEvNS_4cuda6detail10TensorInfoIKT_T0_EEjPjjSA_iijT1_PSD_Ps ; -- Begin function _ZN2at6native6mbtopk23computeBlockDigitCountsIN3c108BFloat16EmjLi1EEEvNS_4cuda6detail10TensorInfoIKT_T0_EEjPjjSA_iijT1_PSD_Ps
	.globl	_ZN2at6native6mbtopk23computeBlockDigitCountsIN3c108BFloat16EmjLi1EEEvNS_4cuda6detail10TensorInfoIKT_T0_EEjPjjSA_iijT1_PSD_Ps
	.p2align	8
	.type	_ZN2at6native6mbtopk23computeBlockDigitCountsIN3c108BFloat16EmjLi1EEEvNS_4cuda6detail10TensorInfoIKT_T0_EEjPjjSA_iijT1_PSD_Ps,@function
_ZN2at6native6mbtopk23computeBlockDigitCountsIN3c108BFloat16EmjLi1EEEvNS_4cuda6detail10TensorInfoIKT_T0_EEjPjjSA_iijT1_PSD_Ps: ; @_ZN2at6native6mbtopk23computeBlockDigitCountsIN3c108BFloat16EmjLi1EEEvNS_4cuda6detail10TensorInfoIKT_T0_EEjPjjSA_iijT1_PSD_Ps
; %bb.0:
	s_clause 0x2
	s_load_dwordx4 s[12:15], s[4:5], 0x1c0
	s_load_dword s3, s[4:5], 0x1b0
	s_load_dwordx2 s[0:1], s[4:5], 0x1e0
	s_mov_b32 s9, 0
	s_waitcnt lgkmcnt(0)
	v_cvt_f32_u32_e32 v1, s14
	s_mul_i32 s1, s1, s8
	s_sub_i32 s8, 0, s14
	s_add_i32 s1, s1, s7
	v_rcp_iflag_f32_e32 v1, v1
	s_mul_i32 s10, s1, s0
	s_add_i32 s10, s10, s6
	v_mul_f32_e32 v1, 0x4f7ffffe, v1
	v_cvt_u32_f32_e32 v1, v1
	v_readfirstlane_b32 s2, v1
	s_mul_i32 s8, s8, s2
	s_mul_hi_u32 s0, s2, s8
	s_add_i32 s2, s2, s0
	s_mul_hi_u32 s0, s10, s2
	s_mul_i32 s1, s0, s14
	s_add_i32 s2, s0, 1
	s_sub_i32 s1, s10, s1
	s_sub_i32 s6, s1, s14
	s_cmp_ge_u32 s1, s14
	s_cselect_b32 s0, s2, s0
	s_cselect_b32 s1, s6, s1
	s_add_i32 s2, s0, 1
	s_cmp_ge_u32 s1, s14
	s_cselect_b32 s8, s2, s0
	s_cmp_ge_u32 s8, s3
	s_cbranch_scc1 .LBB214_21
; %bb.1:
	s_load_dwordx4 s[0:3], s[4:5], 0x1d0
	s_lshl_b64 s[6:7], s[8:9], 2
	v_cmp_gt_u32_e32 vcc_lo, 0x100, v0
	v_lshlrev_b32_e32 v1, 2, v0
	s_waitcnt lgkmcnt(0)
	s_add_u32 s0, s0, s6
	s_addc_u32 s1, s1, s7
	s_and_saveexec_b32 s6, vcc_lo
; %bb.2:
	v_mov_b32_e32 v2, 0
	ds_write_b32 v1, v2
; %bb.3:
	s_or_b32 exec_lo, exec_lo, s6
	s_load_dword s9, s[4:5], 0x1a0
	s_mul_i32 s6, s8, s14
	s_waitcnt lgkmcnt(0)
	s_sub_i32 s6, s10, s6
	s_barrier
	s_mul_i32 s7, s13, s6
	s_add_i32 s11, s6, 1
	s_lshl_b32 s16, s7, 8
	buffer_gl0_inv
	s_sub_i32 s7, s9, s16
	s_add_u32 s6, s7, 0xff
	s_addc_u32 s7, 0, 0
	s_lshr_b64 s[6:7], s[6:7], 8
	s_cmp_lt_u32 s11, s14
	s_cselect_b32 s11, s13, s6
	s_mov_b32 s13, 0
	s_cmp_lt_i32 s11, 1
	s_cbranch_scc1 .LBB214_19
; %bb.4:
	s_clause 0x2
	s_load_dwordx2 s[18:19], s[4:5], 0xd0
	s_load_dwordx2 s[6:7], s[4:5], 0x1b8
	;; [unrolled: 1-line block ×3, first 2 shown]
	s_load_dword s1, s[0:1], 0x0
	v_add_nc_u32_e32 v2, s16, v0
	s_waitcnt lgkmcnt(0)
	s_mul_i32 s0, s19, s8
	s_mul_hi_u32 s5, s18, s8
	s_mul_i32 s4, s18, s8
	s_add_i32 s5, s5, s0
	s_lshl_b64 s[18:19], s[4:5], 1
	s_add_u32 s5, s20, s18
	s_addc_u32 s8, s21, s19
	s_and_b32 s4, s12, 0xff
	s_cmp_eq_u32 s11, 1
	s_cbranch_scc1 .LBB214_14
; %bb.5:
	v_mov_b32_e32 v3, 1
	v_mov_b32_e32 v4, 0x8000
	;; [unrolled: 1-line block ×3, first 2 shown]
	s_and_b32 s12, s11, 0x7ffffffe
	s_branch .LBB214_7
.LBB214_6:                              ;   in Loop: Header=BB214_7 Depth=1
	s_or_b32 exec_lo, exec_lo, s14
	v_add_nc_u32_e32 v5, 0x200, v5
	s_add_i32 s13, s13, 2
	s_cmp_eq_u32 s12, s13
	s_cbranch_scc1 .LBB214_13
.LBB214_7:                              ; =>This Inner Loop Header: Depth=1
	s_mov_b32 s14, exec_lo
	v_cmpx_gt_u32_e64 s9, v5
	s_cbranch_execz .LBB214_10
; %bb.8:                                ;   in Loop: Header=BB214_7 Depth=1
	v_mad_u64_u32 v[6:7], null, s6, v5, 0
	v_mad_u64_u32 v[7:8], null, s7, v5, v[7:8]
	v_lshlrev_b64 v[6:7], 1, v[6:7]
	v_add_co_u32 v6, s0, s5, v6
	v_add_co_ci_u32_e64 v7, null, s8, v7, s0
	global_load_ushort v6, v[6:7], off
	s_waitcnt vmcnt(0)
	v_cmp_lt_i16_e64 s0, -1, v6
	v_lshlrev_b32_e32 v8, 16, v6
	v_cndmask_b32_e64 v7, 0xffff, v4, s0
	v_cmp_o_f32_e64 s0, v8, v8
	v_xor_b32_sdwa v6, v7, v6 dst_sel:DWORD dst_unused:UNUSED_PAD src0_sel:DWORD src1_sel:WORD_0
	v_cndmask_b32_e64 v6, 0xffff, v6, s0
	v_xor_b32_e32 v7, s1, v6
	v_and_b32_e32 v7, s15, v7
	v_cmp_eq_u32_e64 s0, 0, v7
	s_and_b32 exec_lo, exec_lo, s0
; %bb.9:                                ;   in Loop: Header=BB214_7 Depth=1
	v_bfe_u32 v6, v6, s4, 8
	v_lshlrev_b32_e32 v6, 2, v6
	ds_add_u32 v6, v3
.LBB214_10:                             ;   in Loop: Header=BB214_7 Depth=1
	s_or_b32 exec_lo, exec_lo, s14
	v_add_nc_u32_e32 v6, 0x100, v5
	s_mov_b32 s14, exec_lo
	v_cmpx_gt_u32_e64 s9, v6
	s_cbranch_execz .LBB214_6
; %bb.11:                               ;   in Loop: Header=BB214_7 Depth=1
	v_mad_u64_u32 v[7:8], null, s6, v6, 0
	v_mad_u64_u32 v[8:9], null, s7, v6, v[8:9]
	v_lshlrev_b64 v[6:7], 1, v[7:8]
	v_add_co_u32 v6, s0, s5, v6
	v_add_co_ci_u32_e64 v7, null, s8, v7, s0
	global_load_ushort v6, v[6:7], off
	s_waitcnt vmcnt(0)
	v_cmp_lt_i16_e64 s0, -1, v6
	v_lshlrev_b32_e32 v8, 16, v6
	v_cndmask_b32_e64 v7, 0xffff, v4, s0
	v_cmp_o_f32_e64 s0, v8, v8
	v_xor_b32_sdwa v6, v7, v6 dst_sel:DWORD dst_unused:UNUSED_PAD src0_sel:DWORD src1_sel:WORD_0
	v_cndmask_b32_e64 v6, 0xffff, v6, s0
	v_xor_b32_e32 v7, s1, v6
	v_and_b32_e32 v7, s15, v7
	v_cmp_eq_u32_e64 s0, 0, v7
	s_and_b32 exec_lo, exec_lo, s0
	s_cbranch_execz .LBB214_6
; %bb.12:                               ;   in Loop: Header=BB214_7 Depth=1
	v_bfe_u32 v6, v6, s4, 8
	v_lshlrev_b32_e32 v6, 2, v6
	ds_add_u32 v6, v3
	s_branch .LBB214_6
.LBB214_13:
	s_lshl_b32 s13, s12, 8
.LBB214_14:
	s_bitcmp0_b32 s11, 0
	s_cbranch_scc1 .LBB214_19
; %bb.15:
	v_add_nc_u32_e32 v2, s13, v2
	v_cmp_gt_u32_e64 s0, s9, v2
	s_and_saveexec_b32 s9, s0
	s_cbranch_execz .LBB214_18
; %bb.16:
	v_mad_u64_u32 v[3:4], null, s6, v2, 0
	v_mad_u64_u32 v[4:5], null, s7, v2, v[4:5]
	v_lshlrev_b64 v[2:3], 1, v[3:4]
	v_add_co_u32 v2, s0, s5, v2
	v_add_co_ci_u32_e64 v3, null, s8, v3, s0
	global_load_ushort v2, v[2:3], off
	v_mov_b32_e32 v3, 0x8000
	s_waitcnt vmcnt(0)
	v_cmp_lt_i16_e64 s0, -1, v2
	v_lshlrev_b32_e32 v4, 16, v2
	v_cndmask_b32_e64 v3, 0xffff, v3, s0
	v_cmp_o_f32_e64 s0, v4, v4
	v_xor_b32_sdwa v2, v3, v2 dst_sel:DWORD dst_unused:UNUSED_PAD src0_sel:DWORD src1_sel:WORD_0
	v_cndmask_b32_e64 v2, 0xffff, v2, s0
	v_xor_b32_e32 v3, s1, v2
	v_and_b32_e32 v3, s15, v3
	v_cmp_eq_u32_e64 s0, 0, v3
	s_and_b32 exec_lo, exec_lo, s0
	s_cbranch_execz .LBB214_18
; %bb.17:
	v_bfe_u32 v2, v2, s4, 8
	v_mov_b32_e32 v3, 1
	v_lshlrev_b32_e32 v2, 2, v2
	ds_add_u32 v2, v3
.LBB214_18:
	s_or_b32 exec_lo, exec_lo, s9
.LBB214_19:
	s_waitcnt lgkmcnt(0)
	s_barrier
	buffer_gl0_inv
	s_and_saveexec_b32 s0, vcc_lo
	s_cbranch_execz .LBB214_21
; %bb.20:
	ds_read_b32 v2, v1
	v_lshl_or_b32 v0, s10, 8, v0
	v_mov_b32_e32 v1, 0
	v_lshlrev_b64 v[0:1], 1, v[0:1]
	v_add_co_u32 v0, vcc_lo, s2, v0
	v_add_co_ci_u32_e64 v1, null, s3, v1, vcc_lo
	s_waitcnt lgkmcnt(0)
	global_store_short v[0:1], v2, off
.LBB214_21:
	s_endpgm
	.section	.rodata,"a",@progbits
	.p2align	6, 0x0
	.amdhsa_kernel _ZN2at6native6mbtopk23computeBlockDigitCountsIN3c108BFloat16EmjLi1EEEvNS_4cuda6detail10TensorInfoIKT_T0_EEjPjjSA_iijT1_PSD_Ps
		.amdhsa_group_segment_fixed_size 1024
		.amdhsa_private_segment_fixed_size 0
		.amdhsa_kernarg_size 736
		.amdhsa_user_sgpr_count 6
		.amdhsa_user_sgpr_private_segment_buffer 1
		.amdhsa_user_sgpr_dispatch_ptr 0
		.amdhsa_user_sgpr_queue_ptr 0
		.amdhsa_user_sgpr_kernarg_segment_ptr 1
		.amdhsa_user_sgpr_dispatch_id 0
		.amdhsa_user_sgpr_flat_scratch_init 0
		.amdhsa_user_sgpr_private_segment_size 0
		.amdhsa_wavefront_size32 1
		.amdhsa_uses_dynamic_stack 0
		.amdhsa_system_sgpr_private_segment_wavefront_offset 0
		.amdhsa_system_sgpr_workgroup_id_x 1
		.amdhsa_system_sgpr_workgroup_id_y 1
		.amdhsa_system_sgpr_workgroup_id_z 1
		.amdhsa_system_sgpr_workgroup_info 0
		.amdhsa_system_vgpr_workitem_id 0
		.amdhsa_next_free_vgpr 10
		.amdhsa_next_free_sgpr 22
		.amdhsa_reserve_vcc 1
		.amdhsa_reserve_flat_scratch 0
		.amdhsa_float_round_mode_32 0
		.amdhsa_float_round_mode_16_64 0
		.amdhsa_float_denorm_mode_32 3
		.amdhsa_float_denorm_mode_16_64 3
		.amdhsa_dx10_clamp 1
		.amdhsa_ieee_mode 1
		.amdhsa_fp16_overflow 0
		.amdhsa_workgroup_processor_mode 1
		.amdhsa_memory_ordered 1
		.amdhsa_forward_progress 1
		.amdhsa_shared_vgpr_count 0
		.amdhsa_exception_fp_ieee_invalid_op 0
		.amdhsa_exception_fp_denorm_src 0
		.amdhsa_exception_fp_ieee_div_zero 0
		.amdhsa_exception_fp_ieee_overflow 0
		.amdhsa_exception_fp_ieee_underflow 0
		.amdhsa_exception_fp_ieee_inexact 0
		.amdhsa_exception_int_div_zero 0
	.end_amdhsa_kernel
	.section	.text._ZN2at6native6mbtopk23computeBlockDigitCountsIN3c108BFloat16EmjLi1EEEvNS_4cuda6detail10TensorInfoIKT_T0_EEjPjjSA_iijT1_PSD_Ps,"axG",@progbits,_ZN2at6native6mbtopk23computeBlockDigitCountsIN3c108BFloat16EmjLi1EEEvNS_4cuda6detail10TensorInfoIKT_T0_EEjPjjSA_iijT1_PSD_Ps,comdat
.Lfunc_end214:
	.size	_ZN2at6native6mbtopk23computeBlockDigitCountsIN3c108BFloat16EmjLi1EEEvNS_4cuda6detail10TensorInfoIKT_T0_EEjPjjSA_iijT1_PSD_Ps, .Lfunc_end214-_ZN2at6native6mbtopk23computeBlockDigitCountsIN3c108BFloat16EmjLi1EEEvNS_4cuda6detail10TensorInfoIKT_T0_EEjPjjSA_iijT1_PSD_Ps
                                        ; -- End function
	.set _ZN2at6native6mbtopk23computeBlockDigitCountsIN3c108BFloat16EmjLi1EEEvNS_4cuda6detail10TensorInfoIKT_T0_EEjPjjSA_iijT1_PSD_Ps.num_vgpr, 10
	.set _ZN2at6native6mbtopk23computeBlockDigitCountsIN3c108BFloat16EmjLi1EEEvNS_4cuda6detail10TensorInfoIKT_T0_EEjPjjSA_iijT1_PSD_Ps.num_agpr, 0
	.set _ZN2at6native6mbtopk23computeBlockDigitCountsIN3c108BFloat16EmjLi1EEEvNS_4cuda6detail10TensorInfoIKT_T0_EEjPjjSA_iijT1_PSD_Ps.numbered_sgpr, 22
	.set _ZN2at6native6mbtopk23computeBlockDigitCountsIN3c108BFloat16EmjLi1EEEvNS_4cuda6detail10TensorInfoIKT_T0_EEjPjjSA_iijT1_PSD_Ps.num_named_barrier, 0
	.set _ZN2at6native6mbtopk23computeBlockDigitCountsIN3c108BFloat16EmjLi1EEEvNS_4cuda6detail10TensorInfoIKT_T0_EEjPjjSA_iijT1_PSD_Ps.private_seg_size, 0
	.set _ZN2at6native6mbtopk23computeBlockDigitCountsIN3c108BFloat16EmjLi1EEEvNS_4cuda6detail10TensorInfoIKT_T0_EEjPjjSA_iijT1_PSD_Ps.uses_vcc, 1
	.set _ZN2at6native6mbtopk23computeBlockDigitCountsIN3c108BFloat16EmjLi1EEEvNS_4cuda6detail10TensorInfoIKT_T0_EEjPjjSA_iijT1_PSD_Ps.uses_flat_scratch, 0
	.set _ZN2at6native6mbtopk23computeBlockDigitCountsIN3c108BFloat16EmjLi1EEEvNS_4cuda6detail10TensorInfoIKT_T0_EEjPjjSA_iijT1_PSD_Ps.has_dyn_sized_stack, 0
	.set _ZN2at6native6mbtopk23computeBlockDigitCountsIN3c108BFloat16EmjLi1EEEvNS_4cuda6detail10TensorInfoIKT_T0_EEjPjjSA_iijT1_PSD_Ps.has_recursion, 0
	.set _ZN2at6native6mbtopk23computeBlockDigitCountsIN3c108BFloat16EmjLi1EEEvNS_4cuda6detail10TensorInfoIKT_T0_EEjPjjSA_iijT1_PSD_Ps.has_indirect_call, 0
	.section	.AMDGPU.csdata,"",@progbits
; Kernel info:
; codeLenInByte = 1044
; TotalNumSgprs: 24
; NumVgprs: 10
; ScratchSize: 0
; MemoryBound: 0
; FloatMode: 240
; IeeeMode: 1
; LDSByteSize: 1024 bytes/workgroup (compile time only)
; SGPRBlocks: 0
; VGPRBlocks: 1
; NumSGPRsForWavesPerEU: 24
; NumVGPRsForWavesPerEU: 10
; Occupancy: 16
; WaveLimiterHint : 1
; COMPUTE_PGM_RSRC2:SCRATCH_EN: 0
; COMPUTE_PGM_RSRC2:USER_SGPR: 6
; COMPUTE_PGM_RSRC2:TRAP_HANDLER: 0
; COMPUTE_PGM_RSRC2:TGID_X_EN: 1
; COMPUTE_PGM_RSRC2:TGID_Y_EN: 1
; COMPUTE_PGM_RSRC2:TGID_Z_EN: 1
; COMPUTE_PGM_RSRC2:TIDIG_COMP_CNT: 0
	.section	.text._ZN2at6native6mbtopk10gatherTopKIN3c108BFloat16EmLi1EEEvNS_4cuda6detail10TensorInfoIKT_T0_EESA_SA_bjSA_NS7_IS8_SA_EESA_NS7_IlSA_EESA_jjPS8_PjSF_j,"axG",@progbits,_ZN2at6native6mbtopk10gatherTopKIN3c108BFloat16EmLi1EEEvNS_4cuda6detail10TensorInfoIKT_T0_EESA_SA_bjSA_NS7_IS8_SA_EESA_NS7_IlSA_EESA_jjPS8_PjSF_j,comdat
	.protected	_ZN2at6native6mbtopk10gatherTopKIN3c108BFloat16EmLi1EEEvNS_4cuda6detail10TensorInfoIKT_T0_EESA_SA_bjSA_NS7_IS8_SA_EESA_NS7_IlSA_EESA_jjPS8_PjSF_j ; -- Begin function _ZN2at6native6mbtopk10gatherTopKIN3c108BFloat16EmLi1EEEvNS_4cuda6detail10TensorInfoIKT_T0_EESA_SA_bjSA_NS7_IS8_SA_EESA_NS7_IlSA_EESA_jjPS8_PjSF_j
	.globl	_ZN2at6native6mbtopk10gatherTopKIN3c108BFloat16EmLi1EEEvNS_4cuda6detail10TensorInfoIKT_T0_EESA_SA_bjSA_NS7_IS8_SA_EESA_NS7_IlSA_EESA_jjPS8_PjSF_j
	.p2align	8
	.type	_ZN2at6native6mbtopk10gatherTopKIN3c108BFloat16EmLi1EEEvNS_4cuda6detail10TensorInfoIKT_T0_EESA_SA_bjSA_NS7_IS8_SA_EESA_NS7_IlSA_EESA_jjPS8_PjSF_j,@function
_ZN2at6native6mbtopk10gatherTopKIN3c108BFloat16EmLi1EEEvNS_4cuda6detail10TensorInfoIKT_T0_EESA_SA_bjSA_NS7_IS8_SA_EESA_NS7_IlSA_EESA_jjPS8_PjSF_j: ; @_ZN2at6native6mbtopk10gatherTopKIN3c108BFloat16EmLi1EEEvNS_4cuda6detail10TensorInfoIKT_T0_EESA_SA_bjSA_NS7_IS8_SA_EESA_NS7_IlSA_EESA_jjPS8_PjSF_j
; %bb.0:
	s_clause 0x1
	s_load_dwordx2 s[0:1], s[4:5], 0x538
	s_load_dword s2, s[4:5], 0x530
	s_waitcnt lgkmcnt(0)
	s_mul_i32 s1, s1, s8
	s_add_i32 s1, s1, s7
	s_mul_i32 s0, s1, s0
	s_add_i32 s0, s0, s6
	s_cmp_ge_u32 s0, s2
	s_cbranch_scc1 .LBB215_42
; %bb.1:
	s_clause 0x1
	s_load_dwordx2 s[6:7], s[4:5], 0x510
	s_load_dwordx4 s[8:11], s[4:5], 0x1a0
	s_mov_b32 s21, 0
	s_waitcnt lgkmcnt(0)
	v_cvt_f32_u32_e32 v1, s7
	s_sub_i32 s2, 0, s7
	s_lshl_b32 s33, s6, 8
	v_rcp_iflag_f32_e32 v1, v1
	v_mul_f32_e32 v1, 0x4f7ffffe, v1
	v_cvt_u32_f32_e32 v1, v1
	v_readfirstlane_b32 s1, v1
	s_mul_i32 s2, s2, s1
	s_mul_hi_u32 s2, s1, s2
	s_add_i32 s1, s1, s2
	s_mul_hi_u32 s1, s0, s1
	s_mul_i32 s2, s1, s7
	s_add_i32 s3, s1, 1
	s_sub_i32 s2, s0, s2
	s_sub_i32 s12, s2, s7
	s_cmp_ge_u32 s2, s7
	s_cselect_b32 s1, s3, s1
	s_cselect_b32 s2, s12, s2
	s_add_i32 s3, s1, 1
	s_cmp_ge_u32 s2, s7
	s_cselect_b32 s20, s3, s1
	s_mul_i32 s16, s20, s7
	s_sub_i32 s36, s0, s16
	s_add_i32 s0, s36, 1
	s_cmp_lt_u32 s0, s7
	s_cbranch_scc1 .LBB215_3
; %bb.2:
	s_mul_i32 s0, s36, s33
	s_sub_u32 s0, s8, s0
	s_subb_u32 s1, s9, 0
	s_add_u32 s0, s0, 0xff
	s_addc_u32 s1, s1, 0
	s_ashr_i32 s2, s1, 31
	s_lshr_b32 s2, s2, 24
	s_add_u32 s0, s0, s2
	s_addc_u32 s1, s1, 0
	s_lshr_b64 s[0:1], s[0:1], 8
	s_mov_b32 s6, s0
.LBB215_3:
	s_load_dwordx4 s[0:3], s[4:5], 0x518
	s_lshl_b64 s[12:13], s[20:21], 1
	v_mov_b32_e32 v1, 0
	s_waitcnt lgkmcnt(0)
	s_add_u32 s0, s0, s12
	s_addc_u32 s1, s1, s13
	global_load_ushort v1, v1, s[0:1]
	s_clause 0x3
	s_load_dwordx2 s[22:23], s[4:5], 0x0
	s_load_dwordx2 s[28:29], s[4:5], 0xd0
	;; [unrolled: 1-line block ×4, first 2 shown]
	v_cmp_ne_u32_e64 s0, 0, v0
	v_cmp_eq_u32_e64 s1, 0, v0
	s_waitcnt vmcnt(0)
	v_readfirstlane_b32 s37, v1
	s_and_saveexec_b32 s21, s1
	s_cbranch_execz .LBB215_19
; %bb.4:
	s_load_dwordx2 s[18:19], s[4:5], 0x528
	s_mov_b32 s17, 0
	s_mov_b32 s38, 0
	s_lshl_b64 s[30:31], s[16:17], 2
	s_mov_b32 s16, 0
	s_add_u32 s12, s2, s30
	s_addc_u32 s13, s3, s31
	s_waitcnt lgkmcnt(0)
	s_add_u32 s14, s18, s30
	s_addc_u32 s15, s19, s31
	s_cmp_lt_u32 s7, 4
	s_cbranch_scc1 .LBB215_16
; %bb.5:
	s_mov_b32 s39, 0
.LBB215_6:                              ; =>This Inner Loop Header: Depth=1
	s_add_u32 s12, s2, s30
	s_addc_u32 s13, s3, s31
	s_add_u32 s34, s18, s30
	s_load_dwordx4 s[12:15], s[12:13], 0x0
	s_addc_u32 s35, s19, s31
	s_cmp_ge_u32 s39, s36
	s_cbranch_scc0 .LBB215_13
; %bb.7:                                ;   in Loop: Header=BB215_6 Depth=1
	s_add_i32 s40, s39, 1
	s_cmp_ge_u32 s40, s36
	s_cbranch_scc0 .LBB215_14
.LBB215_8:                              ;   in Loop: Header=BB215_6 Depth=1
	s_add_i32 s40, s40, 1
	s_cmp_ge_u32 s40, s36
	s_cbranch_scc0 .LBB215_15
.LBB215_9:                              ;   in Loop: Header=BB215_6 Depth=1
	s_add_i32 s40, s40, 1
	s_cmp_ge_u32 s40, s36
	s_cbranch_scc1 .LBB215_11
.LBB215_10:                             ;   in Loop: Header=BB215_6 Depth=1
	s_load_dword s34, s[34:35], 0xc
	s_waitcnt lgkmcnt(0)
	s_add_i32 s17, s17, s15
	s_add_i32 s16, s34, s16
.LBB215_11:                             ;   in Loop: Header=BB215_6 Depth=1
	s_waitcnt lgkmcnt(0)
	s_add_i32 s12, s12, s38
	s_add_i32 s12, s12, s13
	;; [unrolled: 1-line block ×4, first 2 shown]
	s_add_u32 s2, s2, 16
	s_addc_u32 s3, s3, 0
	s_add_u32 s18, s18, 16
	s_addc_u32 s19, s19, 0
	s_add_i32 s35, s40, 4
	s_add_u32 s14, s18, s30
	s_addc_u32 s15, s19, s31
	s_add_u32 s12, s2, s30
	s_addc_u32 s13, s3, s31
	s_add_i32 s34, s40, 1
	s_cmp_ge_u32 s35, s7
	s_cbranch_scc1 .LBB215_17
; %bb.12:                               ;   in Loop: Header=BB215_6 Depth=1
	s_mov_b32 s39, s34
	s_branch .LBB215_6
.LBB215_13:                             ;   in Loop: Header=BB215_6 Depth=1
	s_load_dword s40, s[34:35], 0x0
	s_waitcnt lgkmcnt(0)
	s_add_i32 s17, s12, s17
	s_add_i32 s16, s40, s16
	;; [unrolled: 1-line block ×3, first 2 shown]
	s_cmp_ge_u32 s40, s36
	s_cbranch_scc1 .LBB215_8
.LBB215_14:                             ;   in Loop: Header=BB215_6 Depth=1
	s_load_dword s41, s[34:35], 0x4
	s_waitcnt lgkmcnt(0)
	s_add_i32 s17, s17, s13
	s_add_i32 s16, s41, s16
	;; [unrolled: 1-line block ×3, first 2 shown]
	s_cmp_ge_u32 s40, s36
	s_cbranch_scc1 .LBB215_9
.LBB215_15:                             ;   in Loop: Header=BB215_6 Depth=1
	s_load_dword s41, s[34:35], 0x8
	s_waitcnt lgkmcnt(0)
	s_add_i32 s17, s17, s14
	s_add_i32 s16, s41, s16
	;; [unrolled: 1-line block ×3, first 2 shown]
	s_cmp_ge_u32 s40, s36
	s_cbranch_scc0 .LBB215_10
	s_branch .LBB215_11
.LBB215_16:
	s_mov_b32 s2, 0
	s_cmp_ge_u32 s2, s7
	s_cbranch_scc0 .LBB215_40
	s_branch .LBB215_18
.LBB215_17:
	s_add_i32 s2, s39, 4
	s_cmp_ge_u32 s2, s7
	s_cbranch_scc0 .LBB215_40
.LBB215_18:
	v_mov_b32_e32 v1, s16
	v_mov_b32_e32 v2, s38
	;; [unrolled: 1-line block ×4, first 2 shown]
	ds_write_b96 v4, v[1:3] offset:1056
.LBB215_19:
	s_or_b32 exec_lo, exec_lo, s21
	s_clause 0x1
	s_load_dwordx4 s[12:15], s[4:5], 0x1b8
	s_load_dwordx4 s[16:19], s[4:5], 0x360
	s_cmp_eq_u32 s6, 0
	s_waitcnt lgkmcnt(0)
	s_barrier
	buffer_gl0_inv
	s_cbranch_scc1 .LBB215_42
; %bb.20:
	s_mul_i32 s2, s29, s20
	s_mul_hi_u32 s3, s28, s20
	s_mul_i32 s7, s27, s20
	s_mul_hi_u32 s21, s26, s20
	s_add_i32 s3, s3, s2
	s_mul_i32 s2, s28, s20
	s_add_i32 s27, s21, s7
	s_mul_i32 s7, s25, s20
	s_mul_hi_u32 s21, s24, s20
	s_lshl_b64 s[2:3], s[2:3], 1
	s_mul_i32 s26, s26, s20
	s_add_i32 s25, s21, s7
	v_mov_b32_e32 v5, 0
	s_add_u32 s7, s22, s2
	s_addc_u32 s21, s23, s3
	s_lshl_b64 s[2:3], s[26:27], 1
	s_mul_i32 s24, s24, s20
	s_add_u32 s14, s14, s2
	s_addc_u32 s15, s15, s3
	s_lshl_b64 s[2:3], s[24:25], 3
	ds_read_b96 v[1:3], v5 offset:1056
	s_add_u32 s18, s18, s2
	s_sext_i32_i16 s2, s37
	s_addc_u32 s19, s19, s3
	s_and_b32 s3, 0xffff, s37
	s_cmp_gt_i32 s2, -1
	s_mov_b32 s2, 0x8000
	v_add_nc_u32_e32 v10, -1, v0
	s_cselect_b32 s2, s2, 0xffff
	s_lshl_b32 s20, s37, 16
	s_xor_b32 s2, s2, s3
	v_cmp_o_f32_e64 s20, s20, s20
	v_lshrrev_b32_e32 v4, 3, v0
	v_lshrrev_b32_e32 v6, 3, v10
	v_mbcnt_lo_u32_b32 v9, -1, 0
	v_mov_b32_e32 v14, 0x8000
	s_and_b32 s3, s20, exec_lo
	s_clause 0x1
	s_load_dword s3, s[4:5], 0x1b0
	s_load_dwordx2 s[4:5], s[4:5], 0x508
	v_and_b32_e32 v4, 28, v4
	s_waitcnt lgkmcnt(0)
	v_add_nc_u32_e32 v1, v1, v2
	v_and_b32_e32 v11, 0x1ffffffc, v6
	v_and_b32_e32 v2, 0xfc, v0
	s_cselect_b32 s20, s2, 0xffff
	v_lshl_add_u32 v8, v0, 2, v4
	v_mad_u64_u32 v[6:7], null, s36, s33, v[0:1]
	v_lshlrev_b32_e32 v4, 5, v0
	v_cmp_gt_u32_e64 s2, 32, v0
	v_lshl_add_u32 v0, v10, 2, v11
	v_and_b32_e32 v11, 15, v9
	v_bfe_i32 v12, v9, 4, 1
	v_add_nc_u32_e32 v10, v2, v4
	v_add_nc_u32_e32 v13, -1, v9
	v_mov_b32_e32 v4, v6
                                        ; implicit-def: $vgpr15
	s_bitcmp1_b32 s3, 0
	s_cselect_b32 s3, -1, 0
	s_branch .LBB215_23
.LBB215_21:                             ;   in Loop: Header=BB215_23 Depth=1
	s_or_b32 exec_lo, exec_lo, s22
	v_add_nc_u32_e32 v1, v2, v1
.LBB215_22:                             ;   in Loop: Header=BB215_23 Depth=1
	v_add_nc_u32_e32 v3, v16, v3
	v_add_nc_u32_e32 v4, 0x100, v4
	s_add_i32 s6, s6, -1
	s_cmp_lg_u32 s6, 0
	s_cbranch_scc0 .LBB215_42
.LBB215_23:                             ; =>This Inner Loop Header: Depth=1
	v_mov_b32_e32 v2, v5
	v_mov_b32_e32 v6, v5
	s_mov_b32 s22, exec_lo
	v_cmpx_gt_u64_e64 s[8:9], v[4:5]
	s_cbranch_execz .LBB215_25
; %bb.24:                               ;   in Loop: Header=BB215_23 Depth=1
	v_mad_u64_u32 v[6:7], null, s12, v4, 0
	v_mov_b32_e32 v2, v7
	v_mad_u64_u32 v[15:16], null, s13, v4, v[2:3]
	v_mov_b32_e32 v7, v15
	v_lshlrev_b64 v[6:7], 1, v[6:7]
	v_add_co_u32 v6, vcc_lo, s7, v6
	v_add_co_ci_u32_e64 v7, null, s21, v7, vcc_lo
	global_load_ushort v15, v[6:7], off
	s_waitcnt vmcnt(0)
	v_cmp_lt_i16_e32 vcc_lo, -1, v15
	v_lshlrev_b32_e32 v6, 16, v15
	v_cndmask_b32_e32 v2, 0xffff, v14, vcc_lo
	v_cmp_o_f32_e32 vcc_lo, v6, v6
	v_xor_b32_sdwa v2, v2, v15 dst_sel:DWORD dst_unused:UNUSED_PAD src0_sel:DWORD src1_sel:WORD_0
	v_cndmask_b32_e32 v6, 0xffff, v2, vcc_lo
	v_cmp_lt_u32_e32 vcc_lo, s20, v6
	v_cndmask_b32_e64 v2, 0, 1, vcc_lo
	v_cmp_gt_u32_e32 vcc_lo, s20, v6
	v_cndmask_b32_e64 v7, 0, 1, vcc_lo
	v_cmp_eq_u32_e32 vcc_lo, s20, v6
	v_cndmask_b32_e64 v2, v7, v2, s3
	v_cndmask_b32_e64 v6, 0, 1, vcc_lo
	v_and_b32_e32 v2, 1, v2
.LBB215_25:                             ;   in Loop: Header=BB215_23 Depth=1
	s_or_b32 exec_lo, exec_lo, s22
	ds_write_b32 v8, v2
	s_waitcnt lgkmcnt(0)
	s_barrier
	buffer_gl0_inv
	s_and_saveexec_b32 s22, s2
	s_cbranch_execz .LBB215_27
; %bb.26:                               ;   in Loop: Header=BB215_23 Depth=1
	ds_read2_b32 v[16:17], v10 offset1:1
	ds_read2_b32 v[18:19], v10 offset0:2 offset1:3
	ds_read2_b32 v[20:21], v10 offset0:4 offset1:5
	;; [unrolled: 1-line block ×3, first 2 shown]
	v_cmp_ne_u32_e32 vcc_lo, 0, v11
	; wave barrier
	s_waitcnt lgkmcnt(3)
	v_add_nc_u32_e32 v7, v17, v16
	s_waitcnt lgkmcnt(2)
	v_add3_u32 v7, v7, v18, v19
	s_waitcnt lgkmcnt(1)
	v_add3_u32 v7, v7, v20, v21
	;; [unrolled: 2-line block ×3, first 2 shown]
	v_mov_b32_dpp v17, v7 row_shr:1 row_mask:0xf bank_mask:0xf
	v_cndmask_b32_e32 v17, 0, v17, vcc_lo
	v_cmp_lt_u32_e32 vcc_lo, 1, v11
	v_add_nc_u32_e32 v7, v17, v7
	v_mov_b32_dpp v17, v7 row_shr:2 row_mask:0xf bank_mask:0xf
	v_cndmask_b32_e32 v17, 0, v17, vcc_lo
	v_cmp_lt_u32_e32 vcc_lo, 3, v11
	v_add_nc_u32_e32 v7, v7, v17
	;; [unrolled: 4-line block ×3, first 2 shown]
	v_mov_b32_dpp v17, v7 row_shr:8 row_mask:0xf bank_mask:0xf
	v_cndmask_b32_e32 v17, 0, v17, vcc_lo
	v_cmp_gt_i32_e32 vcc_lo, 0, v13
	v_add_nc_u32_e32 v7, v7, v17
	v_cndmask_b32_e32 v18, v13, v9, vcc_lo
	ds_swizzle_b32 v17, v7 offset:swizzle(BROADCAST,32,15)
	v_lshlrev_b32_e32 v18, 2, v18
	s_waitcnt lgkmcnt(0)
	v_and_b32_e32 v17, v12, v17
	v_add_nc_u32_e32 v7, v7, v17
	ds_bpermute_b32 v7, v18, v7
	s_waitcnt lgkmcnt(0)
	v_add_nc_u32_e32 v7, v7, v16
	v_cndmask_b32_e64 v7, v7, v2, s1
	ds_write_b32 v10, v7
	; wave barrier
	ds_read2_b32 v[16:17], v10 offset0:1 offset1:2
	ds_read2_b32 v[18:19], v10 offset0:3 offset1:4
	;; [unrolled: 1-line block ×3, first 2 shown]
	ds_read_b32 v22, v10 offset:28
	s_waitcnt lgkmcnt(3)
	v_add_nc_u32_e32 v7, v16, v7
	v_add_nc_u32_e32 v16, v17, v7
	s_waitcnt lgkmcnt(2)
	v_add_nc_u32_e32 v17, v18, v16
	v_add_nc_u32_e32 v18, v19, v17
	;; [unrolled: 3-line block ×3, first 2 shown]
	s_waitcnt lgkmcnt(0)
	v_add_nc_u32_e32 v21, v22, v20
	ds_write2_b32 v10, v7, v16 offset0:1 offset1:2
	ds_write2_b32 v10, v17, v18 offset0:3 offset1:4
	ds_write2_b32 v10, v19, v20 offset0:5 offset1:6
	ds_write_b32 v10, v21 offset:28
.LBB215_27:                             ;   in Loop: Header=BB215_23 Depth=1
	s_or_b32 exec_lo, exec_lo, s22
	v_mov_b32_e32 v7, 0
	s_waitcnt lgkmcnt(0)
	s_barrier
	buffer_gl0_inv
	s_and_saveexec_b32 s22, s0
; %bb.28:                               ;   in Loop: Header=BB215_23 Depth=1
	ds_read_b32 v7, v0
; %bb.29:                               ;   in Loop: Header=BB215_23 Depth=1
	s_or_b32 exec_lo, exec_lo, s22
	ds_read_b32 v16, v5 offset:1048
	s_mov_b32 s22, exec_lo
	s_waitcnt lgkmcnt(0)
	s_barrier
	buffer_gl0_inv
	v_cmpx_ne_u32_e32 0, v2
	s_cbranch_execz .LBB215_31
; %bb.30:                               ;   in Loop: Header=BB215_23 Depth=1
	v_add_nc_u32_e32 v22, v7, v3
	v_mad_u64_u32 v[17:18], null, s16, v22, 0
	v_mad_u64_u32 v[19:20], null, s4, v22, 0
	v_mov_b32_e32 v2, v18
	v_mov_b32_e32 v7, v20
	v_mad_u64_u32 v[20:21], null, s17, v22, v[2:3]
	v_mad_u64_u32 v[21:22], null, s5, v22, v[7:8]
	v_mov_b32_e32 v18, v20
	v_mov_b32_e32 v20, v21
	v_lshlrev_b64 v[17:18], 1, v[17:18]
	v_lshlrev_b64 v[19:20], 3, v[19:20]
	v_add_co_u32 v17, vcc_lo, s14, v17
	v_add_co_ci_u32_e64 v18, null, s15, v18, vcc_lo
	v_add_co_u32 v19, vcc_lo, s18, v19
	v_add_co_ci_u32_e64 v20, null, s19, v20, vcc_lo
	global_store_short v[17:18], v15, off
	global_store_dwordx2 v[19:20], v[4:5], off
.LBB215_31:                             ;   in Loop: Header=BB215_23 Depth=1
	s_or_b32 exec_lo, exec_lo, s22
	v_mov_b32_e32 v2, v5
	v_cmp_le_u64_e32 vcc_lo, s[10:11], v[1:2]
	s_cbranch_vccnz .LBB215_22
; %bb.32:                               ;   in Loop: Header=BB215_23 Depth=1
	ds_write_b32 v8, v6
	s_waitcnt lgkmcnt(0)
	s_waitcnt_vscnt null, 0x0
	s_barrier
	buffer_gl0_inv
	s_and_saveexec_b32 s22, s2
	s_cbranch_execz .LBB215_34
; %bb.33:                               ;   in Loop: Header=BB215_23 Depth=1
	ds_read2_b32 v[17:18], v10 offset1:1
	ds_read2_b32 v[19:20], v10 offset0:2 offset1:3
	ds_read2_b32 v[21:22], v10 offset0:4 offset1:5
	;; [unrolled: 1-line block ×3, first 2 shown]
	v_cmp_ne_u32_e32 vcc_lo, 0, v11
	; wave barrier
	s_waitcnt lgkmcnt(3)
	v_add_nc_u32_e32 v2, v18, v17
	s_waitcnt lgkmcnt(2)
	v_add3_u32 v2, v2, v19, v20
	s_waitcnt lgkmcnt(1)
	v_add3_u32 v2, v2, v21, v22
	;; [unrolled: 2-line block ×3, first 2 shown]
	v_mov_b32_dpp v7, v2 row_shr:1 row_mask:0xf bank_mask:0xf
	v_cndmask_b32_e32 v7, 0, v7, vcc_lo
	v_cmp_lt_u32_e32 vcc_lo, 1, v11
	v_add_nc_u32_e32 v2, v7, v2
	v_mov_b32_dpp v7, v2 row_shr:2 row_mask:0xf bank_mask:0xf
	v_cndmask_b32_e32 v7, 0, v7, vcc_lo
	v_cmp_lt_u32_e32 vcc_lo, 3, v11
	v_add_nc_u32_e32 v2, v2, v7
	;; [unrolled: 4-line block ×3, first 2 shown]
	v_mov_b32_dpp v7, v2 row_shr:8 row_mask:0xf bank_mask:0xf
	v_cndmask_b32_e32 v7, 0, v7, vcc_lo
	v_cmp_gt_i32_e32 vcc_lo, 0, v13
	v_add_nc_u32_e32 v2, v2, v7
	v_cndmask_b32_e32 v18, v13, v9, vcc_lo
	ds_swizzle_b32 v7, v2 offset:swizzle(BROADCAST,32,15)
	v_lshlrev_b32_e32 v18, 2, v18
	s_waitcnt lgkmcnt(0)
	v_and_b32_e32 v7, v12, v7
	v_add_nc_u32_e32 v2, v2, v7
	ds_bpermute_b32 v2, v18, v2
	s_waitcnt lgkmcnt(0)
	v_add_nc_u32_e32 v2, v2, v17
	v_cndmask_b32_e64 v2, v2, v6, s1
	ds_write_b32 v10, v2
	; wave barrier
	ds_read2_b32 v[17:18], v10 offset0:1 offset1:2
	ds_read2_b32 v[19:20], v10 offset0:3 offset1:4
	;; [unrolled: 1-line block ×3, first 2 shown]
	ds_read_b32 v7, v10 offset:28
	s_waitcnt lgkmcnt(3)
	v_add_nc_u32_e32 v2, v17, v2
	v_add_nc_u32_e32 v17, v18, v2
	s_waitcnt lgkmcnt(2)
	v_add_nc_u32_e32 v18, v19, v17
	v_add_nc_u32_e32 v19, v20, v18
	;; [unrolled: 3-line block ×3, first 2 shown]
	s_waitcnt lgkmcnt(0)
	v_add_nc_u32_e32 v7, v7, v21
	ds_write2_b32 v10, v2, v17 offset0:1 offset1:2
	ds_write2_b32 v10, v18, v19 offset0:3 offset1:4
	;; [unrolled: 1-line block ×3, first 2 shown]
	ds_write_b32 v10, v7 offset:28
.LBB215_34:                             ;   in Loop: Header=BB215_23 Depth=1
	s_or_b32 exec_lo, exec_lo, s22
	v_mov_b32_e32 v7, 0
	s_waitcnt lgkmcnt(0)
	s_barrier
	buffer_gl0_inv
	s_and_saveexec_b32 s22, s0
; %bb.35:                               ;   in Loop: Header=BB215_23 Depth=1
	ds_read_b32 v7, v0
; %bb.36:                               ;   in Loop: Header=BB215_23 Depth=1
	s_or_b32 exec_lo, exec_lo, s22
	ds_read_b32 v2, v5 offset:1048
	s_mov_b32 s22, exec_lo
	s_waitcnt lgkmcnt(0)
	s_barrier
	buffer_gl0_inv
	v_cmpx_ne_u32_e32 0, v6
	s_cbranch_execz .LBB215_21
; %bb.37:                               ;   in Loop: Header=BB215_23 Depth=1
	v_add_nc_u32_e32 v6, v7, v1
	v_mov_b32_e32 v7, v5
	v_cmp_gt_u64_e32 vcc_lo, s[10:11], v[6:7]
	s_and_b32 exec_lo, exec_lo, vcc_lo
	s_cbranch_execz .LBB215_21
; %bb.38:                               ;   in Loop: Header=BB215_23 Depth=1
	v_mad_u64_u32 v[17:18], null, s16, v6, 0
	v_mad_u64_u32 v[19:20], null, s4, v6, 0
	v_mov_b32_e32 v7, v18
	v_mov_b32_e32 v18, v20
	v_mad_u64_u32 v[20:21], null, s17, v6, v[7:8]
	v_mad_u64_u32 v[6:7], null, s5, v6, v[18:19]
	v_mov_b32_e32 v18, v20
	v_mov_b32_e32 v20, v6
	v_lshlrev_b64 v[6:7], 1, v[17:18]
	v_lshlrev_b64 v[17:18], 3, v[19:20]
	v_add_co_u32 v6, vcc_lo, s14, v6
	v_add_co_ci_u32_e64 v7, null, s15, v7, vcc_lo
	v_add_co_u32 v17, vcc_lo, s18, v17
	v_add_co_ci_u32_e64 v18, null, s19, v18, vcc_lo
	global_store_short v[6:7], v15, off
	global_store_dwordx2 v[17:18], v[4:5], off
	s_branch .LBB215_21
	.p2align	6
.LBB215_39:                             ;   in Loop: Header=BB215_40 Depth=1
	s_add_u32 s12, s12, 4
	s_addc_u32 s13, s13, 0
	s_waitcnt lgkmcnt(0)
	s_add_i32 s38, s3, s38
	s_add_u32 s14, s14, 4
	s_addc_u32 s15, s15, 0
	s_add_i32 s2, s2, 1
	s_cmp_lt_u32 s2, s7
	s_cbranch_scc0 .LBB215_18
.LBB215_40:                             ; =>This Inner Loop Header: Depth=1
	s_load_dword s3, s[12:13], 0x0
	s_cmp_ge_u32 s2, s36
	s_cbranch_scc1 .LBB215_39
; %bb.41:                               ;   in Loop: Header=BB215_40 Depth=1
	s_load_dword s18, s[14:15], 0x0
	s_waitcnt lgkmcnt(0)
	s_add_i32 s17, s3, s17
	s_add_i32 s16, s18, s16
	s_branch .LBB215_39
.LBB215_42:
	s_endpgm
	.section	.rodata,"a",@progbits
	.p2align	6, 0x0
	.amdhsa_kernel _ZN2at6native6mbtopk10gatherTopKIN3c108BFloat16EmLi1EEEvNS_4cuda6detail10TensorInfoIKT_T0_EESA_SA_bjSA_NS7_IS8_SA_EESA_NS7_IlSA_EESA_jjPS8_PjSF_j
		.amdhsa_group_segment_fixed_size 1068
		.amdhsa_private_segment_fixed_size 0
		.amdhsa_kernarg_size 1592
		.amdhsa_user_sgpr_count 6
		.amdhsa_user_sgpr_private_segment_buffer 1
		.amdhsa_user_sgpr_dispatch_ptr 0
		.amdhsa_user_sgpr_queue_ptr 0
		.amdhsa_user_sgpr_kernarg_segment_ptr 1
		.amdhsa_user_sgpr_dispatch_id 0
		.amdhsa_user_sgpr_flat_scratch_init 0
		.amdhsa_user_sgpr_private_segment_size 0
		.amdhsa_wavefront_size32 1
		.amdhsa_uses_dynamic_stack 0
		.amdhsa_system_sgpr_private_segment_wavefront_offset 0
		.amdhsa_system_sgpr_workgroup_id_x 1
		.amdhsa_system_sgpr_workgroup_id_y 1
		.amdhsa_system_sgpr_workgroup_id_z 1
		.amdhsa_system_sgpr_workgroup_info 0
		.amdhsa_system_vgpr_workitem_id 0
		.amdhsa_next_free_vgpr 25
		.amdhsa_next_free_sgpr 42
		.amdhsa_reserve_vcc 1
		.amdhsa_reserve_flat_scratch 0
		.amdhsa_float_round_mode_32 0
		.amdhsa_float_round_mode_16_64 0
		.amdhsa_float_denorm_mode_32 3
		.amdhsa_float_denorm_mode_16_64 3
		.amdhsa_dx10_clamp 1
		.amdhsa_ieee_mode 1
		.amdhsa_fp16_overflow 0
		.amdhsa_workgroup_processor_mode 1
		.amdhsa_memory_ordered 1
		.amdhsa_forward_progress 1
		.amdhsa_shared_vgpr_count 0
		.amdhsa_exception_fp_ieee_invalid_op 0
		.amdhsa_exception_fp_denorm_src 0
		.amdhsa_exception_fp_ieee_div_zero 0
		.amdhsa_exception_fp_ieee_overflow 0
		.amdhsa_exception_fp_ieee_underflow 0
		.amdhsa_exception_fp_ieee_inexact 0
		.amdhsa_exception_int_div_zero 0
	.end_amdhsa_kernel
	.section	.text._ZN2at6native6mbtopk10gatherTopKIN3c108BFloat16EmLi1EEEvNS_4cuda6detail10TensorInfoIKT_T0_EESA_SA_bjSA_NS7_IS8_SA_EESA_NS7_IlSA_EESA_jjPS8_PjSF_j,"axG",@progbits,_ZN2at6native6mbtopk10gatherTopKIN3c108BFloat16EmLi1EEEvNS_4cuda6detail10TensorInfoIKT_T0_EESA_SA_bjSA_NS7_IS8_SA_EESA_NS7_IlSA_EESA_jjPS8_PjSF_j,comdat
.Lfunc_end215:
	.size	_ZN2at6native6mbtopk10gatherTopKIN3c108BFloat16EmLi1EEEvNS_4cuda6detail10TensorInfoIKT_T0_EESA_SA_bjSA_NS7_IS8_SA_EESA_NS7_IlSA_EESA_jjPS8_PjSF_j, .Lfunc_end215-_ZN2at6native6mbtopk10gatherTopKIN3c108BFloat16EmLi1EEEvNS_4cuda6detail10TensorInfoIKT_T0_EESA_SA_bjSA_NS7_IS8_SA_EESA_NS7_IlSA_EESA_jjPS8_PjSF_j
                                        ; -- End function
	.set _ZN2at6native6mbtopk10gatherTopKIN3c108BFloat16EmLi1EEEvNS_4cuda6detail10TensorInfoIKT_T0_EESA_SA_bjSA_NS7_IS8_SA_EESA_NS7_IlSA_EESA_jjPS8_PjSF_j.num_vgpr, 25
	.set _ZN2at6native6mbtopk10gatherTopKIN3c108BFloat16EmLi1EEEvNS_4cuda6detail10TensorInfoIKT_T0_EESA_SA_bjSA_NS7_IS8_SA_EESA_NS7_IlSA_EESA_jjPS8_PjSF_j.num_agpr, 0
	.set _ZN2at6native6mbtopk10gatherTopKIN3c108BFloat16EmLi1EEEvNS_4cuda6detail10TensorInfoIKT_T0_EESA_SA_bjSA_NS7_IS8_SA_EESA_NS7_IlSA_EESA_jjPS8_PjSF_j.numbered_sgpr, 42
	.set _ZN2at6native6mbtopk10gatherTopKIN3c108BFloat16EmLi1EEEvNS_4cuda6detail10TensorInfoIKT_T0_EESA_SA_bjSA_NS7_IS8_SA_EESA_NS7_IlSA_EESA_jjPS8_PjSF_j.num_named_barrier, 0
	.set _ZN2at6native6mbtopk10gatherTopKIN3c108BFloat16EmLi1EEEvNS_4cuda6detail10TensorInfoIKT_T0_EESA_SA_bjSA_NS7_IS8_SA_EESA_NS7_IlSA_EESA_jjPS8_PjSF_j.private_seg_size, 0
	.set _ZN2at6native6mbtopk10gatherTopKIN3c108BFloat16EmLi1EEEvNS_4cuda6detail10TensorInfoIKT_T0_EESA_SA_bjSA_NS7_IS8_SA_EESA_NS7_IlSA_EESA_jjPS8_PjSF_j.uses_vcc, 1
	.set _ZN2at6native6mbtopk10gatherTopKIN3c108BFloat16EmLi1EEEvNS_4cuda6detail10TensorInfoIKT_T0_EESA_SA_bjSA_NS7_IS8_SA_EESA_NS7_IlSA_EESA_jjPS8_PjSF_j.uses_flat_scratch, 0
	.set _ZN2at6native6mbtopk10gatherTopKIN3c108BFloat16EmLi1EEEvNS_4cuda6detail10TensorInfoIKT_T0_EESA_SA_bjSA_NS7_IS8_SA_EESA_NS7_IlSA_EESA_jjPS8_PjSF_j.has_dyn_sized_stack, 0
	.set _ZN2at6native6mbtopk10gatherTopKIN3c108BFloat16EmLi1EEEvNS_4cuda6detail10TensorInfoIKT_T0_EESA_SA_bjSA_NS7_IS8_SA_EESA_NS7_IlSA_EESA_jjPS8_PjSF_j.has_recursion, 0
	.set _ZN2at6native6mbtopk10gatherTopKIN3c108BFloat16EmLi1EEEvNS_4cuda6detail10TensorInfoIKT_T0_EESA_SA_bjSA_NS7_IS8_SA_EESA_NS7_IlSA_EESA_jjPS8_PjSF_j.has_indirect_call, 0
	.section	.AMDGPU.csdata,"",@progbits
; Kernel info:
; codeLenInByte = 2512
; TotalNumSgprs: 44
; NumVgprs: 25
; ScratchSize: 0
; MemoryBound: 0
; FloatMode: 240
; IeeeMode: 1
; LDSByteSize: 1068 bytes/workgroup (compile time only)
; SGPRBlocks: 0
; VGPRBlocks: 3
; NumSGPRsForWavesPerEU: 44
; NumVGPRsForWavesPerEU: 25
; Occupancy: 16
; WaveLimiterHint : 1
; COMPUTE_PGM_RSRC2:SCRATCH_EN: 0
; COMPUTE_PGM_RSRC2:USER_SGPR: 6
; COMPUTE_PGM_RSRC2:TRAP_HANDLER: 0
; COMPUTE_PGM_RSRC2:TGID_X_EN: 1
; COMPUTE_PGM_RSRC2:TGID_Y_EN: 1
; COMPUTE_PGM_RSRC2:TGID_Z_EN: 1
; COMPUTE_PGM_RSRC2:TIDIG_COMP_CNT: 0
	.section	.text._ZN2at6native6sbtopk10gatherTopKIN3c108BFloat16EmLi1ELb0EEEvNS_4cuda6detail10TensorInfoIKT_T0_EESA_SA_bSA_SA_NS7_IS8_SA_EESA_NS7_IlSA_EESA_PS8_,"axG",@progbits,_ZN2at6native6sbtopk10gatherTopKIN3c108BFloat16EmLi1ELb0EEEvNS_4cuda6detail10TensorInfoIKT_T0_EESA_SA_bSA_SA_NS7_IS8_SA_EESA_NS7_IlSA_EESA_PS8_,comdat
	.protected	_ZN2at6native6sbtopk10gatherTopKIN3c108BFloat16EmLi1ELb0EEEvNS_4cuda6detail10TensorInfoIKT_T0_EESA_SA_bSA_SA_NS7_IS8_SA_EESA_NS7_IlSA_EESA_PS8_ ; -- Begin function _ZN2at6native6sbtopk10gatherTopKIN3c108BFloat16EmLi1ELb0EEEvNS_4cuda6detail10TensorInfoIKT_T0_EESA_SA_bSA_SA_NS7_IS8_SA_EESA_NS7_IlSA_EESA_PS8_
	.globl	_ZN2at6native6sbtopk10gatherTopKIN3c108BFloat16EmLi1ELb0EEEvNS_4cuda6detail10TensorInfoIKT_T0_EESA_SA_bSA_SA_NS7_IS8_SA_EESA_NS7_IlSA_EESA_PS8_
	.p2align	8
	.type	_ZN2at6native6sbtopk10gatherTopKIN3c108BFloat16EmLi1ELb0EEEvNS_4cuda6detail10TensorInfoIKT_T0_EESA_SA_bSA_SA_NS7_IS8_SA_EESA_NS7_IlSA_EESA_PS8_,@function
_ZN2at6native6sbtopk10gatherTopKIN3c108BFloat16EmLi1ELb0EEEvNS_4cuda6detail10TensorInfoIKT_T0_EESA_SA_bSA_SA_NS7_IS8_SA_EESA_NS7_IlSA_EESA_PS8_: ; @_ZN2at6native6sbtopk10gatherTopKIN3c108BFloat16EmLi1ELb0EEEvNS_4cuda6detail10TensorInfoIKT_T0_EESA_SA_bSA_SA_NS7_IS8_SA_EESA_NS7_IlSA_EESA_PS8_
; %bb.0:
	s_clause 0x1
	s_load_dwordx2 s[14:15], s[4:5], 0x520
	s_load_dwordx4 s[36:39], s[4:5], 0x1b8
	s_add_u32 s12, s4, 0x520
	s_addc_u32 s13, s5, 0
	s_mov_b32 s43, 0
	s_waitcnt lgkmcnt(0)
	s_mul_i32 s0, s15, s8
	s_add_i32 s0, s0, s7
	s_mul_i32 s0, s0, s14
	s_add_i32 s42, s0, s6
	v_cmp_le_u64_e64 s0, s[36:37], s[42:43]
	s_and_b32 vcc_lo, exec_lo, s0
	s_cbranch_vccnz .LBB216_472
; %bb.1:
	s_load_dwordx2 s[0:1], s[4:5], 0x440
                                        ; implicit-def: $vgpr51 : SGPR spill to VGPR lane
	v_cmp_eq_u32_e64 s3, 0, v0
	s_waitcnt lgkmcnt(0)
	v_writelane_b32 v51, s0, 0
	v_writelane_b32 v51, s1, 1
	s_load_dwordx2 s[0:1], s[4:5], 0x370
	s_waitcnt lgkmcnt(0)
	v_writelane_b32 v51, s0, 2
	v_writelane_b32 v51, s1, 3
	s_clause 0x1
	s_load_dwordx4 s[28:31], s[4:5], 0x1a0
	s_load_dwordx2 s[0:1], s[4:5], 0x1c8
	s_waitcnt lgkmcnt(0)
	v_writelane_b32 v51, s0, 4
	v_writelane_b32 v51, s1, 5
	s_clause 0x1
	s_load_dwordx2 s[0:1], s[4:5], 0xd0
	s_load_dwordx2 s[36:37], s[4:5], 0x0
	s_and_saveexec_b32 s2, s3
	s_cbranch_execz .LBB216_3
; %bb.2:
	v_mov_b32_e32 v1, 0
	v_mov_b32_e32 v3, s28
	;; [unrolled: 1-line block ×4, first 2 shown]
	ds_write_b32 v1, v1 offset:5144
	ds_write_b128 v1, v[1:4] offset:5120
.LBB216_3:
	s_or_b32 exec_lo, exec_lo, s2
	v_mad_u64_u32 v[4:5], null, s38, v0, 0
	s_load_dword s7, s[4:5], 0x1b0
	s_waitcnt lgkmcnt(0)
	s_mul_i32 s1, s1, s42
	s_mul_hi_u32 s2, s0, s42
	v_mbcnt_lo_u32_b32 v31, -1, 0
	s_mul_i32 s0, s0, s42
	s_add_i32 s1, s2, s1
	v_mov_b32_e32 v1, v5
	s_lshl_b64 s[40:41], s[0:1], 1
	v_cmp_gt_u32_e32 vcc_lo, 32, v0
	v_cmp_gt_i32_e64 s1, 4, v31
	s_add_u32 s54, s36, s40
	v_mad_u64_u32 v[1:2], null, s39, v0, v[1:2]
	v_mov_b32_e32 v3, 0
	s_addc_u32 s55, s37, s41
	v_add_nc_u32_e32 v2, 2, v0
	s_barrier
	buffer_gl0_inv
	v_mov_b32_e32 v5, v1
	s_bitcmp1_b32 s7, 0
	s_load_dword s8, s[12:13], 0xc
	s_cselect_b32 s2, -1, 0
	s_and_b32 s78, vcc_lo, s1
	v_lshlrev_b64 v[6:7], 1, v[4:5]
	v_lshlrev_b32_e32 v35, 3, v0
	s_xor_b32 s79, s2, -1
	v_writelane_b32 v51, s2, 6
	v_mov_b32_e32 v1, v3
	v_lshlrev_b32_e32 v32, 1, v0
	v_add_co_u32 v12, vcc_lo, s54, v6
	v_add_co_ci_u32_e64 v13, null, s55, v7, vcc_lo
	v_lshlrev_b64 v[6:7], v31, -1
	v_cmp_gt_u64_e32 vcc_lo, s[28:29], v[2:3]
	v_or_b32_e32 v10, 6, v35
	v_or_b32_e32 v25, 4, v35
	;; [unrolled: 1-line block ×3, first 2 shown]
	v_cmp_lt_u64_e64 s43, 0x600, s[28:29]
	v_not_b32_e32 v30, v6
	v_cndmask_b32_e64 v2, v2, s28, vcc_lo
	v_not_b32_e32 v6, v0
	v_cndmask_b32_e64 v7, 0, s29, vcc_lo
	v_mad_u64_u32 v[19:20], null, s38, v10, 0
	s_waitcnt lgkmcnt(0)
	s_and_b32 s33, s8, 0xffff
	v_add_co_u32 v6, vcc_lo, v2, v6
	v_add_co_ci_u32_e64 v7, null, -1, v7, vcc_lo
	v_mad_u64_u32 v[21:22], null, s38, v25, 0
	v_and_b32_e32 v16, -2, v6
	v_mad_u64_u32 v[23:24], null, s38, v26, 0
	s_bfe_u32 s7, s33, 0x80008
	s_bfe_u32 s8, s8, 0xb0005
	v_add_co_u32 v18, vcc_lo, v16, v0
	v_add_co_ci_u32_e64 v2, null, 0, v7, vcc_lo
	v_mov_b32_e32 v2, v20
	s_lshl_b32 s80, s7, 3
	s_cmp_gt_u32 s33, 31
	v_mov_b32_e32 v8, v22
	s_cselect_b32 s81, -1, 0
	s_add_u32 s82, s33, -1
	v_mad_u64_u32 v[10:11], null, s39, v10, v[2:3]
	s_addc_u32 s83, 0, -1
	s_add_u32 s84, s82, s28
	v_mov_b32_e32 v9, v24
	s_addc_u32 s57, s83, s29
	s_cmp_lt_u32 s6, s14
	s_movk_i32 s6, 0x3e0
	s_cselect_b32 s7, 12, 18
	v_mad_u64_u32 v[24:25], null, s39, v25, v[8:9]
	s_add_u32 s58, s12, s7
	v_mad_u64_u32 v[8:9], null, s39, v26, v[9:10]
	s_addc_u32 s59, s13, 0
	v_cmp_lt_u64_e64 s2, 1, v[6:7]
	s_add_i32 s8, s8, -1
	v_mov_b32_e32 v17, v7
	v_and_or_b32 v34, v0, s6, 0xc00
	s_and_b32 s6, s8, 0xffff
	s_bfe_u32 s87, s33, 0x30005
	s_cmp_gt_u32 s6, 6
	v_cmp_gt_u64_e64 s1, s[28:29], v[0:1]
	v_writelane_b32 v51, s2, 7
	s_cselect_b32 s88, -1, 0
	s_cmp_lg_u32 s87, 0
	v_cmp_ne_u64_e64 s2, v[6:7], v[16:17]
	v_mov_b32_e32 v36, v24
	v_lshlrev_b64 v[24:25], 3, v[4:5]
	s_mul_i32 s6, s39, s33
	s_mul_hi_u32 s9, s38, s33
	v_mov_b32_e32 v26, s30
	v_cmp_eq_u32_e64 s0, 0, v31
	v_lshlrev_b32_e32 v14, 2, v0
	v_mov_b32_e32 v15, v3
	v_cmp_gt_u32_e64 s10, 2, v0
	v_add_nc_u32_e32 v33, 0xc00, v32
	v_mov_b32_e32 v22, v10
	v_mov_b32_e32 v37, v8
	v_lshl_or_b32 v38, v31, 3, 0xc00
	v_mov_b32_e32 v27, s31
	v_mov_b32_e32 v39, 0x8000
	v_mov_b32_e32 v40, -1
	v_mov_b32_e32 v42, 0
	v_mov_b32_e32 v20, 0
	;; [unrolled: 1-line block ×3, first 2 shown]
	s_cselect_b32 s89, -1, 0
	s_add_i32 s13, s9, s6
	s_mul_i32 s12, s38, s33
	s_mov_b32 s53, 0
	s_mov_b32 s85, s38
	;; [unrolled: 1-line block ×3, first 2 shown]
	s_lshl_b64 s[60:61], s[38:39], 1
	s_lshl_b64 s[62:63], s[38:39], 3
	s_lshl_b32 s90, s33, 1
	s_lshl_b64 s[34:35], s[12:13], 1
	s_mov_b32 s91, 14
	s_movk_i32 s93, 0x3f80
	s_mov_b32 s92, 0
	s_mov_b32 s95, 0
	v_writelane_b32 v51, s2, 8
                                        ; implicit-def: $sgpr94
                                        ; implicit-def: $sgpr98
                                        ; implicit-def: $sgpr97
                                        ; implicit-def: $sgpr99
                                        ; implicit-def: $sgpr96
                                        ; implicit-def: $sgpr45
                                        ; implicit-def: $sgpr48
                                        ; implicit-def: $sgpr104
                                        ; implicit-def: $sgpr44
                                        ; implicit-def: $vcc_hi
	s_branch .LBB216_6
.LBB216_4:                              ;   in Loop: Header=BB216_6 Depth=1
	s_or_b32 exec_lo, exec_lo, s12
	v_mov_b32_e32 v27, v5
	v_mov_b32_e32 v26, v4
	s_andn2_b32 s2, vcc_hi, exec_lo
	s_and_b32 s7, s11, exec_lo
	s_andn2_b32 s44, s44, exec_lo
	s_or_b32 vcc_hi, s2, s7
	s_andn2_b32 s104, s104, exec_lo
	s_andn2_b32 s48, s48, exec_lo
	;; [unrolled: 1-line block ×3, first 2 shown]
	s_orn2_b32 s11, s9, exec_lo
.LBB216_5:                              ;   in Loop: Header=BB216_6 Depth=1
	s_or_b32 exec_lo, exec_lo, s6
	s_and_b32 s6, exec_lo, s11
	s_or_b32 s92, s6, s92
	s_andn2_b32 s6, s96, exec_lo
	s_and_b32 s9, vcc_hi, exec_lo
	s_andn2_b32 s11, s99, exec_lo
	s_or_b32 s96, s6, s9
	s_and_b32 s6, s44, exec_lo
	s_andn2_b32 s9, s97, exec_lo
	s_and_b32 s12, s104, exec_lo
	s_or_b32 s99, s11, s6
	s_or_b32 s97, s9, s12
	s_andn2_b32 s6, s98, exec_lo
	s_and_b32 s9, s48, exec_lo
	s_andn2_b32 s11, s94, exec_lo
	s_and_b32 s12, s45, exec_lo
	s_or_b32 s98, s6, s9
	s_or_b32 s94, s11, s12
	s_andn2_b32 exec_lo, exec_lo, s92
	s_cbranch_execz .LBB216_468
.LBB216_6:                              ; =>This Loop Header: Depth=1
                                        ;     Child Loop BB216_11 Depth 2
                                        ;     Child Loop BB216_25 Depth 2
	;; [unrolled: 1-line block ×25, first 2 shown]
	ds_read_b128 v[4:7], v3 offset:5120
	s_waitcnt lgkmcnt(0)
	v_readfirstlane_b32 s65, v5
	v_readfirstlane_b32 s64, v4
	s_cmp_lg_u64 s[64:65], 0
	s_cbranch_scc1 .LBB216_38
; %bb.7:                                ;   in Loop: Header=BB216_6 Depth=1
	s_and_b32 vcc_lo, exec_lo, s43
	s_cbranch_vccz .LBB216_19
; %bb.8:                                ;   in Loop: Header=BB216_6 Depth=1
	v_cmp_gt_u64_e32 vcc_lo, 0x601, v[6:7]
	s_mov_b32 s11, 0
	s_mov_b32 s6, 0
	s_cbranch_vccz .LBB216_20
; %bb.9:                                ;   in Loop: Header=BB216_6 Depth=1
	global_load_ushort v4, v3, s[58:59]
	global_load_ushort v8, v[12:13], off
	s_mov_b32 s13, 0
	s_waitcnt vmcnt(1)
	v_and_b32_e32 v2, 0xffff, v4
	v_add_co_u32 v5, s6, v0, v2
	v_add_co_ci_u32_e64 v6, null, 0, 0, s6
	v_readfirstlane_b32 s6, v4
	v_mul_lo_u32 v7, s61, v5
	v_mad_u64_u32 v[4:5], null, s60, v5, s[54:55]
	v_mul_lo_u32 v6, s60, v6
	s_and_b32 s6, 0xffff, s6
	s_mul_i32 s9, s61, s6
	s_mul_hi_u32 s12, s60, s6
	s_mul_i32 s14, s60, s6
	s_add_i32 s12, s12, s9
	v_add3_u32 v5, v7, v5, v6
	v_mov_b32_e32 v7, v1
	v_mov_b32_e32 v6, v0
	s_branch .LBB216_11
.LBB216_10:                             ;   in Loop: Header=BB216_11 Depth=2
	s_or_b32 exec_lo, exec_lo, s9
	v_add_co_u32 v4, vcc_lo, v4, s14
	v_add_co_ci_u32_e64 v5, null, s12, v5, vcc_lo
	v_mov_b32_e32 v8, v9
	s_andn2_b32 exec_lo, exec_lo, s13
	s_cbranch_execz .LBB216_92
.LBB216_11:                             ;   Parent Loop BB216_6 Depth=1
                                        ; =>  This Inner Loop Header: Depth=2
	v_add_co_u32 v6, vcc_lo, v6, v2
	v_add_co_ci_u32_e64 v7, null, 0, v7, vcc_lo
	s_waitcnt lgkmcnt(0)
	v_mov_b32_e32 v10, 0
	v_mov_b32_e32 v9, 0
	s_mov_b32 s9, exec_lo
	v_cmp_le_u64_e32 vcc_lo, s[28:29], v[6:7]
	v_cmpx_gt_u64_e64 s[28:29], v[6:7]
	s_cbranch_execz .LBB216_13
; %bb.12:                               ;   in Loop: Header=BB216_11 Depth=2
	global_load_ushort v9, v[4:5], off
.LBB216_13:                             ;   in Loop: Header=BB216_11 Depth=2
	s_or_b32 exec_lo, exec_lo, s9
	s_waitcnt vmcnt(0)
	v_cmp_lt_i16_e64 s6, -1, v8
	v_lshlrev_b32_e32 v28, 16, v8
	v_cndmask_b32_e64 v11, 0xffff, v39, s6
	v_cmp_o_f32_e64 s6, v28, v28
	v_xor_b32_sdwa v11, v11, v8 dst_sel:DWORD dst_unused:UNUSED_PAD src0_sel:DWORD src1_sel:WORD_0
	v_cndmask_b32_e64 v11, 0xffff, v11, s6
	v_and_b32_e32 v11, v11, v41
	v_cmp_eq_u32_e64 s6, v11, v20
	s_cmp_lg_u32 s6, 0
	s_cselect_b32 s9, -1, 0
	s_and_b32 s9, s0, s9
	s_and_saveexec_b32 s15, s9
	s_cbranch_execz .LBB216_17
; %bb.14:                               ;   in Loop: Header=BB216_11 Depth=2
	s_mov_b32 s18, exec_lo
	s_bcnt1_i32_b32 s16, s6
	v_mbcnt_lo_u32_b32 v10, s18, 0
	s_mov_b32 s17, exec_lo
                                        ; implicit-def: $vgpr11
	v_cmpx_eq_u32_e32 0, v10
; %bb.15:                               ;   in Loop: Header=BB216_11 Depth=2
	s_bcnt1_i32_b32 s9, s18
	s_mul_i32 s9, s16, s9
	v_mov_b32_e32 v11, s9
	ds_add_rtn_u32 v11, v3, v11 offset:5144
; %bb.16:                               ;   in Loop: Header=BB216_11 Depth=2
	s_or_b32 exec_lo, exec_lo, s17
	s_waitcnt lgkmcnt(0)
	v_readfirstlane_b32 s9, v11
	v_mad_u32_u24 v10, s16, v10, s9
.LBB216_17:                             ;   in Loop: Header=BB216_11 Depth=2
	s_or_b32 exec_lo, exec_lo, s15
	ds_bpermute_b32 v10, v3, v10
	s_and_b32 s9, exec_lo, vcc_lo
	s_or_b32 s13, s9, s13
	s_and_saveexec_b32 s9, s6
	s_cbranch_execz .LBB216_10
; %bb.18:                               ;   in Loop: Header=BB216_11 Depth=2
	v_and_b32_e32 v11, s6, v30
	v_bcnt_u32_b32 v11, v11, 0
	v_lshlrev_b32_e32 v11, 1, v11
	s_waitcnt lgkmcnt(0)
	v_lshl_add_u32 v10, v10, 1, v11
	ds_write_b16 v10, v8
	s_branch .LBB216_10
.LBB216_19:                             ;   in Loop: Header=BB216_6 Depth=1
	s_mov_b32 s11, -1
	s_mov_b32 s6, 0
.LBB216_20:                             ;   in Loop: Header=BB216_6 Depth=1
	s_and_b32 vcc_lo, exec_lo, s11
	s_cbranch_vccz .LBB216_36
.LBB216_21:                             ;   in Loop: Header=BB216_6 Depth=1
	s_and_saveexec_b32 s9, s1
	s_cbranch_execz .LBB216_33
; %bb.22:                               ;   in Loop: Header=BB216_6 Depth=1
	global_load_ushort v4, v3, s[58:59]
	global_load_ushort v11, v[12:13], off
	v_mov_b32_e32 v8, v0
	s_mov_b32 s11, exec_lo
	s_waitcnt vmcnt(1)
	v_add_nc_u32_sdwa v2, v4, v0 dst_sel:DWORD dst_unused:UNUSED_PAD src0_sel:WORD_0 src1_sel:DWORD
	v_readfirstlane_b32 s6, v4
	v_cmpx_gt_u64_e64 s[28:29], v[2:3]
	s_cbranch_execz .LBB216_32
; %bb.23:                               ;   in Loop: Header=BB216_6 Depth=1
	s_and_b32 s12, s6, 0xffff
	v_readlane_b32 s2, v51, 7
	v_mov_b32_e32 v7, v1
	s_cmp_eq_u32 s12, 1
	v_mov_b32_e32 v5, v3
	v_mov_b32_e32 v6, v0
	;; [unrolled: 1-line block ×3, first 2 shown]
	s_cselect_b32 s6, -1, 0
                                        ; implicit-def: $vgpr8_vgpr9
	s_and_b32 s14, s2, s6
	s_mov_b32 s6, -1
	s_and_saveexec_b32 s13, s14
	s_cbranch_execz .LBB216_27
; %bb.24:                               ;   in Loop: Header=BB216_6 Depth=1
	v_add_co_u32 v4, s6, v2, 1
	v_add_co_ci_u32_e64 v5, null, 0, 0, s6
	v_mov_b32_e32 v8, v16
	s_waitcnt vmcnt(0)
	v_lshlrev_b32_e32 v28, 16, v11
	v_mov_b32_e32 v9, v17
	v_mov_b32_e32 v7, v5
	;; [unrolled: 1-line block ×6, first 2 shown]
	s_mov_b32 s14, 0
.LBB216_25:                             ;   Parent Loop BB216_6 Depth=1
                                        ; =>  This Inner Loop Header: Depth=2
	v_mul_lo_u32 v11, v5, s85
	v_mul_lo_u32 v29, v4, s86
	v_mad_u64_u32 v[43:44], null, v4, s85, 0
	v_mul_lo_u32 v47, v7, s38
	v_mul_lo_u32 v48, v6, s39
	v_mad_u64_u32 v[45:46], null, v6, s38, 0
	v_add3_u32 v44, v44, v29, v11
	v_add3_u32 v46, v46, v48, v47
	v_lshlrev_b64 v[43:44], 1, v[43:44]
	v_lshlrev_b64 v[45:46], 1, v[45:46]
	v_add_co_u32 v43, vcc_lo, s54, v43
	v_add_co_ci_u32_e64 v44, null, s55, v44, vcc_lo
	v_add_co_u32 v45, vcc_lo, s54, v45
	v_add_co_ci_u32_e64 v46, null, s55, v46, vcc_lo
	s_clause 0x1
	global_load_ushort v29, v[43:44], off
	global_load_ushort v11, v[45:46], off
	v_add_co_u32 v8, vcc_lo, v8, -2
	v_add_co_ci_u32_e64 v9, null, -1, v9, vcc_lo
	v_add_co_u32 v6, vcc_lo, v6, 2
	v_add_co_ci_u32_e64 v7, null, 0, v7, vcc_lo
	v_cmp_eq_u64_e64 s6, 0, v[8:9]
	v_add_co_u32 v4, vcc_lo, v4, 2
	v_add_co_ci_u32_e64 v5, null, 0, v5, vcc_lo
	s_or_b32 s14, s6, s14
	s_waitcnt vmcnt(1)
	v_alignbit_b32 v28, v29, v28, 16
	s_waitcnt vmcnt(0)
	v_perm_b32 v29, v11, v29, 0x5040100
	ds_write_b32 v10, v28
	v_add_nc_u32_e32 v10, 4, v10
	v_mov_b32_e32 v28, v29
	s_andn2_b32 exec_lo, exec_lo, s14
	s_cbranch_execnz .LBB216_25
; %bb.26:                               ;   in Loop: Header=BB216_6 Depth=1
	s_or_b32 exec_lo, exec_lo, s14
	v_add_co_u32 v4, vcc_lo, v2, v16
	v_readlane_b32 s2, v51, 8
	v_add_co_ci_u32_e64 v5, null, 0, v17, vcc_lo
	v_add_co_u32 v8, vcc_lo, v4, -1
	v_mov_b32_e32 v6, v18
	s_orn2_b32 s6, s2, exec_lo
	v_add_co_ci_u32_e64 v2, null, -1, v5, vcc_lo
	v_mov_b32_e32 v7, v19
.LBB216_27:                             ;   in Loop: Header=BB216_6 Depth=1
	s_or_b32 exec_lo, exec_lo, s13
	s_and_saveexec_b32 s13, s6
	s_cbranch_execz .LBB216_31
; %bb.28:                               ;   in Loop: Header=BB216_6 Depth=1
	v_mad_u64_u32 v[9:10], null, s60, v4, s[54:55]
	v_mul_lo_u32 v2, s60, v5
	v_mul_lo_u32 v7, s61, v4
	s_mul_i32 s6, s61, s12
	s_mul_hi_u32 s16, s60, s12
	s_sub_u32 s14, 0, s12
	s_subb_u32 s15, 0, 0
	s_add_i32 s16, s16, s6
	s_mul_i32 s17, s60, s12
	s_mov_b32 s18, 0
	v_add3_u32 v10, v7, v10, v2
	.p2align	6
.LBB216_29:                             ;   Parent Loop BB216_6 Depth=1
                                        ; =>  This Inner Loop Header: Depth=2
	s_waitcnt vmcnt(0)
	v_mov_b32_e32 v2, v11
	global_load_ushort v11, v[9:10], off
	v_mov_b32_e32 v29, v5
	v_mov_b32_e32 v28, v4
	v_lshlrev_b32_e32 v43, 1, v6
	v_add_co_u32 v4, vcc_lo, v28, s12
	v_add_co_ci_u32_e64 v5, null, 0, v29, vcc_lo
	v_add_co_u32 v9, vcc_lo, v9, s17
	v_add_co_ci_u32_e64 v10, null, s16, v10, vcc_lo
	v_cmp_le_u64_e32 vcc_lo, s[28:29], v[4:5]
	v_add_co_u32 v8, s6, s14, v4
	v_add_co_ci_u32_e64 v6, null, s15, v5, s6
	v_mov_b32_e32 v6, v28
	s_or_b32 s18, vcc_lo, s18
	v_mov_b32_e32 v7, v29
	ds_write_b16 v43, v2
	s_andn2_b32 exec_lo, exec_lo, s18
	s_cbranch_execnz .LBB216_29
; %bb.30:                               ;   in Loop: Header=BB216_6 Depth=1
	s_or_b32 exec_lo, exec_lo, s18
.LBB216_31:                             ;   in Loop: Header=BB216_6 Depth=1
	s_or_b32 exec_lo, exec_lo, s13
.LBB216_32:                             ;   in Loop: Header=BB216_6 Depth=1
	s_or_b32 exec_lo, exec_lo, s11
	v_lshlrev_b32_e32 v2, 1, v8
	s_waitcnt vmcnt(0)
	ds_write_b16 v2, v11
.LBB216_33:                             ;   in Loop: Header=BB216_6 Depth=1
	s_or_b32 exec_lo, exec_lo, s9
	s_waitcnt lgkmcnt(0)
	s_barrier
	buffer_gl0_inv
	s_and_saveexec_b32 s6, s3
; %bb.34:                               ;   in Loop: Header=BB216_6 Depth=1
	v_mov_b32_e32 v4, s28
	v_mov_b32_e32 v5, s29
	ds_write_b64 v3, v[4:5] offset:5120
; %bb.35:                               ;   in Loop: Header=BB216_6 Depth=1
	s_or_b32 exec_lo, exec_lo, s6
	s_mov_b32 s6, -1
	s_waitcnt lgkmcnt(0)
	s_barrier
.LBB216_36:                             ;   in Loop: Header=BB216_6 Depth=1
	s_and_b32 vcc_lo, exec_lo, s6
	s_mov_b64 s[64:65], 0
	s_cbranch_vccz .LBB216_38
; %bb.37:                               ;   in Loop: Header=BB216_6 Depth=1
	buffer_gl0_inv
	ds_read_b64 v[4:5], v3 offset:5120
	s_waitcnt lgkmcnt(0)
	v_readfirstlane_b32 s64, v4
.LBB216_38:                             ;   in Loop: Header=BB216_6 Depth=1
	s_cmp_lt_i32 s64, 1
	s_mov_b32 s6, -1
                                        ; implicit-def: $vgpr4_vgpr5
                                        ; implicit-def: $vgpr8_vgpr9
	s_cbranch_scc1 .LBB216_48
; %bb.39:                               ;   in Loop: Header=BB216_6 Depth=1
	s_and_b32 vcc_lo, exec_lo, s6
	s_cbranch_vccnz .LBB216_62
.LBB216_40:                             ;   in Loop: Header=BB216_6 Depth=1
	s_lshl_b32 s6, s95, 7
	s_and_saveexec_b32 s9, s0
	s_cbranch_execz .LBB216_42
.LBB216_41:                             ;   in Loop: Header=BB216_6 Depth=1
	v_lshl_add_u32 v2, s6, 3, v34
	ds_write_b128 v2, v[4:7]
	ds_write_b128 v2, v[8:11] offset:16
.LBB216_42:                             ;   in Loop: Header=BB216_6 Depth=1
	s_or_b32 exec_lo, exec_lo, s9
	s_waitcnt lgkmcnt(0)
	s_barrier
	buffer_gl0_inv
	s_and_saveexec_b32 s9, s78
	s_cbranch_execz .LBB216_76
; %bb.43:                               ;   in Loop: Header=BB216_6 Depth=1
	v_mov_b32_e32 v4, 0
	v_mov_b32_e32 v5, 0
	s_andn2_b32 vcc_lo, exec_lo, s81
	s_cbranch_vccnz .LBB216_75
; %bb.44:                               ;   in Loop: Header=BB216_6 Depth=1
	v_mov_b32_e32 v4, 0
	v_mov_b32_e32 v5, 0
	s_andn2_b32 vcc_lo, exec_lo, s88
	s_cbranch_vccnz .LBB216_72
; %bb.45:                               ;   in Loop: Header=BB216_6 Depth=1
	v_lshl_add_u32 v2, s95, 10, v38
	s_mov_b32 s11, 0
	s_inst_prefetch 0x1
	.p2align	6
.LBB216_46:                             ;   Parent Loop BB216_6 Depth=1
                                        ; =>  This Inner Loop Header: Depth=2
	ds_read2_b64 v[6:9], v2 offset1:4
	ds_read2_b64 v[43:46], v2 offset0:8 offset1:12
	ds_read2_b64 v[47:50], v2 offset0:16 offset1:20
	s_add_i32 s11, s11, 8
	s_cmp_eq_u32 s80, s11
	s_waitcnt lgkmcnt(2)
	v_add_co_u32 v4, vcc_lo, v6, v4
	v_add_co_ci_u32_e64 v5, null, v7, v5, vcc_lo
	v_add_co_u32 v8, vcc_lo, v8, v4
	v_add_co_ci_u32_e64 v9, null, v9, v5, vcc_lo
	ds_read2_b64 v[4:7], v2 offset0:24 offset1:28
	s_waitcnt lgkmcnt(2)
	v_add_co_u32 v8, vcc_lo, v43, v8
	v_add_co_ci_u32_e64 v9, null, v44, v9, vcc_lo
	v_add_nc_u32_e32 v2, 0x100, v2
	v_add_co_u32 v8, vcc_lo, v45, v8
	v_add_co_ci_u32_e64 v9, null, v46, v9, vcc_lo
	s_waitcnt lgkmcnt(1)
	v_add_co_u32 v8, vcc_lo, v47, v8
	v_add_co_ci_u32_e64 v9, null, v48, v9, vcc_lo
	v_add_co_u32 v8, vcc_lo, v49, v8
	v_add_co_ci_u32_e64 v9, null, v50, v9, vcc_lo
	s_waitcnt lgkmcnt(0)
	v_add_co_u32 v4, vcc_lo, v4, v8
	v_add_co_ci_u32_e64 v5, null, v5, v9, vcc_lo
	v_add_co_u32 v4, vcc_lo, v6, v4
	v_add_co_ci_u32_e64 v5, null, v7, v5, vcc_lo
	s_cbranch_scc0 .LBB216_46
; %bb.47:                               ;   in Loop: Header=BB216_6 Depth=1
	s_inst_prefetch 0x2
	s_mov_b32 s11, s80
	s_andn2_b32 vcc_lo, exec_lo, s89
	s_cbranch_vccz .LBB216_73
	s_branch .LBB216_75
.LBB216_48:                             ;   in Loop: Header=BB216_6 Depth=1
	global_load_ushort v2, v3, s[58:59]
	s_mov_b32 s12, s53
	s_mov_b32 s13, s29
	s_waitcnt vmcnt(0)
	v_readfirstlane_b32 s6, v2
	s_and_b32 s49, s6, 0xffff
	s_lshl_b32 s56, s49, 2
	s_cmp_lg_u64 s[12:13], 0
	s_cbranch_scc0 .LBB216_71
; %bb.49:                               ;   in Loop: Header=BB216_6 Depth=1
	v_cvt_f32_u32_e32 v2, s56
	s_sub_u32 s11, 0, s56
	s_subb_u32 s12, 0, 0
	v_fmac_f32_e64 v2, 0x4f800000, 0
	v_rcp_f32_e32 v2, v2
	v_mul_f32_e32 v2, 0x5f7ffffc, v2
	v_mul_f32_e32 v4, 0x2f800000, v2
	v_trunc_f32_e32 v4, v4
	v_fmac_f32_e32 v2, 0xcf800000, v4
	v_cvt_u32_f32_e32 v4, v4
	v_cvt_u32_f32_e32 v2, v2
	v_readfirstlane_b32 s6, v4
	v_readfirstlane_b32 s9, v2
	s_mul_i32 s13, s11, s6
	s_mul_hi_u32 s15, s11, s9
	s_mul_i32 s14, s12, s9
	s_add_i32 s13, s15, s13
	s_mul_i32 s16, s11, s9
	s_add_i32 s13, s13, s14
	s_mul_hi_u32 s15, s9, s16
	s_mul_i32 s18, s9, s13
	s_mul_hi_u32 s17, s6, s16
	s_mul_i32 s14, s6, s16
	s_mul_hi_u32 s16, s9, s13
	s_add_u32 s15, s15, s18
	s_addc_u32 s16, 0, s16
	s_mul_hi_u32 s19, s6, s13
	s_add_u32 s14, s15, s14
	s_mul_i32 s13, s6, s13
	s_addc_u32 s14, s16, s17
	s_addc_u32 s15, s19, 0
	s_add_u32 s13, s14, s13
	s_addc_u32 s14, 0, s15
	s_add_u32 s9, s9, s13
	s_cselect_b32 s13, -1, 0
	s_mul_hi_u32 s15, s11, s9
	s_cmp_lg_u32 s13, 0
	s_mul_i32 s13, s11, s9
	s_addc_u32 s6, s6, s14
	s_mul_i32 s12, s12, s9
	s_mul_i32 s11, s11, s6
	s_mul_hi_u32 s14, s9, s13
	s_add_i32 s11, s15, s11
	s_mul_hi_u32 s15, s6, s13
	s_add_i32 s11, s11, s12
	s_mul_i32 s12, s6, s13
	s_mul_i32 s17, s9, s11
	s_mul_hi_u32 s16, s9, s11
	s_add_u32 s14, s14, s17
	s_addc_u32 s16, 0, s16
	s_mul_hi_u32 s13, s6, s11
	s_add_u32 s12, s14, s12
	s_mul_i32 s11, s6, s11
	s_addc_u32 s12, s16, s15
	s_addc_u32 s13, s13, 0
	s_add_u32 s11, s12, s11
	s_addc_u32 s12, 0, s13
	s_add_u32 s9, s9, s11
	s_cselect_b32 s11, -1, 0
	s_mul_hi_u32 s13, s28, s9
	s_cmp_lg_u32 s11, 0
	s_mul_hi_u32 s11, s29, s9
	s_addc_u32 s6, s6, s12
	s_mul_i32 s9, s29, s9
	s_mul_i32 s14, s28, s6
	s_mul_hi_u32 s12, s28, s6
	s_add_u32 s13, s13, s14
	s_addc_u32 s12, 0, s12
	s_mul_hi_u32 s15, s29, s6
	s_add_u32 s9, s13, s9
	s_mul_i32 s6, s29, s6
	s_addc_u32 s9, s12, s11
	s_addc_u32 s11, s15, 0
	s_add_u32 s6, s9, s6
	s_addc_u32 s9, 0, s11
	s_mul_hi_u32 s11, s56, s6
	s_mul_i32 s9, s56, s9
	s_mul_i32 s6, s56, s6
	s_add_i32 s11, s11, s9
	s_sub_u32 s6, s28, s6
	s_cselect_b32 s9, -1, 0
	s_cmp_lg_u32 s9, 0
	s_subb_u32 s9, s29, s11
	s_sub_u32 s11, s6, s56
	s_cselect_b32 s12, -1, 0
	s_cmp_lg_u32 s12, 0
	s_subb_u32 s12, s9, 0
	;; [unrolled: 4-line block ×3, first 2 shown]
	s_cmp_ge_u32 s11, s56
	s_cselect_b32 s15, -1, 0
	s_cmp_eq_u32 s12, 0
	s_cselect_b32 s15, s15, -1
	s_cmp_lg_u32 s15, 0
	s_cselect_b32 s12, s14, s12
	s_cselect_b32 s11, s13, s11
	s_cmp_ge_u32 s6, s56
	s_cselect_b32 s13, -1, 0
	s_cmp_eq_u32 s9, 0
	s_cselect_b32 s13, s13, -1
	s_cmp_lg_u32 s13, 0
	s_cselect_b32 s13, s12, s9
	s_cselect_b32 s12, s11, s6
	s_cbranch_execnz .LBB216_51
.LBB216_50:                             ;   in Loop: Header=BB216_6 Depth=1
	v_cvt_f32_u32_e32 v2, s56
	s_sub_i32 s9, 0, s56
	v_rcp_iflag_f32_e32 v2, v2
	v_mul_f32_e32 v2, 0x4f7ffffe, v2
	v_cvt_u32_f32_e32 v2, v2
	v_readfirstlane_b32 s6, v2
	s_mul_i32 s9, s9, s6
	s_mul_hi_u32 s9, s6, s9
	s_add_i32 s6, s6, s9
	s_mul_hi_u32 s6, s28, s6
	s_mul_i32 s6, s6, s56
	s_sub_i32 s6, s28, s6
	s_sub_i32 s9, s6, s56
	s_cmp_ge_u32 s6, s56
	s_cselect_b32 s6, s9, s6
	s_sub_i32 s9, s6, s56
	s_cmp_ge_u32 s6, s56
	s_cselect_b32 s52, s9, s6
	s_mov_b64 s[12:13], s[52:53]
.LBB216_51:                             ;   in Loop: Header=BB216_6 Depth=1
	v_mov_b32_e32 v4, 0
	v_mov_b32_e32 v6, 0
	;; [unrolled: 1-line block ×8, first 2 shown]
	s_sub_u32 s66, s28, s12
	s_subb_u32 s67, s29, s13
	s_mov_b32 s46, exec_lo
	v_cmpx_gt_u64_e64 s[66:67], v[14:15]
	s_cbranch_execz .LBB216_55
; %bb.52:                               ;   in Loop: Header=BB216_6 Depth=1
	v_mov_b32_e32 v29, v15
	v_mov_b32_e32 v28, v14
	s_mul_i32 s6, s63, s49
	s_mul_hi_u32 s9, s62, s49
	s_mov_b64 s[68:69], 0
	s_add_i32 s47, s9, s6
	s_mov_b32 s52, 0
	s_mov_b64 s[70:71], s[54:55]
	s_mov_b64 s[72:73], 0
	;; [unrolled: 1-line block ×4, first 2 shown]
.LBB216_53:                             ;   Parent Loop BB216_6 Depth=1
                                        ; =>  This Inner Loop Header: Depth=2
	v_add_co_u32 v4, vcc_lo, s70, v23
	v_add_co_ci_u32_e64 v5, null, s71, v37, vcc_lo
	global_load_ushort v2, v[4:5], off
	v_add_co_u32 v4, vcc_lo, s70, v21
	v_add_co_ci_u32_e64 v5, null, s71, v36, vcc_lo
	global_load_ushort v6, v[4:5], off
	;; [unrolled: 3-line block ×4, first 2 shown]
	s_waitcnt vmcnt(3)
	v_cmp_lt_i16_e32 vcc_lo, -1, v2
	v_cndmask_b32_e32 v5, 0xffff, v39, vcc_lo
	s_waitcnt vmcnt(2)
	v_cmp_lt_i16_e64 s6, -1, v6
	v_xor_b32_sdwa v5, v5, v2 dst_sel:DWORD dst_unused:UNUSED_PAD src0_sel:DWORD src1_sel:WORD_0
	v_lshlrev_b32_e32 v2, 16, v2
	s_waitcnt vmcnt(1)
	v_cmp_lt_i16_e64 s11, -1, v7
	v_cmp_o_f32_e32 vcc_lo, v2, v2
	v_cndmask_b32_e64 v2, 0xffff, v39, s6
	v_cndmask_b32_e32 v5, 0xffff, v5, vcc_lo
	v_xor_b32_sdwa v2, v2, v6 dst_sel:DWORD dst_unused:UNUSED_PAD src0_sel:DWORD src1_sel:WORD_0
	v_lshlrev_b32_e32 v6, 16, v6
	s_waitcnt vmcnt(0)
	v_cmp_lt_i16_e64 s9, -1, v4
	v_cmp_o_f32_e64 s6, v6, v6
	v_cndmask_b32_e64 v6, 0xffff, v39, s9
	v_cndmask_b32_e64 v2, 0xffff, v2, s6
	v_xor_b32_sdwa v6, v6, v4 dst_sel:DWORD dst_unused:UNUSED_PAD src0_sel:DWORD src1_sel:WORD_0
	v_lshlrev_b32_e32 v4, 16, v4
	v_cmp_o_f32_e64 s9, v4, v4
	v_cndmask_b32_e64 v4, 0xffff, v39, s11
	v_cndmask_b32_e64 v6, 0xffff, v6, s9
	v_xor_b32_sdwa v4, v4, v7 dst_sel:DWORD dst_unused:UNUSED_PAD src0_sel:DWORD src1_sel:WORD_0
	v_lshlrev_b32_e32 v7, 16, v7
	v_cmp_o_f32_e64 s11, v7, v7
	v_cndmask_b32_e64 v4, 0xffff, v4, s11
	v_and_b32_e32 v7, v4, v41
	v_bfe_u32 v4, v4, s91, 2
	v_cmp_eq_u32_e64 s11, v7, v20
	v_and_b32_e32 v7, v5, v41
	v_cmp_eq_u32_e64 s12, 0, v4
	v_cmp_eq_u32_e64 s13, 1, v4
	;; [unrolled: 1-line block ×4, first 2 shown]
	v_cmp_eq_u32_e32 vcc_lo, v7, v20
	v_and_b32_e32 v7, v2, v41
	v_bfe_u32 v2, v2, s91, 2
	v_bfe_u32 v4, v5, s91, 2
	s_and_b32 s12, s11, s12
	v_cmp_eq_u32_e64 s6, v7, v20
	v_cmp_eq_u32_e64 s20, 0, v2
	;; [unrolled: 1-line block ×5, first 2 shown]
	v_bfe_u32 v2, v6, s91, 2
	v_cmp_eq_u32_e64 s16, 0, v4
	v_and_b32_e32 v7, v6, v41
	s_and_b32 s20, s6, s20
	v_cmp_eq_u32_e64 s17, 1, v4
	v_cmp_eq_u32_e64 s24, 0, v2
	v_cmp_eq_u32_e64 s25, 1, v2
	v_cmp_eq_u32_e64 s26, 2, v2
	v_cmp_eq_u32_e64 s27, 3, v2
	v_cndmask_b32_e64 v2, 0, 1, s12
	s_and_b32 s16, vcc_lo, s16
	v_cmp_eq_u32_e64 s9, v7, v20
	v_cmp_eq_u32_e64 s18, 2, v4
	;; [unrolled: 1-line block ×3, first 2 shown]
	v_cmp_ne_u32_e64 s12, 0, v2
	v_cndmask_b32_e64 v2, 0, 1, s16
	s_and_b32 s24, s9, s24
	s_bcnt1_i32_b32 s12, s12
	v_cmp_ne_u32_e64 s16, 0, v2
	v_cndmask_b32_e64 v2, 0, 1, s20
	s_bcnt1_i32_b32 s16, s16
	v_cmp_ne_u32_e64 s20, 0, v2
	v_cndmask_b32_e64 v2, 0, 1, s24
	s_add_i32 s12, s16, s12
	s_bcnt1_i32_b32 s20, s20
	v_cmp_ne_u32_e64 s24, 0, v2
	s_add_i32 s12, s12, s20
	s_bcnt1_i32_b32 s24, s24
	s_add_i32 s12, s12, s24
	s_add_u32 s76, s76, s12
	s_addc_u32 s77, s77, 0
	s_and_b32 s12, s11, s13
	s_and_b32 s13, vcc_lo, s17
	v_cndmask_b32_e64 v2, 0, 1, s12
	s_and_b32 s16, s6, s21
	s_and_b32 s17, s9, s25
	v_mov_b32_e32 v4, s76
	v_mov_b32_e32 v5, s77
	v_cmp_ne_u32_e64 s12, 0, v2
	v_cndmask_b32_e64 v2, 0, 1, s13
	s_bcnt1_i32_b32 s12, s12
	v_cmp_ne_u32_e64 s13, 0, v2
	v_cndmask_b32_e64 v2, 0, 1, s16
	s_bcnt1_i32_b32 s13, s13
	v_cmp_ne_u32_e64 s16, 0, v2
	v_cndmask_b32_e64 v2, 0, 1, s17
	s_add_i32 s12, s13, s12
	s_bcnt1_i32_b32 s16, s16
	v_cmp_ne_u32_e64 s17, 0, v2
	s_add_i32 s12, s12, s16
	s_bcnt1_i32_b32 s17, s17
	s_add_i32 s12, s12, s17
	s_add_u32 s74, s74, s12
	s_addc_u32 s75, s75, 0
	s_and_b32 s12, s11, s14
	s_and_b32 s13, vcc_lo, s18
	v_cndmask_b32_e64 v2, 0, 1, s12
	s_and_b32 s14, s6, s22
	s_and_b32 s16, s9, s26
	v_mov_b32_e32 v6, s74
	v_mov_b32_e32 v7, s75
	v_cmp_ne_u32_e64 s12, 0, v2
	v_cndmask_b32_e64 v2, 0, 1, s13
	s_bcnt1_i32_b32 s12, s12
	v_cmp_ne_u32_e64 s13, 0, v2
	v_cndmask_b32_e64 v2, 0, 1, s14
	s_bcnt1_i32_b32 s13, s13
	v_cmp_ne_u32_e64 s14, 0, v2
	v_cndmask_b32_e64 v2, 0, 1, s16
	s_add_i32 s12, s13, s12
	s_mul_i32 s13, s62, s49
	s_bcnt1_i32_b32 s14, s14
	v_cmp_ne_u32_e64 s16, 0, v2
	s_add_i32 s12, s12, s14
	s_bcnt1_i32_b32 s16, s16
	s_add_i32 s12, s12, s16
	s_add_u32 s72, s72, s12
	s_addc_u32 s73, s73, 0
	s_and_b32 s11, s11, s15
	s_and_b32 s12, vcc_lo, s19
	v_cndmask_b32_e64 v2, 0, 1, s11
	s_and_b32 s6, s6, s23
	s_and_b32 s9, s9, s27
	v_mov_b32_e32 v8, s72
	v_mov_b32_e32 v9, s73
	v_cmp_ne_u32_e64 s11, 0, v2
	v_cndmask_b32_e64 v2, 0, 1, s12
	v_add_co_u32 v28, s12, v28, s56
	v_add_co_ci_u32_e64 v29, null, 0, v29, s12
	v_cmp_ne_u32_e32 vcc_lo, 0, v2
	v_cndmask_b32_e64 v2, 0, 1, s6
	s_bcnt1_i32_b32 s11, s11
	v_cmp_le_u64_e64 s12, s[66:67], v[28:29]
	s_bcnt1_i32_b32 s14, vcc_lo
	v_cmp_ne_u32_e64 s6, 0, v2
	v_cndmask_b32_e64 v2, 0, 1, s9
	s_add_i32 s11, s14, s11
	s_bcnt1_i32_b32 s6, s6
	v_cmp_ne_u32_e64 s9, 0, v2
	s_add_i32 s6, s11, s6
	s_bcnt1_i32_b32 s9, s9
	s_add_i32 s6, s6, s9
	s_add_u32 s68, s68, s6
	s_addc_u32 s69, s69, 0
	v_mov_b32_e32 v10, s68
	v_mov_b32_e32 v11, s69
	s_add_u32 s70, s70, s13
	s_addc_u32 s71, s71, s47
	s_or_b32 s52, s12, s52
	s_andn2_b32 exec_lo, exec_lo, s52
	s_cbranch_execnz .LBB216_53
; %bb.54:                               ;   in Loop: Header=BB216_6 Depth=1
	s_or_b32 exec_lo, exec_lo, s52
.LBB216_55:                             ;   in Loop: Header=BB216_6 Depth=1
	s_or_b32 exec_lo, exec_lo, s46
	v_add_co_u32 v28, s6, s66, v0
	v_add_co_ci_u32_e64 v29, null, s67, 0, s6
	s_mov_b32 s13, exec_lo
	v_cmpx_gt_u64_e64 s[28:29], v[28:29]
	s_cbranch_execz .LBB216_61
; %bb.56:                               ;   in Loop: Header=BB216_6 Depth=1
	v_mul_lo_u32 v2, v29, s38
	v_mul_lo_u32 v45, v28, s39
	v_mad_u64_u32 v[43:44], null, v28, s38, 0
	s_mov_b32 s14, 0
	v_add3_u32 v44, v44, v45, v2
	v_lshlrev_b64 v[43:44], 1, v[43:44]
	v_add_co_u32 v43, vcc_lo, s54, v43
	v_add_co_ci_u32_e64 v44, null, s55, v44, vcc_lo
	global_load_ushort v43, v[43:44], off
	s_branch .LBB216_58
.LBB216_57:                             ;   in Loop: Header=BB216_58 Depth=2
	s_or_b32 exec_lo, exec_lo, s9
	s_waitcnt vmcnt(0)
	v_cmp_lt_i16_e64 s6, -1, v43
	v_lshlrev_b32_e32 v45, 16, v43
	s_and_b32 s9, exec_lo, vcc_lo
	s_or_b32 s14, s9, s14
	v_cndmask_b32_e64 v44, 0xffff, v39, s6
	v_cmp_o_f32_e64 s6, v45, v45
	v_xor_b32_sdwa v43, v44, v43 dst_sel:DWORD dst_unused:UNUSED_PAD src0_sel:DWORD src1_sel:WORD_0
	v_cndmask_b32_e64 v43, 0xffff, v43, s6
	v_and_b32_e32 v44, v43, v41
	v_bfe_u32 v43, v43, s91, 2
	v_cmp_eq_u32_e32 vcc_lo, v44, v20
	v_cmp_eq_u32_e64 s6, 0, v43
	v_cmp_eq_u32_e64 s9, 1, v43
	;; [unrolled: 1-line block ×4, first 2 shown]
	s_and_b32 s6, vcc_lo, s6
	v_cndmask_b32_e64 v43, 0, 1, s6
	s_and_b32 s6, vcc_lo, s9
	v_cndmask_b32_e64 v44, 0, 1, s6
	;; [unrolled: 2-line block ×3, first 2 shown]
	s_and_b32 s6, vcc_lo, s12
	v_cmp_ne_u32_e32 vcc_lo, 0, v43
	v_cndmask_b32_e64 v46, 0, 1, s6
	v_cmp_ne_u32_e64 s6, 0, v44
	v_cmp_ne_u32_e64 s9, 0, v45
	v_mov_b32_e32 v43, v2
	s_bcnt1_i32_b32 s12, vcc_lo
	v_cmp_ne_u32_e64 s11, 0, v46
	s_bcnt1_i32_b32 s6, s6
	v_add_co_u32 v4, vcc_lo, v4, s12
	s_bcnt1_i32_b32 s9, s9
	v_add_co_ci_u32_e64 v5, null, 0, v5, vcc_lo
	v_add_co_u32 v6, vcc_lo, v6, s6
	v_add_co_ci_u32_e64 v7, null, 0, v7, vcc_lo
	v_add_co_u32 v8, vcc_lo, v8, s9
	s_bcnt1_i32_b32 s6, s11
	v_add_co_ci_u32_e64 v9, null, 0, v9, vcc_lo
	v_add_co_u32 v10, vcc_lo, v10, s6
	v_add_co_ci_u32_e64 v11, null, 0, v11, vcc_lo
	s_andn2_b32 exec_lo, exec_lo, s14
	s_cbranch_execz .LBB216_60
.LBB216_58:                             ;   Parent Loop BB216_6 Depth=1
                                        ; =>  This Inner Loop Header: Depth=2
	v_add_co_u32 v28, vcc_lo, v28, s49
	v_add_co_ci_u32_e64 v29, null, 0, v29, vcc_lo
	v_mov_b32_e32 v2, 0
	s_mov_b32 s9, exec_lo
	v_cmp_le_u64_e32 vcc_lo, s[28:29], v[28:29]
	v_cmpx_gt_u64_e64 s[28:29], v[28:29]
	s_cbranch_execz .LBB216_57
; %bb.59:                               ;   in Loop: Header=BB216_58 Depth=2
	v_mul_lo_u32 v2, v29, s38
	v_mul_lo_u32 v46, v28, s39
	v_mad_u64_u32 v[44:45], null, v28, s38, 0
	v_add3_u32 v45, v45, v46, v2
	v_lshlrev_b64 v[44:45], 1, v[44:45]
	v_add_co_u32 v44, s6, s54, v44
	v_add_co_ci_u32_e64 v45, null, s55, v45, s6
	global_load_ushort v2, v[44:45], off
	s_branch .LBB216_57
.LBB216_60:                             ;   in Loop: Header=BB216_6 Depth=1
	s_or_b32 exec_lo, exec_lo, s14
.LBB216_61:                             ;   in Loop: Header=BB216_6 Depth=1
	s_or_b32 exec_lo, exec_lo, s13
	s_branch .LBB216_40
.LBB216_62:                             ;   in Loop: Header=BB216_6 Depth=1
	global_load_ushort v2, v3, s[58:59]
	v_mov_b32_e32 v6, 0
	v_mov_b32_e32 v8, 0
	;; [unrolled: 1-line block ×6, first 2 shown]
	s_mov_b32 s49, exec_lo
	s_waitcnt vmcnt(0)
	v_readfirstlane_b32 s6, v2
	s_and_b32 s46, 0xffff, s6
	s_lshl_b32 s47, s46, 2
	v_cvt_f32_u32_e32 v4, s47
	s_sub_i32 s9, 0, s47
	v_rcp_iflag_f32_e32 v4, v4
	v_mul_f32_e32 v4, 0x4f7ffffe, v4
	v_cvt_u32_f32_e32 v4, v4
	v_readfirstlane_b32 s6, v4
	v_mov_b32_e32 v4, 0
	v_mov_b32_e32 v5, 0
	s_mul_i32 s9, s9, s6
	s_mul_hi_u32 s9, s6, s9
	s_add_i32 s6, s6, s9
	s_mul_hi_u32 s6, s64, s6
	s_mul_i32 s9, s6, s47
	s_add_i32 s11, s6, 1
	s_sub_i32 s9, s64, s9
	s_sub_i32 s12, s9, s47
	s_cmp_ge_u32 s9, s47
	s_cselect_b32 s6, s11, s6
	s_cselect_b32 s9, s12, s9
	s_add_i32 s11, s6, 1
	s_cmp_ge_u32 s9, s47
	s_cselect_b32 s6, s11, s6
	s_mul_hi_u32 s67, s46, s6
	s_mul_i32 s66, s46, s6
	s_lshl_b64 s[68:69], s[66:67], 2
	v_cmpx_gt_u64_e64 s[68:69], v[14:15]
	s_cbranch_execz .LBB216_66
; %bb.63:                               ;   in Loop: Header=BB216_6 Depth=1
	v_mov_b32_e32 v29, v15
	v_mov_b32_e32 v43, v35
	;; [unrolled: 1-line block ×3, first 2 shown]
	s_lshl_b32 s52, s46, 3
	s_mov_b64 s[70:71], 0
	s_mov_b32 s56, 0
	s_mov_b64 s[72:73], 0
	s_mov_b64 s[74:75], 0
	;; [unrolled: 1-line block ×3, first 2 shown]
.LBB216_64:                             ;   Parent Loop BB216_6 Depth=1
                                        ; =>  This Inner Loop Header: Depth=2
	ds_read_b64 v[4:5], v43
	v_add_nc_u32_e32 v43, s52, v43
	s_waitcnt lgkmcnt(0)
	v_cmp_lt_i16_e32 vcc_lo, -1, v4
	v_cmp_gt_i16_sdwa s6, v4, v40 src0_sel:WORD_1 src1_sel:DWORD
	v_cmp_lt_i16_e64 s9, -1, v5
	v_cmp_gt_i16_sdwa s11, v5, v40 src0_sel:WORD_1 src1_sel:DWORD
	v_lshlrev_b32_e32 v10, 16, v4
	v_cndmask_b32_e32 v6, 0xffff, v39, vcc_lo
	v_cndmask_b32_e64 v7, 0xffff, v39, s6
	v_cndmask_b32_e64 v8, 0xffff, v39, s9
	;; [unrolled: 1-line block ×3, first 2 shown]
	v_cmp_o_f32_e32 vcc_lo, v10, v10
	v_xor_b32_sdwa v6, v6, v4 dst_sel:DWORD dst_unused:UNUSED_PAD src0_sel:DWORD src1_sel:WORD_0
	v_xor_b32_sdwa v7, v7, v4 dst_sel:DWORD dst_unused:UNUSED_PAD src0_sel:DWORD src1_sel:WORD_1
	v_and_b32_e32 v4, 0xffff0000, v4
	v_xor_b32_sdwa v8, v8, v5 dst_sel:DWORD dst_unused:UNUSED_PAD src0_sel:DWORD src1_sel:WORD_0
	v_xor_b32_sdwa v9, v9, v5 dst_sel:DWORD dst_unused:UNUSED_PAD src0_sel:DWORD src1_sel:WORD_1
	v_lshlrev_b32_e32 v11, 16, v5
	v_and_b32_e32 v5, 0xffff0000, v5
	v_cmp_o_f32_e64 s6, v4, v4
	v_cndmask_b32_e32 v4, 0xffff, v6, vcc_lo
	v_cmp_o_f32_e64 s9, v11, v11
	v_cmp_o_f32_e64 s11, v5, v5
	v_and_b32_e32 v5, v4, v41
	v_bfe_u32 v4, v4, s91, 2
	v_cmp_eq_u32_e32 vcc_lo, v5, v20
	v_cndmask_b32_e64 v5, 0xffff, v7, s6
	v_cmp_eq_u32_e64 s12, 0, v4
	v_cmp_eq_u32_e64 s13, 1, v4
	;; [unrolled: 1-line block ×4, first 2 shown]
	v_and_b32_e32 v6, v5, v41
	v_bfe_u32 v4, v5, s91, 2
	s_and_b32 s12, vcc_lo, s12
	v_cmp_eq_u32_e64 s6, v6, v20
	v_cndmask_b32_e64 v6, 0xffff, v8, s9
	v_cmp_eq_u32_e64 s16, 0, v4
	v_cmp_eq_u32_e64 s17, 1, v4
	;; [unrolled: 1-line block ×4, first 2 shown]
	v_and_b32_e32 v7, v6, v41
	v_bfe_u32 v4, v6, s91, 2
	s_and_b32 s16, s6, s16
	v_cmp_eq_u32_e64 s9, v7, v20
	v_cndmask_b32_e64 v7, 0xffff, v9, s11
	v_cmp_eq_u32_e64 s20, 0, v4
	v_cmp_eq_u32_e64 s21, 1, v4
	;; [unrolled: 1-line block ×4, first 2 shown]
	v_bfe_u32 v4, v7, s91, 2
	v_and_b32_e32 v8, v7, v41
	s_and_b32 s20, s9, s20
	v_cmp_eq_u32_e64 s24, 0, v4
	v_cmp_eq_u32_e64 s25, 1, v4
	v_cmp_eq_u32_e64 s26, 2, v4
	v_cmp_eq_u32_e64 s27, 3, v4
	v_cndmask_b32_e64 v4, 0, 1, s12
	v_cmp_eq_u32_e64 s11, v8, v20
	v_cmp_ne_u32_e64 s12, 0, v4
	v_cndmask_b32_e64 v4, 0, 1, s16
	s_and_b32 s24, s11, s24
	s_bcnt1_i32_b32 s12, s12
	v_cmp_ne_u32_e64 s16, 0, v4
	v_cndmask_b32_e64 v4, 0, 1, s20
	s_bcnt1_i32_b32 s16, s16
	v_cmp_ne_u32_e64 s20, 0, v4
	v_cndmask_b32_e64 v4, 0, 1, s24
	s_add_i32 s12, s16, s12
	s_bcnt1_i32_b32 s20, s20
	v_cmp_ne_u32_e64 s24, 0, v4
	s_add_i32 s12, s12, s20
	s_bcnt1_i32_b32 s24, s24
	s_add_i32 s12, s12, s24
	s_add_u32 s76, s76, s12
	s_addc_u32 s77, s77, 0
	s_and_b32 s12, vcc_lo, s13
	s_and_b32 s13, s6, s17
	v_cndmask_b32_e64 v4, 0, 1, s12
	s_and_b32 s16, s9, s21
	s_and_b32 s17, s11, s25
	v_cmp_ne_u32_e64 s12, 0, v4
	v_cndmask_b32_e64 v4, 0, 1, s13
	s_bcnt1_i32_b32 s12, s12
	v_cmp_ne_u32_e64 s13, 0, v4
	v_cndmask_b32_e64 v4, 0, 1, s16
	s_bcnt1_i32_b32 s13, s13
	v_cmp_ne_u32_e64 s16, 0, v4
	v_cndmask_b32_e64 v4, 0, 1, s17
	s_add_i32 s12, s13, s12
	s_bcnt1_i32_b32 s16, s16
	v_cmp_ne_u32_e64 s17, 0, v4
	s_add_i32 s12, s12, s16
	s_bcnt1_i32_b32 s17, s17
	s_add_i32 s12, s12, s17
	s_add_u32 s74, s74, s12
	s_addc_u32 s75, s75, 0
	s_and_b32 s12, vcc_lo, s14
	s_and_b32 s13, s6, s18
	v_cndmask_b32_e64 v4, 0, 1, s12
	s_and_b32 s14, s9, s22
	s_and_b32 s16, s11, s26
	v_mov_b32_e32 v6, s74
	v_mov_b32_e32 v7, s75
	v_cmp_ne_u32_e64 s12, 0, v4
	v_cndmask_b32_e64 v4, 0, 1, s13
	s_bcnt1_i32_b32 s12, s12
	v_cmp_ne_u32_e64 s13, 0, v4
	v_cndmask_b32_e64 v4, 0, 1, s14
	s_bcnt1_i32_b32 s13, s13
	v_cmp_ne_u32_e64 s14, 0, v4
	v_cndmask_b32_e64 v4, 0, 1, s16
	s_add_i32 s12, s13, s12
	s_bcnt1_i32_b32 s14, s14
	v_cmp_ne_u32_e64 s16, 0, v4
	s_add_i32 s12, s12, s14
	s_bcnt1_i32_b32 s16, s16
	s_add_i32 s12, s12, s16
	s_add_u32 s72, s72, s12
	s_addc_u32 s73, s73, 0
	s_and_b32 s12, vcc_lo, s15
	s_and_b32 s6, s6, s19
	v_cndmask_b32_e64 v4, 0, 1, s12
	s_and_b32 s9, s9, s23
	s_and_b32 s11, s11, s27
	v_add_co_u32 v28, s12, v28, s47
	v_cmp_ne_u32_e32 vcc_lo, 0, v4
	v_cndmask_b32_e64 v4, 0, 1, s6
	v_add_co_ci_u32_e64 v29, null, 0, v29, s12
	v_mov_b32_e32 v8, s72
	s_bcnt1_i32_b32 s13, vcc_lo
	v_cmp_ne_u32_e64 s6, 0, v4
	v_cndmask_b32_e64 v4, 0, 1, s9
	v_cmp_le_u64_e64 s12, s[68:69], v[28:29]
	v_mov_b32_e32 v9, s73
	s_bcnt1_i32_b32 s6, s6
	v_cmp_ne_u32_e64 s9, 0, v4
	v_cndmask_b32_e64 v4, 0, 1, s11
	s_add_i32 s6, s6, s13
	s_bcnt1_i32_b32 s9, s9
	v_cmp_ne_u32_e64 s11, 0, v4
	s_add_i32 s6, s6, s9
	v_mov_b32_e32 v4, s76
	v_mov_b32_e32 v5, s77
	s_bcnt1_i32_b32 s11, s11
	s_add_i32 s6, s6, s11
	s_add_u32 s70, s70, s6
	s_addc_u32 s71, s71, 0
	v_mov_b32_e32 v10, s70
	v_mov_b32_e32 v11, s71
	s_or_b32 s56, s12, s56
	s_andn2_b32 exec_lo, exec_lo, s56
	s_cbranch_execnz .LBB216_64
; %bb.65:                               ;   in Loop: Header=BB216_6 Depth=1
	s_or_b32 exec_lo, exec_lo, s56
.LBB216_66:                             ;   in Loop: Header=BB216_6 Depth=1
	s_or_b32 exec_lo, exec_lo, s49
	v_add_co_u32 v28, s6, s68, v0
	v_and_b32_e32 v2, 0xffff, v2
	v_add_co_ci_u32_e64 v29, null, s69, 0, s6
	s_and_b32 s52, s64, 0x7fffffff
	s_mov_b32 s14, exec_lo
	v_cmpx_gt_u64_e64 s[52:53], v[28:29]
	s_cbranch_execz .LBB216_70
; %bb.67:                               ;   in Loop: Header=BB216_6 Depth=1
	v_lshl_add_u32 v43, s66, 3, v32
	s_lshl_b32 s16, s46, 1
	s_mov_b32 s15, 0
.LBB216_68:                             ;   Parent Loop BB216_6 Depth=1
                                        ; =>  This Inner Loop Header: Depth=2
	ds_read_u16 v44, v43
	v_add_co_u32 v28, vcc_lo, v28, v2
	v_add_co_ci_u32_e64 v29, null, 0, v29, vcc_lo
	v_add_nc_u32_e32 v43, s16, v43
	v_cmp_le_u64_e32 vcc_lo, s[52:53], v[28:29]
	s_waitcnt lgkmcnt(0)
	v_cmp_lt_i16_e64 s6, -1, v44
	v_lshlrev_b32_e32 v46, 16, v44
	v_cndmask_b32_e64 v45, 0xffff, v39, s6
	v_cmp_o_f32_e64 s6, v46, v46
	v_xor_b32_sdwa v44, v45, v44 dst_sel:DWORD dst_unused:UNUSED_PAD src0_sel:DWORD src1_sel:WORD_0
	v_cndmask_b32_e64 v44, 0xffff, v44, s6
	v_and_b32_e32 v45, v44, v41
	v_bfe_u32 v44, v44, s91, 2
	v_cmp_eq_u32_e64 s6, v45, v20
	v_cmp_eq_u32_e64 s9, 0, v44
	v_cmp_eq_u32_e64 s11, 1, v44
	v_cmp_eq_u32_e64 s12, 2, v44
	v_cmp_eq_u32_e64 s13, 3, v44
	s_and_b32 s9, s6, s9
	v_cndmask_b32_e64 v44, 0, 1, s9
	s_and_b32 s9, s6, s11
	v_cndmask_b32_e64 v45, 0, 1, s9
	s_and_b32 s9, s6, s12
	s_and_b32 s6, s6, s13
	v_cndmask_b32_e64 v46, 0, 1, s9
	v_cndmask_b32_e64 v47, 0, 1, s6
	v_cmp_ne_u32_e64 s6, 0, v44
	v_cmp_ne_u32_e64 s9, 0, v45
	;; [unrolled: 1-line block ×4, first 2 shown]
	s_bcnt1_i32_b32 s6, s6
	s_bcnt1_i32_b32 s9, s9
	v_add_co_u32 v4, s6, v4, s6
	s_bcnt1_i32_b32 s11, s11
	v_add_co_ci_u32_e64 v5, null, 0, v5, s6
	v_add_co_u32 v6, s6, v6, s9
	s_bcnt1_i32_b32 s12, s12
	v_add_co_ci_u32_e64 v7, null, 0, v7, s6
	v_add_co_u32 v8, s6, v8, s11
	v_add_co_ci_u32_e64 v9, null, 0, v9, s6
	v_add_co_u32 v10, s6, v10, s12
	v_add_co_ci_u32_e64 v11, null, 0, v11, s6
	s_or_b32 s15, vcc_lo, s15
	s_andn2_b32 exec_lo, exec_lo, s15
	s_cbranch_execnz .LBB216_68
; %bb.69:                               ;   in Loop: Header=BB216_6 Depth=1
	s_or_b32 exec_lo, exec_lo, s15
.LBB216_70:                             ;   in Loop: Header=BB216_6 Depth=1
	s_or_b32 exec_lo, exec_lo, s14
	s_lshl_b32 s6, s95, 7
	s_and_saveexec_b32 s9, s0
	s_cbranch_execnz .LBB216_41
	s_branch .LBB216_42
.LBB216_71:                             ;   in Loop: Header=BB216_6 Depth=1
                                        ; implicit-def: $sgpr12_sgpr13
	s_branch .LBB216_50
.LBB216_72:                             ;   in Loop: Header=BB216_6 Depth=1
	s_mov_b32 s11, 0
	s_andn2_b32 vcc_lo, exec_lo, s89
	s_cbranch_vccnz .LBB216_75
.LBB216_73:                             ;   in Loop: Header=BB216_6 Depth=1
	s_lshl_b32 s12, s95, 10
	s_lshl_b32 s11, s11, 5
	v_add3_u32 v2, s12, s11, v38
	s_mov_b32 s11, s87
.LBB216_74:                             ;   Parent Loop BB216_6 Depth=1
                                        ; =>  This Inner Loop Header: Depth=2
	ds_read_b64 v[6:7], v2
	v_add_nc_u32_e32 v2, 32, v2
	s_add_i32 s11, s11, -1
	s_cmp_lg_u32 s11, 0
	s_waitcnt lgkmcnt(0)
	v_add_co_u32 v4, vcc_lo, v6, v4
	v_add_co_ci_u32_e64 v5, null, v7, v5, vcc_lo
	s_cbranch_scc1 .LBB216_74
.LBB216_75:                             ;   in Loop: Header=BB216_6 Depth=1
	v_add_lshl_u32 v2, s6, v31, 3
	ds_write_b64 v2, v[4:5] offset:3072
.LBB216_76:                             ;   in Loop: Header=BB216_6 Depth=1
	s_or_b32 exec_lo, exec_lo, s9
	s_lshl_b32 s6, s6, 3
	s_waitcnt lgkmcnt(0)
	v_mov_b32_e32 v2, s6
	s_barrier
	buffer_gl0_inv
	v_cmp_eq_u64_e64 s9, 1, v[26:27]
	s_lshl_b32 s11, 3, s91
	ds_read_b128 v[4:7], v2 offset:3072
	ds_read_b128 v[8:11], v2 offset:3088
	s_mov_b32 s67, -1
	s_not_b32 s26, s11
	s_mov_b32 s27, 0
	s_andn2_b32 vcc_lo, exec_lo, s79
	s_mov_b32 s64, 0
	s_mov_b32 s49, 0
                                        ; implicit-def: $sgpr65
                                        ; implicit-def: $sgpr66
                                        ; implicit-def: $vgpr2
	s_waitcnt lgkmcnt(1)
	v_readfirstlane_b32 s13, v5
	v_readfirstlane_b32 s12, v4
	;; [unrolled: 1-line block ×4, first 2 shown]
	s_waitcnt lgkmcnt(0)
	v_readfirstlane_b32 s17, v9
	v_readfirstlane_b32 s16, v8
	;; [unrolled: 1-line block ×4, first 2 shown]
                                        ; implicit-def: $vgpr4_vgpr5
                                        ; implicit-def: $vgpr10
                                        ; implicit-def: $vgpr11
                                        ; implicit-def: $vgpr8
	s_cbranch_vccnz .LBB216_271
; %bb.77:                               ;   in Loop: Header=BB216_6 Depth=1
	s_cmp_eq_u64 s[12:13], 1
	v_mov_b32_e32 v10, v20
	v_mov_b32_e32 v11, v41
	;; [unrolled: 1-line block ×3, first 2 shown]
	s_cselect_b32 s6, -1, 0
                                        ; implicit-def: $sgpr66
                                        ; implicit-def: $sgpr65
	s_and_b32 s69, s6, s9
	s_mov_b32 s6, -1
	s_and_saveexec_b32 s49, s69
	s_cbranch_execz .LBB216_112
; %bb.78:                               ;   in Loop: Header=BB216_6 Depth=1
	ds_read_b64 v[4:5], v3 offset:5120
	s_waitcnt lgkmcnt(0)
	s_barrier
	buffer_gl0_inv
	v_readfirstlane_b32 s20, v4
	v_readfirstlane_b32 s21, v5
	s_and_saveexec_b32 s6, s10
; %bb.79:                               ;   in Loop: Header=BB216_6 Depth=1
	ds_write_b16 v33, v3
; %bb.80:                               ;   in Loop: Header=BB216_6 Depth=1
	s_or_b32 exec_lo, exec_lo, s6
	v_and_b32_e32 v10, s26, v20
	v_or_b32_e32 v11, s11, v41
	s_mov_b32 s65, -1
	s_mov_b32 s66, 0
	s_cmp_eq_u64 s[20:21], 0
	s_mov_b32 s24, 0
	s_mov_b32 s6, -1
	s_waitcnt lgkmcnt(0)
	s_barrier
	buffer_gl0_inv
                                        ; implicit-def: $vgpr8
	s_cbranch_scc1 .LBB216_97
; %bb.81:                               ;   in Loop: Header=BB216_6 Depth=1
	s_add_u32 s6, s20, s82
	s_addc_u32 s23, s21, s83
	s_mov_b32 s22, s53
	s_cmp_lg_u64 s[22:23], 0
	s_cbranch_scc0 .LBB216_138
; %bb.82:                               ;   in Loop: Header=BB216_6 Depth=1
	v_cvt_f32_u32_e32 v2, s33
	s_sub_u32 s8, 0, s33
	s_subb_u32 s22, 0, 0
	v_fmac_f32_e64 v2, 0x4f800000, 0
	v_rcp_f32_e32 v2, v2
	v_mul_f32_e32 v2, 0x5f7ffffc, v2
	v_mul_f32_e32 v4, 0x2f800000, v2
	v_trunc_f32_e32 v4, v4
	v_fmac_f32_e32 v2, 0xcf800000, v4
	v_cvt_u32_f32_e32 v4, v4
	v_cvt_u32_f32_e32 v2, v2
	v_readfirstlane_b32 s2, v4
	v_readfirstlane_b32 s7, v2
	s_mul_i32 s24, s8, s2
	s_mul_hi_u32 s46, s8, s7
	s_mul_i32 s25, s22, s7
	s_add_i32 s24, s46, s24
	s_mul_i32 s47, s8, s7
	s_add_i32 s24, s24, s25
	s_mul_hi_u32 s46, s7, s47
	s_mul_i32 s51, s7, s24
	s_mul_hi_u32 s50, s2, s47
	s_mul_i32 s25, s2, s47
	s_mul_hi_u32 s47, s7, s24
	s_add_u32 s46, s46, s51
	s_addc_u32 s47, 0, s47
	s_mul_hi_u32 s52, s2, s24
	s_add_u32 s25, s46, s25
	s_mul_i32 s24, s2, s24
	s_addc_u32 s25, s47, s50
	s_addc_u32 s46, s52, 0
	s_add_u32 s24, s25, s24
	s_addc_u32 s25, 0, s46
	s_add_u32 s7, s7, s24
	s_cselect_b32 s24, -1, 0
	s_mul_hi_u32 s46, s8, s7
	s_cmp_lg_u32 s24, 0
	s_mul_i32 s24, s8, s7
	s_addc_u32 s2, s2, s25
	s_mul_i32 s22, s22, s7
	s_mul_i32 s8, s8, s2
	s_mul_hi_u32 s25, s7, s24
	s_add_i32 s8, s46, s8
	s_mul_hi_u32 s46, s2, s24
	s_add_i32 s8, s8, s22
	s_mul_i32 s22, s2, s24
	s_mul_i32 s50, s7, s8
	s_mul_hi_u32 s47, s7, s8
	s_add_u32 s25, s25, s50
	s_addc_u32 s47, 0, s47
	s_mul_hi_u32 s24, s2, s8
	s_add_u32 s22, s25, s22
	s_mul_i32 s8, s2, s8
	s_addc_u32 s22, s47, s46
	s_addc_u32 s24, s24, 0
	s_add_u32 s8, s22, s8
	s_addc_u32 s22, 0, s24
	s_add_u32 s7, s7, s8
	s_cselect_b32 s8, -1, 0
	s_mul_hi_u32 s24, s6, s7
	s_cmp_lg_u32 s8, 0
	s_mul_hi_u32 s8, s23, s7
	s_addc_u32 s2, s2, s22
	s_mul_i32 s7, s23, s7
	s_mul_i32 s25, s6, s2
	s_mul_hi_u32 s22, s6, s2
	s_add_u32 s24, s24, s25
	s_addc_u32 s22, 0, s22
	s_mul_hi_u32 s46, s23, s2
	s_add_u32 s7, s24, s7
	s_mul_i32 s2, s23, s2
	s_addc_u32 s7, s22, s8
	s_addc_u32 s8, s46, 0
	s_add_u32 s2, s7, s2
	s_addc_u32 s7, 0, s8
	s_mul_hi_u32 s8, s33, s2
	s_mul_i32 s7, s33, s7
	s_mul_i32 s2, s33, s2
	s_add_i32 s8, s8, s7
	s_sub_u32 s2, s6, s2
	s_cselect_b32 s7, -1, 0
	s_cmp_lg_u32 s7, 0
	s_subb_u32 s7, s23, s8
	s_sub_u32 s8, s2, s33
	s_cselect_b32 s22, -1, 0
	s_cmp_lg_u32 s22, 0
	s_subb_u32 s22, s7, 0
	;; [unrolled: 4-line block ×3, first 2 shown]
	s_cmp_ge_u32 s8, s33
	s_cselect_b32 s46, -1, 0
	s_cmp_eq_u32 s22, 0
	s_cselect_b32 s46, s46, -1
	s_cmp_lg_u32 s46, 0
	s_cselect_b32 s22, s25, s22
	s_cselect_b32 s8, s24, s8
	s_cmp_ge_u32 s2, s33
	s_cselect_b32 s24, -1, 0
	s_cmp_eq_u32 s7, 0
	s_cselect_b32 s24, s24, -1
	s_cmp_lg_u32 s24, 0
	s_cselect_b32 s25, s22, s7
	s_cselect_b32 s24, s8, s2
	s_cbranch_execnz .LBB216_84
.LBB216_83:                             ;   in Loop: Header=BB216_6 Depth=1
	v_cvt_f32_u32_e32 v2, s33
	s_sub_i32 s7, 0, s33
	v_rcp_iflag_f32_e32 v2, v2
	v_mul_f32_e32 v2, 0x4f7ffffe, v2
	v_cvt_u32_f32_e32 v2, v2
	v_readfirstlane_b32 s2, v2
	s_mul_i32 s7, s7, s2
	s_mul_hi_u32 s7, s2, s7
	s_add_i32 s2, s2, s7
	s_mul_hi_u32 s2, s6, s2
	s_mul_i32 s2, s2, s33
	s_sub_i32 s2, s6, s2
	s_sub_i32 s7, s2, s33
	s_cmp_ge_u32 s2, s33
	s_cselect_b32 s2, s7, s2
	s_sub_i32 s7, s2, s33
	s_cmp_ge_u32 s2, s33
	s_cselect_b32 s52, s7, s2
	s_mov_b64 s[24:25], s[52:53]
.LBB216_84:                             ;   in Loop: Header=BB216_6 Depth=1
	s_sub_u32 s22, s6, s24
	s_subb_u32 s23, s23, s25
	s_mov_b32 s6, 0
	s_mov_b32 s24, 0
	s_mov_b32 s25, exec_lo
                                        ; implicit-def: $vgpr8
	v_cmpx_gt_u64_e64 s[22:23], v[0:1]
	s_cbranch_execz .LBB216_96
; %bb.85:                               ;   in Loop: Header=BB216_6 Depth=1
	v_mov_b32_e32 v5, v1
	v_mov_b32_e32 v2, v32
	;; [unrolled: 1-line block ×3, first 2 shown]
                                        ; implicit-def: $sgpr46
	s_branch .LBB216_88
.LBB216_86:                             ;   in Loop: Header=BB216_88 Depth=2
	s_or_b32 exec_lo, exec_lo, s47
	s_waitcnt lgkmcnt(0)
	s_barrier
	buffer_gl0_inv
	ds_read_b32 v6, v3 offset:3072
	s_mov_b32 s47, -1
	s_mov_b32 s50, -1
	s_waitcnt lgkmcnt(0)
	s_barrier
	buffer_gl0_inv
	v_and_b32_e32 v7, 0x7fff, v6
	v_cmp_ne_u32_e32 vcc_lo, 0, v7
	s_cbranch_vccz .LBB216_91
.LBB216_87:                             ;   in Loop: Header=BB216_88 Depth=2
	s_and_b32 s2, exec_lo, s47
	s_or_b32 s24, s2, s24
	s_andn2_b32 s2, s46, exec_lo
	s_and_b32 s7, s50, exec_lo
	s_or_b32 s46, s2, s7
	s_andn2_b32 exec_lo, exec_lo, s24
	s_cbranch_execz .LBB216_95
.LBB216_88:                             ;   Parent Loop BB216_6 Depth=1
                                        ; =>  This Inner Loop Header: Depth=2
	s_mov_b32 s47, exec_lo
	v_cmpx_gt_u64_e64 s[20:21], v[4:5]
	s_cbranch_execz .LBB216_86
; %bb.89:                               ;   in Loop: Header=BB216_88 Depth=2
	ds_read_u16 v6, v2
	s_waitcnt lgkmcnt(0)
	v_cmp_lt_i16_e32 vcc_lo, -1, v6
	v_lshlrev_b32_e32 v8, 16, v6
	v_cndmask_b32_e32 v7, 0xffff, v39, vcc_lo
	v_cmp_o_f32_e32 vcc_lo, v8, v8
	v_xor_b32_sdwa v7, v7, v6 dst_sel:DWORD dst_unused:UNUSED_PAD src0_sel:DWORD src1_sel:WORD_0
	v_cndmask_b32_e32 v7, 0xffff, v7, vcc_lo
	v_and_b32_e32 v7, v7, v11
	v_cmp_eq_u32_e32 vcc_lo, v7, v10
	s_and_b32 exec_lo, exec_lo, vcc_lo
	s_cbranch_execz .LBB216_86
; %bb.90:                               ;   in Loop: Header=BB216_88 Depth=2
	v_perm_b32 v6, v6, s93, 0x5040100
	ds_write_b32 v3, v6 offset:3072
	s_branch .LBB216_86
.LBB216_91:                             ;   in Loop: Header=BB216_88 Depth=2
	v_add_co_u32 v4, vcc_lo, v4, s33
	v_add_co_ci_u32_e64 v5, null, 0, v5, vcc_lo
	v_add_nc_u32_e32 v2, s90, v2
	s_mov_b32 s50, 0
	v_cmp_le_u64_e32 vcc_lo, s[22:23], v[4:5]
	s_orn2_b32 s47, vcc_lo, exec_lo
	s_branch .LBB216_87
.LBB216_92:                             ;   in Loop: Header=BB216_6 Depth=1
	s_or_b32 exec_lo, exec_lo, s13
	s_waitcnt lgkmcnt(0)
	s_barrier
	buffer_gl0_inv
	s_and_saveexec_b32 s6, s3
	s_cbranch_execz .LBB216_94
; %bb.93:                               ;   in Loop: Header=BB216_6 Depth=1
	ds_read_b32 v4, v3 offset:5144
	s_waitcnt lgkmcnt(0)
	v_ashrrev_i32_e32 v5, 31, v4
	ds_write_b64 v3, v[4:5] offset:5120
.LBB216_94:                             ;   in Loop: Header=BB216_6 Depth=1
	s_or_b32 exec_lo, exec_lo, s6
	s_waitcnt lgkmcnt(0)
	s_mov_b32 s6, -1
	s_barrier
	s_and_b32 vcc_lo, exec_lo, s11
	s_cbranch_vccnz .LBB216_21
	s_branch .LBB216_36
.LBB216_95:                             ;   in Loop: Header=BB216_6 Depth=1
	s_or_b32 exec_lo, exec_lo, s24
	v_lshrrev_b32_e32 v8, 16, v6
	s_and_b32 s24, s46, exec_lo
.LBB216_96:                             ;   in Loop: Header=BB216_6 Depth=1
	s_or_b32 exec_lo, exec_lo, s25
.LBB216_97:                             ;   in Loop: Header=BB216_6 Depth=1
	s_and_b32 vcc_lo, exec_lo, s6
	s_cbranch_vccz .LBB216_111
; %bb.98:                               ;   in Loop: Header=BB216_6 Depth=1
	s_mov_b32 s56, s53
	s_cmp_lg_u64 s[56:57], 0
	s_cbranch_scc0 .LBB216_139
; %bb.99:                               ;   in Loop: Header=BB216_6 Depth=1
	v_cvt_f32_u32_e32 v2, s33
	s_sub_u32 s7, 0, s33
	s_subb_u32 s8, 0, 0
	v_fmac_f32_e64 v2, 0x4f800000, 0
	v_rcp_f32_e32 v2, v2
	v_mul_f32_e32 v2, 0x5f7ffffc, v2
	v_mul_f32_e32 v4, 0x2f800000, v2
	v_trunc_f32_e32 v4, v4
	v_fmac_f32_e32 v2, 0xcf800000, v4
	v_cvt_u32_f32_e32 v4, v4
	v_cvt_u32_f32_e32 v2, v2
	v_readfirstlane_b32 s2, v4
	v_readfirstlane_b32 s6, v2
	s_mul_i32 s20, s7, s2
	s_mul_hi_u32 s22, s7, s6
	s_mul_i32 s21, s8, s6
	s_add_i32 s20, s22, s20
	s_mul_i32 s23, s7, s6
	s_add_i32 s20, s20, s21
	s_mul_hi_u32 s22, s6, s23
	s_mul_i32 s46, s6, s20
	s_mul_hi_u32 s25, s2, s23
	s_mul_i32 s21, s2, s23
	s_mul_hi_u32 s23, s6, s20
	s_add_u32 s22, s22, s46
	s_addc_u32 s23, 0, s23
	s_mul_hi_u32 s47, s2, s20
	s_add_u32 s21, s22, s21
	s_mul_i32 s20, s2, s20
	s_addc_u32 s21, s23, s25
	s_addc_u32 s22, s47, 0
	s_add_u32 s20, s21, s20
	s_addc_u32 s21, 0, s22
	s_add_u32 s6, s6, s20
	s_cselect_b32 s20, -1, 0
	s_mul_hi_u32 s22, s7, s6
	s_cmp_lg_u32 s20, 0
	s_mul_i32 s20, s7, s6
	s_addc_u32 s2, s2, s21
	s_mul_i32 s8, s8, s6
	s_mul_i32 s7, s7, s2
	s_mul_hi_u32 s21, s6, s20
	s_add_i32 s7, s22, s7
	s_mul_hi_u32 s22, s2, s20
	s_add_i32 s7, s7, s8
	s_mul_i32 s8, s2, s20
	s_mul_i32 s25, s6, s7
	s_mul_hi_u32 s23, s6, s7
	s_add_u32 s21, s21, s25
	s_addc_u32 s23, 0, s23
	s_mul_hi_u32 s20, s2, s7
	s_add_u32 s8, s21, s8
	s_mul_i32 s7, s2, s7
	s_addc_u32 s8, s23, s22
	s_addc_u32 s20, s20, 0
	s_add_u32 s7, s8, s7
	s_addc_u32 s8, 0, s20
	s_add_u32 s6, s6, s7
	s_cselect_b32 s7, -1, 0
	s_mul_hi_u32 s20, s84, s6
	s_cmp_lg_u32 s7, 0
	s_mul_hi_u32 s7, s57, s6
	s_addc_u32 s2, s2, s8
	s_mul_i32 s6, s57, s6
	s_mul_i32 s21, s84, s2
	s_mul_hi_u32 s8, s84, s2
	s_add_u32 s20, s20, s21
	s_addc_u32 s8, 0, s8
	s_mul_hi_u32 s22, s57, s2
	s_add_u32 s6, s20, s6
	s_mul_i32 s2, s57, s2
	s_addc_u32 s6, s8, s7
	s_addc_u32 s7, s22, 0
	s_add_u32 s2, s6, s2
	s_addc_u32 s6, 0, s7
	s_mul_hi_u32 s7, s33, s2
	s_mul_i32 s6, s33, s6
	s_mul_i32 s2, s33, s2
	s_add_i32 s7, s7, s6
	s_sub_u32 s2, s84, s2
	s_cselect_b32 s6, -1, 0
	s_cmp_lg_u32 s6, 0
	s_subb_u32 s6, s57, s7
	s_sub_u32 s7, s2, s33
	s_cselect_b32 s8, -1, 0
	s_cmp_lg_u32 s8, 0
	s_subb_u32 s8, s6, 0
	;; [unrolled: 4-line block ×3, first 2 shown]
	s_cmp_ge_u32 s7, s33
	s_cselect_b32 s22, -1, 0
	s_cmp_eq_u32 s8, 0
	s_cselect_b32 s22, s22, -1
	s_cmp_lg_u32 s22, 0
	s_cselect_b32 s8, s21, s8
	s_cselect_b32 s7, s20, s7
	s_cmp_ge_u32 s2, s33
	s_cselect_b32 s20, -1, 0
	s_cmp_eq_u32 s6, 0
	s_cselect_b32 s20, s20, -1
	s_cmp_lg_u32 s20, 0
	s_cselect_b32 s21, s8, s6
	s_cselect_b32 s20, s7, s2
	s_cbranch_execnz .LBB216_101
.LBB216_100:                            ;   in Loop: Header=BB216_6 Depth=1
	v_cvt_f32_u32_e32 v2, s33
	s_sub_i32 s6, 0, s33
	v_rcp_iflag_f32_e32 v2, v2
	v_mul_f32_e32 v2, 0x4f7ffffe, v2
	v_cvt_u32_f32_e32 v2, v2
	v_readfirstlane_b32 s2, v2
	s_mul_i32 s6, s6, s2
	s_mul_hi_u32 s6, s2, s6
	s_add_i32 s2, s2, s6
	s_mul_hi_u32 s2, s84, s2
	s_mul_i32 s2, s2, s33
	s_sub_i32 s2, s84, s2
	s_sub_i32 s6, s2, s33
	s_cmp_ge_u32 s2, s33
	s_cselect_b32 s2, s6, s2
	s_sub_i32 s6, s2, s33
	s_cmp_ge_u32 s2, s33
	s_cselect_b32 s52, s6, s2
	s_mov_b64 s[20:21], s[52:53]
.LBB216_101:                            ;   in Loop: Header=BB216_6 Depth=1
	s_sub_u32 s20, s84, s20
	s_subb_u32 s21, s57, s21
	s_mov_b32 s22, exec_lo
                                        ; implicit-def: $vgpr8
	v_cmpx_gt_u64_e64 s[20:21], v[0:1]
	s_cbranch_execz .LBB216_110
; %bb.102:                              ;   in Loop: Header=BB216_6 Depth=1
	v_mov_b32_e32 v4, v12
	v_mov_b32_e32 v7, v1
	;; [unrolled: 1-line block ×4, first 2 shown]
	s_mov_b32 s23, 0
                                        ; implicit-def: $sgpr25
	s_branch .LBB216_105
.LBB216_103:                            ;   in Loop: Header=BB216_105 Depth=2
	s_or_b32 exec_lo, exec_lo, s6
	s_waitcnt lgkmcnt(0)
	s_barrier
	buffer_gl0_inv
	ds_read_b32 v2, v3 offset:3072
	s_mov_b32 s6, -1
	s_mov_b32 s46, -1
	s_waitcnt lgkmcnt(0)
	s_barrier
	buffer_gl0_inv
	v_and_b32_e32 v8, 0x7fff, v2
	v_cmp_ne_u32_e32 vcc_lo, 0, v8
	s_cbranch_vccz .LBB216_108
.LBB216_104:                            ;   in Loop: Header=BB216_105 Depth=2
	s_and_b32 s2, exec_lo, s6
	s_or_b32 s23, s2, s23
	s_andn2_b32 s2, s25, exec_lo
	s_and_b32 s6, s46, exec_lo
	s_or_b32 s25, s2, s6
	s_andn2_b32 exec_lo, exec_lo, s23
	s_cbranch_execz .LBB216_109
.LBB216_105:                            ;   Parent Loop BB216_6 Depth=1
                                        ; =>  This Inner Loop Header: Depth=2
	s_mov_b32 s6, exec_lo
	v_cmpx_gt_u64_e64 s[28:29], v[6:7]
	s_cbranch_execz .LBB216_103
; %bb.106:                              ;   in Loop: Header=BB216_105 Depth=2
	global_load_ushort v2, v[4:5], off
	s_waitcnt vmcnt(0)
	v_cmp_lt_i16_e32 vcc_lo, -1, v2
	v_lshlrev_b32_e32 v9, 16, v2
	v_cndmask_b32_e32 v8, 0xffff, v39, vcc_lo
	v_cmp_o_f32_e32 vcc_lo, v9, v9
	v_xor_b32_sdwa v8, v8, v2 dst_sel:DWORD dst_unused:UNUSED_PAD src0_sel:DWORD src1_sel:WORD_0
	v_cndmask_b32_e32 v8, 0xffff, v8, vcc_lo
	v_and_b32_e32 v8, v8, v11
	v_cmp_eq_u32_e32 vcc_lo, v8, v10
	s_and_b32 exec_lo, exec_lo, vcc_lo
	s_cbranch_execz .LBB216_103
; %bb.107:                              ;   in Loop: Header=BB216_105 Depth=2
	v_perm_b32 v2, v2, s93, 0x5040100
	ds_write_b32 v3, v2 offset:3072
	s_branch .LBB216_103
.LBB216_108:                            ;   in Loop: Header=BB216_105 Depth=2
	v_add_co_u32 v6, vcc_lo, v6, s33
	v_add_co_ci_u32_e64 v7, null, 0, v7, vcc_lo
	v_add_co_u32 v4, s6, v4, s34
	v_add_co_ci_u32_e64 v5, null, s35, v5, s6
	v_cmp_le_u64_e32 vcc_lo, s[20:21], v[6:7]
	s_mov_b32 s46, 0
	s_orn2_b32 s6, vcc_lo, exec_lo
	s_branch .LBB216_104
.LBB216_109:                            ;   in Loop: Header=BB216_6 Depth=1
	s_or_b32 exec_lo, exec_lo, s23
	v_lshrrev_b32_e32 v8, 16, v2
	s_andn2_b32 s2, s24, exec_lo
	s_and_b32 s6, s25, exec_lo
	s_or_b32 s24, s2, s6
.LBB216_110:                            ;   in Loop: Header=BB216_6 Depth=1
	s_or_b32 exec_lo, exec_lo, s22
	s_mov_b32 s65, 0
	s_mov_b32 s66, -1
.LBB216_111:                            ;   in Loop: Header=BB216_6 Depth=1
	s_orn2_b32 s6, s24, exec_lo
.LBB216_112:                            ;   in Loop: Header=BB216_6 Depth=1
	s_or_b32 exec_lo, exec_lo, s49
	s_mov_b32 s67, 0
	s_mov_b32 s64, 0
	;; [unrolled: 1-line block ×3, first 2 shown]
                                        ; implicit-def: $vgpr4_vgpr5
                                        ; implicit-def: $vgpr2
	s_and_saveexec_b32 s68, s6
	s_cbranch_execz .LBB216_270
; %bb.113:                              ;   in Loop: Header=BB216_6 Depth=1
	v_mov_b32_e32 v4, 1
	v_mov_b32_e32 v5, 0
	;; [unrolled: 1-line block ×3, first 2 shown]
	s_xor_b32 s2, s69, -1
	s_mov_b32 s20, 0
	s_and_saveexec_b32 s6, s2
	s_cbranch_execz .LBB216_122
; %bb.114:                              ;   in Loop: Header=BB216_6 Depth=1
	s_mov_b32 s2, exec_lo
	v_cmpx_ge_u64_e64 s[12:13], v[26:27]
	s_xor_b32 s20, exec_lo, s2
	s_cbranch_execz .LBB216_119
; %bb.115:                              ;   in Loop: Header=BB216_6 Depth=1
	ds_read_b64 v[4:5], v3 offset:5120
	v_and_b32_e32 v10, s26, v10
	v_or_b32_e32 v11, s11, v11
	s_waitcnt lgkmcnt(0)
	v_cmp_ne_u64_e32 vcc_lo, 0, v[4:5]
	s_cbranch_vccnz .LBB216_119
; %bb.116:                              ;   in Loop: Header=BB216_6 Depth=1
	s_and_saveexec_b32 s21, s3
; %bb.117:                              ;   in Loop: Header=BB216_6 Depth=1
	v_mov_b32_e32 v4, s12
	v_mov_b32_e32 v5, s13
	ds_write_b64 v3, v[4:5] offset:5128
; %bb.118:                              ;   in Loop: Header=BB216_6 Depth=1
	s_or_b32 exec_lo, exec_lo, s21
	s_waitcnt lgkmcnt(0)
	s_barrier
	buffer_gl0_inv
.LBB216_119:                            ;   in Loop: Header=BB216_6 Depth=1
	s_or_saveexec_b32 s20, s20
	v_mov_b32_e32 v4, v26
	v_mov_b32_e32 v2, 8
	;; [unrolled: 1-line block ×3, first 2 shown]
	s_mov_b32 s21, 0
	s_xor_b32 exec_lo, exec_lo, s20
; %bb.120:                              ;   in Loop: Header=BB216_6 Depth=1
	v_sub_co_u32 v4, vcc_lo, v26, s12
	v_subrev_co_ci_u32_e64 v5, null, s13, v27, vcc_lo
	v_mov_b32_e32 v2, 0
	s_mov_b32 s21, exec_lo
; %bb.121:                              ;   in Loop: Header=BB216_6 Depth=1
	s_or_b32 exec_lo, exec_lo, s20
	s_and_b32 s20, s21, exec_lo
.LBB216_122:                            ;   in Loop: Header=BB216_6 Depth=1
	s_or_b32 exec_lo, exec_lo, s6
	s_mov_b32 s6, -1
                                        ; implicit-def: $sgpr64
                                        ; implicit-def: $sgpr69
	s_and_saveexec_b32 s2, s20
	s_xor_b32 s49, exec_lo, s2
	s_cbranch_execz .LBB216_267
; %bb.123:                              ;   in Loop: Header=BB216_6 Depth=1
	v_cmp_eq_u64_e32 vcc_lo, 1, v[4:5]
	s_cmp_eq_u64 s[14:15], 1
                                        ; implicit-def: $sgpr69
                                        ; implicit-def: $sgpr64
	s_cselect_b32 s6, -1, 0
	s_and_b32 s71, s6, vcc_lo
	s_mov_b32 s6, -1
	s_and_saveexec_b32 s70, s71
	s_cbranch_execz .LBB216_157
; %bb.124:                              ;   in Loop: Header=BB216_6 Depth=1
	ds_read_b64 v[6:7], v3 offset:5120
	s_waitcnt lgkmcnt(0)
	s_barrier
	buffer_gl0_inv
	v_readfirstlane_b32 s20, v6
	v_readfirstlane_b32 s21, v7
	s_and_saveexec_b32 s6, s10
; %bb.125:                              ;   in Loop: Header=BB216_6 Depth=1
	ds_write_b16 v33, v3
; %bb.126:                              ;   in Loop: Header=BB216_6 Depth=1
	s_or_b32 exec_lo, exec_lo, s6
	s_lshl_b32 s6, 1, s91
	v_or_b32_e32 v11, s11, v11
	v_and_or_b32 v10, v10, s26, s6
	s_mov_b32 s64, -1
	s_mov_b32 s69, 0
	s_cmp_eq_u64 s[20:21], 0
	s_mov_b32 s24, 0
	s_mov_b32 s6, -1
	s_waitcnt lgkmcnt(0)
	s_barrier
	buffer_gl0_inv
                                        ; implicit-def: $vgpr8
	s_cbranch_scc1 .LBB216_142
; %bb.127:                              ;   in Loop: Header=BB216_6 Depth=1
	s_add_u32 s6, s20, s82
	s_addc_u32 s23, s21, s83
	s_mov_b32 s22, s53
	s_cmp_lg_u64 s[22:23], 0
	s_cbranch_scc0 .LBB216_183
; %bb.128:                              ;   in Loop: Header=BB216_6 Depth=1
	v_cvt_f32_u32_e32 v6, s33
	s_sub_u32 s25, 0, s33
	s_subb_u32 s46, 0, 0
	v_fmac_f32_e64 v6, 0x4f800000, 0
	v_rcp_f32_e32 v6, v6
	v_mul_f32_e32 v6, 0x5f7ffffc, v6
	v_mul_f32_e32 v7, 0x2f800000, v6
	v_trunc_f32_e32 v7, v7
	v_fmac_f32_e32 v6, 0xcf800000, v7
	v_cvt_u32_f32_e32 v7, v7
	v_cvt_u32_f32_e32 v6, v6
	v_readfirstlane_b32 s22, v7
	v_readfirstlane_b32 s24, v6
	s_mul_i32 s47, s25, s22
	s_mul_hi_u32 s51, s25, s24
	s_mul_i32 s50, s46, s24
	s_add_i32 s47, s51, s47
	s_mul_i32 s52, s25, s24
	s_add_i32 s47, s47, s50
	s_mul_hi_u32 s51, s24, s52
	s_mul_i32 s72, s24, s47
	s_mul_hi_u32 s56, s22, s52
	s_mul_i32 s50, s22, s52
	s_mul_hi_u32 s52, s24, s47
	s_add_u32 s51, s51, s72
	s_addc_u32 s52, 0, s52
	s_mul_hi_u32 s73, s22, s47
	s_add_u32 s50, s51, s50
	s_mul_i32 s47, s22, s47
	s_addc_u32 s50, s52, s56
	s_addc_u32 s51, s73, 0
	s_add_u32 s47, s50, s47
	s_addc_u32 s50, 0, s51
	s_add_u32 s24, s24, s47
	s_cselect_b32 s47, -1, 0
	s_mul_hi_u32 s51, s25, s24
	s_cmp_lg_u32 s47, 0
	s_mul_i32 s47, s25, s24
	s_addc_u32 s22, s22, s50
	s_mul_i32 s46, s46, s24
	s_mul_i32 s25, s25, s22
	s_mul_hi_u32 s50, s24, s47
	s_add_i32 s25, s51, s25
	s_mul_hi_u32 s51, s22, s47
	s_add_i32 s25, s25, s46
	s_mul_i32 s46, s22, s47
	s_mul_i32 s56, s24, s25
	s_mul_hi_u32 s52, s24, s25
	s_add_u32 s50, s50, s56
	s_addc_u32 s52, 0, s52
	s_mul_hi_u32 s47, s22, s25
	s_add_u32 s46, s50, s46
	s_mul_i32 s25, s22, s25
	s_addc_u32 s46, s52, s51
	s_addc_u32 s47, s47, 0
	s_add_u32 s25, s46, s25
	s_addc_u32 s46, 0, s47
	s_add_u32 s24, s24, s25
	s_cselect_b32 s25, -1, 0
	s_mul_hi_u32 s47, s6, s24
	s_cmp_lg_u32 s25, 0
	s_mul_hi_u32 s25, s23, s24
	s_addc_u32 s22, s22, s46
	s_mul_i32 s24, s23, s24
	s_mul_i32 s50, s6, s22
	s_mul_hi_u32 s46, s6, s22
	s_add_u32 s47, s47, s50
	s_addc_u32 s46, 0, s46
	s_mul_hi_u32 s51, s23, s22
	s_add_u32 s24, s47, s24
	s_mul_i32 s22, s23, s22
	s_addc_u32 s24, s46, s25
	s_addc_u32 s25, s51, 0
	s_add_u32 s22, s24, s22
	s_addc_u32 s24, 0, s25
	s_mul_hi_u32 s25, s33, s22
	s_mul_i32 s24, s33, s24
	s_mul_i32 s22, s33, s22
	s_add_i32 s25, s25, s24
	s_sub_u32 s22, s6, s22
	s_cselect_b32 s24, -1, 0
	s_cmp_lg_u32 s24, 0
	s_subb_u32 s24, s23, s25
	s_sub_u32 s25, s22, s33
	s_cselect_b32 s46, -1, 0
	s_cmp_lg_u32 s46, 0
	s_subb_u32 s46, s24, 0
	;; [unrolled: 4-line block ×3, first 2 shown]
	s_cmp_ge_u32 s25, s33
	s_cselect_b32 s51, -1, 0
	s_cmp_eq_u32 s46, 0
	s_cselect_b32 s51, s51, -1
	s_cmp_lg_u32 s51, 0
	s_cselect_b32 s46, s50, s46
	s_cselect_b32 s47, s47, s25
	s_cmp_ge_u32 s22, s33
	s_cselect_b32 s25, -1, 0
	s_cmp_eq_u32 s24, 0
	s_cselect_b32 s25, s25, -1
	s_cmp_lg_u32 s25, 0
	s_cselect_b32 s25, s46, s24
	s_cselect_b32 s24, s47, s22
	s_cbranch_execnz .LBB216_130
.LBB216_129:                            ;   in Loop: Header=BB216_6 Depth=1
	v_cvt_f32_u32_e32 v6, s33
	s_sub_i32 s24, 0, s33
	v_rcp_iflag_f32_e32 v6, v6
	v_mul_f32_e32 v6, 0x4f7ffffe, v6
	v_cvt_u32_f32_e32 v6, v6
	v_readfirstlane_b32 s22, v6
	s_mul_i32 s24, s24, s22
	s_mul_hi_u32 s24, s22, s24
	s_add_i32 s22, s22, s24
	s_mul_hi_u32 s22, s6, s22
	s_mul_i32 s22, s22, s33
	s_sub_i32 s22, s6, s22
	s_sub_i32 s24, s22, s33
	s_cmp_ge_u32 s22, s33
	s_cselect_b32 s22, s24, s22
	s_sub_i32 s24, s22, s33
	s_cmp_ge_u32 s22, s33
	s_cselect_b32 s52, s24, s22
	s_mov_b64 s[24:25], s[52:53]
.LBB216_130:                            ;   in Loop: Header=BB216_6 Depth=1
	s_sub_u32 s22, s6, s24
	s_subb_u32 s23, s23, s25
	s_mov_b32 s6, 0
	s_mov_b32 s24, 0
	s_mov_b32 s25, exec_lo
                                        ; implicit-def: $vgpr8
	v_cmpx_gt_u64_e64 s[22:23], v[0:1]
	s_cbranch_execz .LBB216_141
; %bb.131:                              ;   in Loop: Header=BB216_6 Depth=1
	v_mov_b32_e32 v7, v1
	v_mov_b32_e32 v8, v32
	;; [unrolled: 1-line block ×3, first 2 shown]
                                        ; implicit-def: $sgpr46
	s_branch .LBB216_134
.LBB216_132:                            ;   in Loop: Header=BB216_134 Depth=2
	s_or_b32 exec_lo, exec_lo, s47
	s_waitcnt lgkmcnt(0)
	s_barrier
	buffer_gl0_inv
	ds_read_b32 v9, v3 offset:3072
	s_mov_b32 s47, -1
	s_mov_b32 s50, -1
	s_waitcnt lgkmcnt(0)
	s_barrier
	buffer_gl0_inv
	v_and_b32_e32 v28, 0x7fff, v9
	v_cmp_ne_u32_e32 vcc_lo, 0, v28
	s_cbranch_vccz .LBB216_137
.LBB216_133:                            ;   in Loop: Header=BB216_134 Depth=2
	s_and_b32 s2, exec_lo, s47
	s_or_b32 s24, s2, s24
	s_andn2_b32 s2, s46, exec_lo
	s_and_b32 s7, s50, exec_lo
	s_or_b32 s46, s2, s7
	s_andn2_b32 exec_lo, exec_lo, s24
	s_cbranch_execz .LBB216_140
.LBB216_134:                            ;   Parent Loop BB216_6 Depth=1
                                        ; =>  This Inner Loop Header: Depth=2
	s_mov_b32 s47, exec_lo
	v_cmpx_gt_u64_e64 s[20:21], v[6:7]
	s_cbranch_execz .LBB216_132
; %bb.135:                              ;   in Loop: Header=BB216_134 Depth=2
	ds_read_u16 v9, v8
	s_waitcnt lgkmcnt(0)
	v_cmp_lt_i16_e32 vcc_lo, -1, v9
	v_lshlrev_b32_e32 v29, 16, v9
	v_cndmask_b32_e32 v28, 0xffff, v39, vcc_lo
	v_cmp_o_f32_e32 vcc_lo, v29, v29
	v_xor_b32_sdwa v28, v28, v9 dst_sel:DWORD dst_unused:UNUSED_PAD src0_sel:DWORD src1_sel:WORD_0
	v_cndmask_b32_e32 v28, 0xffff, v28, vcc_lo
	v_and_b32_e32 v28, v28, v11
	v_cmp_eq_u32_e32 vcc_lo, v28, v10
	s_and_b32 exec_lo, exec_lo, vcc_lo
	s_cbranch_execz .LBB216_132
; %bb.136:                              ;   in Loop: Header=BB216_134 Depth=2
	v_perm_b32 v9, v9, s93, 0x5040100
	ds_write_b32 v3, v9 offset:3072
	s_branch .LBB216_132
.LBB216_137:                            ;   in Loop: Header=BB216_134 Depth=2
	v_add_co_u32 v6, vcc_lo, v6, s33
	v_add_co_ci_u32_e64 v7, null, 0, v7, vcc_lo
	v_add_nc_u32_e32 v8, s90, v8
	s_mov_b32 s50, 0
	v_cmp_le_u64_e32 vcc_lo, s[22:23], v[6:7]
	s_orn2_b32 s47, vcc_lo, exec_lo
	s_branch .LBB216_133
.LBB216_138:                            ;   in Loop: Header=BB216_6 Depth=1
                                        ; implicit-def: $sgpr24_sgpr25
	s_branch .LBB216_83
.LBB216_139:                            ;   in Loop: Header=BB216_6 Depth=1
                                        ; implicit-def: $sgpr20_sgpr21
	s_branch .LBB216_100
.LBB216_140:                            ;   in Loop: Header=BB216_6 Depth=1
	s_or_b32 exec_lo, exec_lo, s24
	v_lshrrev_b32_e32 v8, 16, v9
	s_and_b32 s24, s46, exec_lo
.LBB216_141:                            ;   in Loop: Header=BB216_6 Depth=1
	s_or_b32 exec_lo, exec_lo, s25
.LBB216_142:                            ;   in Loop: Header=BB216_6 Depth=1
	s_and_b32 vcc_lo, exec_lo, s6
	s_cbranch_vccz .LBB216_156
; %bb.143:                              ;   in Loop: Header=BB216_6 Depth=1
	s_mov_b32 s56, s53
	s_cmp_lg_u64 s[56:57], 0
	s_cbranch_scc0 .LBB216_184
; %bb.144:                              ;   in Loop: Header=BB216_6 Depth=1
	v_cvt_f32_u32_e32 v6, s33
	s_sub_u32 s21, 0, s33
	s_subb_u32 s22, 0, 0
	v_fmac_f32_e64 v6, 0x4f800000, 0
	v_rcp_f32_e32 v6, v6
	v_mul_f32_e32 v6, 0x5f7ffffc, v6
	v_mul_f32_e32 v7, 0x2f800000, v6
	v_trunc_f32_e32 v7, v7
	v_fmac_f32_e32 v6, 0xcf800000, v7
	v_cvt_u32_f32_e32 v7, v7
	v_cvt_u32_f32_e32 v6, v6
	v_readfirstlane_b32 s6, v7
	v_readfirstlane_b32 s20, v6
	s_mul_i32 s23, s21, s6
	s_mul_hi_u32 s46, s21, s20
	s_mul_i32 s25, s22, s20
	s_add_i32 s23, s46, s23
	s_mul_i32 s47, s21, s20
	s_add_i32 s23, s23, s25
	s_mul_hi_u32 s46, s20, s47
	s_mul_i32 s51, s20, s23
	s_mul_hi_u32 s50, s6, s47
	s_mul_i32 s25, s6, s47
	s_mul_hi_u32 s47, s20, s23
	s_add_u32 s46, s46, s51
	s_addc_u32 s47, 0, s47
	s_mul_hi_u32 s52, s6, s23
	s_add_u32 s25, s46, s25
	s_mul_i32 s23, s6, s23
	s_addc_u32 s25, s47, s50
	s_addc_u32 s46, s52, 0
	s_add_u32 s23, s25, s23
	s_addc_u32 s25, 0, s46
	s_add_u32 s20, s20, s23
	s_cselect_b32 s23, -1, 0
	s_mul_hi_u32 s46, s21, s20
	s_cmp_lg_u32 s23, 0
	s_mul_i32 s23, s21, s20
	s_addc_u32 s6, s6, s25
	s_mul_i32 s22, s22, s20
	s_mul_i32 s21, s21, s6
	s_mul_hi_u32 s25, s20, s23
	s_add_i32 s21, s46, s21
	s_mul_hi_u32 s46, s6, s23
	s_add_i32 s21, s21, s22
	s_mul_i32 s22, s6, s23
	s_mul_i32 s50, s20, s21
	s_mul_hi_u32 s47, s20, s21
	s_add_u32 s25, s25, s50
	s_addc_u32 s47, 0, s47
	s_mul_hi_u32 s23, s6, s21
	s_add_u32 s22, s25, s22
	s_mul_i32 s21, s6, s21
	s_addc_u32 s22, s47, s46
	s_addc_u32 s23, s23, 0
	s_add_u32 s21, s22, s21
	s_addc_u32 s22, 0, s23
	s_add_u32 s20, s20, s21
	s_cselect_b32 s21, -1, 0
	s_mul_hi_u32 s23, s84, s20
	s_cmp_lg_u32 s21, 0
	s_mul_hi_u32 s21, s57, s20
	s_addc_u32 s6, s6, s22
	s_mul_i32 s20, s57, s20
	s_mul_i32 s25, s84, s6
	s_mul_hi_u32 s22, s84, s6
	s_add_u32 s23, s23, s25
	s_addc_u32 s22, 0, s22
	s_mul_hi_u32 s46, s57, s6
	s_add_u32 s20, s23, s20
	s_mul_i32 s6, s57, s6
	s_addc_u32 s20, s22, s21
	s_addc_u32 s21, s46, 0
	s_add_u32 s6, s20, s6
	s_addc_u32 s20, 0, s21
	s_mul_hi_u32 s21, s33, s6
	s_mul_i32 s20, s33, s20
	s_mul_i32 s6, s33, s6
	s_add_i32 s21, s21, s20
	s_sub_u32 s6, s84, s6
	s_cselect_b32 s20, -1, 0
	s_cmp_lg_u32 s20, 0
	s_subb_u32 s20, s57, s21
	s_sub_u32 s21, s6, s33
	s_cselect_b32 s22, -1, 0
	s_cmp_lg_u32 s22, 0
	s_subb_u32 s22, s20, 0
	;; [unrolled: 4-line block ×3, first 2 shown]
	s_cmp_ge_u32 s21, s33
	s_cselect_b32 s46, -1, 0
	s_cmp_eq_u32 s22, 0
	s_cselect_b32 s46, s46, -1
	s_cmp_lg_u32 s46, 0
	s_cselect_b32 s22, s25, s22
	s_cselect_b32 s23, s23, s21
	s_cmp_ge_u32 s6, s33
	s_cselect_b32 s21, -1, 0
	s_cmp_eq_u32 s20, 0
	s_cselect_b32 s21, s21, -1
	s_cmp_lg_u32 s21, 0
	s_cselect_b32 s21, s22, s20
	s_cselect_b32 s20, s23, s6
	s_cbranch_execnz .LBB216_146
.LBB216_145:                            ;   in Loop: Header=BB216_6 Depth=1
	v_cvt_f32_u32_e32 v6, s33
	s_sub_i32 s20, 0, s33
	v_rcp_iflag_f32_e32 v6, v6
	v_mul_f32_e32 v6, 0x4f7ffffe, v6
	v_cvt_u32_f32_e32 v6, v6
	v_readfirstlane_b32 s6, v6
	s_mul_i32 s20, s20, s6
	s_mul_hi_u32 s20, s6, s20
	s_add_i32 s6, s6, s20
	s_mul_hi_u32 s6, s84, s6
	s_mul_i32 s6, s6, s33
	s_sub_i32 s6, s84, s6
	s_sub_i32 s20, s6, s33
	s_cmp_ge_u32 s6, s33
	s_cselect_b32 s6, s20, s6
	s_sub_i32 s20, s6, s33
	s_cmp_ge_u32 s6, s33
	s_cselect_b32 s52, s20, s6
	s_mov_b64 s[20:21], s[52:53]
.LBB216_146:                            ;   in Loop: Header=BB216_6 Depth=1
	s_sub_u32 s20, s84, s20
	s_subb_u32 s21, s57, s21
	s_mov_b32 s22, exec_lo
                                        ; implicit-def: $vgpr8
	v_cmpx_gt_u64_e64 s[20:21], v[0:1]
	s_cbranch_execz .LBB216_155
; %bb.147:                              ;   in Loop: Header=BB216_6 Depth=1
	v_mov_b32_e32 v6, v12
	v_mov_b32_e32 v9, v1
	;; [unrolled: 1-line block ×4, first 2 shown]
	s_mov_b32 s23, 0
                                        ; implicit-def: $sgpr25
	s_branch .LBB216_150
.LBB216_148:                            ;   in Loop: Header=BB216_150 Depth=2
	s_or_b32 exec_lo, exec_lo, s6
	s_waitcnt lgkmcnt(0)
	s_barrier
	buffer_gl0_inv
	ds_read_b32 v28, v3 offset:3072
	s_mov_b32 s6, -1
	s_mov_b32 s46, -1
	s_waitcnt lgkmcnt(0)
	s_barrier
	buffer_gl0_inv
	v_and_b32_e32 v29, 0x7fff, v28
	v_cmp_eq_u32_e32 vcc_lo, 0, v29
	s_cbranch_vccnz .LBB216_153
.LBB216_149:                            ;   in Loop: Header=BB216_150 Depth=2
	s_and_b32 s2, exec_lo, s6
	s_or_b32 s23, s2, s23
	s_andn2_b32 s2, s25, exec_lo
	s_and_b32 s6, s46, exec_lo
	s_or_b32 s25, s2, s6
	s_andn2_b32 exec_lo, exec_lo, s23
	s_cbranch_execz .LBB216_154
.LBB216_150:                            ;   Parent Loop BB216_6 Depth=1
                                        ; =>  This Inner Loop Header: Depth=2
	s_mov_b32 s6, exec_lo
	v_cmpx_gt_u64_e64 s[28:29], v[8:9]
	s_cbranch_execz .LBB216_148
; %bb.151:                              ;   in Loop: Header=BB216_150 Depth=2
	global_load_ushort v28, v[6:7], off
	s_waitcnt vmcnt(0)
	v_cmp_lt_i16_e32 vcc_lo, -1, v28
	v_lshlrev_b32_e32 v43, 16, v28
	v_cndmask_b32_e32 v29, 0xffff, v39, vcc_lo
	v_cmp_o_f32_e32 vcc_lo, v43, v43
	v_xor_b32_sdwa v29, v29, v28 dst_sel:DWORD dst_unused:UNUSED_PAD src0_sel:DWORD src1_sel:WORD_0
	v_cndmask_b32_e32 v29, 0xffff, v29, vcc_lo
	v_and_b32_e32 v29, v29, v11
	v_cmp_eq_u32_e32 vcc_lo, v29, v10
	s_and_b32 exec_lo, exec_lo, vcc_lo
	s_cbranch_execz .LBB216_148
; %bb.152:                              ;   in Loop: Header=BB216_150 Depth=2
	v_perm_b32 v28, v28, s93, 0x5040100
	ds_write_b32 v3, v28 offset:3072
	s_branch .LBB216_148
.LBB216_153:                            ;   in Loop: Header=BB216_150 Depth=2
	v_add_co_u32 v8, vcc_lo, v8, s33
	v_add_co_ci_u32_e64 v9, null, 0, v9, vcc_lo
	v_add_co_u32 v6, s6, v6, s34
	v_add_co_ci_u32_e64 v7, null, s35, v7, s6
	v_cmp_le_u64_e32 vcc_lo, s[20:21], v[8:9]
	s_mov_b32 s46, 0
	s_orn2_b32 s6, vcc_lo, exec_lo
	s_branch .LBB216_149
.LBB216_154:                            ;   in Loop: Header=BB216_6 Depth=1
	s_or_b32 exec_lo, exec_lo, s23
	v_lshrrev_b32_e32 v8, 16, v28
	s_andn2_b32 s2, s24, exec_lo
	s_and_b32 s6, s25, exec_lo
	s_or_b32 s24, s2, s6
.LBB216_155:                            ;   in Loop: Header=BB216_6 Depth=1
	s_or_b32 exec_lo, exec_lo, s22
	s_mov_b32 s64, 0
	s_mov_b32 s69, -1
.LBB216_156:                            ;   in Loop: Header=BB216_6 Depth=1
	s_orn2_b32 s6, s24, exec_lo
.LBB216_157:                            ;   in Loop: Header=BB216_6 Depth=1
	s_or_b32 exec_lo, exec_lo, s70
	s_mov_b32 s20, 0
	s_and_saveexec_b32 s70, s6
	s_cbranch_execz .LBB216_266
; %bb.158:                              ;   in Loop: Header=BB216_6 Depth=1
	v_mov_b32_e32 v6, 1
	v_mov_b32_e32 v7, 0
	;; [unrolled: 1-line block ×3, first 2 shown]
	s_xor_b32 s21, s71, -1
	s_and_saveexec_b32 s6, s21
	s_cbranch_execz .LBB216_167
; %bb.159:                              ;   in Loop: Header=BB216_6 Depth=1
	s_mov_b32 s20, exec_lo
	v_cmpx_ge_u64_e64 s[14:15], v[4:5]
	s_xor_b32 s20, exec_lo, s20
	s_cbranch_execz .LBB216_164
; %bb.160:                              ;   in Loop: Header=BB216_6 Depth=1
	ds_read_b64 v[6:7], v3 offset:5120
	s_lshl_b32 s21, 1, s91
	v_or_b32_e32 v11, s11, v11
	v_and_or_b32 v10, v10, s26, s21
	s_waitcnt lgkmcnt(0)
	v_cmp_ne_u64_e32 vcc_lo, 0, v[6:7]
	s_cbranch_vccnz .LBB216_164
; %bb.161:                              ;   in Loop: Header=BB216_6 Depth=1
	s_and_saveexec_b32 s21, s3
; %bb.162:                              ;   in Loop: Header=BB216_6 Depth=1
	v_mov_b32_e32 v6, s14
	v_mov_b32_e32 v7, s15
	ds_write_b64 v3, v[6:7] offset:5128
; %bb.163:                              ;   in Loop: Header=BB216_6 Depth=1
	s_or_b32 exec_lo, exec_lo, s21
	s_waitcnt lgkmcnt(0)
	s_barrier
	buffer_gl0_inv
.LBB216_164:                            ;   in Loop: Header=BB216_6 Depth=1
	s_or_saveexec_b32 s20, s20
	v_mov_b32_e32 v2, 8
	s_mov_b32 s21, 0
	s_xor_b32 exec_lo, exec_lo, s20
; %bb.165:                              ;   in Loop: Header=BB216_6 Depth=1
	v_sub_co_u32 v4, vcc_lo, v4, s14
	v_subrev_co_ci_u32_e64 v5, null, s15, v5, vcc_lo
	v_mov_b32_e32 v2, 0
	s_mov_b32 s21, exec_lo
; %bb.166:                              ;   in Loop: Header=BB216_6 Depth=1
	s_or_b32 exec_lo, exec_lo, s20
	v_mov_b32_e32 v7, v5
	v_mov_b32_e32 v6, v4
	s_and_b32 s20, s21, exec_lo
.LBB216_167:                            ;   in Loop: Header=BB216_6 Depth=1
	s_or_b32 exec_lo, exec_lo, s6
	s_mov_b32 s6, -1
                                        ; implicit-def: $sgpr72
                                        ; implicit-def: $sgpr73
	s_and_saveexec_b32 s71, s20
	s_cbranch_execz .LBB216_265
; %bb.168:                              ;   in Loop: Header=BB216_6 Depth=1
	v_cmp_eq_u64_e32 vcc_lo, 1, v[6:7]
	s_cmp_eq_u64 s[16:17], 1
                                        ; implicit-def: $sgpr73
                                        ; implicit-def: $sgpr72
	s_cselect_b32 s6, -1, 0
	s_and_b32 s75, s6, vcc_lo
	s_mov_b32 s6, -1
	s_and_saveexec_b32 s74, s75
	s_cbranch_execz .LBB216_202
; %bb.169:                              ;   in Loop: Header=BB216_6 Depth=1
	ds_read_b64 v[4:5], v3 offset:5120
	s_waitcnt lgkmcnt(0)
	s_barrier
	buffer_gl0_inv
	v_readfirstlane_b32 s20, v4
	v_readfirstlane_b32 s21, v5
	s_and_saveexec_b32 s6, s10
; %bb.170:                              ;   in Loop: Header=BB216_6 Depth=1
	ds_write_b16 v33, v3
; %bb.171:                              ;   in Loop: Header=BB216_6 Depth=1
	s_or_b32 exec_lo, exec_lo, s6
	s_lshl_b32 s6, 2, s91
	v_or_b32_e32 v11, s11, v11
	v_and_or_b32 v10, v10, s26, s6
	s_mov_b32 s72, -1
	s_mov_b32 s73, 0
	s_cmp_eq_u64 s[20:21], 0
	s_mov_b32 s24, 0
	s_mov_b32 s6, -1
	s_waitcnt lgkmcnt(0)
	s_barrier
	buffer_gl0_inv
                                        ; implicit-def: $vgpr8
	s_cbranch_scc1 .LBB216_187
; %bb.172:                              ;   in Loop: Header=BB216_6 Depth=1
	s_add_u32 s6, s20, s82
	s_addc_u32 s23, s21, s83
	s_mov_b32 s22, s53
	s_cmp_lg_u64 s[22:23], 0
	s_cbranch_scc0 .LBB216_219
; %bb.173:                              ;   in Loop: Header=BB216_6 Depth=1
	v_cvt_f32_u32_e32 v4, s33
	s_sub_u32 s25, 0, s33
	s_subb_u32 s46, 0, 0
	v_fmac_f32_e64 v4, 0x4f800000, 0
	v_rcp_f32_e32 v4, v4
	v_mul_f32_e32 v4, 0x5f7ffffc, v4
	v_mul_f32_e32 v5, 0x2f800000, v4
	v_trunc_f32_e32 v5, v5
	v_fmac_f32_e32 v4, 0xcf800000, v5
	v_cvt_u32_f32_e32 v5, v5
	v_cvt_u32_f32_e32 v4, v4
	v_readfirstlane_b32 s22, v5
	v_readfirstlane_b32 s24, v4
	s_mul_i32 s47, s25, s22
	s_mul_hi_u32 s51, s25, s24
	s_mul_i32 s50, s46, s24
	s_add_i32 s47, s51, s47
	s_mul_i32 s52, s25, s24
	s_add_i32 s47, s47, s50
	s_mul_hi_u32 s51, s24, s52
	s_mul_i32 s76, s24, s47
	s_mul_hi_u32 s56, s22, s52
	s_mul_i32 s50, s22, s52
	s_mul_hi_u32 s52, s24, s47
	s_add_u32 s51, s51, s76
	s_addc_u32 s52, 0, s52
	s_mul_hi_u32 s77, s22, s47
	s_add_u32 s50, s51, s50
	s_mul_i32 s47, s22, s47
	s_addc_u32 s50, s52, s56
	s_addc_u32 s51, s77, 0
	s_add_u32 s47, s50, s47
	s_addc_u32 s50, 0, s51
	s_add_u32 s24, s24, s47
	s_cselect_b32 s47, -1, 0
	s_mul_hi_u32 s51, s25, s24
	s_cmp_lg_u32 s47, 0
	s_mul_i32 s47, s25, s24
	s_addc_u32 s22, s22, s50
	s_mul_i32 s46, s46, s24
	s_mul_i32 s25, s25, s22
	s_mul_hi_u32 s50, s24, s47
	s_add_i32 s25, s51, s25
	s_mul_hi_u32 s51, s22, s47
	s_add_i32 s25, s25, s46
	s_mul_i32 s46, s22, s47
	s_mul_i32 s56, s24, s25
	s_mul_hi_u32 s52, s24, s25
	s_add_u32 s50, s50, s56
	s_addc_u32 s52, 0, s52
	s_mul_hi_u32 s47, s22, s25
	s_add_u32 s46, s50, s46
	s_mul_i32 s25, s22, s25
	s_addc_u32 s46, s52, s51
	s_addc_u32 s47, s47, 0
	s_add_u32 s25, s46, s25
	s_addc_u32 s46, 0, s47
	s_add_u32 s24, s24, s25
	s_cselect_b32 s25, -1, 0
	s_mul_hi_u32 s47, s6, s24
	s_cmp_lg_u32 s25, 0
	s_mul_hi_u32 s25, s23, s24
	s_addc_u32 s22, s22, s46
	s_mul_i32 s24, s23, s24
	s_mul_i32 s50, s6, s22
	s_mul_hi_u32 s46, s6, s22
	s_add_u32 s47, s47, s50
	s_addc_u32 s46, 0, s46
	s_mul_hi_u32 s51, s23, s22
	s_add_u32 s24, s47, s24
	s_mul_i32 s22, s23, s22
	s_addc_u32 s24, s46, s25
	s_addc_u32 s25, s51, 0
	s_add_u32 s22, s24, s22
	s_addc_u32 s24, 0, s25
	s_mul_hi_u32 s25, s33, s22
	s_mul_i32 s24, s33, s24
	s_mul_i32 s22, s33, s22
	s_add_i32 s25, s25, s24
	s_sub_u32 s22, s6, s22
	s_cselect_b32 s24, -1, 0
	s_cmp_lg_u32 s24, 0
	s_subb_u32 s24, s23, s25
	s_sub_u32 s25, s22, s33
	s_cselect_b32 s46, -1, 0
	s_cmp_lg_u32 s46, 0
	s_subb_u32 s46, s24, 0
	;; [unrolled: 4-line block ×3, first 2 shown]
	s_cmp_ge_u32 s25, s33
	s_cselect_b32 s51, -1, 0
	s_cmp_eq_u32 s46, 0
	s_cselect_b32 s51, s51, -1
	s_cmp_lg_u32 s51, 0
	s_cselect_b32 s46, s50, s46
	s_cselect_b32 s47, s47, s25
	s_cmp_ge_u32 s22, s33
	s_cselect_b32 s25, -1, 0
	s_cmp_eq_u32 s24, 0
	s_cselect_b32 s25, s25, -1
	s_cmp_lg_u32 s25, 0
	s_cselect_b32 s25, s46, s24
	s_cselect_b32 s24, s47, s22
	s_cbranch_execnz .LBB216_175
.LBB216_174:                            ;   in Loop: Header=BB216_6 Depth=1
	v_cvt_f32_u32_e32 v4, s33
	s_sub_i32 s24, 0, s33
	v_rcp_iflag_f32_e32 v4, v4
	v_mul_f32_e32 v4, 0x4f7ffffe, v4
	v_cvt_u32_f32_e32 v4, v4
	v_readfirstlane_b32 s22, v4
	s_mul_i32 s24, s24, s22
	s_mul_hi_u32 s24, s22, s24
	s_add_i32 s22, s22, s24
	s_mul_hi_u32 s22, s6, s22
	s_mul_i32 s22, s22, s33
	s_sub_i32 s22, s6, s22
	s_sub_i32 s24, s22, s33
	s_cmp_ge_u32 s22, s33
	s_cselect_b32 s22, s24, s22
	s_sub_i32 s24, s22, s33
	s_cmp_ge_u32 s22, s33
	s_cselect_b32 s52, s24, s22
	s_mov_b64 s[24:25], s[52:53]
.LBB216_175:                            ;   in Loop: Header=BB216_6 Depth=1
	s_sub_u32 s22, s6, s24
	s_subb_u32 s23, s23, s25
	s_mov_b32 s6, 0
	s_mov_b32 s24, 0
	s_mov_b32 s25, exec_lo
                                        ; implicit-def: $vgpr8
	v_cmpx_gt_u64_e64 s[22:23], v[0:1]
	s_cbranch_execz .LBB216_186
; %bb.176:                              ;   in Loop: Header=BB216_6 Depth=1
	v_mov_b32_e32 v5, v1
	v_mov_b32_e32 v8, v32
	;; [unrolled: 1-line block ×3, first 2 shown]
                                        ; implicit-def: $sgpr46
	s_branch .LBB216_179
.LBB216_177:                            ;   in Loop: Header=BB216_179 Depth=2
	s_or_b32 exec_lo, exec_lo, s47
	s_waitcnt lgkmcnt(0)
	s_barrier
	buffer_gl0_inv
	ds_read_b32 v9, v3 offset:3072
	s_mov_b32 s47, -1
	s_mov_b32 s50, -1
	s_waitcnt lgkmcnt(0)
	s_barrier
	buffer_gl0_inv
	v_and_b32_e32 v28, 0x7fff, v9
	v_cmp_ne_u32_e32 vcc_lo, 0, v28
	s_cbranch_vccz .LBB216_182
.LBB216_178:                            ;   in Loop: Header=BB216_179 Depth=2
	s_and_b32 s2, exec_lo, s47
	s_or_b32 s24, s2, s24
	s_andn2_b32 s2, s46, exec_lo
	s_and_b32 s7, s50, exec_lo
	s_or_b32 s46, s2, s7
	s_andn2_b32 exec_lo, exec_lo, s24
	s_cbranch_execz .LBB216_185
.LBB216_179:                            ;   Parent Loop BB216_6 Depth=1
                                        ; =>  This Inner Loop Header: Depth=2
	s_mov_b32 s47, exec_lo
	v_cmpx_gt_u64_e64 s[20:21], v[4:5]
	s_cbranch_execz .LBB216_177
; %bb.180:                              ;   in Loop: Header=BB216_179 Depth=2
	ds_read_u16 v9, v8
	s_waitcnt lgkmcnt(0)
	v_cmp_lt_i16_e32 vcc_lo, -1, v9
	v_lshlrev_b32_e32 v29, 16, v9
	v_cndmask_b32_e32 v28, 0xffff, v39, vcc_lo
	v_cmp_o_f32_e32 vcc_lo, v29, v29
	v_xor_b32_sdwa v28, v28, v9 dst_sel:DWORD dst_unused:UNUSED_PAD src0_sel:DWORD src1_sel:WORD_0
	v_cndmask_b32_e32 v28, 0xffff, v28, vcc_lo
	v_and_b32_e32 v28, v28, v11
	v_cmp_eq_u32_e32 vcc_lo, v28, v10
	s_and_b32 exec_lo, exec_lo, vcc_lo
	s_cbranch_execz .LBB216_177
; %bb.181:                              ;   in Loop: Header=BB216_179 Depth=2
	v_perm_b32 v9, v9, s93, 0x5040100
	ds_write_b32 v3, v9 offset:3072
	s_branch .LBB216_177
.LBB216_182:                            ;   in Loop: Header=BB216_179 Depth=2
	v_add_co_u32 v4, vcc_lo, v4, s33
	v_add_co_ci_u32_e64 v5, null, 0, v5, vcc_lo
	v_add_nc_u32_e32 v8, s90, v8
	s_mov_b32 s50, 0
	v_cmp_le_u64_e32 vcc_lo, s[22:23], v[4:5]
	s_orn2_b32 s47, vcc_lo, exec_lo
	s_branch .LBB216_178
.LBB216_183:                            ;   in Loop: Header=BB216_6 Depth=1
                                        ; implicit-def: $sgpr24_sgpr25
	s_branch .LBB216_129
.LBB216_184:                            ;   in Loop: Header=BB216_6 Depth=1
                                        ; implicit-def: $sgpr20_sgpr21
	s_branch .LBB216_145
.LBB216_185:                            ;   in Loop: Header=BB216_6 Depth=1
	s_or_b32 exec_lo, exec_lo, s24
	v_lshrrev_b32_e32 v8, 16, v9
	s_and_b32 s24, s46, exec_lo
.LBB216_186:                            ;   in Loop: Header=BB216_6 Depth=1
	s_or_b32 exec_lo, exec_lo, s25
.LBB216_187:                            ;   in Loop: Header=BB216_6 Depth=1
	s_and_b32 vcc_lo, exec_lo, s6
	s_cbranch_vccz .LBB216_201
; %bb.188:                              ;   in Loop: Header=BB216_6 Depth=1
	s_mov_b32 s56, s53
	s_cmp_lg_u64 s[56:57], 0
	s_cbranch_scc0 .LBB216_220
; %bb.189:                              ;   in Loop: Header=BB216_6 Depth=1
	v_cvt_f32_u32_e32 v4, s33
	s_sub_u32 s21, 0, s33
	s_subb_u32 s22, 0, 0
	v_fmac_f32_e64 v4, 0x4f800000, 0
	v_rcp_f32_e32 v4, v4
	v_mul_f32_e32 v4, 0x5f7ffffc, v4
	v_mul_f32_e32 v5, 0x2f800000, v4
	v_trunc_f32_e32 v5, v5
	v_fmac_f32_e32 v4, 0xcf800000, v5
	v_cvt_u32_f32_e32 v5, v5
	v_cvt_u32_f32_e32 v4, v4
	v_readfirstlane_b32 s6, v5
	v_readfirstlane_b32 s20, v4
	s_mul_i32 s23, s21, s6
	s_mul_hi_u32 s46, s21, s20
	s_mul_i32 s25, s22, s20
	s_add_i32 s23, s46, s23
	s_mul_i32 s47, s21, s20
	s_add_i32 s23, s23, s25
	s_mul_hi_u32 s46, s20, s47
	s_mul_i32 s51, s20, s23
	s_mul_hi_u32 s50, s6, s47
	s_mul_i32 s25, s6, s47
	s_mul_hi_u32 s47, s20, s23
	s_add_u32 s46, s46, s51
	s_addc_u32 s47, 0, s47
	s_mul_hi_u32 s52, s6, s23
	s_add_u32 s25, s46, s25
	s_mul_i32 s23, s6, s23
	s_addc_u32 s25, s47, s50
	s_addc_u32 s46, s52, 0
	s_add_u32 s23, s25, s23
	s_addc_u32 s25, 0, s46
	s_add_u32 s20, s20, s23
	s_cselect_b32 s23, -1, 0
	s_mul_hi_u32 s46, s21, s20
	s_cmp_lg_u32 s23, 0
	s_mul_i32 s23, s21, s20
	s_addc_u32 s6, s6, s25
	s_mul_i32 s22, s22, s20
	s_mul_i32 s21, s21, s6
	s_mul_hi_u32 s25, s20, s23
	s_add_i32 s21, s46, s21
	s_mul_hi_u32 s46, s6, s23
	s_add_i32 s21, s21, s22
	s_mul_i32 s22, s6, s23
	s_mul_i32 s50, s20, s21
	s_mul_hi_u32 s47, s20, s21
	s_add_u32 s25, s25, s50
	s_addc_u32 s47, 0, s47
	s_mul_hi_u32 s23, s6, s21
	s_add_u32 s22, s25, s22
	s_mul_i32 s21, s6, s21
	s_addc_u32 s22, s47, s46
	s_addc_u32 s23, s23, 0
	s_add_u32 s21, s22, s21
	s_addc_u32 s22, 0, s23
	s_add_u32 s20, s20, s21
	s_cselect_b32 s21, -1, 0
	s_mul_hi_u32 s23, s84, s20
	s_cmp_lg_u32 s21, 0
	s_mul_hi_u32 s21, s57, s20
	s_addc_u32 s6, s6, s22
	s_mul_i32 s20, s57, s20
	s_mul_i32 s25, s84, s6
	s_mul_hi_u32 s22, s84, s6
	s_add_u32 s23, s23, s25
	s_addc_u32 s22, 0, s22
	s_mul_hi_u32 s46, s57, s6
	s_add_u32 s20, s23, s20
	s_mul_i32 s6, s57, s6
	s_addc_u32 s20, s22, s21
	s_addc_u32 s21, s46, 0
	s_add_u32 s6, s20, s6
	s_addc_u32 s20, 0, s21
	s_mul_hi_u32 s21, s33, s6
	s_mul_i32 s20, s33, s20
	s_mul_i32 s6, s33, s6
	s_add_i32 s21, s21, s20
	s_sub_u32 s6, s84, s6
	s_cselect_b32 s20, -1, 0
	s_cmp_lg_u32 s20, 0
	s_subb_u32 s20, s57, s21
	s_sub_u32 s21, s6, s33
	s_cselect_b32 s22, -1, 0
	s_cmp_lg_u32 s22, 0
	s_subb_u32 s22, s20, 0
	;; [unrolled: 4-line block ×3, first 2 shown]
	s_cmp_ge_u32 s21, s33
	s_cselect_b32 s46, -1, 0
	s_cmp_eq_u32 s22, 0
	s_cselect_b32 s46, s46, -1
	s_cmp_lg_u32 s46, 0
	s_cselect_b32 s22, s25, s22
	s_cselect_b32 s23, s23, s21
	s_cmp_ge_u32 s6, s33
	s_cselect_b32 s21, -1, 0
	s_cmp_eq_u32 s20, 0
	s_cselect_b32 s21, s21, -1
	s_cmp_lg_u32 s21, 0
	s_cselect_b32 s21, s22, s20
	s_cselect_b32 s20, s23, s6
	s_cbranch_execnz .LBB216_191
.LBB216_190:                            ;   in Loop: Header=BB216_6 Depth=1
	v_cvt_f32_u32_e32 v4, s33
	s_sub_i32 s20, 0, s33
	v_rcp_iflag_f32_e32 v4, v4
	v_mul_f32_e32 v4, 0x4f7ffffe, v4
	v_cvt_u32_f32_e32 v4, v4
	v_readfirstlane_b32 s6, v4
	s_mul_i32 s20, s20, s6
	s_mul_hi_u32 s20, s6, s20
	s_add_i32 s6, s6, s20
	s_mul_hi_u32 s6, s84, s6
	s_mul_i32 s6, s6, s33
	s_sub_i32 s6, s84, s6
	s_sub_i32 s20, s6, s33
	s_cmp_ge_u32 s6, s33
	s_cselect_b32 s6, s20, s6
	s_sub_i32 s20, s6, s33
	s_cmp_ge_u32 s6, s33
	s_cselect_b32 s52, s20, s6
	s_mov_b64 s[20:21], s[52:53]
.LBB216_191:                            ;   in Loop: Header=BB216_6 Depth=1
	s_sub_u32 s20, s84, s20
	s_subb_u32 s21, s57, s21
	s_mov_b32 s22, exec_lo
                                        ; implicit-def: $vgpr8
	v_cmpx_gt_u64_e64 s[20:21], v[0:1]
	s_cbranch_execz .LBB216_200
; %bb.192:                              ;   in Loop: Header=BB216_6 Depth=1
	v_mov_b32_e32 v4, v12
	v_mov_b32_e32 v9, v1
	;; [unrolled: 1-line block ×4, first 2 shown]
	s_mov_b32 s23, 0
                                        ; implicit-def: $sgpr25
	s_branch .LBB216_195
.LBB216_193:                            ;   in Loop: Header=BB216_195 Depth=2
	s_or_b32 exec_lo, exec_lo, s6
	s_waitcnt lgkmcnt(0)
	s_barrier
	buffer_gl0_inv
	ds_read_b32 v28, v3 offset:3072
	s_mov_b32 s6, -1
	s_mov_b32 s46, -1
	s_waitcnt lgkmcnt(0)
	s_barrier
	buffer_gl0_inv
	v_and_b32_e32 v29, 0x7fff, v28
	v_cmp_eq_u32_e32 vcc_lo, 0, v29
	s_cbranch_vccnz .LBB216_198
.LBB216_194:                            ;   in Loop: Header=BB216_195 Depth=2
	s_and_b32 s2, exec_lo, s6
	s_or_b32 s23, s2, s23
	s_andn2_b32 s2, s25, exec_lo
	s_and_b32 s6, s46, exec_lo
	s_or_b32 s25, s2, s6
	s_andn2_b32 exec_lo, exec_lo, s23
	s_cbranch_execz .LBB216_199
.LBB216_195:                            ;   Parent Loop BB216_6 Depth=1
                                        ; =>  This Inner Loop Header: Depth=2
	s_mov_b32 s6, exec_lo
	v_cmpx_gt_u64_e64 s[28:29], v[8:9]
	s_cbranch_execz .LBB216_193
; %bb.196:                              ;   in Loop: Header=BB216_195 Depth=2
	global_load_ushort v28, v[4:5], off
	s_waitcnt vmcnt(0)
	v_cmp_lt_i16_e32 vcc_lo, -1, v28
	v_lshlrev_b32_e32 v43, 16, v28
	v_cndmask_b32_e32 v29, 0xffff, v39, vcc_lo
	v_cmp_o_f32_e32 vcc_lo, v43, v43
	v_xor_b32_sdwa v29, v29, v28 dst_sel:DWORD dst_unused:UNUSED_PAD src0_sel:DWORD src1_sel:WORD_0
	v_cndmask_b32_e32 v29, 0xffff, v29, vcc_lo
	v_and_b32_e32 v29, v29, v11
	v_cmp_eq_u32_e32 vcc_lo, v29, v10
	s_and_b32 exec_lo, exec_lo, vcc_lo
	s_cbranch_execz .LBB216_193
; %bb.197:                              ;   in Loop: Header=BB216_195 Depth=2
	v_perm_b32 v28, v28, s93, 0x5040100
	ds_write_b32 v3, v28 offset:3072
	s_branch .LBB216_193
.LBB216_198:                            ;   in Loop: Header=BB216_195 Depth=2
	v_add_co_u32 v8, vcc_lo, v8, s33
	v_add_co_ci_u32_e64 v9, null, 0, v9, vcc_lo
	v_add_co_u32 v4, s6, v4, s34
	v_add_co_ci_u32_e64 v5, null, s35, v5, s6
	v_cmp_le_u64_e32 vcc_lo, s[20:21], v[8:9]
	s_mov_b32 s46, 0
	s_orn2_b32 s6, vcc_lo, exec_lo
	s_branch .LBB216_194
.LBB216_199:                            ;   in Loop: Header=BB216_6 Depth=1
	s_or_b32 exec_lo, exec_lo, s23
	v_lshrrev_b32_e32 v8, 16, v28
	s_andn2_b32 s2, s24, exec_lo
	s_and_b32 s6, s25, exec_lo
	s_or_b32 s24, s2, s6
.LBB216_200:                            ;   in Loop: Header=BB216_6 Depth=1
	s_or_b32 exec_lo, exec_lo, s22
	s_mov_b32 s72, 0
	s_mov_b32 s73, -1
.LBB216_201:                            ;   in Loop: Header=BB216_6 Depth=1
	s_orn2_b32 s6, s24, exec_lo
.LBB216_202:                            ;   in Loop: Header=BB216_6 Depth=1
	s_or_b32 exec_lo, exec_lo, s74
	s_mov_b32 s20, 0
	s_and_saveexec_b32 s74, s6
	s_cbranch_execz .LBB216_264
; %bb.203:                              ;   in Loop: Header=BB216_6 Depth=1
	v_mov_b32_e32 v4, 1
	v_mov_b32_e32 v5, 0
	;; [unrolled: 1-line block ×3, first 2 shown]
	s_xor_b32 s21, s75, -1
	s_and_saveexec_b32 s6, s21
	s_cbranch_execz .LBB216_212
; %bb.204:                              ;   in Loop: Header=BB216_6 Depth=1
	s_mov_b32 s20, exec_lo
	v_cmpx_ge_u64_e64 s[16:17], v[6:7]
	s_xor_b32 s20, exec_lo, s20
	s_cbranch_execz .LBB216_209
; %bb.205:                              ;   in Loop: Header=BB216_6 Depth=1
	ds_read_b64 v[4:5], v3 offset:5120
	s_lshl_b32 s21, 2, s91
	v_or_b32_e32 v11, s11, v11
	v_and_or_b32 v10, v10, s26, s21
	s_waitcnt lgkmcnt(0)
	v_cmp_ne_u64_e32 vcc_lo, 0, v[4:5]
	s_cbranch_vccnz .LBB216_209
; %bb.206:                              ;   in Loop: Header=BB216_6 Depth=1
	s_and_saveexec_b32 s21, s3
; %bb.207:                              ;   in Loop: Header=BB216_6 Depth=1
	v_mov_b32_e32 v4, s16
	v_mov_b32_e32 v5, s17
	ds_write_b64 v3, v[4:5] offset:5128
; %bb.208:                              ;   in Loop: Header=BB216_6 Depth=1
	s_or_b32 exec_lo, exec_lo, s21
	s_waitcnt lgkmcnt(0)
	s_barrier
	buffer_gl0_inv
.LBB216_209:                            ;   in Loop: Header=BB216_6 Depth=1
	s_or_saveexec_b32 s20, s20
	v_mov_b32_e32 v2, 8
	s_mov_b32 s21, 0
	s_xor_b32 exec_lo, exec_lo, s20
; %bb.210:                              ;   in Loop: Header=BB216_6 Depth=1
	v_sub_co_u32 v6, vcc_lo, v6, s16
	v_subrev_co_ci_u32_e64 v7, null, s17, v7, vcc_lo
	v_mov_b32_e32 v2, 0
	s_mov_b32 s21, exec_lo
; %bb.211:                              ;   in Loop: Header=BB216_6 Depth=1
	s_or_b32 exec_lo, exec_lo, s20
	v_mov_b32_e32 v4, v6
	v_mov_b32_e32 v5, v7
	s_and_b32 s20, s21, exec_lo
.LBB216_212:                            ;   in Loop: Header=BB216_6 Depth=1
	s_or_b32 exec_lo, exec_lo, s6
	s_mov_b32 s6, -1
                                        ; implicit-def: $sgpr46
                                        ; implicit-def: $sgpr56
	s_and_saveexec_b32 s75, s20
	s_cbranch_execz .LBB216_263
; %bb.213:                              ;   in Loop: Header=BB216_6 Depth=1
	v_cmp_eq_u64_e32 vcc_lo, 1, v[4:5]
	s_cmp_eq_u64 s[18:19], 1
	s_mov_b32 s20, -1
	s_cselect_b32 s6, -1, 0
                                        ; implicit-def: $sgpr46
                                        ; implicit-def: $sgpr56
	s_and_b32 s76, s6, vcc_lo
	s_and_saveexec_b32 s77, s76
	s_cbranch_execz .LBB216_251
; %bb.214:                              ;   in Loop: Header=BB216_6 Depth=1
	ds_read_b64 v[6:7], v3 offset:5120
	s_waitcnt lgkmcnt(0)
	s_barrier
	buffer_gl0_inv
	v_readfirstlane_b32 s20, v6
	v_readfirstlane_b32 s21, v7
	s_and_saveexec_b32 s6, s10
; %bb.215:                              ;   in Loop: Header=BB216_6 Depth=1
	ds_write_b16 v33, v3
; %bb.216:                              ;   in Loop: Header=BB216_6 Depth=1
	s_or_b32 exec_lo, exec_lo, s6
	v_or_b32_e32 v10, s11, v10
	v_or_b32_e32 v11, s11, v11
	s_mov_b32 s56, -1
	s_mov_b32 s46, 0
	s_cmp_eq_u64 s[20:21], 0
	s_mov_b32 s24, 0
	s_mov_b32 s25, -1
	s_waitcnt lgkmcnt(0)
	s_barrier
	buffer_gl0_inv
                                        ; implicit-def: $vgpr8
	s_cbranch_scc1 .LBB216_234
; %bb.217:                              ;   in Loop: Header=BB216_6 Depth=1
	s_add_u32 s6, s20, s82
	s_addc_u32 s23, s21, s83
	s_mov_b32 s22, s53
	s_cmp_lg_u64 s[22:23], 0
	s_cbranch_scc0 .LBB216_221
; %bb.218:                              ;   in Loop: Header=BB216_6 Depth=1
	v_cvt_f32_u32_e32 v6, s33
	s_sub_u32 s25, 0, s33
	s_subb_u32 s47, 0, 0
	v_fmac_f32_e64 v6, 0x4f800000, 0
	v_rcp_f32_e32 v6, v6
	v_mul_f32_e32 v6, 0x5f7ffffc, v6
	v_mul_f32_e32 v7, 0x2f800000, v6
	v_trunc_f32_e32 v7, v7
	v_fmac_f32_e32 v6, 0xcf800000, v7
	v_cvt_u32_f32_e32 v7, v7
	v_cvt_u32_f32_e32 v6, v6
	v_readfirstlane_b32 s22, v7
	v_readfirstlane_b32 s24, v6
	s_mul_i32 s50, s25, s22
	s_mul_hi_u32 s52, s25, s24
	s_mul_i32 s51, s47, s24
	s_add_i32 s50, s52, s50
	s_mul_i32 vcc_lo, s25, s24
	s_add_i32 s50, s50, s51
	s_mul_hi_u32 s52, s24, vcc_lo
	s_mul_i32 s2, s24, s50
	s_mul_hi_u32 s8, s22, vcc_lo
	s_mul_i32 s51, s22, vcc_lo
	s_mul_hi_u32 vcc_lo, s24, s50
	s_add_u32 s2, s52, s2
	s_addc_u32 s52, 0, vcc_lo
	s_mul_hi_u32 s7, s22, s50
	s_add_u32 s2, s2, s51
	s_mul_i32 s50, s22, s50
	s_addc_u32 s2, s52, s8
	s_addc_u32 s7, s7, 0
	s_add_u32 s2, s2, s50
	s_addc_u32 s7, 0, s7
	s_add_u32 s2, s24, s2
	s_cselect_b32 s8, -1, 0
	s_mul_hi_u32 s24, s25, s2
	s_cmp_lg_u32 s8, 0
	s_mul_i32 s8, s25, s2
	s_addc_u32 s7, s22, s7
	s_mul_i32 s47, s47, s2
	s_mul_i32 s25, s25, s7
	s_mul_hi_u32 s22, s2, s8
	s_add_i32 s24, s24, s25
	s_mul_hi_u32 s25, s7, s8
	s_add_i32 s24, s24, s47
	s_mul_i32 s8, s7, s8
	s_mul_i32 s51, s2, s24
	s_mul_hi_u32 s50, s2, s24
	s_add_u32 s22, s22, s51
	s_addc_u32 s50, 0, s50
	s_mul_hi_u32 s47, s7, s24
	s_add_u32 s8, s22, s8
	s_mul_i32 s24, s7, s24
	s_addc_u32 s8, s50, s25
	s_addc_u32 s22, s47, 0
	s_add_u32 s8, s8, s24
	s_addc_u32 s22, 0, s22
	s_add_u32 s2, s2, s8
	s_cselect_b32 s8, -1, 0
	s_mul_hi_u32 s24, s6, s2
	s_cmp_lg_u32 s8, 0
	s_mul_hi_u32 s8, s23, s2
	s_addc_u32 s7, s7, s22
	s_mul_i32 s2, s23, s2
	s_mul_i32 s25, s6, s7
	s_mul_hi_u32 s22, s6, s7
	s_add_u32 s24, s24, s25
	s_addc_u32 s22, 0, s22
	s_mul_hi_u32 s47, s23, s7
	s_add_u32 s2, s24, s2
	s_mul_i32 s7, s23, s7
	s_addc_u32 s2, s22, s8
	s_addc_u32 s8, s47, 0
	s_add_u32 s2, s2, s7
	s_addc_u32 s7, 0, s8
	s_mul_hi_u32 s8, s33, s2
	s_mul_i32 s7, s33, s7
	s_mul_i32 s2, s33, s2
	s_add_i32 s8, s8, s7
	s_sub_u32 s2, s6, s2
	s_cselect_b32 s7, -1, 0
	s_cmp_lg_u32 s7, 0
	s_subb_u32 s7, s23, s8
	s_sub_u32 s8, s2, s33
	s_cselect_b32 s22, -1, 0
	s_cmp_lg_u32 s22, 0
	s_subb_u32 s22, s7, 0
	;; [unrolled: 4-line block ×3, first 2 shown]
	s_cmp_ge_u32 s8, s33
	s_cselect_b32 s47, -1, 0
	s_cmp_eq_u32 s22, 0
	s_cselect_b32 s47, s47, -1
	s_cmp_lg_u32 s47, 0
	s_cselect_b32 s22, s25, s22
	s_cselect_b32 s8, s24, s8
	s_cmp_ge_u32 s2, s33
	s_cselect_b32 s24, -1, 0
	s_cmp_eq_u32 s7, 0
	s_cselect_b32 s24, s24, -1
	s_cmp_lg_u32 s24, 0
	s_cselect_b32 s25, s22, s7
	s_cselect_b32 s24, s8, s2
	s_mov_b32 s22, 0
	s_branch .LBB216_222
.LBB216_219:                            ;   in Loop: Header=BB216_6 Depth=1
                                        ; implicit-def: $sgpr24_sgpr25
	s_branch .LBB216_174
.LBB216_220:                            ;   in Loop: Header=BB216_6 Depth=1
                                        ; implicit-def: $sgpr20_sgpr21
	s_branch .LBB216_190
.LBB216_221:                            ;   in Loop: Header=BB216_6 Depth=1
	s_mov_b32 s22, -1
                                        ; implicit-def: $sgpr24_sgpr25
.LBB216_222:                            ;   in Loop: Header=BB216_6 Depth=1
	s_andn2_b32 vcc_lo, exec_lo, s22
	s_cbranch_vccnz .LBB216_224
; %bb.223:                              ;   in Loop: Header=BB216_6 Depth=1
	v_cvt_f32_u32_e32 v6, s33
	s_sub_i32 s24, 0, s33
	v_rcp_iflag_f32_e32 v6, v6
	v_mul_f32_e32 v6, 0x4f7ffffe, v6
	v_cvt_u32_f32_e32 v6, v6
	v_readfirstlane_b32 s22, v6
	s_mul_i32 s24, s24, s22
	s_mul_hi_u32 s24, s22, s24
	s_add_i32 s22, s22, s24
	s_mul_hi_u32 s22, s6, s22
	s_mul_i32 s22, s22, s33
	s_sub_i32 s22, s6, s22
	s_sub_i32 s24, s22, s33
	s_cmp_ge_u32 s22, s33
	s_cselect_b32 s22, s24, s22
	s_sub_i32 s24, s22, s33
	s_cmp_ge_u32 s22, s33
	s_cselect_b32 s52, s24, s22
	s_mov_b64 s[24:25], s[52:53]
.LBB216_224:                            ;   in Loop: Header=BB216_6 Depth=1
	s_sub_u32 s22, s6, s24
	s_subb_u32 s23, s23, s25
	s_mov_b32 s25, 0
	s_mov_b32 s24, 0
	s_mov_b32 s47, exec_lo
                                        ; implicit-def: $vgpr8
	v_cmpx_gt_u64_e64 s[22:23], v[0:1]
	s_cbranch_execz .LBB216_233
; %bb.225:                              ;   in Loop: Header=BB216_6 Depth=1
	v_mov_b32_e32 v7, v1
	v_mov_b32_e32 v8, v32
	;; [unrolled: 1-line block ×3, first 2 shown]
                                        ; implicit-def: $sgpr52
	s_branch .LBB216_228
.LBB216_226:                            ;   in Loop: Header=BB216_228 Depth=2
	s_or_b32 exec_lo, exec_lo, s50
	s_waitcnt lgkmcnt(0)
	s_barrier
	buffer_gl0_inv
	ds_read_b32 v9, v3 offset:3072
	s_mov_b32 s6, -1
	s_mov_b32 s50, -1
	s_waitcnt lgkmcnt(0)
	s_barrier
	buffer_gl0_inv
	v_and_b32_e32 v28, 0x7fff, v9
	v_cmp_ne_u32_e32 vcc_lo, 0, v28
	s_cbranch_vccz .LBB216_231
.LBB216_227:                            ;   in Loop: Header=BB216_228 Depth=2
	s_and_b32 s2, exec_lo, s6
	s_or_b32 s24, s2, s24
	s_andn2_b32 s2, s52, exec_lo
	s_and_b32 s6, s50, exec_lo
	s_or_b32 s52, s2, s6
	s_andn2_b32 exec_lo, exec_lo, s24
	s_cbranch_execz .LBB216_232
.LBB216_228:                            ;   Parent Loop BB216_6 Depth=1
                                        ; =>  This Inner Loop Header: Depth=2
	s_mov_b32 s50, exec_lo
	v_cmpx_gt_u64_e64 s[20:21], v[6:7]
	s_cbranch_execz .LBB216_226
; %bb.229:                              ;   in Loop: Header=BB216_228 Depth=2
	ds_read_u16 v9, v8
	s_waitcnt lgkmcnt(0)
	v_lshlrev_b32_e32 v28, 16, v9
	v_cmp_lt_i16_e64 s6, -1, v9
	v_cmp_o_f32_e32 vcc_lo, v28, v28
	v_cndmask_b32_e64 v28, 0xffff, v39, s6
	v_xor_b32_sdwa v28, v28, v9 dst_sel:DWORD dst_unused:UNUSED_PAD src0_sel:DWORD src1_sel:WORD_0
	v_cndmask_b32_e32 v28, 0xffff, v28, vcc_lo
	v_and_b32_e32 v28, v28, v11
	v_cmp_eq_u32_e32 vcc_lo, v28, v10
	s_and_b32 exec_lo, exec_lo, vcc_lo
	s_cbranch_execz .LBB216_226
; %bb.230:                              ;   in Loop: Header=BB216_228 Depth=2
	v_perm_b32 v9, v9, s93, 0x5040100
	ds_write_b32 v3, v9 offset:3072
	s_branch .LBB216_226
.LBB216_231:                            ;   in Loop: Header=BB216_228 Depth=2
	v_add_co_u32 v6, vcc_lo, v6, s33
	v_add_co_ci_u32_e64 v7, null, 0, v7, vcc_lo
	v_add_nc_u32_e32 v8, s90, v8
	s_mov_b32 s50, 0
	v_cmp_le_u64_e32 vcc_lo, s[22:23], v[6:7]
	s_orn2_b32 s6, vcc_lo, exec_lo
	s_branch .LBB216_227
.LBB216_232:                            ;   in Loop: Header=BB216_6 Depth=1
	s_or_b32 exec_lo, exec_lo, s24
	v_lshrrev_b32_e32 v8, 16, v9
	s_and_b32 s24, s52, exec_lo
.LBB216_233:                            ;   in Loop: Header=BB216_6 Depth=1
	s_or_b32 exec_lo, exec_lo, s47
.LBB216_234:                            ;   in Loop: Header=BB216_6 Depth=1
	s_and_b32 vcc_lo, exec_lo, s25
	s_cbranch_vccz .LBB216_250
; %bb.235:                              ;   in Loop: Header=BB216_6 Depth=1
	s_mov_b32 s56, s53
	s_cmp_lg_u64 s[56:57], 0
	s_cbranch_scc0 .LBB216_237
; %bb.236:                              ;   in Loop: Header=BB216_6 Depth=1
	v_cvt_f32_u32_e32 v6, s33
	s_sub_u32 s7, 0, s33
	s_subb_u32 s8, 0, 0
	v_fmac_f32_e64 v6, 0x4f800000, 0
	v_rcp_f32_e32 v6, v6
	v_mul_f32_e32 v6, 0x5f7ffffc, v6
	v_mul_f32_e32 v7, 0x2f800000, v6
	v_trunc_f32_e32 v7, v7
	v_fmac_f32_e32 v6, 0xcf800000, v7
	v_cvt_u32_f32_e32 v7, v7
	v_cvt_u32_f32_e32 v6, v6
	v_readfirstlane_b32 s2, v7
	v_readfirstlane_b32 s6, v6
	s_mul_i32 s20, s7, s2
	s_mul_hi_u32 s22, s7, s6
	s_mul_i32 s21, s8, s6
	s_add_i32 s20, s22, s20
	s_mul_i32 s23, s7, s6
	s_add_i32 s20, s20, s21
	s_mul_hi_u32 s22, s6, s23
	s_mul_i32 s46, s6, s20
	s_mul_hi_u32 s25, s2, s23
	s_mul_i32 s21, s2, s23
	s_mul_hi_u32 s23, s6, s20
	s_add_u32 s22, s22, s46
	s_addc_u32 s23, 0, s23
	s_mul_hi_u32 s47, s2, s20
	s_add_u32 s21, s22, s21
	s_mul_i32 s20, s2, s20
	s_addc_u32 s21, s23, s25
	s_addc_u32 s22, s47, 0
	s_add_u32 s20, s21, s20
	s_addc_u32 s21, 0, s22
	s_add_u32 s6, s6, s20
	s_cselect_b32 s20, -1, 0
	s_mul_hi_u32 s22, s7, s6
	s_cmp_lg_u32 s20, 0
	s_mul_i32 s20, s7, s6
	s_addc_u32 s2, s2, s21
	s_mul_i32 s8, s8, s6
	s_mul_i32 s7, s7, s2
	s_mul_hi_u32 s21, s6, s20
	s_add_i32 s7, s22, s7
	s_mul_hi_u32 s22, s2, s20
	s_add_i32 s7, s7, s8
	s_mul_i32 s8, s2, s20
	s_mul_i32 s25, s6, s7
	s_mul_hi_u32 s23, s6, s7
	s_add_u32 s21, s21, s25
	s_addc_u32 s23, 0, s23
	s_mul_hi_u32 s20, s2, s7
	s_add_u32 s8, s21, s8
	s_mul_i32 s7, s2, s7
	s_addc_u32 s8, s23, s22
	s_addc_u32 s20, s20, 0
	s_add_u32 s7, s8, s7
	s_addc_u32 s8, 0, s20
	s_add_u32 s6, s6, s7
	s_cselect_b32 s7, -1, 0
	s_mul_hi_u32 s20, s84, s6
	s_cmp_lg_u32 s7, 0
	s_mul_hi_u32 s7, s57, s6
	s_addc_u32 s2, s2, s8
	s_mul_i32 s6, s57, s6
	s_mul_i32 s21, s84, s2
	s_mul_hi_u32 s8, s84, s2
	s_add_u32 s20, s20, s21
	s_addc_u32 s8, 0, s8
	s_mul_hi_u32 s22, s57, s2
	s_add_u32 s6, s20, s6
	s_mul_i32 s2, s57, s2
	s_addc_u32 s6, s8, s7
	s_addc_u32 s7, s22, 0
	s_add_u32 s2, s6, s2
	s_addc_u32 s6, 0, s7
	s_mul_hi_u32 s7, s33, s2
	s_mul_i32 s6, s33, s6
	s_mul_i32 s2, s33, s2
	s_add_i32 s7, s7, s6
	s_sub_u32 s2, s84, s2
	s_cselect_b32 s6, -1, 0
	s_cmp_lg_u32 s6, 0
	s_subb_u32 s6, s57, s7
	s_sub_u32 s7, s2, s33
	s_cselect_b32 s8, -1, 0
	s_cmp_lg_u32 s8, 0
	s_subb_u32 s8, s6, 0
	;; [unrolled: 4-line block ×3, first 2 shown]
	s_cmp_ge_u32 s7, s33
	s_cselect_b32 s22, -1, 0
	s_cmp_eq_u32 s8, 0
	s_cselect_b32 s22, s22, -1
	s_cmp_lg_u32 s22, 0
	s_cselect_b32 s8, s21, s8
	s_cselect_b32 s7, s20, s7
	s_cmp_ge_u32 s2, s33
	s_cselect_b32 s20, -1, 0
	s_cmp_eq_u32 s6, 0
	s_cselect_b32 s20, s20, -1
	s_cmp_lg_u32 s20, 0
	s_cselect_b32 s21, s8, s6
	s_cselect_b32 s20, s7, s2
	s_mov_b32 s6, 0
	s_branch .LBB216_238
.LBB216_237:                            ;   in Loop: Header=BB216_6 Depth=1
	s_mov_b32 s6, -1
                                        ; implicit-def: $sgpr20_sgpr21
.LBB216_238:                            ;   in Loop: Header=BB216_6 Depth=1
	s_andn2_b32 vcc_lo, exec_lo, s6
	s_cbranch_vccnz .LBB216_240
; %bb.239:                              ;   in Loop: Header=BB216_6 Depth=1
	v_cvt_f32_u32_e32 v6, s33
	s_sub_i32 s6, 0, s33
	v_rcp_iflag_f32_e32 v6, v6
	v_mul_f32_e32 v6, 0x4f7ffffe, v6
	v_cvt_u32_f32_e32 v6, v6
	v_readfirstlane_b32 s2, v6
	s_mul_i32 s6, s6, s2
	s_mul_hi_u32 s6, s2, s6
	s_add_i32 s2, s2, s6
	s_mul_hi_u32 s2, s84, s2
	s_mul_i32 s2, s2, s33
	s_sub_i32 s2, s84, s2
	s_sub_i32 s6, s2, s33
	s_cmp_ge_u32 s2, s33
	s_cselect_b32 s2, s6, s2
	s_sub_i32 s6, s2, s33
	s_cmp_ge_u32 s2, s33
	s_cselect_b32 s52, s6, s2
	s_mov_b64 s[20:21], s[52:53]
.LBB216_240:                            ;   in Loop: Header=BB216_6 Depth=1
	s_sub_u32 s20, s84, s20
	s_subb_u32 s21, s57, s21
	s_mov_b32 s22, exec_lo
                                        ; implicit-def: $vgpr8
	v_cmpx_gt_u64_e64 s[20:21], v[0:1]
	s_cbranch_execz .LBB216_249
; %bb.241:                              ;   in Loop: Header=BB216_6 Depth=1
	v_mov_b32_e32 v6, v12
	v_mov_b32_e32 v9, v1
	v_mov_b32_e32 v7, v13
	v_mov_b32_e32 v8, v0
	s_mov_b32 s23, 0
                                        ; implicit-def: $sgpr25
	s_branch .LBB216_244
.LBB216_242:                            ;   in Loop: Header=BB216_244 Depth=2
	s_or_b32 exec_lo, exec_lo, s6
	s_waitcnt lgkmcnt(0)
	s_barrier
	buffer_gl0_inv
	ds_read_b32 v28, v3 offset:3072
	s_mov_b32 s6, -1
	s_mov_b32 s46, -1
	s_waitcnt lgkmcnt(0)
	s_barrier
	buffer_gl0_inv
	v_and_b32_e32 v29, 0x7fff, v28
	v_cmp_eq_u32_e32 vcc_lo, 0, v29
	s_cbranch_vccnz .LBB216_247
.LBB216_243:                            ;   in Loop: Header=BB216_244 Depth=2
	s_and_b32 s2, exec_lo, s6
	s_or_b32 s23, s2, s23
	s_andn2_b32 s2, s25, exec_lo
	s_and_b32 s6, s46, exec_lo
	s_or_b32 s25, s2, s6
	s_andn2_b32 exec_lo, exec_lo, s23
	s_cbranch_execz .LBB216_248
.LBB216_244:                            ;   Parent Loop BB216_6 Depth=1
                                        ; =>  This Inner Loop Header: Depth=2
	s_mov_b32 s6, exec_lo
	v_cmpx_gt_u64_e64 s[28:29], v[8:9]
	s_cbranch_execz .LBB216_242
; %bb.245:                              ;   in Loop: Header=BB216_244 Depth=2
	global_load_ushort v28, v[6:7], off
	s_waitcnt vmcnt(0)
	v_cmp_lt_i16_e32 vcc_lo, -1, v28
	v_lshlrev_b32_e32 v43, 16, v28
	v_cndmask_b32_e32 v29, 0xffff, v39, vcc_lo
	v_cmp_o_f32_e32 vcc_lo, v43, v43
	v_xor_b32_sdwa v29, v29, v28 dst_sel:DWORD dst_unused:UNUSED_PAD src0_sel:DWORD src1_sel:WORD_0
	v_cndmask_b32_e32 v29, 0xffff, v29, vcc_lo
	v_and_b32_e32 v29, v29, v11
	v_cmp_eq_u32_e32 vcc_lo, v29, v10
	s_and_b32 exec_lo, exec_lo, vcc_lo
	s_cbranch_execz .LBB216_242
; %bb.246:                              ;   in Loop: Header=BB216_244 Depth=2
	v_perm_b32 v28, v28, s93, 0x5040100
	ds_write_b32 v3, v28 offset:3072
	s_branch .LBB216_242
.LBB216_247:                            ;   in Loop: Header=BB216_244 Depth=2
	v_add_co_u32 v8, vcc_lo, v8, s33
	v_add_co_ci_u32_e64 v9, null, 0, v9, vcc_lo
	v_add_co_u32 v6, s6, v6, s34
	v_add_co_ci_u32_e64 v7, null, s35, v7, s6
	v_cmp_le_u64_e32 vcc_lo, s[20:21], v[8:9]
	s_mov_b32 s46, 0
	s_orn2_b32 s6, vcc_lo, exec_lo
	s_branch .LBB216_243
.LBB216_248:                            ;   in Loop: Header=BB216_6 Depth=1
	s_or_b32 exec_lo, exec_lo, s23
	v_lshrrev_b32_e32 v8, 16, v28
	s_andn2_b32 s2, s24, exec_lo
	s_and_b32 s6, s25, exec_lo
	s_or_b32 s24, s2, s6
.LBB216_249:                            ;   in Loop: Header=BB216_6 Depth=1
	s_or_b32 exec_lo, exec_lo, s22
	s_mov_b32 s56, 0
	s_mov_b32 s46, -1
.LBB216_250:                            ;   in Loop: Header=BB216_6 Depth=1
	s_orn2_b32 s20, s24, exec_lo
.LBB216_251:                            ;   in Loop: Header=BB216_6 Depth=1
	s_or_b32 exec_lo, exec_lo, s77
	s_mov_b32 s21, 0
	s_and_saveexec_b32 s6, s20
	s_cbranch_execz .LBB216_262
; %bb.252:                              ;   in Loop: Header=BB216_6 Depth=1
	v_mov_b32_e32 v6, 1
	v_mov_b32_e32 v7, 0
	;; [unrolled: 1-line block ×3, first 2 shown]
	s_xor_b32 s2, s76, -1
	s_and_saveexec_b32 s20, s2
	s_cbranch_execz .LBB216_261
; %bb.253:                              ;   in Loop: Header=BB216_6 Depth=1
	s_mov_b32 s2, exec_lo
	v_cmpx_ge_u64_e64 s[18:19], v[4:5]
	s_xor_b32 s21, exec_lo, s2
	s_cbranch_execz .LBB216_258
; %bb.254:                              ;   in Loop: Header=BB216_6 Depth=1
	ds_read_b64 v[6:7], v3 offset:5120
	v_or_b32_e32 v10, s11, v10
	v_or_b32_e32 v11, s11, v11
	s_waitcnt lgkmcnt(0)
	v_cmp_ne_u64_e32 vcc_lo, 0, v[6:7]
	s_cbranch_vccnz .LBB216_258
; %bb.255:                              ;   in Loop: Header=BB216_6 Depth=1
	s_and_saveexec_b32 s22, s3
; %bb.256:                              ;   in Loop: Header=BB216_6 Depth=1
	v_mov_b32_e32 v6, s18
	v_mov_b32_e32 v7, s19
	ds_write_b64 v3, v[6:7] offset:5128
; %bb.257:                              ;   in Loop: Header=BB216_6 Depth=1
	s_or_b32 exec_lo, exec_lo, s22
	s_waitcnt lgkmcnt(0)
	s_barrier
	buffer_gl0_inv
.LBB216_258:                            ;   in Loop: Header=BB216_6 Depth=1
	s_andn2_saveexec_b32 s21, s21
; %bb.259:                              ;   in Loop: Header=BB216_6 Depth=1
	v_sub_co_u32 v4, vcc_lo, v4, s18
	v_subrev_co_ci_u32_e64 v5, null, s19, v5, vcc_lo
; %bb.260:                              ;   in Loop: Header=BB216_6 Depth=1
	s_or_b32 exec_lo, exec_lo, s21
	v_mov_b32_e32 v7, v5
	v_mov_b32_e32 v2, 8
	;; [unrolled: 1-line block ×3, first 2 shown]
.LBB216_261:                            ;   in Loop: Header=BB216_6 Depth=1
	s_or_b32 exec_lo, exec_lo, s20
	v_mov_b32_e32 v4, v6
	v_mov_b32_e32 v5, v7
	s_mov_b32 s21, exec_lo
.LBB216_262:                            ;   in Loop: Header=BB216_6 Depth=1
	s_or_b32 exec_lo, exec_lo, s6
	s_orn2_b32 s6, s21, exec_lo
.LBB216_263:                            ;   in Loop: Header=BB216_6 Depth=1
	s_or_b32 exec_lo, exec_lo, s75
	v_mov_b32_e32 v7, v5
	v_mov_b32_e32 v6, v4
	s_andn2_b32 s20, s73, exec_lo
	s_and_b32 s21, s46, exec_lo
	s_andn2_b32 s22, s72, exec_lo
	s_and_b32 s23, s56, exec_lo
	s_or_b32 s73, s20, s21
	s_or_b32 s72, s22, s23
	s_and_b32 s20, s6, exec_lo
.LBB216_264:                            ;   in Loop: Header=BB216_6 Depth=1
	s_or_b32 exec_lo, exec_lo, s74
	s_orn2_b32 s6, s20, exec_lo
.LBB216_265:                            ;   in Loop: Header=BB216_6 Depth=1
	s_or_b32 exec_lo, exec_lo, s71
	v_mov_b32_e32 v4, v6
	v_mov_b32_e32 v5, v7
	s_andn2_b32 s20, s69, exec_lo
	s_and_b32 s21, s73, exec_lo
	s_andn2_b32 s22, s64, exec_lo
	s_and_b32 s23, s72, exec_lo
	s_or_b32 s69, s20, s21
	s_or_b32 s64, s22, s23
	s_and_b32 s20, s6, exec_lo
.LBB216_266:                            ;   in Loop: Header=BB216_6 Depth=1
	s_or_b32 exec_lo, exec_lo, s70
	s_orn2_b32 s6, s20, exec_lo
.LBB216_267:                            ;   in Loop: Header=BB216_6 Depth=1
	s_or_b32 exec_lo, exec_lo, s49
	s_mov_b32 s20, 0
	s_mov_b32 s21, 0
	s_and_saveexec_b32 s22, s6
	s_xor_b32 s22, exec_lo, s22
; %bb.268:                              ;   in Loop: Header=BB216_6 Depth=1
	v_cmp_ne_u32_e32 vcc_lo, 8, v2
	v_cmp_eq_u32_e64 s6, 8, v2
	s_and_b32 s21, vcc_lo, exec_lo
	s_and_b32 s20, s6, exec_lo
; %bb.269:                              ;   in Loop: Header=BB216_6 Depth=1
	s_or_b32 exec_lo, exec_lo, s22
	s_andn2_b32 s6, s66, exec_lo
	s_and_b32 s22, s69, exec_lo
	s_andn2_b32 s23, s65, exec_lo
	s_and_b32 s24, s64, exec_lo
	s_or_b32 s66, s6, s22
	s_or_b32 s65, s23, s24
	s_and_b32 s49, s21, exec_lo
	s_and_b32 s64, s20, exec_lo
.LBB216_270:                            ;   in Loop: Header=BB216_6 Depth=1
	s_or_b32 exec_lo, exec_lo, s68
.LBB216_271:                            ;   in Loop: Header=BB216_6 Depth=1
	s_and_b32 vcc_lo, exec_lo, s67
	s_cbranch_vccz .LBB216_287
; %bb.272:                              ;   in Loop: Header=BB216_6 Depth=1
	s_cmp_eq_u64 s[18:19], 1
                                        ; implicit-def: $sgpr27
	s_cselect_b32 s6, -1, 0
	s_and_b32 s65, s6, s9
	s_mov_b32 s6, -1
                                        ; implicit-def: $sgpr9
	s_and_saveexec_b32 s66, s65
	s_cbranch_execz .LBB216_305
; %bb.273:                              ;   in Loop: Header=BB216_6 Depth=1
	ds_read_b64 v[4:5], v3 offset:5120
	s_waitcnt lgkmcnt(0)
	s_barrier
	buffer_gl0_inv
	v_readfirstlane_b32 s20, v4
	v_readfirstlane_b32 s21, v5
	s_and_saveexec_b32 s6, s10
; %bb.274:                              ;   in Loop: Header=BB216_6 Depth=1
	ds_write_b16 v33, v3
; %bb.275:                              ;   in Loop: Header=BB216_6 Depth=1
	s_or_b32 exec_lo, exec_lo, s6
	v_or_b32_e32 v20, s11, v20
	v_or_b32_e32 v41, s11, v41
	s_mov_b32 s27, -1
	s_mov_b32 s9, 0
	s_cmp_eq_u64 s[20:21], 0
	s_mov_b32 s24, 0
	s_mov_b32 s6, -1
	s_waitcnt lgkmcnt(0)
	s_barrier
	buffer_gl0_inv
                                        ; implicit-def: $vgpr42
	s_cbranch_scc1 .LBB216_290
; %bb.276:                              ;   in Loop: Header=BB216_6 Depth=1
	s_add_u32 s6, s20, s82
	s_addc_u32 s23, s21, s83
	s_mov_b32 s22, s53
	s_cmp_lg_u64 s[22:23], 0
	s_cbranch_scc0 .LBB216_331
; %bb.277:                              ;   in Loop: Header=BB216_6 Depth=1
	v_cvt_f32_u32_e32 v2, s33
	s_sub_u32 s25, 0, s33
	s_subb_u32 s46, 0, 0
	v_fmac_f32_e64 v2, 0x4f800000, 0
	v_rcp_f32_e32 v2, v2
	v_mul_f32_e32 v2, 0x5f7ffffc, v2
	v_mul_f32_e32 v4, 0x2f800000, v2
	v_trunc_f32_e32 v4, v4
	v_fmac_f32_e32 v2, 0xcf800000, v4
	v_cvt_u32_f32_e32 v4, v4
	v_cvt_u32_f32_e32 v2, v2
	v_readfirstlane_b32 s22, v4
	v_readfirstlane_b32 s24, v2
	s_mul_i32 s47, s25, s22
	s_mul_hi_u32 s51, s25, s24
	s_mul_i32 s50, s46, s24
	s_add_i32 s47, s51, s47
	s_mul_i32 s52, s25, s24
	s_add_i32 s47, s47, s50
	s_mul_hi_u32 s51, s24, s52
	s_mul_i32 s67, s24, s47
	s_mul_hi_u32 s56, s22, s52
	s_mul_i32 s50, s22, s52
	s_mul_hi_u32 s52, s24, s47
	s_add_u32 s51, s51, s67
	s_addc_u32 s52, 0, s52
	s_mul_hi_u32 s68, s22, s47
	s_add_u32 s50, s51, s50
	s_mul_i32 s47, s22, s47
	s_addc_u32 s50, s52, s56
	s_addc_u32 s51, s68, 0
	s_add_u32 s47, s50, s47
	s_addc_u32 s50, 0, s51
	s_add_u32 s24, s24, s47
	s_cselect_b32 s47, -1, 0
	s_mul_hi_u32 s51, s25, s24
	s_cmp_lg_u32 s47, 0
	s_mul_i32 s47, s25, s24
	s_addc_u32 s22, s22, s50
	s_mul_i32 s46, s46, s24
	s_mul_i32 s25, s25, s22
	s_mul_hi_u32 s50, s24, s47
	s_add_i32 s25, s51, s25
	s_mul_hi_u32 s51, s22, s47
	s_add_i32 s25, s25, s46
	s_mul_i32 s46, s22, s47
	s_mul_i32 s56, s24, s25
	s_mul_hi_u32 s52, s24, s25
	s_add_u32 s50, s50, s56
	s_addc_u32 s52, 0, s52
	s_mul_hi_u32 s47, s22, s25
	s_add_u32 s46, s50, s46
	s_mul_i32 s25, s22, s25
	s_addc_u32 s46, s52, s51
	s_addc_u32 s47, s47, 0
	s_add_u32 s25, s46, s25
	s_addc_u32 s46, 0, s47
	s_add_u32 s24, s24, s25
	s_cselect_b32 s25, -1, 0
	s_mul_hi_u32 s47, s6, s24
	s_cmp_lg_u32 s25, 0
	s_mul_hi_u32 s25, s23, s24
	s_addc_u32 s22, s22, s46
	s_mul_i32 s24, s23, s24
	s_mul_i32 s50, s6, s22
	s_mul_hi_u32 s46, s6, s22
	s_add_u32 s47, s47, s50
	s_addc_u32 s46, 0, s46
	s_mul_hi_u32 s51, s23, s22
	s_add_u32 s24, s47, s24
	s_mul_i32 s22, s23, s22
	s_addc_u32 s24, s46, s25
	s_addc_u32 s25, s51, 0
	s_add_u32 s22, s24, s22
	s_addc_u32 s24, 0, s25
	s_mul_hi_u32 s25, s33, s22
	s_mul_i32 s24, s33, s24
	s_mul_i32 s22, s33, s22
	s_add_i32 s25, s25, s24
	s_sub_u32 s22, s6, s22
	s_cselect_b32 s24, -1, 0
	s_cmp_lg_u32 s24, 0
	s_subb_u32 s24, s23, s25
	s_sub_u32 s25, s22, s33
	s_cselect_b32 s46, -1, 0
	s_cmp_lg_u32 s46, 0
	s_subb_u32 s46, s24, 0
	s_sub_u32 s47, s25, s33
	s_cselect_b32 s50, -1, 0
	s_cmp_lg_u32 s50, 0
	s_subb_u32 s50, s46, 0
	s_cmp_ge_u32 s25, s33
	s_cselect_b32 s51, -1, 0
	s_cmp_eq_u32 s46, 0
	s_cselect_b32 s51, s51, -1
	s_cmp_lg_u32 s51, 0
	s_cselect_b32 s46, s50, s46
	s_cselect_b32 s47, s47, s25
	s_cmp_ge_u32 s22, s33
	s_cselect_b32 s25, -1, 0
	s_cmp_eq_u32 s24, 0
	s_cselect_b32 s25, s25, -1
	s_cmp_lg_u32 s25, 0
	s_cselect_b32 s25, s46, s24
	s_cselect_b32 s24, s47, s22
	s_cbranch_execnz .LBB216_279
.LBB216_278:                            ;   in Loop: Header=BB216_6 Depth=1
	v_cvt_f32_u32_e32 v2, s33
	s_sub_i32 s24, 0, s33
	v_rcp_iflag_f32_e32 v2, v2
	v_mul_f32_e32 v2, 0x4f7ffffe, v2
	v_cvt_u32_f32_e32 v2, v2
	v_readfirstlane_b32 s22, v2
	s_mul_i32 s24, s24, s22
	s_mul_hi_u32 s24, s22, s24
	s_add_i32 s22, s22, s24
	s_mul_hi_u32 s22, s6, s22
	s_mul_i32 s22, s22, s33
	s_sub_i32 s22, s6, s22
	s_sub_i32 s24, s22, s33
	s_cmp_ge_u32 s22, s33
	s_cselect_b32 s22, s24, s22
	s_sub_i32 s24, s22, s33
	s_cmp_ge_u32 s22, s33
	s_cselect_b32 s52, s24, s22
	s_mov_b64 s[24:25], s[52:53]
.LBB216_279:                            ;   in Loop: Header=BB216_6 Depth=1
	s_sub_u32 s22, s6, s24
	s_subb_u32 s23, s23, s25
	s_mov_b32 s6, 0
	s_mov_b32 s24, 0
	s_mov_b32 s25, exec_lo
                                        ; implicit-def: $vgpr42
	v_cmpx_gt_u64_e64 s[22:23], v[0:1]
	s_cbranch_execz .LBB216_289
; %bb.280:                              ;   in Loop: Header=BB216_6 Depth=1
	v_mov_b32_e32 v5, v1
	v_mov_b32_e32 v2, v32
	v_mov_b32_e32 v4, v0
                                        ; implicit-def: $sgpr46
	s_branch .LBB216_283
.LBB216_281:                            ;   in Loop: Header=BB216_283 Depth=2
	s_or_b32 exec_lo, exec_lo, s47
	s_waitcnt lgkmcnt(0)
	s_barrier
	buffer_gl0_inv
	ds_read_b32 v6, v3 offset:3072
	s_mov_b32 s47, -1
	s_mov_b32 s50, -1
	s_waitcnt lgkmcnt(0)
	s_barrier
	buffer_gl0_inv
	v_and_b32_e32 v7, 0x7fff, v6
	v_cmp_ne_u32_e32 vcc_lo, 0, v7
	s_cbranch_vccz .LBB216_286
.LBB216_282:                            ;   in Loop: Header=BB216_283 Depth=2
	s_and_b32 s2, exec_lo, s47
	s_or_b32 s24, s2, s24
	s_andn2_b32 s2, s46, exec_lo
	s_and_b32 s7, s50, exec_lo
	s_or_b32 s46, s2, s7
	s_andn2_b32 exec_lo, exec_lo, s24
	s_cbranch_execz .LBB216_288
.LBB216_283:                            ;   Parent Loop BB216_6 Depth=1
                                        ; =>  This Inner Loop Header: Depth=2
	s_mov_b32 s47, exec_lo
	v_cmpx_gt_u64_e64 s[20:21], v[4:5]
	s_cbranch_execz .LBB216_281
; %bb.284:                              ;   in Loop: Header=BB216_283 Depth=2
	ds_read_u16 v6, v2
	s_waitcnt lgkmcnt(0)
	v_cmp_lt_i16_e32 vcc_lo, -1, v6
	v_lshlrev_b32_e32 v8, 16, v6
	v_cndmask_b32_e32 v7, 0xffff, v39, vcc_lo
	v_cmp_o_f32_e32 vcc_lo, v8, v8
	v_xor_b32_sdwa v7, v7, v6 dst_sel:DWORD dst_unused:UNUSED_PAD src0_sel:DWORD src1_sel:WORD_0
	v_cndmask_b32_e32 v7, 0xffff, v7, vcc_lo
	v_and_b32_e32 v7, v7, v41
	v_cmp_eq_u32_e32 vcc_lo, v7, v20
	s_and_b32 exec_lo, exec_lo, vcc_lo
	s_cbranch_execz .LBB216_281
; %bb.285:                              ;   in Loop: Header=BB216_283 Depth=2
	v_perm_b32 v6, v6, s93, 0x5040100
	ds_write_b32 v3, v6 offset:3072
	s_branch .LBB216_281
.LBB216_286:                            ;   in Loop: Header=BB216_283 Depth=2
	v_add_co_u32 v4, vcc_lo, v4, s33
	v_add_co_ci_u32_e64 v5, null, 0, v5, vcc_lo
	v_add_nc_u32_e32 v2, s90, v2
	s_mov_b32 s50, 0
	v_cmp_le_u64_e32 vcc_lo, s[22:23], v[4:5]
	s_orn2_b32 s47, vcc_lo, exec_lo
	s_branch .LBB216_282
.LBB216_287:                            ;   in Loop: Header=BB216_6 Depth=1
	v_mov_b32_e32 v20, v10
	v_mov_b32_e32 v41, v11
	;; [unrolled: 1-line block ×3, first 2 shown]
	s_mov_b32 s9, 0
	s_and_saveexec_b32 s6, s64
	s_cbranch_execnz .LBB216_464
	s_branch .LBB216_465
.LBB216_288:                            ;   in Loop: Header=BB216_6 Depth=1
	s_or_b32 exec_lo, exec_lo, s24
	v_lshrrev_b32_e32 v42, 16, v6
	s_and_b32 s24, s46, exec_lo
.LBB216_289:                            ;   in Loop: Header=BB216_6 Depth=1
	s_or_b32 exec_lo, exec_lo, s25
.LBB216_290:                            ;   in Loop: Header=BB216_6 Depth=1
	s_and_b32 vcc_lo, exec_lo, s6
	s_cbranch_vccz .LBB216_304
; %bb.291:                              ;   in Loop: Header=BB216_6 Depth=1
	s_mov_b32 s56, s53
	s_cmp_lg_u64 s[56:57], 0
	s_cbranch_scc0 .LBB216_332
; %bb.292:                              ;   in Loop: Header=BB216_6 Depth=1
	v_cvt_f32_u32_e32 v2, s33
	s_sub_u32 s20, 0, s33
	s_subb_u32 s21, 0, 0
	v_fmac_f32_e64 v2, 0x4f800000, 0
	v_rcp_f32_e32 v2, v2
	v_mul_f32_e32 v2, 0x5f7ffffc, v2
	v_mul_f32_e32 v4, 0x2f800000, v2
	v_trunc_f32_e32 v4, v4
	v_fmac_f32_e32 v2, 0xcf800000, v4
	v_cvt_u32_f32_e32 v4, v4
	v_cvt_u32_f32_e32 v2, v2
	v_readfirstlane_b32 s6, v4
	v_readfirstlane_b32 s9, v2
	s_mul_i32 s22, s20, s6
	s_mul_hi_u32 s25, s20, s9
	s_mul_i32 s23, s21, s9
	s_add_i32 s22, s25, s22
	s_mul_i32 s27, s20, s9
	s_add_i32 s22, s22, s23
	s_mul_hi_u32 s25, s9, s27
	s_mul_i32 s47, s9, s22
	s_mul_hi_u32 s46, s6, s27
	s_mul_i32 s23, s6, s27
	s_mul_hi_u32 s27, s9, s22
	s_add_u32 s25, s25, s47
	s_addc_u32 s27, 0, s27
	s_mul_hi_u32 s50, s6, s22
	s_add_u32 s23, s25, s23
	s_mul_i32 s22, s6, s22
	s_addc_u32 s23, s27, s46
	s_addc_u32 s25, s50, 0
	s_add_u32 s22, s23, s22
	s_addc_u32 s23, 0, s25
	s_add_u32 s9, s9, s22
	s_cselect_b32 s22, -1, 0
	s_mul_hi_u32 s25, s20, s9
	s_cmp_lg_u32 s22, 0
	s_mul_i32 s22, s20, s9
	s_addc_u32 s6, s6, s23
	s_mul_i32 s21, s21, s9
	s_mul_i32 s20, s20, s6
	s_mul_hi_u32 s23, s9, s22
	s_add_i32 s20, s25, s20
	s_mul_hi_u32 s25, s6, s22
	s_add_i32 s20, s20, s21
	s_mul_i32 s21, s6, s22
	s_mul_i32 s46, s9, s20
	s_mul_hi_u32 s27, s9, s20
	s_add_u32 s23, s23, s46
	s_addc_u32 s27, 0, s27
	s_mul_hi_u32 s22, s6, s20
	s_add_u32 s21, s23, s21
	s_mul_i32 s20, s6, s20
	s_addc_u32 s21, s27, s25
	s_addc_u32 s22, s22, 0
	s_add_u32 s20, s21, s20
	s_addc_u32 s21, 0, s22
	s_add_u32 s9, s9, s20
	s_cselect_b32 s20, -1, 0
	s_mul_hi_u32 s22, s84, s9
	s_cmp_lg_u32 s20, 0
	s_mul_hi_u32 s20, s57, s9
	s_addc_u32 s6, s6, s21
	s_mul_i32 s9, s57, s9
	s_mul_i32 s23, s84, s6
	s_mul_hi_u32 s21, s84, s6
	s_add_u32 s22, s22, s23
	s_addc_u32 s21, 0, s21
	s_mul_hi_u32 s25, s57, s6
	s_add_u32 s9, s22, s9
	s_mul_i32 s6, s57, s6
	s_addc_u32 s9, s21, s20
	s_addc_u32 s20, s25, 0
	s_add_u32 s6, s9, s6
	s_addc_u32 s9, 0, s20
	s_mul_hi_u32 s20, s33, s6
	s_mul_i32 s9, s33, s9
	s_mul_i32 s6, s33, s6
	s_add_i32 s20, s20, s9
	s_sub_u32 s6, s84, s6
	s_cselect_b32 s9, -1, 0
	s_cmp_lg_u32 s9, 0
	s_subb_u32 s9, s57, s20
	s_sub_u32 s20, s6, s33
	s_cselect_b32 s21, -1, 0
	s_cmp_lg_u32 s21, 0
	s_subb_u32 s21, s9, 0
	;; [unrolled: 4-line block ×3, first 2 shown]
	s_cmp_ge_u32 s20, s33
	s_cselect_b32 s25, -1, 0
	s_cmp_eq_u32 s21, 0
	s_cselect_b32 s25, s25, -1
	s_cmp_lg_u32 s25, 0
	s_cselect_b32 s21, s23, s21
	s_cselect_b32 s20, s22, s20
	s_cmp_ge_u32 s6, s33
	s_cselect_b32 s22, -1, 0
	s_cmp_eq_u32 s9, 0
	s_cselect_b32 s22, s22, -1
	s_cmp_lg_u32 s22, 0
	s_cselect_b32 s21, s21, s9
	s_cselect_b32 s20, s20, s6
	s_cbranch_execnz .LBB216_294
.LBB216_293:                            ;   in Loop: Header=BB216_6 Depth=1
	v_cvt_f32_u32_e32 v2, s33
	s_sub_i32 s9, 0, s33
	v_rcp_iflag_f32_e32 v2, v2
	v_mul_f32_e32 v2, 0x4f7ffffe, v2
	v_cvt_u32_f32_e32 v2, v2
	v_readfirstlane_b32 s6, v2
	s_mul_i32 s9, s9, s6
	s_mul_hi_u32 s9, s6, s9
	s_add_i32 s6, s6, s9
	s_mul_hi_u32 s6, s84, s6
	s_mul_i32 s6, s6, s33
	s_sub_i32 s6, s84, s6
	s_sub_i32 s9, s6, s33
	s_cmp_ge_u32 s6, s33
	s_cselect_b32 s6, s9, s6
	s_sub_i32 s9, s6, s33
	s_cmp_ge_u32 s6, s33
	s_cselect_b32 s52, s9, s6
	s_mov_b64 s[20:21], s[52:53]
.LBB216_294:                            ;   in Loop: Header=BB216_6 Depth=1
	s_sub_u32 s20, s84, s20
	s_subb_u32 s21, s57, s21
	s_mov_b32 s9, exec_lo
                                        ; implicit-def: $vgpr42
	v_cmpx_gt_u64_e64 s[20:21], v[0:1]
	s_cbranch_execz .LBB216_303
; %bb.295:                              ;   in Loop: Header=BB216_6 Depth=1
	v_mov_b32_e32 v4, v12
	v_mov_b32_e32 v7, v1
	;; [unrolled: 1-line block ×4, first 2 shown]
	s_mov_b32 s22, 0
                                        ; implicit-def: $sgpr23
	s_branch .LBB216_298
.LBB216_296:                            ;   in Loop: Header=BB216_298 Depth=2
	s_or_b32 exec_lo, exec_lo, s6
	s_waitcnt lgkmcnt(0)
	s_barrier
	buffer_gl0_inv
	ds_read_b32 v2, v3 offset:3072
	s_mov_b32 s6, -1
	s_mov_b32 s25, -1
	s_waitcnt lgkmcnt(0)
	s_barrier
	buffer_gl0_inv
	v_and_b32_e32 v8, 0x7fff, v2
	v_cmp_ne_u32_e32 vcc_lo, 0, v8
	s_cbranch_vccz .LBB216_301
.LBB216_297:                            ;   in Loop: Header=BB216_298 Depth=2
	s_and_b32 s2, exec_lo, s6
	s_or_b32 s22, s2, s22
	s_andn2_b32 s2, s23, exec_lo
	s_and_b32 s6, s25, exec_lo
	s_or_b32 s23, s2, s6
	s_andn2_b32 exec_lo, exec_lo, s22
	s_cbranch_execz .LBB216_302
.LBB216_298:                            ;   Parent Loop BB216_6 Depth=1
                                        ; =>  This Inner Loop Header: Depth=2
	s_mov_b32 s6, exec_lo
	v_cmpx_gt_u64_e64 s[28:29], v[6:7]
	s_cbranch_execz .LBB216_296
; %bb.299:                              ;   in Loop: Header=BB216_298 Depth=2
	global_load_ushort v2, v[4:5], off
	s_waitcnt vmcnt(0)
	v_cmp_lt_i16_e32 vcc_lo, -1, v2
	v_lshlrev_b32_e32 v9, 16, v2
	v_cndmask_b32_e32 v8, 0xffff, v39, vcc_lo
	v_cmp_o_f32_e32 vcc_lo, v9, v9
	v_xor_b32_sdwa v8, v8, v2 dst_sel:DWORD dst_unused:UNUSED_PAD src0_sel:DWORD src1_sel:WORD_0
	v_cndmask_b32_e32 v8, 0xffff, v8, vcc_lo
	v_and_b32_e32 v8, v8, v41
	v_cmp_eq_u32_e32 vcc_lo, v8, v20
	s_and_b32 exec_lo, exec_lo, vcc_lo
	s_cbranch_execz .LBB216_296
; %bb.300:                              ;   in Loop: Header=BB216_298 Depth=2
	v_perm_b32 v2, v2, s93, 0x5040100
	ds_write_b32 v3, v2 offset:3072
	s_branch .LBB216_296
.LBB216_301:                            ;   in Loop: Header=BB216_298 Depth=2
	v_add_co_u32 v6, vcc_lo, v6, s33
	v_add_co_ci_u32_e64 v7, null, 0, v7, vcc_lo
	v_add_co_u32 v4, s6, v4, s34
	v_add_co_ci_u32_e64 v5, null, s35, v5, s6
	v_cmp_le_u64_e32 vcc_lo, s[20:21], v[6:7]
	s_mov_b32 s25, 0
	s_orn2_b32 s6, vcc_lo, exec_lo
	s_branch .LBB216_297
.LBB216_302:                            ;   in Loop: Header=BB216_6 Depth=1
	s_or_b32 exec_lo, exec_lo, s22
	v_lshrrev_b32_e32 v42, 16, v2
	s_andn2_b32 s2, s24, exec_lo
	s_and_b32 s6, s23, exec_lo
	s_or_b32 s24, s2, s6
.LBB216_303:                            ;   in Loop: Header=BB216_6 Depth=1
	s_or_b32 exec_lo, exec_lo, s9
	s_mov_b32 s27, 0
	s_mov_b32 s9, -1
.LBB216_304:                            ;   in Loop: Header=BB216_6 Depth=1
	s_orn2_b32 s6, s24, exec_lo
.LBB216_305:                            ;   in Loop: Header=BB216_6 Depth=1
	s_or_b32 exec_lo, exec_lo, s66
                                        ; implicit-def: $vgpr4_vgpr5
                                        ; implicit-def: $vgpr2
	s_and_saveexec_b32 s24, s6
	s_cbranch_execz .LBB216_463
; %bb.306:                              ;   in Loop: Header=BB216_6 Depth=1
	v_mov_b32_e32 v4, 1
	v_mov_b32_e32 v5, 0
	;; [unrolled: 1-line block ×3, first 2 shown]
	s_xor_b32 s21, s65, -1
	s_mov_b32 s20, 0
	s_and_saveexec_b32 s6, s21
	s_cbranch_execz .LBB216_315
; %bb.307:                              ;   in Loop: Header=BB216_6 Depth=1
	s_mov_b32 s20, exec_lo
	v_cmpx_ge_u64_e64 s[18:19], v[26:27]
	s_xor_b32 s20, exec_lo, s20
	s_cbranch_execz .LBB216_312
; %bb.308:                              ;   in Loop: Header=BB216_6 Depth=1
	ds_read_b64 v[4:5], v3 offset:5120
	v_or_b32_e32 v20, s11, v20
	v_or_b32_e32 v41, s11, v41
	s_waitcnt lgkmcnt(0)
	v_cmp_ne_u64_e32 vcc_lo, 0, v[4:5]
	s_cbranch_vccnz .LBB216_312
; %bb.309:                              ;   in Loop: Header=BB216_6 Depth=1
	s_and_saveexec_b32 s21, s3
; %bb.310:                              ;   in Loop: Header=BB216_6 Depth=1
	v_mov_b32_e32 v4, s18
	v_mov_b32_e32 v5, s19
	ds_write_b64 v3, v[4:5] offset:5128
; %bb.311:                              ;   in Loop: Header=BB216_6 Depth=1
	s_or_b32 exec_lo, exec_lo, s21
	s_waitcnt lgkmcnt(0)
	s_barrier
	buffer_gl0_inv
.LBB216_312:                            ;   in Loop: Header=BB216_6 Depth=1
	s_or_saveexec_b32 s20, s20
	v_mov_b32_e32 v2, 5
	s_mov_b32 s21, 0
	s_xor_b32 exec_lo, exec_lo, s20
; %bb.313:                              ;   in Loop: Header=BB216_6 Depth=1
	v_sub_co_u32 v26, vcc_lo, v26, s18
	v_subrev_co_ci_u32_e64 v27, null, s19, v27, vcc_lo
	v_mov_b32_e32 v2, 0
	s_mov_b32 s21, exec_lo
; %bb.314:                              ;   in Loop: Header=BB216_6 Depth=1
	s_or_b32 exec_lo, exec_lo, s20
	v_mov_b32_e32 v4, v26
	v_mov_b32_e32 v5, v27
	s_and_b32 s20, s21, exec_lo
.LBB216_315:                            ;   in Loop: Header=BB216_6 Depth=1
	s_or_b32 exec_lo, exec_lo, s6
	s_mov_b32 s6, -1
                                        ; implicit-def: $sgpr65
                                        ; implicit-def: $sgpr66
	s_and_saveexec_b32 s18, s20
	s_xor_b32 s25, exec_lo, s18
	s_cbranch_execz .LBB216_460
; %bb.316:                              ;   in Loop: Header=BB216_6 Depth=1
	v_cmp_eq_u64_e32 vcc_lo, 1, v[4:5]
	s_cmp_eq_u64 s[16:17], 1
                                        ; implicit-def: $sgpr66
                                        ; implicit-def: $sgpr65
	s_cselect_b32 s6, -1, 0
	s_and_b32 s67, s6, vcc_lo
	s_mov_b32 s6, -1
	s_and_saveexec_b32 s68, s67
	s_cbranch_execz .LBB216_350
; %bb.317:                              ;   in Loop: Header=BB216_6 Depth=1
	ds_read_b64 v[6:7], v3 offset:5120
	s_waitcnt lgkmcnt(0)
	s_barrier
	buffer_gl0_inv
	v_readfirstlane_b32 s18, v6
	v_readfirstlane_b32 s19, v7
	s_and_saveexec_b32 s6, s10
; %bb.318:                              ;   in Loop: Header=BB216_6 Depth=1
	ds_write_b16 v33, v3
; %bb.319:                              ;   in Loop: Header=BB216_6 Depth=1
	s_or_b32 exec_lo, exec_lo, s6
	s_lshl_b32 s6, 2, s91
	v_or_b32_e32 v41, s11, v41
	v_and_or_b32 v20, v20, s26, s6
	s_mov_b32 s65, -1
	s_mov_b32 s66, 0
	s_cmp_eq_u64 s[18:19], 0
	s_mov_b32 s22, 0
	s_mov_b32 s6, -1
	s_waitcnt lgkmcnt(0)
	s_barrier
	buffer_gl0_inv
                                        ; implicit-def: $vgpr42
	s_cbranch_scc1 .LBB216_335
; %bb.320:                              ;   in Loop: Header=BB216_6 Depth=1
	s_add_u32 s6, s18, s82
	s_addc_u32 s21, s19, s83
	s_mov_b32 s20, s53
	s_cmp_lg_u64 s[20:21], 0
	s_cbranch_scc0 .LBB216_376
; %bb.321:                              ;   in Loop: Header=BB216_6 Depth=1
	v_cvt_f32_u32_e32 v6, s33
	s_sub_u32 s23, 0, s33
	s_subb_u32 s46, 0, 0
	v_fmac_f32_e64 v6, 0x4f800000, 0
	v_rcp_f32_e32 v6, v6
	v_mul_f32_e32 v6, 0x5f7ffffc, v6
	v_mul_f32_e32 v7, 0x2f800000, v6
	v_trunc_f32_e32 v7, v7
	v_fmac_f32_e32 v6, 0xcf800000, v7
	v_cvt_u32_f32_e32 v7, v7
	v_cvt_u32_f32_e32 v6, v6
	v_readfirstlane_b32 s20, v7
	v_readfirstlane_b32 s22, v6
	s_mul_i32 s47, s23, s20
	s_mul_hi_u32 s51, s23, s22
	s_mul_i32 s50, s46, s22
	s_add_i32 s47, s51, s47
	s_mul_i32 s52, s23, s22
	s_add_i32 s47, s47, s50
	s_mul_hi_u32 s51, s22, s52
	s_mul_i32 s69, s22, s47
	s_mul_hi_u32 s56, s20, s52
	s_mul_i32 s50, s20, s52
	s_mul_hi_u32 s52, s22, s47
	s_add_u32 s51, s51, s69
	s_addc_u32 s52, 0, s52
	s_mul_hi_u32 s70, s20, s47
	s_add_u32 s50, s51, s50
	s_mul_i32 s47, s20, s47
	s_addc_u32 s50, s52, s56
	s_addc_u32 s51, s70, 0
	s_add_u32 s47, s50, s47
	s_addc_u32 s50, 0, s51
	s_add_u32 s22, s22, s47
	s_cselect_b32 s47, -1, 0
	s_mul_hi_u32 s51, s23, s22
	s_cmp_lg_u32 s47, 0
	s_mul_i32 s47, s23, s22
	s_addc_u32 s20, s20, s50
	s_mul_i32 s46, s46, s22
	s_mul_i32 s23, s23, s20
	s_mul_hi_u32 s50, s22, s47
	s_add_i32 s23, s51, s23
	s_mul_hi_u32 s51, s20, s47
	s_add_i32 s23, s23, s46
	s_mul_i32 s46, s20, s47
	s_mul_i32 s56, s22, s23
	s_mul_hi_u32 s52, s22, s23
	s_add_u32 s50, s50, s56
	s_addc_u32 s52, 0, s52
	s_mul_hi_u32 s47, s20, s23
	s_add_u32 s46, s50, s46
	s_mul_i32 s23, s20, s23
	s_addc_u32 s46, s52, s51
	s_addc_u32 s47, s47, 0
	s_add_u32 s23, s46, s23
	s_addc_u32 s46, 0, s47
	s_add_u32 s22, s22, s23
	s_cselect_b32 s23, -1, 0
	s_mul_hi_u32 s47, s6, s22
	s_cmp_lg_u32 s23, 0
	s_mul_hi_u32 s23, s21, s22
	s_addc_u32 s20, s20, s46
	s_mul_i32 s22, s21, s22
	s_mul_i32 s50, s6, s20
	s_mul_hi_u32 s46, s6, s20
	s_add_u32 s47, s47, s50
	s_addc_u32 s46, 0, s46
	s_mul_hi_u32 s51, s21, s20
	s_add_u32 s22, s47, s22
	s_mul_i32 s20, s21, s20
	s_addc_u32 s22, s46, s23
	s_addc_u32 s23, s51, 0
	s_add_u32 s20, s22, s20
	s_addc_u32 s22, 0, s23
	s_mul_hi_u32 s23, s33, s20
	s_mul_i32 s22, s33, s22
	s_mul_i32 s20, s33, s20
	s_add_i32 s23, s23, s22
	s_sub_u32 s20, s6, s20
	s_cselect_b32 s22, -1, 0
	s_cmp_lg_u32 s22, 0
	s_subb_u32 s22, s21, s23
	s_sub_u32 s23, s20, s33
	s_cselect_b32 s46, -1, 0
	s_cmp_lg_u32 s46, 0
	s_subb_u32 s46, s22, 0
	;; [unrolled: 4-line block ×3, first 2 shown]
	s_cmp_ge_u32 s23, s33
	s_cselect_b32 s51, -1, 0
	s_cmp_eq_u32 s46, 0
	s_cselect_b32 s51, s51, -1
	s_cmp_lg_u32 s51, 0
	s_cselect_b32 s46, s50, s46
	s_cselect_b32 s47, s47, s23
	s_cmp_ge_u32 s20, s33
	s_cselect_b32 s23, -1, 0
	s_cmp_eq_u32 s22, 0
	s_cselect_b32 s23, s23, -1
	s_cmp_lg_u32 s23, 0
	s_cselect_b32 s23, s46, s22
	s_cselect_b32 s22, s47, s20
	s_cbranch_execnz .LBB216_323
.LBB216_322:                            ;   in Loop: Header=BB216_6 Depth=1
	v_cvt_f32_u32_e32 v6, s33
	s_sub_i32 s22, 0, s33
	v_rcp_iflag_f32_e32 v6, v6
	v_mul_f32_e32 v6, 0x4f7ffffe, v6
	v_cvt_u32_f32_e32 v6, v6
	v_readfirstlane_b32 s20, v6
	s_mul_i32 s22, s22, s20
	s_mul_hi_u32 s22, s20, s22
	s_add_i32 s20, s20, s22
	s_mul_hi_u32 s20, s6, s20
	s_mul_i32 s20, s20, s33
	s_sub_i32 s20, s6, s20
	s_sub_i32 s22, s20, s33
	s_cmp_ge_u32 s20, s33
	s_cselect_b32 s20, s22, s20
	s_sub_i32 s22, s20, s33
	s_cmp_ge_u32 s20, s33
	s_cselect_b32 s52, s22, s20
	s_mov_b64 s[22:23], s[52:53]
.LBB216_323:                            ;   in Loop: Header=BB216_6 Depth=1
	s_sub_u32 s20, s6, s22
	s_subb_u32 s21, s21, s23
	s_mov_b32 s6, 0
	s_mov_b32 s22, 0
	s_mov_b32 s23, exec_lo
                                        ; implicit-def: $vgpr42
	v_cmpx_gt_u64_e64 s[20:21], v[0:1]
	s_cbranch_execz .LBB216_334
; %bb.324:                              ;   in Loop: Header=BB216_6 Depth=1
	v_mov_b32_e32 v7, v1
	v_mov_b32_e32 v8, v32
	v_mov_b32_e32 v6, v0
                                        ; implicit-def: $sgpr46
	s_branch .LBB216_327
.LBB216_325:                            ;   in Loop: Header=BB216_327 Depth=2
	s_or_b32 exec_lo, exec_lo, s47
	s_waitcnt lgkmcnt(0)
	s_barrier
	buffer_gl0_inv
	ds_read_b32 v9, v3 offset:3072
	s_mov_b32 s47, -1
	s_mov_b32 s50, -1
	s_waitcnt lgkmcnt(0)
	s_barrier
	buffer_gl0_inv
	v_and_b32_e32 v10, 0x7fff, v9
	v_cmp_ne_u32_e32 vcc_lo, 0, v10
	s_cbranch_vccz .LBB216_330
.LBB216_326:                            ;   in Loop: Header=BB216_327 Depth=2
	s_and_b32 s2, exec_lo, s47
	s_or_b32 s22, s2, s22
	s_andn2_b32 s2, s46, exec_lo
	s_and_b32 s7, s50, exec_lo
	s_or_b32 s46, s2, s7
	s_andn2_b32 exec_lo, exec_lo, s22
	s_cbranch_execz .LBB216_333
.LBB216_327:                            ;   Parent Loop BB216_6 Depth=1
                                        ; =>  This Inner Loop Header: Depth=2
	s_mov_b32 s47, exec_lo
	v_cmpx_gt_u64_e64 s[18:19], v[6:7]
	s_cbranch_execz .LBB216_325
; %bb.328:                              ;   in Loop: Header=BB216_327 Depth=2
	ds_read_u16 v9, v8
	s_waitcnt lgkmcnt(0)
	v_cmp_lt_i16_e32 vcc_lo, -1, v9
	v_lshlrev_b32_e32 v11, 16, v9
	v_cndmask_b32_e32 v10, 0xffff, v39, vcc_lo
	v_cmp_o_f32_e32 vcc_lo, v11, v11
	v_xor_b32_sdwa v10, v10, v9 dst_sel:DWORD dst_unused:UNUSED_PAD src0_sel:DWORD src1_sel:WORD_0
	v_cndmask_b32_e32 v10, 0xffff, v10, vcc_lo
	v_and_b32_e32 v10, v10, v41
	v_cmp_eq_u32_e32 vcc_lo, v10, v20
	s_and_b32 exec_lo, exec_lo, vcc_lo
	s_cbranch_execz .LBB216_325
; %bb.329:                              ;   in Loop: Header=BB216_327 Depth=2
	v_perm_b32 v9, v9, s93, 0x5040100
	ds_write_b32 v3, v9 offset:3072
	s_branch .LBB216_325
.LBB216_330:                            ;   in Loop: Header=BB216_327 Depth=2
	v_add_co_u32 v6, vcc_lo, v6, s33
	v_add_co_ci_u32_e64 v7, null, 0, v7, vcc_lo
	v_add_nc_u32_e32 v8, s90, v8
	s_mov_b32 s50, 0
	v_cmp_le_u64_e32 vcc_lo, s[20:21], v[6:7]
	s_orn2_b32 s47, vcc_lo, exec_lo
	s_branch .LBB216_326
.LBB216_331:                            ;   in Loop: Header=BB216_6 Depth=1
                                        ; implicit-def: $sgpr24_sgpr25
	s_branch .LBB216_278
.LBB216_332:                            ;   in Loop: Header=BB216_6 Depth=1
                                        ; implicit-def: $sgpr20_sgpr21
	s_branch .LBB216_293
.LBB216_333:                            ;   in Loop: Header=BB216_6 Depth=1
	s_or_b32 exec_lo, exec_lo, s22
	v_lshrrev_b32_e32 v42, 16, v9
	s_and_b32 s22, s46, exec_lo
.LBB216_334:                            ;   in Loop: Header=BB216_6 Depth=1
	s_or_b32 exec_lo, exec_lo, s23
.LBB216_335:                            ;   in Loop: Header=BB216_6 Depth=1
	s_and_b32 vcc_lo, exec_lo, s6
	s_cbranch_vccz .LBB216_349
; %bb.336:                              ;   in Loop: Header=BB216_6 Depth=1
	s_mov_b32 s56, s53
	s_cmp_lg_u64 s[56:57], 0
	s_cbranch_scc0 .LBB216_377
; %bb.337:                              ;   in Loop: Header=BB216_6 Depth=1
	v_cvt_f32_u32_e32 v6, s33
	s_sub_u32 s19, 0, s33
	s_subb_u32 s20, 0, 0
	v_fmac_f32_e64 v6, 0x4f800000, 0
	v_rcp_f32_e32 v6, v6
	v_mul_f32_e32 v6, 0x5f7ffffc, v6
	v_mul_f32_e32 v7, 0x2f800000, v6
	v_trunc_f32_e32 v7, v7
	v_fmac_f32_e32 v6, 0xcf800000, v7
	v_cvt_u32_f32_e32 v7, v7
	v_cvt_u32_f32_e32 v6, v6
	v_readfirstlane_b32 s6, v7
	v_readfirstlane_b32 s18, v6
	s_mul_i32 s21, s19, s6
	s_mul_hi_u32 s46, s19, s18
	s_mul_i32 s23, s20, s18
	s_add_i32 s21, s46, s21
	s_mul_i32 s47, s19, s18
	s_add_i32 s21, s21, s23
	s_mul_hi_u32 s46, s18, s47
	s_mul_i32 s51, s18, s21
	s_mul_hi_u32 s50, s6, s47
	s_mul_i32 s23, s6, s47
	s_mul_hi_u32 s47, s18, s21
	s_add_u32 s46, s46, s51
	s_addc_u32 s47, 0, s47
	s_mul_hi_u32 s52, s6, s21
	s_add_u32 s23, s46, s23
	s_mul_i32 s21, s6, s21
	s_addc_u32 s23, s47, s50
	s_addc_u32 s46, s52, 0
	s_add_u32 s21, s23, s21
	s_addc_u32 s23, 0, s46
	s_add_u32 s18, s18, s21
	s_cselect_b32 s21, -1, 0
	s_mul_hi_u32 s46, s19, s18
	s_cmp_lg_u32 s21, 0
	s_mul_i32 s21, s19, s18
	s_addc_u32 s6, s6, s23
	s_mul_i32 s20, s20, s18
	s_mul_i32 s19, s19, s6
	s_mul_hi_u32 s23, s18, s21
	s_add_i32 s19, s46, s19
	s_mul_hi_u32 s46, s6, s21
	s_add_i32 s19, s19, s20
	s_mul_i32 s20, s6, s21
	s_mul_i32 s50, s18, s19
	s_mul_hi_u32 s47, s18, s19
	s_add_u32 s23, s23, s50
	s_addc_u32 s47, 0, s47
	s_mul_hi_u32 s21, s6, s19
	s_add_u32 s20, s23, s20
	s_mul_i32 s19, s6, s19
	s_addc_u32 s20, s47, s46
	s_addc_u32 s21, s21, 0
	s_add_u32 s19, s20, s19
	s_addc_u32 s20, 0, s21
	s_add_u32 s18, s18, s19
	s_cselect_b32 s19, -1, 0
	s_mul_hi_u32 s21, s84, s18
	s_cmp_lg_u32 s19, 0
	s_mul_hi_u32 s19, s57, s18
	s_addc_u32 s6, s6, s20
	s_mul_i32 s18, s57, s18
	s_mul_i32 s23, s84, s6
	s_mul_hi_u32 s20, s84, s6
	s_add_u32 s21, s21, s23
	s_addc_u32 s20, 0, s20
	s_mul_hi_u32 s46, s57, s6
	s_add_u32 s18, s21, s18
	s_mul_i32 s6, s57, s6
	s_addc_u32 s18, s20, s19
	s_addc_u32 s19, s46, 0
	s_add_u32 s6, s18, s6
	s_addc_u32 s18, 0, s19
	s_mul_hi_u32 s19, s33, s6
	s_mul_i32 s18, s33, s18
	s_mul_i32 s6, s33, s6
	s_add_i32 s19, s19, s18
	s_sub_u32 s6, s84, s6
	s_cselect_b32 s18, -1, 0
	s_cmp_lg_u32 s18, 0
	s_subb_u32 s18, s57, s19
	s_sub_u32 s19, s6, s33
	s_cselect_b32 s20, -1, 0
	s_cmp_lg_u32 s20, 0
	s_subb_u32 s20, s18, 0
	;; [unrolled: 4-line block ×3, first 2 shown]
	s_cmp_ge_u32 s19, s33
	s_cselect_b32 s46, -1, 0
	s_cmp_eq_u32 s20, 0
	s_cselect_b32 s46, s46, -1
	s_cmp_lg_u32 s46, 0
	s_cselect_b32 s20, s23, s20
	s_cselect_b32 s21, s21, s19
	s_cmp_ge_u32 s6, s33
	s_cselect_b32 s19, -1, 0
	s_cmp_eq_u32 s18, 0
	s_cselect_b32 s19, s19, -1
	s_cmp_lg_u32 s19, 0
	s_cselect_b32 s19, s20, s18
	s_cselect_b32 s18, s21, s6
	s_cbranch_execnz .LBB216_339
.LBB216_338:                            ;   in Loop: Header=BB216_6 Depth=1
	v_cvt_f32_u32_e32 v6, s33
	s_sub_i32 s18, 0, s33
	v_rcp_iflag_f32_e32 v6, v6
	v_mul_f32_e32 v6, 0x4f7ffffe, v6
	v_cvt_u32_f32_e32 v6, v6
	v_readfirstlane_b32 s6, v6
	s_mul_i32 s18, s18, s6
	s_mul_hi_u32 s18, s6, s18
	s_add_i32 s6, s6, s18
	s_mul_hi_u32 s6, s84, s6
	s_mul_i32 s6, s6, s33
	s_sub_i32 s6, s84, s6
	s_sub_i32 s18, s6, s33
	s_cmp_ge_u32 s6, s33
	s_cselect_b32 s6, s18, s6
	s_sub_i32 s18, s6, s33
	s_cmp_ge_u32 s6, s33
	s_cselect_b32 s52, s18, s6
	s_mov_b64 s[18:19], s[52:53]
.LBB216_339:                            ;   in Loop: Header=BB216_6 Depth=1
	s_sub_u32 s18, s84, s18
	s_subb_u32 s19, s57, s19
	s_mov_b32 s20, exec_lo
                                        ; implicit-def: $vgpr42
	v_cmpx_gt_u64_e64 s[18:19], v[0:1]
	s_cbranch_execz .LBB216_348
; %bb.340:                              ;   in Loop: Header=BB216_6 Depth=1
	v_mov_b32_e32 v6, v12
	v_mov_b32_e32 v9, v1
	;; [unrolled: 1-line block ×4, first 2 shown]
	s_mov_b32 s21, 0
                                        ; implicit-def: $sgpr23
	s_branch .LBB216_343
.LBB216_341:                            ;   in Loop: Header=BB216_343 Depth=2
	s_or_b32 exec_lo, exec_lo, s6
	s_waitcnt lgkmcnt(0)
	s_barrier
	buffer_gl0_inv
	ds_read_b32 v10, v3 offset:3072
	s_mov_b32 s6, -1
	s_mov_b32 s46, -1
	s_waitcnt lgkmcnt(0)
	s_barrier
	buffer_gl0_inv
	v_and_b32_e32 v11, 0x7fff, v10
	v_cmp_eq_u32_e32 vcc_lo, 0, v11
	s_cbranch_vccnz .LBB216_346
.LBB216_342:                            ;   in Loop: Header=BB216_343 Depth=2
	s_and_b32 s2, exec_lo, s6
	s_or_b32 s21, s2, s21
	s_andn2_b32 s2, s23, exec_lo
	s_and_b32 s6, s46, exec_lo
	s_or_b32 s23, s2, s6
	s_andn2_b32 exec_lo, exec_lo, s21
	s_cbranch_execz .LBB216_347
.LBB216_343:                            ;   Parent Loop BB216_6 Depth=1
                                        ; =>  This Inner Loop Header: Depth=2
	s_mov_b32 s6, exec_lo
	v_cmpx_gt_u64_e64 s[28:29], v[8:9]
	s_cbranch_execz .LBB216_341
; %bb.344:                              ;   in Loop: Header=BB216_343 Depth=2
	global_load_ushort v10, v[6:7], off
	s_waitcnt vmcnt(0)
	v_cmp_lt_i16_e32 vcc_lo, -1, v10
	v_lshlrev_b32_e32 v26, 16, v10
	v_cndmask_b32_e32 v11, 0xffff, v39, vcc_lo
	v_cmp_o_f32_e32 vcc_lo, v26, v26
	v_xor_b32_sdwa v11, v11, v10 dst_sel:DWORD dst_unused:UNUSED_PAD src0_sel:DWORD src1_sel:WORD_0
	v_cndmask_b32_e32 v11, 0xffff, v11, vcc_lo
	v_and_b32_e32 v11, v11, v41
	v_cmp_eq_u32_e32 vcc_lo, v11, v20
	s_and_b32 exec_lo, exec_lo, vcc_lo
	s_cbranch_execz .LBB216_341
; %bb.345:                              ;   in Loop: Header=BB216_343 Depth=2
	v_perm_b32 v10, v10, s93, 0x5040100
	ds_write_b32 v3, v10 offset:3072
	s_branch .LBB216_341
.LBB216_346:                            ;   in Loop: Header=BB216_343 Depth=2
	v_add_co_u32 v8, vcc_lo, v8, s33
	v_add_co_ci_u32_e64 v9, null, 0, v9, vcc_lo
	v_add_co_u32 v6, s6, v6, s34
	v_add_co_ci_u32_e64 v7, null, s35, v7, s6
	v_cmp_le_u64_e32 vcc_lo, s[18:19], v[8:9]
	s_mov_b32 s46, 0
	s_orn2_b32 s6, vcc_lo, exec_lo
	s_branch .LBB216_342
.LBB216_347:                            ;   in Loop: Header=BB216_6 Depth=1
	s_or_b32 exec_lo, exec_lo, s21
	v_lshrrev_b32_e32 v42, 16, v10
	s_andn2_b32 s2, s22, exec_lo
	s_and_b32 s6, s23, exec_lo
	s_or_b32 s22, s2, s6
.LBB216_348:                            ;   in Loop: Header=BB216_6 Depth=1
	s_or_b32 exec_lo, exec_lo, s20
	s_mov_b32 s65, 0
	s_mov_b32 s66, -1
.LBB216_349:                            ;   in Loop: Header=BB216_6 Depth=1
	s_orn2_b32 s6, s22, exec_lo
.LBB216_350:                            ;   in Loop: Header=BB216_6 Depth=1
	s_or_b32 exec_lo, exec_lo, s68
	s_mov_b32 s18, 0
	s_and_saveexec_b32 s22, s6
	s_cbranch_execz .LBB216_459
; %bb.351:                              ;   in Loop: Header=BB216_6 Depth=1
	v_mov_b32_e32 v6, 1
	v_mov_b32_e32 v7, 0
	;; [unrolled: 1-line block ×3, first 2 shown]
	s_xor_b32 s19, s67, -1
	s_and_saveexec_b32 s6, s19
	s_cbranch_execz .LBB216_360
; %bb.352:                              ;   in Loop: Header=BB216_6 Depth=1
	s_mov_b32 s18, exec_lo
	v_cmpx_ge_u64_e64 s[16:17], v[4:5]
	s_xor_b32 s18, exec_lo, s18
	s_cbranch_execz .LBB216_357
; %bb.353:                              ;   in Loop: Header=BB216_6 Depth=1
	ds_read_b64 v[6:7], v3 offset:5120
	s_lshl_b32 s19, 2, s91
	v_or_b32_e32 v41, s11, v41
	v_and_or_b32 v20, v20, s26, s19
	s_waitcnt lgkmcnt(0)
	v_cmp_ne_u64_e32 vcc_lo, 0, v[6:7]
	s_cbranch_vccnz .LBB216_357
; %bb.354:                              ;   in Loop: Header=BB216_6 Depth=1
	s_and_saveexec_b32 s19, s3
; %bb.355:                              ;   in Loop: Header=BB216_6 Depth=1
	v_mov_b32_e32 v6, s16
	v_mov_b32_e32 v7, s17
	ds_write_b64 v3, v[6:7] offset:5128
; %bb.356:                              ;   in Loop: Header=BB216_6 Depth=1
	s_or_b32 exec_lo, exec_lo, s19
	s_waitcnt lgkmcnt(0)
	s_barrier
	buffer_gl0_inv
.LBB216_357:                            ;   in Loop: Header=BB216_6 Depth=1
	s_or_saveexec_b32 s18, s18
	v_mov_b32_e32 v2, 5
	s_mov_b32 s19, 0
	s_xor_b32 exec_lo, exec_lo, s18
; %bb.358:                              ;   in Loop: Header=BB216_6 Depth=1
	v_sub_co_u32 v4, vcc_lo, v4, s16
	v_subrev_co_ci_u32_e64 v5, null, s17, v5, vcc_lo
	v_mov_b32_e32 v2, 0
	s_mov_b32 s19, exec_lo
; %bb.359:                              ;   in Loop: Header=BB216_6 Depth=1
	s_or_b32 exec_lo, exec_lo, s18
	v_mov_b32_e32 v7, v5
	v_mov_b32_e32 v6, v4
	s_and_b32 s18, s19, exec_lo
.LBB216_360:                            ;   in Loop: Header=BB216_6 Depth=1
	s_or_b32 exec_lo, exec_lo, s6
	s_mov_b32 s6, -1
                                        ; implicit-def: $sgpr67
                                        ; implicit-def: $sgpr68
	s_and_saveexec_b32 s23, s18
	s_cbranch_execz .LBB216_458
; %bb.361:                              ;   in Loop: Header=BB216_6 Depth=1
	v_cmp_eq_u64_e32 vcc_lo, 1, v[6:7]
	s_cmp_eq_u64 s[14:15], 1
                                        ; implicit-def: $sgpr68
                                        ; implicit-def: $sgpr67
	s_cselect_b32 s6, -1, 0
	s_and_b32 s69, s6, vcc_lo
	s_mov_b32 s6, -1
	s_and_saveexec_b32 s70, s69
	s_cbranch_execz .LBB216_395
; %bb.362:                              ;   in Loop: Header=BB216_6 Depth=1
	ds_read_b64 v[4:5], v3 offset:5120
	s_waitcnt lgkmcnt(0)
	s_barrier
	buffer_gl0_inv
	v_readfirstlane_b32 s16, v4
	v_readfirstlane_b32 s17, v5
	s_and_saveexec_b32 s6, s10
; %bb.363:                              ;   in Loop: Header=BB216_6 Depth=1
	ds_write_b16 v33, v3
; %bb.364:                              ;   in Loop: Header=BB216_6 Depth=1
	s_or_b32 exec_lo, exec_lo, s6
	s_lshl_b32 s6, 1, s91
	v_or_b32_e32 v41, s11, v41
	v_and_or_b32 v20, v20, s26, s6
	s_mov_b32 s67, -1
	s_mov_b32 s68, 0
	s_cmp_eq_u64 s[16:17], 0
	s_mov_b32 s20, 0
	s_mov_b32 s6, -1
	s_waitcnt lgkmcnt(0)
	s_barrier
	buffer_gl0_inv
                                        ; implicit-def: $vgpr42
	s_cbranch_scc1 .LBB216_380
; %bb.365:                              ;   in Loop: Header=BB216_6 Depth=1
	s_add_u32 s6, s16, s82
	s_addc_u32 s19, s17, s83
	s_mov_b32 s18, s53
	s_cmp_lg_u64 s[18:19], 0
	s_cbranch_scc0 .LBB216_412
; %bb.366:                              ;   in Loop: Header=BB216_6 Depth=1
	v_cvt_f32_u32_e32 v4, s33
	s_sub_u32 s21, 0, s33
	s_subb_u32 s46, 0, 0
	v_fmac_f32_e64 v4, 0x4f800000, 0
	v_rcp_f32_e32 v4, v4
	v_mul_f32_e32 v4, 0x5f7ffffc, v4
	v_mul_f32_e32 v5, 0x2f800000, v4
	v_trunc_f32_e32 v5, v5
	v_fmac_f32_e32 v4, 0xcf800000, v5
	v_cvt_u32_f32_e32 v5, v5
	v_cvt_u32_f32_e32 v4, v4
	v_readfirstlane_b32 s18, v5
	v_readfirstlane_b32 s20, v4
	s_mul_i32 s47, s21, s18
	s_mul_hi_u32 s51, s21, s20
	s_mul_i32 s50, s46, s20
	s_add_i32 s47, s51, s47
	s_mul_i32 s52, s21, s20
	s_add_i32 s47, s47, s50
	s_mul_hi_u32 s51, s20, s52
	s_mul_i32 s71, s20, s47
	s_mul_hi_u32 s56, s18, s52
	s_mul_i32 s50, s18, s52
	s_mul_hi_u32 s52, s20, s47
	s_add_u32 s51, s51, s71
	s_addc_u32 s52, 0, s52
	s_mul_hi_u32 s72, s18, s47
	s_add_u32 s50, s51, s50
	s_mul_i32 s47, s18, s47
	s_addc_u32 s50, s52, s56
	s_addc_u32 s51, s72, 0
	s_add_u32 s47, s50, s47
	s_addc_u32 s50, 0, s51
	s_add_u32 s20, s20, s47
	s_cselect_b32 s47, -1, 0
	s_mul_hi_u32 s51, s21, s20
	s_cmp_lg_u32 s47, 0
	s_mul_i32 s47, s21, s20
	s_addc_u32 s18, s18, s50
	s_mul_i32 s46, s46, s20
	s_mul_i32 s21, s21, s18
	s_mul_hi_u32 s50, s20, s47
	s_add_i32 s21, s51, s21
	s_mul_hi_u32 s51, s18, s47
	s_add_i32 s21, s21, s46
	s_mul_i32 s46, s18, s47
	s_mul_i32 s56, s20, s21
	s_mul_hi_u32 s52, s20, s21
	s_add_u32 s50, s50, s56
	s_addc_u32 s52, 0, s52
	s_mul_hi_u32 s47, s18, s21
	s_add_u32 s46, s50, s46
	s_mul_i32 s21, s18, s21
	s_addc_u32 s46, s52, s51
	s_addc_u32 s47, s47, 0
	s_add_u32 s21, s46, s21
	s_addc_u32 s46, 0, s47
	s_add_u32 s20, s20, s21
	s_cselect_b32 s21, -1, 0
	s_mul_hi_u32 s47, s6, s20
	s_cmp_lg_u32 s21, 0
	s_mul_hi_u32 s21, s19, s20
	s_addc_u32 s18, s18, s46
	s_mul_i32 s20, s19, s20
	s_mul_i32 s50, s6, s18
	s_mul_hi_u32 s46, s6, s18
	s_add_u32 s47, s47, s50
	s_addc_u32 s46, 0, s46
	s_mul_hi_u32 s51, s19, s18
	s_add_u32 s20, s47, s20
	s_mul_i32 s18, s19, s18
	s_addc_u32 s20, s46, s21
	s_addc_u32 s21, s51, 0
	s_add_u32 s18, s20, s18
	s_addc_u32 s20, 0, s21
	s_mul_hi_u32 s21, s33, s18
	s_mul_i32 s20, s33, s20
	s_mul_i32 s18, s33, s18
	s_add_i32 s21, s21, s20
	s_sub_u32 s18, s6, s18
	s_cselect_b32 s20, -1, 0
	s_cmp_lg_u32 s20, 0
	s_subb_u32 s20, s19, s21
	s_sub_u32 s21, s18, s33
	s_cselect_b32 s46, -1, 0
	s_cmp_lg_u32 s46, 0
	s_subb_u32 s46, s20, 0
	;; [unrolled: 4-line block ×3, first 2 shown]
	s_cmp_ge_u32 s21, s33
	s_cselect_b32 s51, -1, 0
	s_cmp_eq_u32 s46, 0
	s_cselect_b32 s51, s51, -1
	s_cmp_lg_u32 s51, 0
	s_cselect_b32 s46, s50, s46
	s_cselect_b32 s47, s47, s21
	s_cmp_ge_u32 s18, s33
	s_cselect_b32 s21, -1, 0
	s_cmp_eq_u32 s20, 0
	s_cselect_b32 s21, s21, -1
	s_cmp_lg_u32 s21, 0
	s_cselect_b32 s21, s46, s20
	s_cselect_b32 s20, s47, s18
	s_cbranch_execnz .LBB216_368
.LBB216_367:                            ;   in Loop: Header=BB216_6 Depth=1
	v_cvt_f32_u32_e32 v4, s33
	s_sub_i32 s20, 0, s33
	v_rcp_iflag_f32_e32 v4, v4
	v_mul_f32_e32 v4, 0x4f7ffffe, v4
	v_cvt_u32_f32_e32 v4, v4
	v_readfirstlane_b32 s18, v4
	s_mul_i32 s20, s20, s18
	s_mul_hi_u32 s20, s18, s20
	s_add_i32 s18, s18, s20
	s_mul_hi_u32 s18, s6, s18
	s_mul_i32 s18, s18, s33
	s_sub_i32 s18, s6, s18
	s_sub_i32 s20, s18, s33
	s_cmp_ge_u32 s18, s33
	s_cselect_b32 s18, s20, s18
	s_sub_i32 s20, s18, s33
	s_cmp_ge_u32 s18, s33
	s_cselect_b32 s52, s20, s18
	s_mov_b64 s[20:21], s[52:53]
.LBB216_368:                            ;   in Loop: Header=BB216_6 Depth=1
	s_sub_u32 s18, s6, s20
	s_subb_u32 s19, s19, s21
	s_mov_b32 s6, 0
	s_mov_b32 s20, 0
	s_mov_b32 s21, exec_lo
                                        ; implicit-def: $vgpr42
	v_cmpx_gt_u64_e64 s[18:19], v[0:1]
	s_cbranch_execz .LBB216_379
; %bb.369:                              ;   in Loop: Header=BB216_6 Depth=1
	v_mov_b32_e32 v5, v1
	v_mov_b32_e32 v8, v32
	;; [unrolled: 1-line block ×3, first 2 shown]
                                        ; implicit-def: $sgpr46
	s_branch .LBB216_372
.LBB216_370:                            ;   in Loop: Header=BB216_372 Depth=2
	s_or_b32 exec_lo, exec_lo, s47
	s_waitcnt lgkmcnt(0)
	s_barrier
	buffer_gl0_inv
	ds_read_b32 v9, v3 offset:3072
	s_mov_b32 s47, -1
	s_mov_b32 s50, -1
	s_waitcnt lgkmcnt(0)
	s_barrier
	buffer_gl0_inv
	v_and_b32_e32 v10, 0x7fff, v9
	v_cmp_ne_u32_e32 vcc_lo, 0, v10
	s_cbranch_vccz .LBB216_375
.LBB216_371:                            ;   in Loop: Header=BB216_372 Depth=2
	s_and_b32 s2, exec_lo, s47
	s_or_b32 s20, s2, s20
	s_andn2_b32 s2, s46, exec_lo
	s_and_b32 s7, s50, exec_lo
	s_or_b32 s46, s2, s7
	s_andn2_b32 exec_lo, exec_lo, s20
	s_cbranch_execz .LBB216_378
.LBB216_372:                            ;   Parent Loop BB216_6 Depth=1
                                        ; =>  This Inner Loop Header: Depth=2
	s_mov_b32 s47, exec_lo
	v_cmpx_gt_u64_e64 s[16:17], v[4:5]
	s_cbranch_execz .LBB216_370
; %bb.373:                              ;   in Loop: Header=BB216_372 Depth=2
	ds_read_u16 v9, v8
	s_waitcnt lgkmcnt(0)
	v_cmp_lt_i16_e32 vcc_lo, -1, v9
	v_lshlrev_b32_e32 v11, 16, v9
	v_cndmask_b32_e32 v10, 0xffff, v39, vcc_lo
	v_cmp_o_f32_e32 vcc_lo, v11, v11
	v_xor_b32_sdwa v10, v10, v9 dst_sel:DWORD dst_unused:UNUSED_PAD src0_sel:DWORD src1_sel:WORD_0
	v_cndmask_b32_e32 v10, 0xffff, v10, vcc_lo
	v_and_b32_e32 v10, v10, v41
	v_cmp_eq_u32_e32 vcc_lo, v10, v20
	s_and_b32 exec_lo, exec_lo, vcc_lo
	s_cbranch_execz .LBB216_370
; %bb.374:                              ;   in Loop: Header=BB216_372 Depth=2
	v_perm_b32 v9, v9, s93, 0x5040100
	ds_write_b32 v3, v9 offset:3072
	s_branch .LBB216_370
.LBB216_375:                            ;   in Loop: Header=BB216_372 Depth=2
	v_add_co_u32 v4, vcc_lo, v4, s33
	v_add_co_ci_u32_e64 v5, null, 0, v5, vcc_lo
	v_add_nc_u32_e32 v8, s90, v8
	s_mov_b32 s50, 0
	v_cmp_le_u64_e32 vcc_lo, s[18:19], v[4:5]
	s_orn2_b32 s47, vcc_lo, exec_lo
	s_branch .LBB216_371
.LBB216_376:                            ;   in Loop: Header=BB216_6 Depth=1
                                        ; implicit-def: $sgpr22_sgpr23
	s_branch .LBB216_322
.LBB216_377:                            ;   in Loop: Header=BB216_6 Depth=1
                                        ; implicit-def: $sgpr18_sgpr19
	s_branch .LBB216_338
.LBB216_378:                            ;   in Loop: Header=BB216_6 Depth=1
	s_or_b32 exec_lo, exec_lo, s20
	v_lshrrev_b32_e32 v42, 16, v9
	s_and_b32 s20, s46, exec_lo
.LBB216_379:                            ;   in Loop: Header=BB216_6 Depth=1
	s_or_b32 exec_lo, exec_lo, s21
.LBB216_380:                            ;   in Loop: Header=BB216_6 Depth=1
	s_and_b32 vcc_lo, exec_lo, s6
	s_cbranch_vccz .LBB216_394
; %bb.381:                              ;   in Loop: Header=BB216_6 Depth=1
	s_mov_b32 s56, s53
	s_cmp_lg_u64 s[56:57], 0
	s_cbranch_scc0 .LBB216_413
; %bb.382:                              ;   in Loop: Header=BB216_6 Depth=1
	v_cvt_f32_u32_e32 v4, s33
	s_sub_u32 s17, 0, s33
	s_subb_u32 s18, 0, 0
	v_fmac_f32_e64 v4, 0x4f800000, 0
	v_rcp_f32_e32 v4, v4
	v_mul_f32_e32 v4, 0x5f7ffffc, v4
	v_mul_f32_e32 v5, 0x2f800000, v4
	v_trunc_f32_e32 v5, v5
	v_fmac_f32_e32 v4, 0xcf800000, v5
	v_cvt_u32_f32_e32 v5, v5
	v_cvt_u32_f32_e32 v4, v4
	v_readfirstlane_b32 s6, v5
	v_readfirstlane_b32 s16, v4
	s_mul_i32 s19, s17, s6
	s_mul_hi_u32 s46, s17, s16
	s_mul_i32 s21, s18, s16
	s_add_i32 s19, s46, s19
	s_mul_i32 s47, s17, s16
	s_add_i32 s19, s19, s21
	s_mul_hi_u32 s46, s16, s47
	s_mul_i32 s51, s16, s19
	s_mul_hi_u32 s50, s6, s47
	s_mul_i32 s21, s6, s47
	s_mul_hi_u32 s47, s16, s19
	s_add_u32 s46, s46, s51
	s_addc_u32 s47, 0, s47
	s_mul_hi_u32 s52, s6, s19
	s_add_u32 s21, s46, s21
	s_mul_i32 s19, s6, s19
	s_addc_u32 s21, s47, s50
	s_addc_u32 s46, s52, 0
	s_add_u32 s19, s21, s19
	s_addc_u32 s21, 0, s46
	s_add_u32 s16, s16, s19
	s_cselect_b32 s19, -1, 0
	s_mul_hi_u32 s46, s17, s16
	s_cmp_lg_u32 s19, 0
	s_mul_i32 s19, s17, s16
	s_addc_u32 s6, s6, s21
	s_mul_i32 s18, s18, s16
	s_mul_i32 s17, s17, s6
	s_mul_hi_u32 s21, s16, s19
	s_add_i32 s17, s46, s17
	s_mul_hi_u32 s46, s6, s19
	s_add_i32 s17, s17, s18
	s_mul_i32 s18, s6, s19
	s_mul_i32 s50, s16, s17
	s_mul_hi_u32 s47, s16, s17
	s_add_u32 s21, s21, s50
	s_addc_u32 s47, 0, s47
	s_mul_hi_u32 s19, s6, s17
	s_add_u32 s18, s21, s18
	s_mul_i32 s17, s6, s17
	s_addc_u32 s18, s47, s46
	s_addc_u32 s19, s19, 0
	s_add_u32 s17, s18, s17
	s_addc_u32 s18, 0, s19
	s_add_u32 s16, s16, s17
	s_cselect_b32 s17, -1, 0
	s_mul_hi_u32 s19, s84, s16
	s_cmp_lg_u32 s17, 0
	s_mul_hi_u32 s17, s57, s16
	s_addc_u32 s6, s6, s18
	s_mul_i32 s16, s57, s16
	s_mul_i32 s21, s84, s6
	s_mul_hi_u32 s18, s84, s6
	s_add_u32 s19, s19, s21
	s_addc_u32 s18, 0, s18
	s_mul_hi_u32 s46, s57, s6
	s_add_u32 s16, s19, s16
	s_mul_i32 s6, s57, s6
	s_addc_u32 s16, s18, s17
	s_addc_u32 s17, s46, 0
	s_add_u32 s6, s16, s6
	s_addc_u32 s16, 0, s17
	s_mul_hi_u32 s17, s33, s6
	s_mul_i32 s16, s33, s16
	s_mul_i32 s6, s33, s6
	s_add_i32 s17, s17, s16
	s_sub_u32 s6, s84, s6
	s_cselect_b32 s16, -1, 0
	s_cmp_lg_u32 s16, 0
	s_subb_u32 s16, s57, s17
	s_sub_u32 s17, s6, s33
	s_cselect_b32 s18, -1, 0
	s_cmp_lg_u32 s18, 0
	s_subb_u32 s18, s16, 0
	;; [unrolled: 4-line block ×3, first 2 shown]
	s_cmp_ge_u32 s17, s33
	s_cselect_b32 s46, -1, 0
	s_cmp_eq_u32 s18, 0
	s_cselect_b32 s46, s46, -1
	s_cmp_lg_u32 s46, 0
	s_cselect_b32 s18, s21, s18
	s_cselect_b32 s19, s19, s17
	s_cmp_ge_u32 s6, s33
	s_cselect_b32 s17, -1, 0
	s_cmp_eq_u32 s16, 0
	s_cselect_b32 s17, s17, -1
	s_cmp_lg_u32 s17, 0
	s_cselect_b32 s17, s18, s16
	s_cselect_b32 s16, s19, s6
	s_cbranch_execnz .LBB216_384
.LBB216_383:                            ;   in Loop: Header=BB216_6 Depth=1
	v_cvt_f32_u32_e32 v4, s33
	s_sub_i32 s16, 0, s33
	v_rcp_iflag_f32_e32 v4, v4
	v_mul_f32_e32 v4, 0x4f7ffffe, v4
	v_cvt_u32_f32_e32 v4, v4
	v_readfirstlane_b32 s6, v4
	s_mul_i32 s16, s16, s6
	s_mul_hi_u32 s16, s6, s16
	s_add_i32 s6, s6, s16
	s_mul_hi_u32 s6, s84, s6
	s_mul_i32 s6, s6, s33
	s_sub_i32 s6, s84, s6
	s_sub_i32 s16, s6, s33
	s_cmp_ge_u32 s6, s33
	s_cselect_b32 s6, s16, s6
	s_sub_i32 s16, s6, s33
	s_cmp_ge_u32 s6, s33
	s_cselect_b32 s52, s16, s6
	s_mov_b64 s[16:17], s[52:53]
.LBB216_384:                            ;   in Loop: Header=BB216_6 Depth=1
	s_sub_u32 s16, s84, s16
	s_subb_u32 s17, s57, s17
	s_mov_b32 s18, exec_lo
                                        ; implicit-def: $vgpr42
	v_cmpx_gt_u64_e64 s[16:17], v[0:1]
	s_cbranch_execz .LBB216_393
; %bb.385:                              ;   in Loop: Header=BB216_6 Depth=1
	v_mov_b32_e32 v4, v12
	v_mov_b32_e32 v9, v1
	v_mov_b32_e32 v5, v13
	v_mov_b32_e32 v8, v0
	s_mov_b32 s19, 0
                                        ; implicit-def: $sgpr21
	s_branch .LBB216_388
.LBB216_386:                            ;   in Loop: Header=BB216_388 Depth=2
	s_or_b32 exec_lo, exec_lo, s6
	s_waitcnt lgkmcnt(0)
	s_barrier
	buffer_gl0_inv
	ds_read_b32 v10, v3 offset:3072
	s_mov_b32 s6, -1
	s_mov_b32 s46, -1
	s_waitcnt lgkmcnt(0)
	s_barrier
	buffer_gl0_inv
	v_and_b32_e32 v11, 0x7fff, v10
	v_cmp_eq_u32_e32 vcc_lo, 0, v11
	s_cbranch_vccnz .LBB216_391
.LBB216_387:                            ;   in Loop: Header=BB216_388 Depth=2
	s_and_b32 s2, exec_lo, s6
	s_or_b32 s19, s2, s19
	s_andn2_b32 s2, s21, exec_lo
	s_and_b32 s6, s46, exec_lo
	s_or_b32 s21, s2, s6
	s_andn2_b32 exec_lo, exec_lo, s19
	s_cbranch_execz .LBB216_392
.LBB216_388:                            ;   Parent Loop BB216_6 Depth=1
                                        ; =>  This Inner Loop Header: Depth=2
	s_mov_b32 s6, exec_lo
	v_cmpx_gt_u64_e64 s[28:29], v[8:9]
	s_cbranch_execz .LBB216_386
; %bb.389:                              ;   in Loop: Header=BB216_388 Depth=2
	global_load_ushort v10, v[4:5], off
	s_waitcnt vmcnt(0)
	v_cmp_lt_i16_e32 vcc_lo, -1, v10
	v_lshlrev_b32_e32 v26, 16, v10
	v_cndmask_b32_e32 v11, 0xffff, v39, vcc_lo
	v_cmp_o_f32_e32 vcc_lo, v26, v26
	v_xor_b32_sdwa v11, v11, v10 dst_sel:DWORD dst_unused:UNUSED_PAD src0_sel:DWORD src1_sel:WORD_0
	v_cndmask_b32_e32 v11, 0xffff, v11, vcc_lo
	v_and_b32_e32 v11, v11, v41
	v_cmp_eq_u32_e32 vcc_lo, v11, v20
	s_and_b32 exec_lo, exec_lo, vcc_lo
	s_cbranch_execz .LBB216_386
; %bb.390:                              ;   in Loop: Header=BB216_388 Depth=2
	v_perm_b32 v10, v10, s93, 0x5040100
	ds_write_b32 v3, v10 offset:3072
	s_branch .LBB216_386
.LBB216_391:                            ;   in Loop: Header=BB216_388 Depth=2
	v_add_co_u32 v8, vcc_lo, v8, s33
	v_add_co_ci_u32_e64 v9, null, 0, v9, vcc_lo
	v_add_co_u32 v4, s6, v4, s34
	v_add_co_ci_u32_e64 v5, null, s35, v5, s6
	v_cmp_le_u64_e32 vcc_lo, s[16:17], v[8:9]
	s_mov_b32 s46, 0
	s_orn2_b32 s6, vcc_lo, exec_lo
	s_branch .LBB216_387
.LBB216_392:                            ;   in Loop: Header=BB216_6 Depth=1
	s_or_b32 exec_lo, exec_lo, s19
	v_lshrrev_b32_e32 v42, 16, v10
	s_andn2_b32 s2, s20, exec_lo
	s_and_b32 s6, s21, exec_lo
	s_or_b32 s20, s2, s6
.LBB216_393:                            ;   in Loop: Header=BB216_6 Depth=1
	s_or_b32 exec_lo, exec_lo, s18
	s_mov_b32 s67, 0
	s_mov_b32 s68, -1
.LBB216_394:                            ;   in Loop: Header=BB216_6 Depth=1
	s_orn2_b32 s6, s20, exec_lo
.LBB216_395:                            ;   in Loop: Header=BB216_6 Depth=1
	s_or_b32 exec_lo, exec_lo, s70
	s_mov_b32 s16, 0
	s_and_saveexec_b32 s20, s6
	s_cbranch_execz .LBB216_457
; %bb.396:                              ;   in Loop: Header=BB216_6 Depth=1
	v_mov_b32_e32 v4, 1
	v_mov_b32_e32 v5, 0
	;; [unrolled: 1-line block ×3, first 2 shown]
	s_xor_b32 s17, s69, -1
	s_and_saveexec_b32 s6, s17
	s_cbranch_execz .LBB216_405
; %bb.397:                              ;   in Loop: Header=BB216_6 Depth=1
	s_mov_b32 s16, exec_lo
	v_cmpx_ge_u64_e64 s[14:15], v[6:7]
	s_xor_b32 s16, exec_lo, s16
	s_cbranch_execz .LBB216_402
; %bb.398:                              ;   in Loop: Header=BB216_6 Depth=1
	ds_read_b64 v[4:5], v3 offset:5120
	s_lshl_b32 s17, 1, s91
	v_or_b32_e32 v41, s11, v41
	v_and_or_b32 v20, v20, s26, s17
	s_waitcnt lgkmcnt(0)
	v_cmp_ne_u64_e32 vcc_lo, 0, v[4:5]
	s_cbranch_vccnz .LBB216_402
; %bb.399:                              ;   in Loop: Header=BB216_6 Depth=1
	s_and_saveexec_b32 s17, s3
; %bb.400:                              ;   in Loop: Header=BB216_6 Depth=1
	v_mov_b32_e32 v4, s14
	v_mov_b32_e32 v5, s15
	ds_write_b64 v3, v[4:5] offset:5128
; %bb.401:                              ;   in Loop: Header=BB216_6 Depth=1
	s_or_b32 exec_lo, exec_lo, s17
	s_waitcnt lgkmcnt(0)
	s_barrier
	buffer_gl0_inv
.LBB216_402:                            ;   in Loop: Header=BB216_6 Depth=1
	s_or_saveexec_b32 s16, s16
	v_mov_b32_e32 v2, 5
	s_mov_b32 s17, 0
	s_xor_b32 exec_lo, exec_lo, s16
; %bb.403:                              ;   in Loop: Header=BB216_6 Depth=1
	v_sub_co_u32 v6, vcc_lo, v6, s14
	v_subrev_co_ci_u32_e64 v7, null, s15, v7, vcc_lo
	v_mov_b32_e32 v2, 0
	s_mov_b32 s17, exec_lo
; %bb.404:                              ;   in Loop: Header=BB216_6 Depth=1
	s_or_b32 exec_lo, exec_lo, s16
	v_mov_b32_e32 v4, v6
	v_mov_b32_e32 v5, v7
	s_and_b32 s16, s17, exec_lo
.LBB216_405:                            ;   in Loop: Header=BB216_6 Depth=1
	s_or_b32 exec_lo, exec_lo, s6
	s_mov_b32 s14, -1
                                        ; implicit-def: $sgpr46
                                        ; implicit-def: $sgpr6
	s_and_saveexec_b32 s21, s16
	s_cbranch_execz .LBB216_456
; %bb.406:                              ;   in Loop: Header=BB216_6 Depth=1
	v_cmp_eq_u64_e32 vcc_lo, 1, v[4:5]
	s_cmp_eq_u64 s[12:13], 1
	s_mov_b32 s15, -1
	s_cselect_b32 s6, -1, 0
                                        ; implicit-def: $sgpr46
	s_and_b32 s69, s6, vcc_lo
                                        ; implicit-def: $sgpr6
	s_and_saveexec_b32 s70, s69
	s_cbranch_execz .LBB216_444
; %bb.407:                              ;   in Loop: Header=BB216_6 Depth=1
	ds_read_b64 v[6:7], v3 offset:5120
	s_waitcnt lgkmcnt(0)
	s_barrier
	buffer_gl0_inv
	v_readfirstlane_b32 s14, v6
	v_readfirstlane_b32 s15, v7
	s_and_saveexec_b32 s6, s10
; %bb.408:                              ;   in Loop: Header=BB216_6 Depth=1
	ds_write_b16 v33, v3
; %bb.409:                              ;   in Loop: Header=BB216_6 Depth=1
	s_or_b32 exec_lo, exec_lo, s6
	v_and_b32_e32 v20, s26, v20
	v_or_b32_e32 v41, s11, v41
	s_mov_b32 s6, -1
	s_mov_b32 s46, 0
	s_cmp_eq_u64 s[14:15], 0
	s_mov_b32 s18, 0
	s_mov_b32 s19, -1
	s_waitcnt lgkmcnt(0)
	s_barrier
	buffer_gl0_inv
                                        ; implicit-def: $vgpr42
	s_cbranch_scc1 .LBB216_427
; %bb.410:                              ;   in Loop: Header=BB216_6 Depth=1
	s_add_u32 s47, s14, s82
	s_addc_u32 s17, s15, s83
	s_mov_b32 s16, s53
	s_cmp_lg_u64 s[16:17], 0
	s_cbranch_scc0 .LBB216_414
; %bb.411:                              ;   in Loop: Header=BB216_6 Depth=1
	v_cvt_f32_u32_e32 v6, s33
	s_sub_u32 s19, 0, s33
	s_subb_u32 s50, 0, 0
	v_fmac_f32_e64 v6, 0x4f800000, 0
	v_rcp_f32_e32 v6, v6
	v_mul_f32_e32 v6, 0x5f7ffffc, v6
	v_mul_f32_e32 v7, 0x2f800000, v6
	v_trunc_f32_e32 v7, v7
	v_fmac_f32_e32 v6, 0xcf800000, v7
	v_cvt_u32_f32_e32 v7, v7
	v_cvt_u32_f32_e32 v6, v6
	v_readfirstlane_b32 s16, v7
	v_readfirstlane_b32 s18, v6
	s_mul_i32 s51, s19, s16
	s_mul_hi_u32 s56, s19, s18
	s_mul_i32 s52, s50, s18
	s_add_i32 s51, s56, s51
	s_mul_i32 s71, s19, s18
	s_add_i32 s51, s51, s52
	s_mul_hi_u32 s56, s18, s71
	s_mul_i32 s73, s18, s51
	s_mul_hi_u32 s72, s16, s71
	s_mul_i32 s52, s16, s71
	s_mul_hi_u32 s71, s18, s51
	s_add_u32 s56, s56, s73
	s_addc_u32 s71, 0, s71
	s_mul_hi_u32 s74, s16, s51
	s_add_u32 s52, s56, s52
	s_mul_i32 s51, s16, s51
	s_addc_u32 s52, s71, s72
	s_addc_u32 s56, s74, 0
	s_add_u32 s51, s52, s51
	s_addc_u32 s52, 0, s56
	s_add_u32 s18, s18, s51
	s_cselect_b32 s51, -1, 0
	s_mul_hi_u32 s56, s19, s18
	s_cmp_lg_u32 s51, 0
	s_mul_i32 s51, s19, s18
	s_addc_u32 s16, s16, s52
	s_mul_i32 s50, s50, s18
	s_mul_i32 s19, s19, s16
	s_mul_hi_u32 s52, s18, s51
	s_add_i32 s19, s56, s19
	s_mul_hi_u32 s56, s16, s51
	s_add_i32 s19, s19, s50
	s_mul_i32 s50, s16, s51
	s_mul_i32 s72, s18, s19
	s_mul_hi_u32 s71, s18, s19
	s_add_u32 s52, s52, s72
	s_addc_u32 s71, 0, s71
	s_mul_hi_u32 s51, s16, s19
	s_add_u32 s50, s52, s50
	s_mul_i32 s19, s16, s19
	s_addc_u32 s50, s71, s56
	s_addc_u32 s51, s51, 0
	s_add_u32 s19, s50, s19
	s_addc_u32 s50, 0, s51
	s_add_u32 s18, s18, s19
	s_cselect_b32 s19, -1, 0
	s_mul_hi_u32 s51, s47, s18
	s_cmp_lg_u32 s19, 0
	s_mul_hi_u32 s19, s17, s18
	s_addc_u32 s16, s16, s50
	s_mul_i32 s18, s17, s18
	s_mul_i32 s52, s47, s16
	s_mul_hi_u32 s50, s47, s16
	s_add_u32 s51, s51, s52
	s_addc_u32 s50, 0, s50
	s_mul_hi_u32 s56, s17, s16
	s_add_u32 s18, s51, s18
	s_mul_i32 s16, s17, s16
	s_addc_u32 s18, s50, s19
	s_addc_u32 s19, s56, 0
	s_add_u32 s16, s18, s16
	s_addc_u32 s18, 0, s19
	s_mul_hi_u32 s19, s33, s16
	s_mul_i32 s18, s33, s18
	s_mul_i32 s16, s33, s16
	s_add_i32 s19, s19, s18
	s_sub_u32 s16, s47, s16
	s_cselect_b32 s18, -1, 0
	s_cmp_lg_u32 s18, 0
	s_subb_u32 s18, s17, s19
	s_sub_u32 s19, s16, s33
	s_cselect_b32 s50, -1, 0
	s_cmp_lg_u32 s50, 0
	s_subb_u32 s50, s18, 0
	s_sub_u32 s51, s19, s33
	s_cselect_b32 s52, -1, 0
	s_cmp_lg_u32 s52, 0
	s_subb_u32 s52, s50, 0
	s_cmp_ge_u32 s19, s33
	s_cselect_b32 s56, -1, 0
	s_cmp_eq_u32 s50, 0
	s_cselect_b32 s56, s56, -1
	s_cmp_lg_u32 s56, 0
	s_cselect_b32 s50, s52, s50
	s_cselect_b32 s51, s51, s19
	s_cmp_ge_u32 s16, s33
	s_cselect_b32 s19, -1, 0
	s_cmp_eq_u32 s18, 0
	s_cselect_b32 s19, s19, -1
	s_cmp_lg_u32 s19, 0
	s_cselect_b32 s19, s50, s18
	s_cselect_b32 s18, s51, s16
	s_mov_b32 s16, 0
	s_branch .LBB216_415
.LBB216_412:                            ;   in Loop: Header=BB216_6 Depth=1
                                        ; implicit-def: $sgpr20_sgpr21
	s_branch .LBB216_367
.LBB216_413:                            ;   in Loop: Header=BB216_6 Depth=1
                                        ; implicit-def: $sgpr16_sgpr17
	s_branch .LBB216_383
.LBB216_414:                            ;   in Loop: Header=BB216_6 Depth=1
	s_mov_b32 s16, -1
                                        ; implicit-def: $sgpr18_sgpr19
.LBB216_415:                            ;   in Loop: Header=BB216_6 Depth=1
	s_andn2_b32 vcc_lo, exec_lo, s16
	s_cbranch_vccnz .LBB216_417
; %bb.416:                              ;   in Loop: Header=BB216_6 Depth=1
	v_cvt_f32_u32_e32 v6, s33
	s_sub_i32 s18, 0, s33
	v_rcp_iflag_f32_e32 v6, v6
	v_mul_f32_e32 v6, 0x4f7ffffe, v6
	v_cvt_u32_f32_e32 v6, v6
	v_readfirstlane_b32 s16, v6
	s_mul_i32 s18, s18, s16
	s_mul_hi_u32 s18, s16, s18
	s_add_i32 s16, s16, s18
	s_mul_hi_u32 s16, s47, s16
	s_mul_i32 s16, s16, s33
	s_sub_i32 s16, s47, s16
	s_sub_i32 s18, s16, s33
	s_cmp_ge_u32 s16, s33
	s_cselect_b32 s16, s18, s16
	s_sub_i32 s18, s16, s33
	s_cmp_ge_u32 s16, s33
	s_cselect_b32 s52, s18, s16
	s_mov_b64 s[18:19], s[52:53]
.LBB216_417:                            ;   in Loop: Header=BB216_6 Depth=1
	s_sub_u32 s16, s47, s18
	s_subb_u32 s17, s17, s19
	s_mov_b32 s19, 0
	s_mov_b32 s18, 0
	s_mov_b32 s47, exec_lo
                                        ; implicit-def: $vgpr42
	v_cmpx_gt_u64_e64 s[16:17], v[0:1]
	s_cbranch_execz .LBB216_426
; %bb.418:                              ;   in Loop: Header=BB216_6 Depth=1
	v_mov_b32_e32 v7, v1
	v_mov_b32_e32 v8, v32
	;; [unrolled: 1-line block ×3, first 2 shown]
                                        ; implicit-def: $sgpr52
	s_branch .LBB216_421
.LBB216_419:                            ;   in Loop: Header=BB216_421 Depth=2
	s_or_b32 exec_lo, exec_lo, s50
	s_waitcnt lgkmcnt(0)
	s_barrier
	buffer_gl0_inv
	ds_read_b32 v9, v3 offset:3072
	s_mov_b32 s50, -1
	s_mov_b32 s51, -1
	s_waitcnt lgkmcnt(0)
	s_barrier
	buffer_gl0_inv
	v_and_b32_e32 v10, 0x7fff, v9
	v_cmp_ne_u32_e32 vcc_lo, 0, v10
	s_cbranch_vccz .LBB216_424
.LBB216_420:                            ;   in Loop: Header=BB216_421 Depth=2
	s_and_b32 s2, exec_lo, s50
	s_or_b32 s18, s2, s18
	s_andn2_b32 s2, s52, exec_lo
	s_and_b32 s7, s51, exec_lo
	s_or_b32 s52, s2, s7
	s_andn2_b32 exec_lo, exec_lo, s18
	s_cbranch_execz .LBB216_425
.LBB216_421:                            ;   Parent Loop BB216_6 Depth=1
                                        ; =>  This Inner Loop Header: Depth=2
	s_mov_b32 s50, exec_lo
	v_cmpx_gt_u64_e64 s[14:15], v[6:7]
	s_cbranch_execz .LBB216_419
; %bb.422:                              ;   in Loop: Header=BB216_421 Depth=2
	ds_read_u16 v9, v8
	s_waitcnt lgkmcnt(0)
	v_cmp_lt_i16_e32 vcc_lo, -1, v9
	v_lshlrev_b32_e32 v11, 16, v9
	v_cndmask_b32_e32 v10, 0xffff, v39, vcc_lo
	v_cmp_o_f32_e32 vcc_lo, v11, v11
	v_xor_b32_sdwa v10, v10, v9 dst_sel:DWORD dst_unused:UNUSED_PAD src0_sel:DWORD src1_sel:WORD_0
	v_cndmask_b32_e32 v10, 0xffff, v10, vcc_lo
	v_and_b32_e32 v10, v10, v41
	v_cmp_eq_u32_e32 vcc_lo, v10, v20
	s_and_b32 exec_lo, exec_lo, vcc_lo
	s_cbranch_execz .LBB216_419
; %bb.423:                              ;   in Loop: Header=BB216_421 Depth=2
	v_perm_b32 v9, v9, s93, 0x5040100
	ds_write_b32 v3, v9 offset:3072
	s_branch .LBB216_419
.LBB216_424:                            ;   in Loop: Header=BB216_421 Depth=2
	v_add_co_u32 v6, vcc_lo, v6, s33
	v_add_co_ci_u32_e64 v7, null, 0, v7, vcc_lo
	v_add_nc_u32_e32 v8, s90, v8
	s_mov_b32 s51, 0
	v_cmp_le_u64_e32 vcc_lo, s[16:17], v[6:7]
	s_orn2_b32 s50, vcc_lo, exec_lo
	s_branch .LBB216_420
.LBB216_425:                            ;   in Loop: Header=BB216_6 Depth=1
	s_or_b32 exec_lo, exec_lo, s18
	v_lshrrev_b32_e32 v42, 16, v9
	s_and_b32 s18, s52, exec_lo
.LBB216_426:                            ;   in Loop: Header=BB216_6 Depth=1
	s_or_b32 exec_lo, exec_lo, s47
.LBB216_427:                            ;   in Loop: Header=BB216_6 Depth=1
	s_and_b32 vcc_lo, exec_lo, s19
	s_cbranch_vccz .LBB216_443
; %bb.428:                              ;   in Loop: Header=BB216_6 Depth=1
	s_mov_b32 s56, s53
	s_cmp_lg_u64 s[56:57], 0
	s_cbranch_scc0 .LBB216_430
; %bb.429:                              ;   in Loop: Header=BB216_6 Depth=1
	v_cvt_f32_u32_e32 v6, s33
	s_sub_u32 s15, 0, s33
	s_subb_u32 s16, 0, 0
	v_fmac_f32_e64 v6, 0x4f800000, 0
	v_rcp_f32_e32 v6, v6
	v_mul_f32_e32 v6, 0x5f7ffffc, v6
	v_mul_f32_e32 v7, 0x2f800000, v6
	v_trunc_f32_e32 v7, v7
	v_fmac_f32_e32 v6, 0xcf800000, v7
	v_cvt_u32_f32_e32 v7, v7
	v_cvt_u32_f32_e32 v6, v6
	v_readfirstlane_b32 s6, v7
	v_readfirstlane_b32 s14, v6
	s_mul_i32 s17, s15, s6
	s_mul_hi_u32 s46, s15, s14
	s_mul_i32 s19, s16, s14
	s_add_i32 s17, s46, s17
	s_mul_i32 s47, s15, s14
	s_add_i32 s17, s17, s19
	s_mul_hi_u32 s46, s14, s47
	s_mul_i32 s51, s14, s17
	s_mul_hi_u32 s50, s6, s47
	s_mul_i32 s19, s6, s47
	s_mul_hi_u32 s47, s14, s17
	s_add_u32 s46, s46, s51
	s_addc_u32 s47, 0, s47
	s_mul_hi_u32 s52, s6, s17
	s_add_u32 s19, s46, s19
	s_mul_i32 s17, s6, s17
	s_addc_u32 s19, s47, s50
	s_addc_u32 s46, s52, 0
	s_add_u32 s17, s19, s17
	s_addc_u32 s19, 0, s46
	s_add_u32 s14, s14, s17
	s_cselect_b32 s17, -1, 0
	s_mul_hi_u32 s46, s15, s14
	s_cmp_lg_u32 s17, 0
	s_mul_i32 s17, s15, s14
	s_addc_u32 s6, s6, s19
	s_mul_i32 s16, s16, s14
	s_mul_i32 s15, s15, s6
	s_mul_hi_u32 s19, s14, s17
	s_add_i32 s15, s46, s15
	s_mul_hi_u32 s46, s6, s17
	s_add_i32 s15, s15, s16
	s_mul_i32 s16, s6, s17
	s_mul_i32 s50, s14, s15
	s_mul_hi_u32 s47, s14, s15
	s_add_u32 s19, s19, s50
	s_addc_u32 s47, 0, s47
	s_mul_hi_u32 s17, s6, s15
	s_add_u32 s16, s19, s16
	s_mul_i32 s15, s6, s15
	s_addc_u32 s16, s47, s46
	s_addc_u32 s17, s17, 0
	s_add_u32 s15, s16, s15
	s_addc_u32 s16, 0, s17
	s_add_u32 s14, s14, s15
	s_cselect_b32 s15, -1, 0
	s_mul_hi_u32 s17, s84, s14
	s_cmp_lg_u32 s15, 0
	s_mul_hi_u32 s15, s57, s14
	s_addc_u32 s6, s6, s16
	s_mul_i32 s14, s57, s14
	s_mul_i32 s19, s84, s6
	s_mul_hi_u32 s16, s84, s6
	s_add_u32 s17, s17, s19
	s_addc_u32 s16, 0, s16
	s_mul_hi_u32 s46, s57, s6
	s_add_u32 s14, s17, s14
	s_mul_i32 s6, s57, s6
	s_addc_u32 s14, s16, s15
	s_addc_u32 s15, s46, 0
	s_add_u32 s6, s14, s6
	s_addc_u32 s14, 0, s15
	s_mul_hi_u32 s15, s33, s6
	s_mul_i32 s14, s33, s14
	s_mul_i32 s6, s33, s6
	s_add_i32 s15, s15, s14
	s_sub_u32 s6, s84, s6
	s_cselect_b32 s14, -1, 0
	s_cmp_lg_u32 s14, 0
	s_subb_u32 s14, s57, s15
	s_sub_u32 s15, s6, s33
	s_cselect_b32 s16, -1, 0
	s_cmp_lg_u32 s16, 0
	s_subb_u32 s16, s14, 0
	;; [unrolled: 4-line block ×3, first 2 shown]
	s_cmp_ge_u32 s15, s33
	s_cselect_b32 s46, -1, 0
	s_cmp_eq_u32 s16, 0
	s_cselect_b32 s46, s46, -1
	s_cmp_lg_u32 s46, 0
	s_cselect_b32 s16, s19, s16
	s_cselect_b32 s17, s17, s15
	s_cmp_ge_u32 s6, s33
	s_cselect_b32 s15, -1, 0
	s_cmp_eq_u32 s14, 0
	s_cselect_b32 s15, s15, -1
	s_cmp_lg_u32 s15, 0
	s_cselect_b32 s15, s16, s14
	s_cselect_b32 s14, s17, s6
	s_mov_b32 s6, 0
	s_branch .LBB216_431
.LBB216_430:                            ;   in Loop: Header=BB216_6 Depth=1
	s_mov_b32 s6, -1
                                        ; implicit-def: $sgpr14_sgpr15
.LBB216_431:                            ;   in Loop: Header=BB216_6 Depth=1
	s_andn2_b32 vcc_lo, exec_lo, s6
	s_cbranch_vccnz .LBB216_433
; %bb.432:                              ;   in Loop: Header=BB216_6 Depth=1
	v_cvt_f32_u32_e32 v6, s33
	s_sub_i32 s14, 0, s33
	v_rcp_iflag_f32_e32 v6, v6
	v_mul_f32_e32 v6, 0x4f7ffffe, v6
	v_cvt_u32_f32_e32 v6, v6
	v_readfirstlane_b32 s6, v6
	s_mul_i32 s14, s14, s6
	s_mul_hi_u32 s14, s6, s14
	s_add_i32 s6, s6, s14
	s_mul_hi_u32 s6, s84, s6
	s_mul_i32 s6, s6, s33
	s_sub_i32 s6, s84, s6
	s_sub_i32 s14, s6, s33
	s_cmp_ge_u32 s6, s33
	s_cselect_b32 s6, s14, s6
	s_sub_i32 s14, s6, s33
	s_cmp_ge_u32 s6, s33
	s_cselect_b32 s52, s14, s6
	s_mov_b64 s[14:15], s[52:53]
.LBB216_433:                            ;   in Loop: Header=BB216_6 Depth=1
	s_sub_u32 s14, s84, s14
	s_subb_u32 s15, s57, s15
	s_mov_b32 s16, exec_lo
                                        ; implicit-def: $vgpr42
	v_cmpx_gt_u64_e64 s[14:15], v[0:1]
	s_cbranch_execz .LBB216_442
; %bb.434:                              ;   in Loop: Header=BB216_6 Depth=1
	v_mov_b32_e32 v6, v12
	v_mov_b32_e32 v9, v1
	;; [unrolled: 1-line block ×4, first 2 shown]
	s_mov_b32 s17, 0
                                        ; implicit-def: $sgpr19
	s_branch .LBB216_437
.LBB216_435:                            ;   in Loop: Header=BB216_437 Depth=2
	s_or_b32 exec_lo, exec_lo, s6
	s_waitcnt lgkmcnt(0)
	s_barrier
	buffer_gl0_inv
	ds_read_b32 v10, v3 offset:3072
	s_mov_b32 s6, -1
	s_mov_b32 s46, -1
	s_waitcnt lgkmcnt(0)
	s_barrier
	buffer_gl0_inv
	v_and_b32_e32 v11, 0x7fff, v10
	v_cmp_eq_u32_e32 vcc_lo, 0, v11
	s_cbranch_vccnz .LBB216_440
.LBB216_436:                            ;   in Loop: Header=BB216_437 Depth=2
	s_and_b32 s2, exec_lo, s6
	s_or_b32 s17, s2, s17
	s_andn2_b32 s2, s19, exec_lo
	s_and_b32 s6, s46, exec_lo
	s_or_b32 s19, s2, s6
	s_andn2_b32 exec_lo, exec_lo, s17
	s_cbranch_execz .LBB216_441
.LBB216_437:                            ;   Parent Loop BB216_6 Depth=1
                                        ; =>  This Inner Loop Header: Depth=2
	s_mov_b32 s6, exec_lo
	v_cmpx_gt_u64_e64 s[28:29], v[8:9]
	s_cbranch_execz .LBB216_435
; %bb.438:                              ;   in Loop: Header=BB216_437 Depth=2
	global_load_ushort v10, v[6:7], off
	s_waitcnt vmcnt(0)
	v_cmp_lt_i16_e32 vcc_lo, -1, v10
	v_lshlrev_b32_e32 v26, 16, v10
	v_cndmask_b32_e32 v11, 0xffff, v39, vcc_lo
	v_cmp_o_f32_e32 vcc_lo, v26, v26
	v_xor_b32_sdwa v11, v11, v10 dst_sel:DWORD dst_unused:UNUSED_PAD src0_sel:DWORD src1_sel:WORD_0
	v_cndmask_b32_e32 v11, 0xffff, v11, vcc_lo
	v_and_b32_e32 v11, v11, v41
	v_cmp_eq_u32_e32 vcc_lo, v11, v20
	s_and_b32 exec_lo, exec_lo, vcc_lo
	s_cbranch_execz .LBB216_435
; %bb.439:                              ;   in Loop: Header=BB216_437 Depth=2
	v_perm_b32 v10, v10, s93, 0x5040100
	ds_write_b32 v3, v10 offset:3072
	s_branch .LBB216_435
.LBB216_440:                            ;   in Loop: Header=BB216_437 Depth=2
	v_add_co_u32 v8, vcc_lo, v8, s33
	v_add_co_ci_u32_e64 v9, null, 0, v9, vcc_lo
	v_add_co_u32 v6, s6, v6, s34
	v_add_co_ci_u32_e64 v7, null, s35, v7, s6
	v_cmp_le_u64_e32 vcc_lo, s[14:15], v[8:9]
	s_mov_b32 s46, 0
	s_orn2_b32 s6, vcc_lo, exec_lo
	s_branch .LBB216_436
.LBB216_441:                            ;   in Loop: Header=BB216_6 Depth=1
	s_or_b32 exec_lo, exec_lo, s17
	v_lshrrev_b32_e32 v42, 16, v10
	s_andn2_b32 s2, s18, exec_lo
	s_and_b32 s6, s19, exec_lo
	s_or_b32 s18, s2, s6
.LBB216_442:                            ;   in Loop: Header=BB216_6 Depth=1
	s_or_b32 exec_lo, exec_lo, s16
	s_mov_b32 s6, 0
	s_mov_b32 s46, -1
.LBB216_443:                            ;   in Loop: Header=BB216_6 Depth=1
	s_orn2_b32 s15, s18, exec_lo
.LBB216_444:                            ;   in Loop: Header=BB216_6 Depth=1
	s_or_b32 exec_lo, exec_lo, s70
	s_mov_b32 s16, 0
	s_and_saveexec_b32 s14, s15
	s_cbranch_execz .LBB216_455
; %bb.445:                              ;   in Loop: Header=BB216_6 Depth=1
	v_mov_b32_e32 v6, 1
	v_mov_b32_e32 v7, 0
	;; [unrolled: 1-line block ×3, first 2 shown]
	s_xor_b32 s16, s69, -1
	s_and_saveexec_b32 s15, s16
	s_cbranch_execz .LBB216_454
; %bb.446:                              ;   in Loop: Header=BB216_6 Depth=1
	s_mov_b32 s16, exec_lo
	v_cmpx_ge_u64_e64 s[12:13], v[4:5]
	s_xor_b32 s16, exec_lo, s16
	s_cbranch_execz .LBB216_451
; %bb.447:                              ;   in Loop: Header=BB216_6 Depth=1
	ds_read_b64 v[6:7], v3 offset:5120
	v_and_b32_e32 v20, s26, v20
	v_or_b32_e32 v41, s11, v41
	s_waitcnt lgkmcnt(0)
	v_cmp_ne_u64_e32 vcc_lo, 0, v[6:7]
	s_cbranch_vccnz .LBB216_451
; %bb.448:                              ;   in Loop: Header=BB216_6 Depth=1
	s_and_saveexec_b32 s11, s3
; %bb.449:                              ;   in Loop: Header=BB216_6 Depth=1
	v_mov_b32_e32 v6, s12
	v_mov_b32_e32 v7, s13
	ds_write_b64 v3, v[6:7] offset:5128
; %bb.450:                              ;   in Loop: Header=BB216_6 Depth=1
	s_or_b32 exec_lo, exec_lo, s11
	s_waitcnt lgkmcnt(0)
	s_barrier
	buffer_gl0_inv
.LBB216_451:                            ;   in Loop: Header=BB216_6 Depth=1
	s_andn2_saveexec_b32 s11, s16
; %bb.452:                              ;   in Loop: Header=BB216_6 Depth=1
	v_sub_co_u32 v4, vcc_lo, v4, s12
	v_subrev_co_ci_u32_e64 v5, null, s13, v5, vcc_lo
; %bb.453:                              ;   in Loop: Header=BB216_6 Depth=1
	s_or_b32 exec_lo, exec_lo, s11
	v_mov_b32_e32 v7, v5
	v_mov_b32_e32 v2, 5
	;; [unrolled: 1-line block ×3, first 2 shown]
.LBB216_454:                            ;   in Loop: Header=BB216_6 Depth=1
	s_or_b32 exec_lo, exec_lo, s15
	v_mov_b32_e32 v4, v6
	v_mov_b32_e32 v5, v7
	s_mov_b32 s16, exec_lo
.LBB216_455:                            ;   in Loop: Header=BB216_6 Depth=1
	s_or_b32 exec_lo, exec_lo, s14
	s_orn2_b32 s14, s16, exec_lo
.LBB216_456:                            ;   in Loop: Header=BB216_6 Depth=1
	s_or_b32 exec_lo, exec_lo, s21
	v_mov_b32_e32 v7, v5
	v_mov_b32_e32 v6, v4
	s_andn2_b32 s11, s68, exec_lo
	s_and_b32 s12, s46, exec_lo
	s_andn2_b32 s13, s67, exec_lo
	s_and_b32 s6, s6, exec_lo
	s_or_b32 s68, s11, s12
	s_or_b32 s67, s13, s6
	s_and_b32 s16, s14, exec_lo
.LBB216_457:                            ;   in Loop: Header=BB216_6 Depth=1
	s_or_b32 exec_lo, exec_lo, s20
	s_orn2_b32 s6, s16, exec_lo
.LBB216_458:                            ;   in Loop: Header=BB216_6 Depth=1
	s_or_b32 exec_lo, exec_lo, s23
	v_mov_b32_e32 v4, v6
	v_mov_b32_e32 v5, v7
	s_andn2_b32 s11, s66, exec_lo
	s_and_b32 s12, s68, exec_lo
	s_andn2_b32 s13, s65, exec_lo
	s_and_b32 s14, s67, exec_lo
	s_or_b32 s66, s11, s12
	s_or_b32 s65, s13, s14
	s_and_b32 s18, s6, exec_lo
.LBB216_459:                            ;   in Loop: Header=BB216_6 Depth=1
	s_or_b32 exec_lo, exec_lo, s22
	s_orn2_b32 s6, s18, exec_lo
.LBB216_460:                            ;   in Loop: Header=BB216_6 Depth=1
	s_or_b32 exec_lo, exec_lo, s25
	s_mov_b32 s11, s64
	s_mov_b32 s12, s49
	s_and_saveexec_b32 s13, s6
; %bb.461:                              ;   in Loop: Header=BB216_6 Depth=1
	v_cmp_ne_u32_e32 vcc_lo, 5, v2
	v_cmp_eq_u32_e64 s6, 5, v2
	s_andn2_b32 s11, s49, exec_lo
	s_andn2_b32 s14, s64, exec_lo
	s_and_b32 s12, vcc_lo, exec_lo
	s_and_b32 s6, s6, exec_lo
	s_or_b32 s12, s11, s12
	s_or_b32 s11, s14, s6
; %bb.462:                              ;   in Loop: Header=BB216_6 Depth=1
	s_or_b32 exec_lo, exec_lo, s13
	s_andn2_b32 s2, s9, exec_lo
	s_and_b32 s6, s66, exec_lo
	s_andn2_b32 s7, s27, exec_lo
	s_and_b32 s8, s65, exec_lo
	s_or_b32 s9, s2, s6
	s_or_b32 s27, s7, s8
	s_andn2_b32 s2, s49, exec_lo
	s_and_b32 s6, s12, exec_lo
	s_andn2_b32 s7, s64, exec_lo
	s_and_b32 s8, s11, exec_lo
	s_or_b32 s49, s2, s6
	s_or_b32 s64, s7, s8
.LBB216_463:                            ;   in Loop: Header=BB216_6 Depth=1
	s_or_b32 exec_lo, exec_lo, s24
	s_mov_b32 s65, 0
	s_mov_b32 s66, 0
	s_and_saveexec_b32 s6, s64
.LBB216_464:                            ;   in Loop: Header=BB216_6 Depth=1
	v_mov_b32_e32 v2, 0
	s_or_b32 s49, s49, exec_lo
.LBB216_465:                            ;   in Loop: Header=BB216_6 Depth=1
	s_or_b32 exec_lo, exec_lo, s6
	s_andn2_b32 s2, s44, exec_lo
	s_and_b32 s6, s9, exec_lo
	s_andn2_b32 s7, s104, exec_lo
	s_and_b32 s8, s27, exec_lo
	v_mov_b32_e32 v27, v5
	v_mov_b32_e32 v26, v4
	s_or_b32 s44, s2, s6
	s_or_b32 s104, s7, s8
	s_andn2_b32 s2, s48, exec_lo
	s_and_b32 s6, s66, exec_lo
	s_andn2_b32 s7, s45, exec_lo
	s_and_b32 s8, s65, exec_lo
	s_mov_b32 s11, -1
	s_andn2_b32 vcc_hi, vcc_hi, exec_lo
	s_or_b32 s48, s2, s6
	s_or_b32 s45, s7, s8
	s_and_saveexec_b32 s2, s49
	s_xor_b32 s6, exec_lo, s2
	s_cbranch_execz .LBB216_5
; %bb.466:                              ;   in Loop: Header=BB216_6 Depth=1
	s_mov_b32 s9, -1
	s_mov_b32 s12, exec_lo
	v_cmpx_eq_u32_e32 0, v2
	s_cbranch_execz .LBB216_4
; %bb.467:                              ;   in Loop: Header=BB216_6 Depth=1
	s_xor_b32 s95, s95, 1
	s_add_i32 s13, s91, -2
	s_cmp_eq_u32 s91, 0
	s_mov_b32 s91, s13
	s_cselect_b32 s9, -1, 0
	s_xor_b32 s11, exec_lo, -1
	s_orn2_b32 s9, s9, exec_lo
	s_branch .LBB216_4
.LBB216_468:
	s_or_b32 exec_lo, exec_lo, s92
	s_xor_b32 s7, s99, -1
	s_xor_b32 s9, s97, -1
	;; [unrolled: 1-line block ×5, first 2 shown]
	s_mov_b32 s8, 0
	s_and_saveexec_b32 s11, s2
	s_xor_b32 s12, exec_lo, s11
	s_cbranch_execnz .LBB216_473
; %bb.469:
	s_andn2_saveexec_b32 s0, s12
	s_cbranch_execnz .LBB216_492
.LBB216_470:
	s_or_b32 exec_lo, exec_lo, s0
	s_and_saveexec_b32 s0, s8
.LBB216_471:
	; divergent unreachable
.LBB216_472:
	s_endpgm
.LBB216_473:
	s_and_saveexec_b32 s2, s10
	s_xor_b32 s13, exec_lo, s2
	s_cbranch_execz .LBB216_490
; %bb.474:
	s_and_saveexec_b32 s2, s9
	s_xor_b32 s14, exec_lo, s2
	s_cbranch_execz .LBB216_488
; %bb.475:
	;; [unrolled: 4-line block ×3, first 2 shown]
	s_and_saveexec_b32 s2, s6
	s_xor_b32 s6, exec_lo, s2
; %bb.477:
	v_and_b32_e32 v2, 0x8000, v20
	v_mov_b32_e32 v3, 0xffff
	v_cmp_eq_u32_e32 vcc_lo, 0, v2
	v_cndmask_b32_e32 v2, 0x8000, v3, vcc_lo
	v_xor_b32_e32 v42, v2, v20
; %bb.478:
	s_or_b32 exec_lo, exec_lo, s6
	s_and_saveexec_b32 s6, s3
	v_readlane_b32 s43, v51, 6
; %bb.479:
	v_mov_b32_e32 v2, 0
	v_mov_b32_e32 v3, v2
	ds_write_b64 v2, v[2:3] offset:5136
; %bb.480:
	s_or_b32 exec_lo, exec_lo, s6
	v_mov_b32_e32 v18, 0
	s_waitcnt lgkmcnt(0)
	s_barrier
	buffer_gl0_inv
	s_and_saveexec_b32 s3, s1
	s_cbranch_execz .LBB216_482
; %bb.481:
	global_load_ushort v18, v[12:13], off
.LBB216_482:
	s_or_b32 exec_lo, exec_lo, s3
	s_load_dwordx2 s[22:23], s[4:5], 0x298
	v_readlane_b32 s18, v51, 0
	v_mov_b32_e32 v17, 0x8000
	v_cmp_lt_i16_e32 vcc_lo, -1, v42
	v_readlane_b32 s19, v51, 1
	s_clause 0x1
	s_load_dwordx2 s[6:7], s[4:5], 0x368
	s_load_dwordx2 s[8:9], s[4:5], 0x510
	s_add_u32 s2, s28, 31
	v_lshlrev_b32_e32 v2, 16, v42
	v_cndmask_b32_e32 v3, 0xffff, v17, vcc_lo
	s_addc_u32 s11, s29, 0
	s_and_b32 s10, s2, 0xffffffe0
	s_mul_i32 s2, s19, s42
	v_cmp_o_f32_e32 vcc_lo, v2, v2
	v_xor_b32_sdwa v3, v3, v42 dst_sel:DWORD dst_unused:UNUSED_PAD src0_sel:DWORD src1_sel:WORD_0
	s_mov_b32 s21, -1
	v_cndmask_b32_e32 v16, 0xffff, v3, vcc_lo
	v_cmp_gt_u64_e32 vcc_lo, s[10:11], v[0:1]
	s_waitcnt lgkmcnt(0)
	s_mul_i32 s3, s23, s42
	s_mul_hi_u32 s16, s22, s42
	s_mul_i32 s4, s22, s42
	s_add_i32 s5, s16, s3
	s_mul_hi_u32 s3, s18, s42
	s_lshl_b64 s[16:17], s[4:5], 1
	s_add_i32 s19, s3, s2
	v_readlane_b32 s2, v51, 4
	v_readlane_b32 s3, v51, 5
	s_mul_i32 s18, s18, s42
	s_add_u32 s5, s2, s16
	s_addc_u32 s16, s3, s17
	v_readlane_b32 s2, v51, 2
	v_readlane_b32 s3, v51, 3
	s_lshl_b64 s[18:19], s[18:19], 3
	s_add_u32 s17, s2, s18
	s_addc_u32 s18, s3, s19
	s_mov_b32 s19, 0
	s_mov_b32 s3, 0
	s_and_saveexec_b32 s20, vcc_lo
	s_cbranch_execnz .LBB216_493
; %bb.483:
	s_or_b32 exec_lo, exec_lo, s20
	s_and_saveexec_b32 s2, s21
	s_cbranch_execnz .LBB216_510
.LBB216_484:
	s_or_b32 exec_lo, exec_lo, s2
	s_and_saveexec_b32 s0, s3
	s_xor_b32 s0, exec_lo, s0
	s_cbranch_execnz .LBB216_535
.LBB216_485:
	s_or_b32 exec_lo, exec_lo, s0
	s_and_b32 s8, s19, exec_lo
.LBB216_486:
	s_andn2_saveexec_b32 s0, s15
	s_cbranch_execnz .LBB216_537
.LBB216_487:
	s_or_b32 exec_lo, exec_lo, s0
	s_and_b32 s8, s8, exec_lo
.LBB216_488:
	s_andn2_saveexec_b32 s0, s14
	s_cbranch_execnz .LBB216_536
.LBB216_489:
	s_or_b32 exec_lo, exec_lo, s0
	s_and_b32 s8, s8, exec_lo
.LBB216_490:
	s_andn2_saveexec_b32 s0, s13
	s_cbranch_execnz .LBB216_531
.LBB216_491:
	s_or_b32 exec_lo, exec_lo, s0
	s_and_b32 s8, s8, exec_lo
	s_andn2_saveexec_b32 s0, s12
	s_cbranch_execz .LBB216_470
.LBB216_492:
	s_or_b32 s8, s8, exec_lo
	s_trap 2
	s_or_b32 exec_lo, exec_lo, s0
	s_and_saveexec_b32 s0, s8
	s_cbranch_execnz .LBB216_471
	s_branch .LBB216_472
.LBB216_493:
	v_add_co_u32 v2, s2, v0, s33
	v_add_co_ci_u32_e64 v3, null, 0, 0, s2
	s_add_u32 s2, s36, s40
	v_mul_lo_u32 v4, s39, v2
	s_addc_u32 s4, s37, s41
	v_mul_lo_u32 v5, s38, v3
	v_mad_u64_u32 v[2:3], null, s38, v2, 0
	v_mov_b32_e32 v11, v1
	v_mov_b32_e32 v10, v0
	s_mov_b32 s21, 0
                                        ; implicit-def: $sgpr22
                                        ; implicit-def: $vgpr8_vgpr9
	v_add3_u32 v3, v3, v5, v4
	v_lshlrev_b64 v[4:5], 1, v[2:3]
	v_mov_b32_e32 v3, 0
	v_add_co_u32 v4, s3, s2, v4
	v_add_co_ci_u32_e64 v5, null, s4, v5, s3
	s_branch .LBB216_495
.LBB216_494:                            ;   in Loop: Header=BB216_495 Depth=1
	s_or_b32 exec_lo, exec_lo, s23
	s_xor_b32 s2, s24, -1
	s_and_b32 s3, exec_lo, s4
	v_mov_b32_e32 v11, v7
	v_mov_b32_e32 v10, v6
	s_or_b32 s21, s3, s21
	s_waitcnt vmcnt(0)
	v_mov_b32_e32 v18, v19
	s_andn2_b32 s3, s22, exec_lo
	s_and_b32 s2, s2, exec_lo
	s_or_b32 s22, s3, s2
	s_andn2_b32 exec_lo, exec_lo, s21
	s_cbranch_execz .LBB216_509
.LBB216_495:                            ; =>This Inner Loop Header: Depth=1
	v_add_co_u32 v6, s3, v10, s33
	v_add_co_ci_u32_e64 v7, null, 0, v11, s3
	v_mov_b32_e32 v19, 0
	s_mov_b32 s4, exec_lo
	v_cmpx_gt_u64_e64 s[28:29], v[6:7]
	s_cbranch_execz .LBB216_497
; %bb.496:                              ;   in Loop: Header=BB216_495 Depth=1
	global_load_ushort v19, v[4:5], off
.LBB216_497:                            ;   in Loop: Header=BB216_495 Depth=1
	s_or_b32 exec_lo, exec_lo, s4
	s_mov_b32 s23, 0
	s_mov_b32 s4, exec_lo
	v_cmpx_gt_u64_e64 s[28:29], v[10:11]
	s_cbranch_execz .LBB216_499
; %bb.498:                              ;   in Loop: Header=BB216_495 Depth=1
	s_waitcnt vmcnt(0)
	v_cmp_lt_i16_e64 s3, -1, v18
	v_lshlrev_b32_e32 v14, 16, v18
	v_cndmask_b32_e64 v2, 0xffff, v17, s3
	v_cmp_o_f32_e64 s3, v14, v14
	v_xor_b32_sdwa v2, v2, v18 dst_sel:DWORD dst_unused:UNUSED_PAD src0_sel:DWORD src1_sel:WORD_0
	v_cndmask_b32_e64 v2, 0xffff, v2, s3
	v_cmp_gt_u32_e64 s3, v2, v16
	v_cndmask_b32_e64 v14, 0, 1, s3
	v_cmp_lt_u32_e64 s3, v2, v16
	v_cndmask_b32_e64 v2, 0, 1, s3
	v_cndmask_b32_e64 v2, v2, v14, s43
	v_and_b32_e32 v2, 1, v2
	v_cmp_eq_u32_e64 s3, 1, v2
	s_and_b32 s23, s3, exec_lo
.LBB216_499:                            ;   in Loop: Header=BB216_495 Depth=1
	s_or_b32 exec_lo, exec_lo, s4
	v_cndmask_b32_e64 v2, 0, 1, s23
	v_cmp_ne_u32_e64 s3, 0, v2
	s_cmp_lg_u32 s3, 0
	s_cselect_b32 s2, -1, 0
	s_and_b32 s2, s0, s2
	s_and_saveexec_b32 s24, s2
	s_cbranch_execz .LBB216_503
; %bb.500:                              ;   in Loop: Header=BB216_495 Depth=1
	s_mov_b32 s27, exec_lo
	s_bcnt1_i32_b32 s25, s3
	v_mbcnt_lo_u32_b32 v14, s27, 0
	s_mov_b32 s26, exec_lo
                                        ; implicit-def: $vgpr8_vgpr9
	v_cmpx_eq_u32_e32 0, v14
	s_cbranch_execz .LBB216_502
; %bb.501:                              ;   in Loop: Header=BB216_495 Depth=1
	s_bcnt1_i32_b32 s2, s27
	s_mul_i32 s2, s25, s2
	v_mov_b32_e32 v2, s2
	s_waitcnt lgkmcnt(0)
	ds_add_rtn_u64 v[8:9], v3, v[2:3] offset:5136
.LBB216_502:                            ;   in Loop: Header=BB216_495 Depth=1
	s_or_b32 exec_lo, exec_lo, s26
	s_waitcnt lgkmcnt(0)
	v_readfirstlane_b32 s27, v9
	v_readfirstlane_b32 s26, v8
	v_mad_u64_u32 v[8:9], null, s25, v14, s[26:27]
.LBB216_503:                            ;   in Loop: Header=BB216_495 Depth=1
	s_or_b32 exec_lo, exec_lo, s24
	s_waitcnt lgkmcnt(1)
	ds_bpermute_b32 v8, v3, v8
	s_waitcnt lgkmcnt(1)
	ds_bpermute_b32 v9, v3, v9
	s_mov_b32 s4, -1
	s_mov_b32 s25, -1
	s_and_saveexec_b32 s24, s23
	s_cbranch_execz .LBB216_507
; %bb.504:                              ;   in Loop: Header=BB216_495 Depth=1
	v_and_b32_e32 v2, s3, v30
	s_mov_b32 s23, 0
	s_mov_b32 s25, exec_lo
	v_bcnt_u32_b32 v2, v2, 0
	s_waitcnt lgkmcnt(1)
	v_add_co_u32 v14, s3, v8, v2
	s_waitcnt lgkmcnt(0)
	v_add_co_ci_u32_e64 v15, null, 0, v9, s3
	v_cmpx_gt_u64_e64 s[30:31], v[14:15]
	s_cbranch_execz .LBB216_506
; %bb.505:                              ;   in Loop: Header=BB216_495 Depth=1
	v_mul_lo_u32 v2, v15, s6
	v_mul_lo_u32 v22, v14, s7
	v_mad_u64_u32 v[20:21], null, v14, s6, 0
	v_mul_lo_u32 v23, v15, s8
	v_mul_lo_u32 v24, v14, s9
	v_mad_u64_u32 v[14:15], null, v14, s8, 0
	s_mov_b32 s23, exec_lo
	v_add3_u32 v21, v21, v22, v2
	v_add3_u32 v15, v15, v24, v23
	v_lshlrev_b64 v[20:21], 1, v[20:21]
	v_lshlrev_b64 v[14:15], 3, v[14:15]
	v_add_co_u32 v20, s3, s5, v20
	v_add_co_ci_u32_e64 v21, null, s16, v21, s3
	v_add_co_u32 v14, s3, s17, v14
	v_add_co_ci_u32_e64 v15, null, s18, v15, s3
	s_waitcnt vmcnt(0)
	global_store_short v[20:21], v18, off
	global_store_dwordx2 v[14:15], v[10:11], off
.LBB216_506:                            ;   in Loop: Header=BB216_495 Depth=1
	s_or_b32 exec_lo, exec_lo, s25
	s_orn2_b32 s25, s23, exec_lo
.LBB216_507:                            ;   in Loop: Header=BB216_495 Depth=1
	s_or_b32 exec_lo, exec_lo, s24
	s_mov_b32 s24, -1
	s_and_saveexec_b32 s23, s25
	s_cbranch_execz .LBB216_494
; %bb.508:                              ;   in Loop: Header=BB216_495 Depth=1
	v_cmp_le_u64_e64 s3, s[10:11], v[6:7]
	v_add_co_u32 v4, s4, v4, s34
	v_add_co_ci_u32_e64 v5, null, s35, v5, s4
	s_xor_b32 s24, exec_lo, -1
	s_orn2_b32 s4, s3, exec_lo
	s_branch .LBB216_494
.LBB216_509:
	s_or_b32 exec_lo, exec_lo, s21
	s_mov_b32 s3, exec_lo
	s_orn2_b32 s21, s22, exec_lo
	s_or_b32 exec_lo, exec_lo, s20
	s_and_saveexec_b32 s2, s21
	s_cbranch_execz .LBB216_484
.LBB216_510:
	v_mov_b32_e32 v14, 0
	s_waitcnt vmcnt(0) lgkmcnt(0)
	s_waitcnt_vscnt null, 0x0
	s_barrier
	buffer_gl0_inv
	s_and_saveexec_b32 s4, s1
	s_cbranch_execz .LBB216_512
; %bb.511:
	global_load_ushort v14, v[12:13], off
.LBB216_512:
	s_or_b32 exec_lo, exec_lo, s4
	s_mov_b32 s1, 0
	s_and_saveexec_b32 s4, vcc_lo
	s_cbranch_execz .LBB216_534
; %bb.513:
	v_add_co_u32 v2, s1, v0, s33
	v_add_co_ci_u32_e64 v3, null, 0, 0, s1
	s_add_u32 s1, s36, s40
	v_mul_lo_u32 v4, s39, v2
	s_addc_u32 s19, s37, s41
	v_mul_lo_u32 v5, s38, v3
	v_mad_u64_u32 v[2:3], null, s38, v2, 0
	v_mov_b32_e32 v12, 0x8000
                                        ; implicit-def: $sgpr20
                                        ; implicit-def: $vgpr8_vgpr9
	v_add3_u32 v3, v3, v5, v4
	v_lshlrev_b64 v[4:5], 1, v[2:3]
	v_mov_b32_e32 v3, 0
	v_add_co_u32 v4, vcc_lo, s1, v4
	v_add_co_ci_u32_e64 v5, null, s19, v5, vcc_lo
	s_mov_b32 s19, 0
	s_branch .LBB216_516
.LBB216_514:                            ;   in Loop: Header=BB216_516 Depth=1
	s_or_b32 exec_lo, exec_lo, s22
	s_orn2_b32 s24, s23, exec_lo
	s_orn2_b32 s23, s1, exec_lo
.LBB216_515:                            ;   in Loop: Header=BB216_516 Depth=1
	s_or_b32 exec_lo, exec_lo, s21
	s_xor_b32 s1, s24, -1
	s_and_b32 s21, exec_lo, s23
	v_mov_b32_e32 v0, v6
	v_mov_b32_e32 v1, v7
	s_or_b32 s19, s21, s19
	s_waitcnt vmcnt(0)
	v_mov_b32_e32 v14, v13
	s_andn2_b32 s20, s20, exec_lo
	s_and_b32 s1, s1, exec_lo
	s_or_b32 s20, s20, s1
	s_andn2_b32 exec_lo, exec_lo, s19
	s_cbranch_execz .LBB216_532
.LBB216_516:                            ; =>This Inner Loop Header: Depth=1
	v_add_co_u32 v6, vcc_lo, v0, s33
	v_add_co_ci_u32_e64 v7, null, 0, v1, vcc_lo
	v_mov_b32_e32 v13, 0
	s_mov_b32 s1, exec_lo
	v_cmpx_gt_u64_e64 s[28:29], v[6:7]
	s_cbranch_execz .LBB216_518
; %bb.517:                              ;   in Loop: Header=BB216_516 Depth=1
	global_load_ushort v13, v[4:5], off
.LBB216_518:                            ;   in Loop: Header=BB216_516 Depth=1
	s_or_b32 exec_lo, exec_lo, s1
	s_mov_b32 s22, 0
	s_mov_b32 s1, exec_lo
	v_cmpx_gt_u64_e64 s[28:29], v[0:1]
	s_cbranch_execz .LBB216_520
; %bb.519:                              ;   in Loop: Header=BB216_516 Depth=1
	s_waitcnt vmcnt(0)
	v_cmp_lt_i16_e32 vcc_lo, -1, v14
	v_lshlrev_b32_e32 v10, 16, v14
	v_cndmask_b32_e32 v2, 0xffff, v12, vcc_lo
	v_cmp_o_f32_e32 vcc_lo, v10, v10
	v_xor_b32_sdwa v2, v2, v14 dst_sel:DWORD dst_unused:UNUSED_PAD src0_sel:DWORD src1_sel:WORD_0
	v_cndmask_b32_e32 v2, 0xffff, v2, vcc_lo
	v_cmp_eq_u32_e32 vcc_lo, v2, v16
	s_and_b32 s22, vcc_lo, exec_lo
.LBB216_520:                            ;   in Loop: Header=BB216_516 Depth=1
	s_or_b32 exec_lo, exec_lo, s1
	v_cndmask_b32_e64 v2, 0, 1, s22
	v_cmp_ne_u32_e32 vcc_lo, 0, v2
	s_cmp_lg_u32 vcc_lo, 0
	s_cselect_b32 s1, -1, 0
	s_and_b32 s1, s0, s1
	s_and_saveexec_b32 s21, s1
	s_cbranch_execz .LBB216_524
; %bb.521:                              ;   in Loop: Header=BB216_516 Depth=1
	s_mov_b32 s25, exec_lo
	s_bcnt1_i32_b32 s23, vcc_lo
	v_mbcnt_lo_u32_b32 v10, s25, 0
	s_mov_b32 s24, exec_lo
                                        ; implicit-def: $vgpr8_vgpr9
	v_cmpx_eq_u32_e32 0, v10
; %bb.522:                              ;   in Loop: Header=BB216_516 Depth=1
	s_bcnt1_i32_b32 s1, s25
	s_mul_i32 s1, s23, s1
	v_mov_b32_e32 v2, s1
	ds_add_rtn_u64 v[8:9], v3, v[2:3] offset:5136
; %bb.523:                              ;   in Loop: Header=BB216_516 Depth=1
	s_or_b32 exec_lo, exec_lo, s24
	s_waitcnt lgkmcnt(0)
	v_readfirstlane_b32 s25, v9
	v_readfirstlane_b32 s24, v8
	v_mad_u64_u32 v[8:9], null, s23, v10, s[24:25]
.LBB216_524:                            ;   in Loop: Header=BB216_516 Depth=1
	s_or_b32 exec_lo, exec_lo, s21
	ds_bpermute_b32 v8, v3, v8
	ds_bpermute_b32 v9, v3, v9
	s_cmp_eq_u32 vcc_lo, 0
	s_mov_b32 s23, -1
	s_cselect_b32 s21, -1, 0
	s_mov_b32 s24, -1
	s_waitcnt lgkmcnt(0)
	v_cmp_gt_u64_e64 s1, s[30:31], v[8:9]
	s_or_b32 s1, s21, s1
	s_and_saveexec_b32 s21, s1
	s_cbranch_execz .LBB216_515
; %bb.525:                              ;   in Loop: Header=BB216_516 Depth=1
	v_and_b32_e32 v2, vcc_lo, v30
	v_sub_co_u32 v10, vcc_lo, s30, v8
	v_sub_co_ci_u32_e64 v11, null, s31, v9, vcc_lo
	v_bcnt_u32_b32 v2, v2, 0
	s_mov_b32 s1, -1
	v_bcnt_u32_b32 v2, 0, v2
	v_cmp_gt_u64_e32 vcc_lo, v[10:11], v[2:3]
	s_and_b32 s25, s22, vcc_lo
	s_and_saveexec_b32 s22, s25
	s_cbranch_execz .LBB216_529
; %bb.526:                              ;   in Loop: Header=BB216_516 Depth=1
	v_add_co_u32 v10, vcc_lo, v8, v2
	v_add_co_ci_u32_e64 v11, null, 0, v9, vcc_lo
	s_mov_b32 s24, 0
	s_mov_b32 s23, exec_lo
	v_cmpx_gt_u64_e64 s[30:31], v[10:11]
	s_cbranch_execz .LBB216_528
; %bb.527:                              ;   in Loop: Header=BB216_516 Depth=1
	v_mul_lo_u32 v2, v11, s6
	v_mul_lo_u32 v15, v10, s7
	v_mad_u64_u32 v[17:18], null, v10, s6, 0
	v_mul_lo_u32 v19, v11, s8
	v_mul_lo_u32 v20, v10, s9
	v_mad_u64_u32 v[10:11], null, v10, s8, 0
	s_mov_b32 s24, exec_lo
	v_add3_u32 v18, v18, v15, v2
	v_add3_u32 v11, v11, v20, v19
	v_lshlrev_b64 v[17:18], 1, v[17:18]
	v_lshlrev_b64 v[10:11], 3, v[10:11]
	v_add_co_u32 v17, vcc_lo, s5, v17
	v_add_co_ci_u32_e64 v18, null, s16, v18, vcc_lo
	v_add_co_u32 v10, vcc_lo, s17, v10
	v_add_co_ci_u32_e64 v11, null, s18, v11, vcc_lo
	s_waitcnt vmcnt(0)
	global_store_short v[17:18], v14, off
	global_store_dwordx2 v[10:11], v[0:1], off
.LBB216_528:                            ;   in Loop: Header=BB216_516 Depth=1
	s_or_b32 exec_lo, exec_lo, s23
	s_xor_b32 s23, exec_lo, -1
	s_orn2_b32 s24, s24, exec_lo
.LBB216_529:                            ;   in Loop: Header=BB216_516 Depth=1
	s_or_b32 exec_lo, exec_lo, s22
	s_and_saveexec_b32 s22, s24
	s_cbranch_execz .LBB216_514
; %bb.530:                              ;   in Loop: Header=BB216_516 Depth=1
	v_cmp_le_u64_e32 vcc_lo, s[10:11], v[6:7]
	v_add_co_u32 v4, s1, v4, s34
	v_add_co_ci_u32_e64 v5, null, s35, v5, s1
	s_or_b32 s23, s23, exec_lo
	s_orn2_b32 s1, vcc_lo, exec_lo
	s_branch .LBB216_514
.LBB216_531:
	s_or_b32 s8, s8, exec_lo
	s_trap 2
	s_branch .LBB216_491
.LBB216_532:
	s_or_b32 exec_lo, exec_lo, s19
	s_mov_b32 s0, 0
	s_and_saveexec_b32 s1, s20
	s_xor_b32 s1, exec_lo, s1
	s_cbranch_execnz .LBB216_538
.LBB216_533:
	s_or_b32 exec_lo, exec_lo, s1
	s_and_b32 s1, s0, exec_lo
.LBB216_534:
	s_or_b32 exec_lo, exec_lo, s4
	s_and_b32 s19, s1, exec_lo
	s_andn2_b32 s3, s3, exec_lo
	s_or_b32 exec_lo, exec_lo, s2
	s_and_saveexec_b32 s0, s3
	s_xor_b32 s0, exec_lo, s0
	s_cbranch_execz .LBB216_485
.LBB216_535:
	s_or_b32 s19, s19, exec_lo
	s_trap 2
	s_branch .LBB216_485
.LBB216_536:
	s_or_b32 s8, s8, exec_lo
	s_trap 2
	s_branch .LBB216_489
.LBB216_537:
	s_or_b32 s8, s8, exec_lo
	s_trap 2
	s_branch .LBB216_487
.LBB216_538:
	s_mov_b32 s0, exec_lo
	s_trap 2
	s_branch .LBB216_533
	.section	.rodata,"a",@progbits
	.p2align	6, 0x0
	.amdhsa_kernel _ZN2at6native6sbtopk10gatherTopKIN3c108BFloat16EmLi1ELb0EEEvNS_4cuda6detail10TensorInfoIKT_T0_EESA_SA_bSA_SA_NS7_IS8_SA_EESA_NS7_IlSA_EESA_PS8_
		.amdhsa_group_segment_fixed_size 5152
		.amdhsa_private_segment_fixed_size 0
		.amdhsa_kernarg_size 1568
		.amdhsa_user_sgpr_count 6
		.amdhsa_user_sgpr_private_segment_buffer 1
		.amdhsa_user_sgpr_dispatch_ptr 0
		.amdhsa_user_sgpr_queue_ptr 0
		.amdhsa_user_sgpr_kernarg_segment_ptr 1
		.amdhsa_user_sgpr_dispatch_id 0
		.amdhsa_user_sgpr_flat_scratch_init 0
		.amdhsa_user_sgpr_private_segment_size 0
		.amdhsa_wavefront_size32 1
		.amdhsa_uses_dynamic_stack 0
		.amdhsa_system_sgpr_private_segment_wavefront_offset 0
		.amdhsa_system_sgpr_workgroup_id_x 1
		.amdhsa_system_sgpr_workgroup_id_y 1
		.amdhsa_system_sgpr_workgroup_id_z 1
		.amdhsa_system_sgpr_workgroup_info 0
		.amdhsa_system_vgpr_workitem_id 0
		.amdhsa_next_free_vgpr 52
		.amdhsa_next_free_sgpr 105
		.amdhsa_reserve_vcc 1
		.amdhsa_reserve_flat_scratch 0
		.amdhsa_float_round_mode_32 0
		.amdhsa_float_round_mode_16_64 0
		.amdhsa_float_denorm_mode_32 3
		.amdhsa_float_denorm_mode_16_64 3
		.amdhsa_dx10_clamp 1
		.amdhsa_ieee_mode 1
		.amdhsa_fp16_overflow 0
		.amdhsa_workgroup_processor_mode 1
		.amdhsa_memory_ordered 1
		.amdhsa_forward_progress 1
		.amdhsa_shared_vgpr_count 0
		.amdhsa_exception_fp_ieee_invalid_op 0
		.amdhsa_exception_fp_denorm_src 0
		.amdhsa_exception_fp_ieee_div_zero 0
		.amdhsa_exception_fp_ieee_overflow 0
		.amdhsa_exception_fp_ieee_underflow 0
		.amdhsa_exception_fp_ieee_inexact 0
		.amdhsa_exception_int_div_zero 0
	.end_amdhsa_kernel
	.section	.text._ZN2at6native6sbtopk10gatherTopKIN3c108BFloat16EmLi1ELb0EEEvNS_4cuda6detail10TensorInfoIKT_T0_EESA_SA_bSA_SA_NS7_IS8_SA_EESA_NS7_IlSA_EESA_PS8_,"axG",@progbits,_ZN2at6native6sbtopk10gatherTopKIN3c108BFloat16EmLi1ELb0EEEvNS_4cuda6detail10TensorInfoIKT_T0_EESA_SA_bSA_SA_NS7_IS8_SA_EESA_NS7_IlSA_EESA_PS8_,comdat
.Lfunc_end216:
	.size	_ZN2at6native6sbtopk10gatherTopKIN3c108BFloat16EmLi1ELb0EEEvNS_4cuda6detail10TensorInfoIKT_T0_EESA_SA_bSA_SA_NS7_IS8_SA_EESA_NS7_IlSA_EESA_PS8_, .Lfunc_end216-_ZN2at6native6sbtopk10gatherTopKIN3c108BFloat16EmLi1ELb0EEEvNS_4cuda6detail10TensorInfoIKT_T0_EESA_SA_bSA_SA_NS7_IS8_SA_EESA_NS7_IlSA_EESA_PS8_
                                        ; -- End function
	.set _ZN2at6native6sbtopk10gatherTopKIN3c108BFloat16EmLi1ELb0EEEvNS_4cuda6detail10TensorInfoIKT_T0_EESA_SA_bSA_SA_NS7_IS8_SA_EESA_NS7_IlSA_EESA_PS8_.num_vgpr, 52
	.set _ZN2at6native6sbtopk10gatherTopKIN3c108BFloat16EmLi1ELb0EEEvNS_4cuda6detail10TensorInfoIKT_T0_EESA_SA_bSA_SA_NS7_IS8_SA_EESA_NS7_IlSA_EESA_PS8_.num_agpr, 0
	.set _ZN2at6native6sbtopk10gatherTopKIN3c108BFloat16EmLi1ELb0EEEvNS_4cuda6detail10TensorInfoIKT_T0_EESA_SA_bSA_SA_NS7_IS8_SA_EESA_NS7_IlSA_EESA_PS8_.numbered_sgpr, 105
	.set _ZN2at6native6sbtopk10gatherTopKIN3c108BFloat16EmLi1ELb0EEEvNS_4cuda6detail10TensorInfoIKT_T0_EESA_SA_bSA_SA_NS7_IS8_SA_EESA_NS7_IlSA_EESA_PS8_.num_named_barrier, 0
	.set _ZN2at6native6sbtopk10gatherTopKIN3c108BFloat16EmLi1ELb0EEEvNS_4cuda6detail10TensorInfoIKT_T0_EESA_SA_bSA_SA_NS7_IS8_SA_EESA_NS7_IlSA_EESA_PS8_.private_seg_size, 0
	.set _ZN2at6native6sbtopk10gatherTopKIN3c108BFloat16EmLi1ELb0EEEvNS_4cuda6detail10TensorInfoIKT_T0_EESA_SA_bSA_SA_NS7_IS8_SA_EESA_NS7_IlSA_EESA_PS8_.uses_vcc, 1
	.set _ZN2at6native6sbtopk10gatherTopKIN3c108BFloat16EmLi1ELb0EEEvNS_4cuda6detail10TensorInfoIKT_T0_EESA_SA_bSA_SA_NS7_IS8_SA_EESA_NS7_IlSA_EESA_PS8_.uses_flat_scratch, 0
	.set _ZN2at6native6sbtopk10gatherTopKIN3c108BFloat16EmLi1ELb0EEEvNS_4cuda6detail10TensorInfoIKT_T0_EESA_SA_bSA_SA_NS7_IS8_SA_EESA_NS7_IlSA_EESA_PS8_.has_dyn_sized_stack, 0
	.set _ZN2at6native6sbtopk10gatherTopKIN3c108BFloat16EmLi1ELb0EEEvNS_4cuda6detail10TensorInfoIKT_T0_EESA_SA_bSA_SA_NS7_IS8_SA_EESA_NS7_IlSA_EESA_PS8_.has_recursion, 0
	.set _ZN2at6native6sbtopk10gatherTopKIN3c108BFloat16EmLi1ELb0EEEvNS_4cuda6detail10TensorInfoIKT_T0_EESA_SA_bSA_SA_NS7_IS8_SA_EESA_NS7_IlSA_EESA_PS8_.has_indirect_call, 0
	.section	.AMDGPU.csdata,"",@progbits
; Kernel info:
; codeLenInByte = 26124
; TotalNumSgprs: 107
; NumVgprs: 52
; ScratchSize: 0
; MemoryBound: 0
; FloatMode: 240
; IeeeMode: 1
; LDSByteSize: 5152 bytes/workgroup (compile time only)
; SGPRBlocks: 0
; VGPRBlocks: 6
; NumSGPRsForWavesPerEU: 107
; NumVGPRsForWavesPerEU: 52
; Occupancy: 16
; WaveLimiterHint : 1
; COMPUTE_PGM_RSRC2:SCRATCH_EN: 0
; COMPUTE_PGM_RSRC2:USER_SGPR: 6
; COMPUTE_PGM_RSRC2:TRAP_HANDLER: 0
; COMPUTE_PGM_RSRC2:TGID_X_EN: 1
; COMPUTE_PGM_RSRC2:TGID_Y_EN: 1
; COMPUTE_PGM_RSRC2:TGID_Z_EN: 1
; COMPUTE_PGM_RSRC2:TIDIG_COMP_CNT: 0
	.section	.text._ZN2at6native6mbtopk23computeBlockDigitCountsIN3c108BFloat16EmjLi2EEEvNS_4cuda6detail10TensorInfoIKT_T0_EEjPjjSA_iijT1_PSD_Ps,"axG",@progbits,_ZN2at6native6mbtopk23computeBlockDigitCountsIN3c108BFloat16EmjLi2EEEvNS_4cuda6detail10TensorInfoIKT_T0_EEjPjjSA_iijT1_PSD_Ps,comdat
	.protected	_ZN2at6native6mbtopk23computeBlockDigitCountsIN3c108BFloat16EmjLi2EEEvNS_4cuda6detail10TensorInfoIKT_T0_EEjPjjSA_iijT1_PSD_Ps ; -- Begin function _ZN2at6native6mbtopk23computeBlockDigitCountsIN3c108BFloat16EmjLi2EEEvNS_4cuda6detail10TensorInfoIKT_T0_EEjPjjSA_iijT1_PSD_Ps
	.globl	_ZN2at6native6mbtopk23computeBlockDigitCountsIN3c108BFloat16EmjLi2EEEvNS_4cuda6detail10TensorInfoIKT_T0_EEjPjjSA_iijT1_PSD_Ps
	.p2align	8
	.type	_ZN2at6native6mbtopk23computeBlockDigitCountsIN3c108BFloat16EmjLi2EEEvNS_4cuda6detail10TensorInfoIKT_T0_EEjPjjSA_iijT1_PSD_Ps,@function
_ZN2at6native6mbtopk23computeBlockDigitCountsIN3c108BFloat16EmjLi2EEEvNS_4cuda6detail10TensorInfoIKT_T0_EEjPjjSA_iijT1_PSD_Ps: ; @_ZN2at6native6mbtopk23computeBlockDigitCountsIN3c108BFloat16EmjLi2EEEvNS_4cuda6detail10TensorInfoIKT_T0_EEjPjjSA_iijT1_PSD_Ps
; %bb.0:
	s_clause 0x2
	s_load_dwordx4 s[0:3], s[4:5], 0x1c0
	s_load_dword s12, s[4:5], 0x1b0
	s_load_dwordx2 s[10:11], s[4:5], 0x1e0
	s_waitcnt lgkmcnt(0)
	v_cvt_f32_u32_e32 v1, s2
	s_mul_i32 s8, s11, s8
	s_sub_i32 s11, 0, s2
	s_add_i32 s7, s8, s7
	v_rcp_iflag_f32_e32 v1, v1
	s_mul_i32 s16, s7, s10
	s_add_i32 s16, s16, s6
	v_mul_f32_e32 v1, 0x4f7ffffe, v1
	v_cvt_u32_f32_e32 v1, v1
	v_readfirstlane_b32 s9, v1
	s_mul_i32 s11, s11, s9
	s_mul_hi_u32 s7, s9, s11
	s_add_i32 s9, s9, s7
	s_mul_hi_u32 s6, s16, s9
	s_mul_i32 s7, s6, s2
	s_add_i32 s8, s6, 1
	s_sub_i32 s7, s16, s7
	s_sub_i32 s9, s7, s2
	s_cmp_ge_u32 s7, s2
	s_cselect_b32 s6, s8, s6
	s_cselect_b32 s7, s9, s7
	s_add_i32 s8, s6, 1
	s_cmp_ge_u32 s7, s2
	s_mov_b32 s7, 0
	s_cselect_b32 s6, s8, s6
	s_cmp_ge_u32 s6, s12
	s_cbranch_scc1 .LBB217_23
; %bb.1:
	s_clause 0x1
	s_load_dwordx2 s[12:13], s[4:5], 0x10
	s_load_dwordx4 s[8:11], s[4:5], 0x1d0
	s_lshl_b64 s[14:15], s[6:7], 2
	s_waitcnt lgkmcnt(0)
	v_cmp_lt_u64_e64 s17, s[6:7], s[12:13]
	s_add_u32 s14, s8, s14
	s_addc_u32 s15, s9, s15
	s_mov_b64 s[8:9], 0
	s_and_b32 vcc_lo, exec_lo, s17
	s_cbranch_vccnz .LBB217_3
; %bb.2:
	v_cvt_f32_u32_e32 v1, s12
	s_sub_i32 s8, 0, s12
	v_rcp_iflag_f32_e32 v1, v1
	v_mul_f32_e32 v1, 0x4f7ffffe, v1
	v_cvt_u32_f32_e32 v1, v1
	v_readfirstlane_b32 s7, v1
	s_mul_i32 s8, s8, s7
	s_mul_hi_u32 s8, s7, s8
	s_add_i32 s7, s7, s8
	s_mul_hi_u32 s7, s6, s7
	s_mul_i32 s8, s7, s12
	s_add_i32 s9, s7, 1
	s_sub_i32 s8, s6, s8
	s_sub_i32 s17, s8, s12
	s_cmp_ge_u32 s8, s12
	s_cselect_b32 s7, s9, s7
	s_cselect_b32 s8, s17, s8
	s_add_i32 s9, s7, 1
	s_cmp_ge_u32 s8, s12
	s_cselect_b32 s8, s9, s7
.LBB217_3:
	v_cmp_gt_u32_e32 vcc_lo, 0x100, v0
	v_lshlrev_b32_e32 v1, 2, v0
	s_and_saveexec_b32 s7, vcc_lo
; %bb.4:
	v_mov_b32_e32 v2, 0
	ds_write_b32 v1, v2
; %bb.5:
	s_or_b32 exec_lo, exec_lo, s7
	s_load_dword s7, s[4:5], 0x1a0
	s_mul_i32 s9, s6, s2
	s_waitcnt lgkmcnt(0)
	s_sub_i32 s17, s16, s9
	s_barrier
	s_mul_i32 s9, s1, s17
	s_add_i32 s17, s17, 1
	s_lshl_b32 s9, s9, 8
	buffer_gl0_inv
	s_sub_i32 s18, s7, s9
	s_add_u32 s18, s18, 0xff
	s_addc_u32 s19, 0, 0
	s_lshr_b64 s[18:19], s[18:19], 8
	s_cmp_lt_u32 s17, s2
	s_mov_b32 s17, 0
	s_cselect_b32 s2, s1, s18
	s_cmp_lt_i32 s2, 1
	s_cbranch_scc1 .LBB217_21
; %bb.6:
	s_clause 0x1
	s_load_dwordx4 s[20:23], s[4:5], 0xd0
	s_load_dwordx2 s[18:19], s[4:5], 0x0
	s_load_dword s1, s[14:15], 0x0
	s_load_dwordx2 s[4:5], s[4:5], 0x1b8
	s_mul_i32 s13, s8, s13
	s_mul_hi_u32 s14, s8, s12
	s_mul_i32 s12, s8, s12
	s_add_i32 s14, s14, s13
	s_sub_u32 s6, s6, s12
	s_subb_u32 s12, 0, s14
	v_add_nc_u32_e32 v2, s9, v0
	s_waitcnt lgkmcnt(0)
	s_mul_i32 s13, s6, s23
	s_mul_hi_u32 s23, s6, s22
	s_mul_i32 s24, s12, s22
	s_mul_i32 s12, s6, s22
	;; [unrolled: 1-line block ×3, first 2 shown]
	s_mul_hi_u32 s15, s8, s20
	s_mul_i32 s14, s8, s20
	s_add_i32 s15, s15, s6
	s_add_i32 s6, s23, s13
	s_lshl_b64 s[14:15], s[14:15], 1
	s_add_i32 s13, s6, s24
	s_add_u32 s6, s18, s14
	s_addc_u32 s14, s19, s15
	s_lshl_b64 s[12:13], s[12:13], 1
	s_add_u32 s8, s6, s12
	s_addc_u32 s9, s14, s13
	s_and_b32 s6, s0, 0xff
	s_cmp_eq_u32 s2, 1
	s_cbranch_scc1 .LBB217_16
; %bb.7:
	v_mov_b32_e32 v3, 1
	v_mov_b32_e32 v4, 0x8000
	;; [unrolled: 1-line block ×3, first 2 shown]
	s_and_b32 s12, s2, 0x7ffffffe
	s_mov_b32 s13, 0
	s_branch .LBB217_9
.LBB217_8:                              ;   in Loop: Header=BB217_9 Depth=1
	s_or_b32 exec_lo, exec_lo, s14
	v_add_nc_u32_e32 v5, 0x200, v5
	s_add_i32 s13, s13, 2
	s_cmp_eq_u32 s12, s13
	s_cbranch_scc1 .LBB217_15
.LBB217_9:                              ; =>This Inner Loop Header: Depth=1
	s_mov_b32 s14, exec_lo
	v_cmpx_gt_u32_e64 s7, v5
	s_cbranch_execz .LBB217_12
; %bb.10:                               ;   in Loop: Header=BB217_9 Depth=1
	v_mad_u64_u32 v[6:7], null, s4, v5, 0
	v_mad_u64_u32 v[7:8], null, s5, v5, v[7:8]
	v_lshlrev_b64 v[6:7], 1, v[6:7]
	v_add_co_u32 v6, s0, s8, v6
	v_add_co_ci_u32_e64 v7, null, s9, v7, s0
	global_load_ushort v6, v[6:7], off
	s_waitcnt vmcnt(0)
	v_cmp_lt_i16_e64 s0, -1, v6
	v_lshlrev_b32_e32 v8, 16, v6
	v_cndmask_b32_e64 v7, 0xffff, v4, s0
	v_cmp_o_f32_e64 s0, v8, v8
	v_xor_b32_sdwa v6, v7, v6 dst_sel:DWORD dst_unused:UNUSED_PAD src0_sel:DWORD src1_sel:WORD_0
	v_cndmask_b32_e64 v6, 0xffff, v6, s0
	v_xor_b32_e32 v7, s1, v6
	v_and_b32_e32 v7, s3, v7
	v_cmp_eq_u32_e64 s0, 0, v7
	s_and_b32 exec_lo, exec_lo, s0
; %bb.11:                               ;   in Loop: Header=BB217_9 Depth=1
	v_bfe_u32 v6, v6, s6, 8
	v_lshlrev_b32_e32 v6, 2, v6
	ds_add_u32 v6, v3
.LBB217_12:                             ;   in Loop: Header=BB217_9 Depth=1
	s_or_b32 exec_lo, exec_lo, s14
	v_add_nc_u32_e32 v6, 0x100, v5
	s_mov_b32 s14, exec_lo
	v_cmpx_gt_u32_e64 s7, v6
	s_cbranch_execz .LBB217_8
; %bb.13:                               ;   in Loop: Header=BB217_9 Depth=1
	v_mad_u64_u32 v[7:8], null, s4, v6, 0
	v_mad_u64_u32 v[8:9], null, s5, v6, v[8:9]
	v_lshlrev_b64 v[6:7], 1, v[7:8]
	v_add_co_u32 v6, s0, s8, v6
	v_add_co_ci_u32_e64 v7, null, s9, v7, s0
	global_load_ushort v6, v[6:7], off
	s_waitcnt vmcnt(0)
	v_cmp_lt_i16_e64 s0, -1, v6
	v_lshlrev_b32_e32 v8, 16, v6
	v_cndmask_b32_e64 v7, 0xffff, v4, s0
	v_cmp_o_f32_e64 s0, v8, v8
	v_xor_b32_sdwa v6, v7, v6 dst_sel:DWORD dst_unused:UNUSED_PAD src0_sel:DWORD src1_sel:WORD_0
	v_cndmask_b32_e64 v6, 0xffff, v6, s0
	v_xor_b32_e32 v7, s1, v6
	v_and_b32_e32 v7, s3, v7
	v_cmp_eq_u32_e64 s0, 0, v7
	s_and_b32 exec_lo, exec_lo, s0
	s_cbranch_execz .LBB217_8
; %bb.14:                               ;   in Loop: Header=BB217_9 Depth=1
	v_bfe_u32 v6, v6, s6, 8
	v_lshlrev_b32_e32 v6, 2, v6
	ds_add_u32 v6, v3
	s_branch .LBB217_8
.LBB217_15:
	s_lshl_b32 s17, s12, 8
.LBB217_16:
	s_bitcmp0_b32 s2, 0
	s_cbranch_scc1 .LBB217_21
; %bb.17:
	v_add_nc_u32_e32 v2, s17, v2
	s_mov_b32 s2, exec_lo
	v_cmpx_gt_u32_e64 s7, v2
	s_cbranch_execz .LBB217_20
; %bb.18:
	v_mad_u64_u32 v[3:4], null, s4, v2, 0
	v_mad_u64_u32 v[4:5], null, s5, v2, v[4:5]
	v_lshlrev_b64 v[2:3], 1, v[3:4]
	v_add_co_u32 v2, s0, s8, v2
	v_add_co_ci_u32_e64 v3, null, s9, v3, s0
	global_load_ushort v2, v[2:3], off
	v_mov_b32_e32 v3, 0x8000
	s_waitcnt vmcnt(0)
	v_cmp_lt_i16_e64 s0, -1, v2
	v_lshlrev_b32_e32 v4, 16, v2
	v_cndmask_b32_e64 v3, 0xffff, v3, s0
	v_cmp_o_f32_e64 s0, v4, v4
	v_xor_b32_sdwa v2, v3, v2 dst_sel:DWORD dst_unused:UNUSED_PAD src0_sel:DWORD src1_sel:WORD_0
	v_cndmask_b32_e64 v2, 0xffff, v2, s0
	v_xor_b32_e32 v3, s1, v2
	v_and_b32_e32 v3, s3, v3
	v_cmp_eq_u32_e64 s0, 0, v3
	s_and_b32 exec_lo, exec_lo, s0
	s_cbranch_execz .LBB217_20
; %bb.19:
	v_bfe_u32 v2, v2, s6, 8
	v_mov_b32_e32 v3, 1
	v_lshlrev_b32_e32 v2, 2, v2
	ds_add_u32 v2, v3
.LBB217_20:
	s_or_b32 exec_lo, exec_lo, s2
.LBB217_21:
	s_waitcnt lgkmcnt(0)
	s_barrier
	buffer_gl0_inv
	s_and_saveexec_b32 s0, vcc_lo
	s_cbranch_execz .LBB217_23
; %bb.22:
	ds_read_b32 v2, v1
	v_lshl_or_b32 v0, s16, 8, v0
	v_mov_b32_e32 v1, 0
	v_lshlrev_b64 v[0:1], 1, v[0:1]
	v_add_co_u32 v0, vcc_lo, s10, v0
	v_add_co_ci_u32_e64 v1, null, s11, v1, vcc_lo
	s_waitcnt lgkmcnt(0)
	global_store_short v[0:1], v2, off
.LBB217_23:
	s_endpgm
	.section	.rodata,"a",@progbits
	.p2align	6, 0x0
	.amdhsa_kernel _ZN2at6native6mbtopk23computeBlockDigitCountsIN3c108BFloat16EmjLi2EEEvNS_4cuda6detail10TensorInfoIKT_T0_EEjPjjSA_iijT1_PSD_Ps
		.amdhsa_group_segment_fixed_size 1024
		.amdhsa_private_segment_fixed_size 0
		.amdhsa_kernarg_size 736
		.amdhsa_user_sgpr_count 6
		.amdhsa_user_sgpr_private_segment_buffer 1
		.amdhsa_user_sgpr_dispatch_ptr 0
		.amdhsa_user_sgpr_queue_ptr 0
		.amdhsa_user_sgpr_kernarg_segment_ptr 1
		.amdhsa_user_sgpr_dispatch_id 0
		.amdhsa_user_sgpr_flat_scratch_init 0
		.amdhsa_user_sgpr_private_segment_size 0
		.amdhsa_wavefront_size32 1
		.amdhsa_uses_dynamic_stack 0
		.amdhsa_system_sgpr_private_segment_wavefront_offset 0
		.amdhsa_system_sgpr_workgroup_id_x 1
		.amdhsa_system_sgpr_workgroup_id_y 1
		.amdhsa_system_sgpr_workgroup_id_z 1
		.amdhsa_system_sgpr_workgroup_info 0
		.amdhsa_system_vgpr_workitem_id 0
		.amdhsa_next_free_vgpr 10
		.amdhsa_next_free_sgpr 25
		.amdhsa_reserve_vcc 1
		.amdhsa_reserve_flat_scratch 0
		.amdhsa_float_round_mode_32 0
		.amdhsa_float_round_mode_16_64 0
		.amdhsa_float_denorm_mode_32 3
		.amdhsa_float_denorm_mode_16_64 3
		.amdhsa_dx10_clamp 1
		.amdhsa_ieee_mode 1
		.amdhsa_fp16_overflow 0
		.amdhsa_workgroup_processor_mode 1
		.amdhsa_memory_ordered 1
		.amdhsa_forward_progress 1
		.amdhsa_shared_vgpr_count 0
		.amdhsa_exception_fp_ieee_invalid_op 0
		.amdhsa_exception_fp_denorm_src 0
		.amdhsa_exception_fp_ieee_div_zero 0
		.amdhsa_exception_fp_ieee_overflow 0
		.amdhsa_exception_fp_ieee_underflow 0
		.amdhsa_exception_fp_ieee_inexact 0
		.amdhsa_exception_int_div_zero 0
	.end_amdhsa_kernel
	.section	.text._ZN2at6native6mbtopk23computeBlockDigitCountsIN3c108BFloat16EmjLi2EEEvNS_4cuda6detail10TensorInfoIKT_T0_EEjPjjSA_iijT1_PSD_Ps,"axG",@progbits,_ZN2at6native6mbtopk23computeBlockDigitCountsIN3c108BFloat16EmjLi2EEEvNS_4cuda6detail10TensorInfoIKT_T0_EEjPjjSA_iijT1_PSD_Ps,comdat
.Lfunc_end217:
	.size	_ZN2at6native6mbtopk23computeBlockDigitCountsIN3c108BFloat16EmjLi2EEEvNS_4cuda6detail10TensorInfoIKT_T0_EEjPjjSA_iijT1_PSD_Ps, .Lfunc_end217-_ZN2at6native6mbtopk23computeBlockDigitCountsIN3c108BFloat16EmjLi2EEEvNS_4cuda6detail10TensorInfoIKT_T0_EEjPjjSA_iijT1_PSD_Ps
                                        ; -- End function
	.set _ZN2at6native6mbtopk23computeBlockDigitCountsIN3c108BFloat16EmjLi2EEEvNS_4cuda6detail10TensorInfoIKT_T0_EEjPjjSA_iijT1_PSD_Ps.num_vgpr, 10
	.set _ZN2at6native6mbtopk23computeBlockDigitCountsIN3c108BFloat16EmjLi2EEEvNS_4cuda6detail10TensorInfoIKT_T0_EEjPjjSA_iijT1_PSD_Ps.num_agpr, 0
	.set _ZN2at6native6mbtopk23computeBlockDigitCountsIN3c108BFloat16EmjLi2EEEvNS_4cuda6detail10TensorInfoIKT_T0_EEjPjjSA_iijT1_PSD_Ps.numbered_sgpr, 25
	.set _ZN2at6native6mbtopk23computeBlockDigitCountsIN3c108BFloat16EmjLi2EEEvNS_4cuda6detail10TensorInfoIKT_T0_EEjPjjSA_iijT1_PSD_Ps.num_named_barrier, 0
	.set _ZN2at6native6mbtopk23computeBlockDigitCountsIN3c108BFloat16EmjLi2EEEvNS_4cuda6detail10TensorInfoIKT_T0_EEjPjjSA_iijT1_PSD_Ps.private_seg_size, 0
	.set _ZN2at6native6mbtopk23computeBlockDigitCountsIN3c108BFloat16EmjLi2EEEvNS_4cuda6detail10TensorInfoIKT_T0_EEjPjjSA_iijT1_PSD_Ps.uses_vcc, 1
	.set _ZN2at6native6mbtopk23computeBlockDigitCountsIN3c108BFloat16EmjLi2EEEvNS_4cuda6detail10TensorInfoIKT_T0_EEjPjjSA_iijT1_PSD_Ps.uses_flat_scratch, 0
	.set _ZN2at6native6mbtopk23computeBlockDigitCountsIN3c108BFloat16EmjLi2EEEvNS_4cuda6detail10TensorInfoIKT_T0_EEjPjjSA_iijT1_PSD_Ps.has_dyn_sized_stack, 0
	.set _ZN2at6native6mbtopk23computeBlockDigitCountsIN3c108BFloat16EmjLi2EEEvNS_4cuda6detail10TensorInfoIKT_T0_EEjPjjSA_iijT1_PSD_Ps.has_recursion, 0
	.set _ZN2at6native6mbtopk23computeBlockDigitCountsIN3c108BFloat16EmjLi2EEEvNS_4cuda6detail10TensorInfoIKT_T0_EEjPjjSA_iijT1_PSD_Ps.has_indirect_call, 0
	.section	.AMDGPU.csdata,"",@progbits
; Kernel info:
; codeLenInByte = 1224
; TotalNumSgprs: 27
; NumVgprs: 10
; ScratchSize: 0
; MemoryBound: 0
; FloatMode: 240
; IeeeMode: 1
; LDSByteSize: 1024 bytes/workgroup (compile time only)
; SGPRBlocks: 0
; VGPRBlocks: 1
; NumSGPRsForWavesPerEU: 27
; NumVGPRsForWavesPerEU: 10
; Occupancy: 16
; WaveLimiterHint : 1
; COMPUTE_PGM_RSRC2:SCRATCH_EN: 0
; COMPUTE_PGM_RSRC2:USER_SGPR: 6
; COMPUTE_PGM_RSRC2:TRAP_HANDLER: 0
; COMPUTE_PGM_RSRC2:TGID_X_EN: 1
; COMPUTE_PGM_RSRC2:TGID_Y_EN: 1
; COMPUTE_PGM_RSRC2:TGID_Z_EN: 1
; COMPUTE_PGM_RSRC2:TIDIG_COMP_CNT: 0
	.section	.text._ZN2at6native6mbtopk10gatherTopKIN3c108BFloat16EmLi2EEEvNS_4cuda6detail10TensorInfoIKT_T0_EESA_SA_bjSA_NS7_IS8_SA_EESA_NS7_IlSA_EESA_jjPS8_PjSF_j,"axG",@progbits,_ZN2at6native6mbtopk10gatherTopKIN3c108BFloat16EmLi2EEEvNS_4cuda6detail10TensorInfoIKT_T0_EESA_SA_bjSA_NS7_IS8_SA_EESA_NS7_IlSA_EESA_jjPS8_PjSF_j,comdat
	.protected	_ZN2at6native6mbtopk10gatherTopKIN3c108BFloat16EmLi2EEEvNS_4cuda6detail10TensorInfoIKT_T0_EESA_SA_bjSA_NS7_IS8_SA_EESA_NS7_IlSA_EESA_jjPS8_PjSF_j ; -- Begin function _ZN2at6native6mbtopk10gatherTopKIN3c108BFloat16EmLi2EEEvNS_4cuda6detail10TensorInfoIKT_T0_EESA_SA_bjSA_NS7_IS8_SA_EESA_NS7_IlSA_EESA_jjPS8_PjSF_j
	.globl	_ZN2at6native6mbtopk10gatherTopKIN3c108BFloat16EmLi2EEEvNS_4cuda6detail10TensorInfoIKT_T0_EESA_SA_bjSA_NS7_IS8_SA_EESA_NS7_IlSA_EESA_jjPS8_PjSF_j
	.p2align	8
	.type	_ZN2at6native6mbtopk10gatherTopKIN3c108BFloat16EmLi2EEEvNS_4cuda6detail10TensorInfoIKT_T0_EESA_SA_bjSA_NS7_IS8_SA_EESA_NS7_IlSA_EESA_jjPS8_PjSF_j,@function
_ZN2at6native6mbtopk10gatherTopKIN3c108BFloat16EmLi2EEEvNS_4cuda6detail10TensorInfoIKT_T0_EESA_SA_bjSA_NS7_IS8_SA_EESA_NS7_IlSA_EESA_jjPS8_PjSF_j: ; @_ZN2at6native6mbtopk10gatherTopKIN3c108BFloat16EmLi2EEEvNS_4cuda6detail10TensorInfoIKT_T0_EESA_SA_bjSA_NS7_IS8_SA_EESA_NS7_IlSA_EESA_jjPS8_PjSF_j
; %bb.0:
	s_clause 0x1
	s_load_dwordx2 s[0:1], s[4:5], 0x538
	s_load_dword s2, s[4:5], 0x530
	s_waitcnt lgkmcnt(0)
	s_mul_i32 s1, s1, s8
	s_add_i32 s1, s1, s7
	s_mul_i32 s0, s1, s0
	s_add_i32 s0, s0, s6
	s_cmp_ge_u32 s0, s2
	s_cbranch_scc1 .LBB218_48
; %bb.1:
	s_clause 0x3
	s_load_dwordx2 s[6:7], s[4:5], 0x510
	s_load_dwordx2 s[38:39], s[4:5], 0x1d0
	s_load_dwordx4 s[8:11], s[4:5], 0x1a0
	s_load_dwordx2 s[36:37], s[4:5], 0x10
	s_mov_b32 s35, 0
	s_waitcnt lgkmcnt(0)
	v_cvt_f32_u32_e32 v1, s7
	s_sub_i32 s2, 0, s7
	s_lshl_b32 s33, s6, 8
	v_rcp_iflag_f32_e32 v1, v1
	v_mul_f32_e32 v1, 0x4f7ffffe, v1
	v_cvt_u32_f32_e32 v1, v1
	v_readfirstlane_b32 s1, v1
	s_mul_i32 s2, s2, s1
	s_mul_hi_u32 s2, s1, s2
	s_add_i32 s1, s1, s2
	s_mul_hi_u32 s1, s0, s1
	s_mul_i32 s2, s1, s7
	s_add_i32 s3, s1, 1
	s_sub_i32 s2, s0, s2
	s_sub_i32 s12, s2, s7
	s_cmp_ge_u32 s2, s7
	s_cselect_b32 s1, s3, s1
	s_cselect_b32 s2, s12, s2
	s_add_i32 s3, s1, 1
	s_cmp_ge_u32 s2, s7
	s_cselect_b32 s34, s3, s1
	s_mul_i32 s16, s34, s7
	s_sub_i32 s50, s0, s16
	s_add_i32 s0, s50, 1
	s_cmp_lt_u32 s0, s7
	s_cbranch_scc1 .LBB218_3
; %bb.2:
	s_mul_i32 s0, s50, s33
	s_sub_u32 s0, s8, s0
	s_subb_u32 s1, s9, 0
	s_add_u32 s0, s0, 0xff
	s_addc_u32 s1, s1, 0
	s_ashr_i32 s2, s1, 31
	s_lshr_b32 s2, s2, 24
	s_add_u32 s0, s0, s2
	s_addc_u32 s1, s1, 0
	s_lshr_b64 s[0:1], s[0:1], 8
	s_mov_b32 s6, s0
.LBB218_3:
	s_load_dwordx2 s[40:41], s[4:5], 0x378
	v_cmp_lt_u64_e64 s0, s[34:35], s[36:37]
	s_mov_b64 s[42:43], 0
	s_mov_b64 s[44:45], 0
	s_and_b32 vcc_lo, exec_lo, s0
	s_cbranch_vccz .LBB218_20
; %bb.4:
	v_cmp_lt_u64_e64 s0, s[34:35], s[38:39]
	s_and_b32 vcc_lo, exec_lo, s0
	s_cbranch_vccz .LBB218_21
.LBB218_5:
	s_waitcnt lgkmcnt(0)
	v_cmp_lt_u64_e64 s0, s[34:35], s[40:41]
	s_mov_b64 s[46:47], 0
	s_and_b32 vcc_lo, exec_lo, s0
	s_cbranch_vccnz .LBB218_7
.LBB218_6:
	v_cvt_f32_u32_e32 v1, s40
	s_sub_i32 s1, 0, s40
	v_rcp_iflag_f32_e32 v1, v1
	v_mul_f32_e32 v1, 0x4f7ffffe, v1
	v_cvt_u32_f32_e32 v1, v1
	v_readfirstlane_b32 s0, v1
	s_mul_i32 s1, s1, s0
	s_mul_hi_u32 s1, s0, s1
	s_add_i32 s0, s0, s1
	s_mul_hi_u32 s0, s34, s0
	s_mul_i32 s1, s0, s40
	s_add_i32 s2, s0, 1
	s_sub_i32 s1, s34, s1
	s_sub_i32 s3, s1, s40
	s_cmp_ge_u32 s1, s40
	s_cselect_b32 s0, s2, s0
	s_cselect_b32 s1, s3, s1
	s_add_i32 s2, s0, 1
	s_cmp_ge_u32 s1, s40
	s_cselect_b32 s46, s2, s0
.LBB218_7:
	s_clause 0x1
	s_load_dwordx4 s[0:3], s[4:5], 0x518
	s_load_dwordx2 s[48:49], s[4:5], 0x0
	s_lshl_b64 s[12:13], s[34:35], 1
	v_mov_b32_e32 v1, 0
	s_mov_b32 s17, 0
	s_waitcnt lgkmcnt(0)
	s_add_u32 s0, s0, s12
	s_addc_u32 s1, s1, s13
	global_load_ushort v1, v1, s[0:1]
	v_cmp_ne_u32_e64 s0, 0, v0
	v_cmp_eq_u32_e64 s1, 0, v0
	s_waitcnt vmcnt(0)
	v_readfirstlane_b32 s35, v1
	s_and_saveexec_b32 s24, s1
	s_cbranch_execz .LBB218_25
; %bb.8:
	s_load_dwordx2 s[18:19], s[4:5], 0x528
	s_lshl_b64 s[20:21], s[16:17], 2
	s_mov_b32 s16, 0
	s_add_u32 s12, s2, s20
	s_addc_u32 s13, s3, s21
	s_mov_b32 s25, 0
	s_waitcnt lgkmcnt(0)
	s_add_u32 s14, s18, s20
	s_addc_u32 s15, s19, s21
	s_cmp_lt_u32 s7, 4
	s_cbranch_scc1 .LBB218_22
; %bb.9:
	s_mov_b32 s26, 0
.LBB218_10:                             ; =>This Inner Loop Header: Depth=1
	s_add_u32 s12, s2, s20
	s_addc_u32 s13, s3, s21
	s_add_u32 s22, s18, s20
	s_load_dwordx4 s[12:15], s[12:13], 0x0
	s_addc_u32 s23, s19, s21
	s_cmp_ge_u32 s26, s50
	s_cbranch_scc0 .LBB218_17
; %bb.11:                               ;   in Loop: Header=BB218_10 Depth=1
	s_add_i32 s27, s26, 1
	s_cmp_ge_u32 s27, s50
	s_cbranch_scc0 .LBB218_18
.LBB218_12:                             ;   in Loop: Header=BB218_10 Depth=1
	s_add_i32 s27, s27, 1
	s_cmp_ge_u32 s27, s50
	s_cbranch_scc0 .LBB218_19
.LBB218_13:                             ;   in Loop: Header=BB218_10 Depth=1
	s_add_i32 s27, s27, 1
	s_cmp_ge_u32 s27, s50
	s_cbranch_scc1 .LBB218_15
.LBB218_14:                             ;   in Loop: Header=BB218_10 Depth=1
	s_load_dword s22, s[22:23], 0xc
	s_waitcnt lgkmcnt(0)
	s_add_i32 s17, s17, s15
	s_add_i32 s16, s22, s16
.LBB218_15:                             ;   in Loop: Header=BB218_10 Depth=1
	s_waitcnt lgkmcnt(0)
	s_add_i32 s12, s12, s25
	s_add_i32 s12, s12, s13
	;; [unrolled: 1-line block ×4, first 2 shown]
	s_add_u32 s2, s2, 16
	s_addc_u32 s3, s3, 0
	s_add_u32 s18, s18, 16
	s_addc_u32 s19, s19, 0
	s_add_i32 s23, s27, 4
	s_add_u32 s14, s18, s20
	s_addc_u32 s15, s19, s21
	s_add_u32 s12, s2, s20
	s_addc_u32 s13, s3, s21
	s_add_i32 s22, s27, 1
	s_cmp_ge_u32 s23, s7
	s_cbranch_scc1 .LBB218_23
; %bb.16:                               ;   in Loop: Header=BB218_10 Depth=1
	s_mov_b32 s26, s22
	s_branch .LBB218_10
.LBB218_17:                             ;   in Loop: Header=BB218_10 Depth=1
	s_load_dword s27, s[22:23], 0x0
	s_waitcnt lgkmcnt(0)
	s_add_i32 s17, s12, s17
	s_add_i32 s16, s27, s16
	;; [unrolled: 1-line block ×3, first 2 shown]
	s_cmp_ge_u32 s27, s50
	s_cbranch_scc1 .LBB218_12
.LBB218_18:                             ;   in Loop: Header=BB218_10 Depth=1
	s_load_dword s28, s[22:23], 0x4
	s_waitcnt lgkmcnt(0)
	s_add_i32 s17, s17, s13
	s_add_i32 s16, s28, s16
	;; [unrolled: 1-line block ×3, first 2 shown]
	s_cmp_ge_u32 s27, s50
	s_cbranch_scc1 .LBB218_13
.LBB218_19:                             ;   in Loop: Header=BB218_10 Depth=1
	s_load_dword s28, s[22:23], 0x8
	s_waitcnt lgkmcnt(0)
	s_add_i32 s17, s17, s14
	s_add_i32 s16, s28, s16
	;; [unrolled: 1-line block ×3, first 2 shown]
	s_cmp_ge_u32 s27, s50
	s_cbranch_scc0 .LBB218_14
	s_branch .LBB218_15
.LBB218_20:
	v_cvt_f32_u32_e32 v1, s36
	s_sub_i32 s1, 0, s36
	v_rcp_iflag_f32_e32 v1, v1
	v_mul_f32_e32 v1, 0x4f7ffffe, v1
	v_cvt_u32_f32_e32 v1, v1
	v_readfirstlane_b32 s0, v1
	s_mul_i32 s1, s1, s0
	s_mul_hi_u32 s1, s0, s1
	s_add_i32 s0, s0, s1
	s_mul_hi_u32 s0, s34, s0
	s_mul_i32 s1, s0, s36
	s_add_i32 s2, s0, 1
	s_sub_i32 s1, s34, s1
	s_sub_i32 s3, s1, s36
	s_cmp_ge_u32 s1, s36
	s_cselect_b32 s0, s2, s0
	s_cselect_b32 s1, s3, s1
	s_add_i32 s2, s0, 1
	s_cmp_ge_u32 s1, s36
	s_cselect_b32 s44, s2, s0
	v_cmp_lt_u64_e64 s0, s[34:35], s[38:39]
	s_and_b32 vcc_lo, exec_lo, s0
	s_cbranch_vccnz .LBB218_5
.LBB218_21:
	v_cvt_f32_u32_e32 v1, s38
	s_sub_i32 s1, 0, s38
	v_rcp_iflag_f32_e32 v1, v1
	v_mul_f32_e32 v1, 0x4f7ffffe, v1
	v_cvt_u32_f32_e32 v1, v1
	v_readfirstlane_b32 s0, v1
	s_mul_i32 s1, s1, s0
	s_mul_hi_u32 s1, s0, s1
	s_add_i32 s0, s0, s1
	s_mul_hi_u32 s0, s34, s0
	s_mul_i32 s1, s0, s38
	s_add_i32 s2, s0, 1
	s_sub_i32 s1, s34, s1
	s_sub_i32 s3, s1, s38
	s_cmp_ge_u32 s1, s38
	s_cselect_b32 s0, s2, s0
	s_cselect_b32 s1, s3, s1
	s_add_i32 s2, s0, 1
	s_cmp_ge_u32 s1, s38
	s_cselect_b32 s42, s2, s0
	s_waitcnt lgkmcnt(0)
	v_cmp_lt_u64_e64 s0, s[34:35], s[40:41]
	s_mov_b64 s[46:47], 0
	s_and_b32 vcc_lo, exec_lo, s0
	s_cbranch_vccz .LBB218_6
	s_branch .LBB218_7
.LBB218_22:
	s_mov_b32 s2, 0
	s_cmp_ge_u32 s2, s7
	s_cbranch_scc0 .LBB218_46
	s_branch .LBB218_24
.LBB218_23:
	s_add_i32 s2, s26, 4
	s_cmp_ge_u32 s2, s7
	s_cbranch_scc0 .LBB218_46
.LBB218_24:
	v_mov_b32_e32 v1, s16
	v_mov_b32_e32 v2, s25
	;; [unrolled: 1-line block ×4, first 2 shown]
	ds_write_b96 v4, v[1:3] offset:1056
.LBB218_25:
	s_or_b32 exec_lo, exec_lo, s24
	s_clause 0x4
	s_load_dwordx4 s[12:15], s[4:5], 0x1b8
	s_load_dwordx4 s[28:31], s[4:5], 0xd0
	;; [unrolled: 1-line block ×5, first 2 shown]
	s_cmp_eq_u32 s6, 0
	s_waitcnt lgkmcnt(0)
	s_barrier
	buffer_gl0_inv
	s_cbranch_scc1 .LBB218_48
; %bb.26:
	s_mul_i32 s2, s42, s39
	s_mul_hi_u32 s3, s42, s38
	s_mul_i32 s7, s42, s38
	s_add_i32 s3, s3, s2
	s_sub_u32 s2, s34, s7
	s_subb_u32 s3, 0, s3
	s_mul_i32 s7, s2, s27
	s_mul_hi_u32 s27, s2, s26
	s_mul_i32 s3, s3, s26
	s_add_i32 s7, s27, s7
	s_mul_i32 s25, s42, s25
	s_mul_hi_u32 s27, s42, s24
	s_add_i32 s3, s7, s3
	s_add_i32 s25, s27, s25
	s_mul_i32 s7, s44, s37
	s_mul_hi_u32 s27, s44, s36
	s_mul_i32 s36, s44, s36
	s_add_i32 s27, s27, s7
	s_sub_u32 s7, s34, s36
	s_subb_u32 s27, 0, s27
	s_mul_i32 s31, s7, s31
	s_mul_hi_u32 s36, s7, s30
	s_mul_i32 s27, s27, s30
	s_add_i32 s31, s36, s31
	s_mul_i32 s29, s44, s29
	s_mul_hi_u32 s36, s44, s28
	s_add_i32 s31, s31, s27
	s_add_i32 s29, s36, s29
	s_mul_i32 s27, s46, s41
	s_mul_hi_u32 s36, s46, s40
	s_mul_i32 s37, s46, s40
	s_add_i32 s36, s36, s27
	s_sub_u32 s34, s34, s37
	s_mul_i32 s30, s7, s30
	s_mul_i32 s7, s34, s23
	s_mul_hi_u32 s23, s34, s22
	s_subb_u32 s27, 0, s36
	s_add_i32 s7, s23, s7
	s_mul_i32 s27, s27, s22
	s_mul_i32 s28, s44, s28
	s_add_i32 s23, s7, s27
	s_mul_i32 s7, s46, s21
	s_mul_hi_u32 s21, s46, s20
	s_lshl_b64 s[28:29], s[28:29], 1
	s_add_i32 s27, s21, s7
	s_add_u32 s7, s48, s28
	s_addc_u32 s21, s49, s29
	s_lshl_b64 s[28:29], s[30:31], 1
	s_mul_i32 s24, s42, s24
	s_add_u32 s7, s7, s28
	s_addc_u32 s21, s21, s29
	s_lshl_b64 s[24:25], s[24:25], 1
	s_mul_i32 s2, s2, s26
	s_add_u32 s14, s14, s24
	s_addc_u32 s15, s15, s25
	s_lshl_b64 s[2:3], s[2:3], 1
	s_mul_i32 s26, s46, s20
	v_mov_b32_e32 v5, 0
	s_add_u32 s14, s14, s2
	s_addc_u32 s15, s15, s3
	s_lshl_b64 s[2:3], s[26:27], 3
	s_mul_i32 s22, s34, s22
	s_add_u32 s18, s18, s2
	s_addc_u32 s19, s19, s3
	s_lshl_b64 s[2:3], s[22:23], 3
	ds_read_b96 v[1:3], v5 offset:1056
	s_add_u32 s18, s18, s2
	s_sext_i32_i16 s2, s35
	s_addc_u32 s19, s19, s3
	s_and_b32 s3, 0xffff, s35
	s_cmp_gt_i32 s2, -1
	s_mov_b32 s2, 0x8000
	v_add_nc_u32_e32 v10, -1, v0
	s_cselect_b32 s2, s2, 0xffff
	s_lshl_b32 s20, s35, 16
	s_xor_b32 s2, s2, s3
	v_cmp_o_f32_e64 s20, s20, s20
	v_lshrrev_b32_e32 v4, 3, v0
	v_lshrrev_b32_e32 v6, 3, v10
	v_mbcnt_lo_u32_b32 v9, -1, 0
	v_mov_b32_e32 v14, 0x8000
	s_and_b32 s3, s20, exec_lo
	s_clause 0x1
	s_load_dword s3, s[4:5], 0x1b0
	s_load_dwordx2 s[4:5], s[4:5], 0x508
	v_and_b32_e32 v4, 28, v4
	s_waitcnt lgkmcnt(0)
	v_add_nc_u32_e32 v1, v1, v2
	v_and_b32_e32 v11, 0x1ffffffc, v6
	v_and_b32_e32 v2, 0xfc, v0
	s_cselect_b32 s20, s2, 0xffff
	v_lshl_add_u32 v8, v0, 2, v4
	v_mad_u64_u32 v[6:7], null, s50, s33, v[0:1]
	v_lshlrev_b32_e32 v4, 5, v0
	v_cmp_gt_u32_e64 s2, 32, v0
	v_lshl_add_u32 v0, v10, 2, v11
	v_and_b32_e32 v11, 15, v9
	v_bfe_i32 v12, v9, 4, 1
	v_add_nc_u32_e32 v10, v2, v4
	v_add_nc_u32_e32 v13, -1, v9
	v_mov_b32_e32 v4, v6
                                        ; implicit-def: $vgpr15
	s_bitcmp1_b32 s3, 0
	s_cselect_b32 s3, -1, 0
	s_branch .LBB218_29
.LBB218_27:                             ;   in Loop: Header=BB218_29 Depth=1
	s_or_b32 exec_lo, exec_lo, s22
	v_add_nc_u32_e32 v1, v2, v1
.LBB218_28:                             ;   in Loop: Header=BB218_29 Depth=1
	v_add_nc_u32_e32 v3, v16, v3
	v_add_nc_u32_e32 v4, 0x100, v4
	s_add_i32 s6, s6, -1
	s_cmp_lg_u32 s6, 0
	s_cbranch_scc0 .LBB218_48
.LBB218_29:                             ; =>This Inner Loop Header: Depth=1
	v_mov_b32_e32 v2, v5
	v_mov_b32_e32 v6, v5
	s_mov_b32 s22, exec_lo
	v_cmpx_gt_u64_e64 s[8:9], v[4:5]
	s_cbranch_execz .LBB218_31
; %bb.30:                               ;   in Loop: Header=BB218_29 Depth=1
	v_mad_u64_u32 v[6:7], null, s12, v4, 0
	v_mov_b32_e32 v2, v7
	v_mad_u64_u32 v[15:16], null, s13, v4, v[2:3]
	v_mov_b32_e32 v7, v15
	v_lshlrev_b64 v[6:7], 1, v[6:7]
	v_add_co_u32 v6, vcc_lo, s7, v6
	v_add_co_ci_u32_e64 v7, null, s21, v7, vcc_lo
	global_load_ushort v15, v[6:7], off
	s_waitcnt vmcnt(0)
	v_cmp_lt_i16_e32 vcc_lo, -1, v15
	v_lshlrev_b32_e32 v6, 16, v15
	v_cndmask_b32_e32 v2, 0xffff, v14, vcc_lo
	v_cmp_o_f32_e32 vcc_lo, v6, v6
	v_xor_b32_sdwa v2, v2, v15 dst_sel:DWORD dst_unused:UNUSED_PAD src0_sel:DWORD src1_sel:WORD_0
	v_cndmask_b32_e32 v6, 0xffff, v2, vcc_lo
	v_cmp_lt_u32_e32 vcc_lo, s20, v6
	v_cndmask_b32_e64 v2, 0, 1, vcc_lo
	v_cmp_gt_u32_e32 vcc_lo, s20, v6
	v_cndmask_b32_e64 v7, 0, 1, vcc_lo
	v_cmp_eq_u32_e32 vcc_lo, s20, v6
	v_cndmask_b32_e64 v2, v7, v2, s3
	v_cndmask_b32_e64 v6, 0, 1, vcc_lo
	v_and_b32_e32 v2, 1, v2
.LBB218_31:                             ;   in Loop: Header=BB218_29 Depth=1
	s_or_b32 exec_lo, exec_lo, s22
	ds_write_b32 v8, v2
	s_waitcnt lgkmcnt(0)
	s_barrier
	buffer_gl0_inv
	s_and_saveexec_b32 s22, s2
	s_cbranch_execz .LBB218_33
; %bb.32:                               ;   in Loop: Header=BB218_29 Depth=1
	ds_read2_b32 v[16:17], v10 offset1:1
	ds_read2_b32 v[18:19], v10 offset0:2 offset1:3
	ds_read2_b32 v[20:21], v10 offset0:4 offset1:5
	;; [unrolled: 1-line block ×3, first 2 shown]
	v_cmp_ne_u32_e32 vcc_lo, 0, v11
	; wave barrier
	s_waitcnt lgkmcnt(3)
	v_add_nc_u32_e32 v7, v17, v16
	s_waitcnt lgkmcnt(2)
	v_add3_u32 v7, v7, v18, v19
	s_waitcnt lgkmcnt(1)
	v_add3_u32 v7, v7, v20, v21
	;; [unrolled: 2-line block ×3, first 2 shown]
	v_mov_b32_dpp v17, v7 row_shr:1 row_mask:0xf bank_mask:0xf
	v_cndmask_b32_e32 v17, 0, v17, vcc_lo
	v_cmp_lt_u32_e32 vcc_lo, 1, v11
	v_add_nc_u32_e32 v7, v17, v7
	v_mov_b32_dpp v17, v7 row_shr:2 row_mask:0xf bank_mask:0xf
	v_cndmask_b32_e32 v17, 0, v17, vcc_lo
	v_cmp_lt_u32_e32 vcc_lo, 3, v11
	v_add_nc_u32_e32 v7, v7, v17
	;; [unrolled: 4-line block ×3, first 2 shown]
	v_mov_b32_dpp v17, v7 row_shr:8 row_mask:0xf bank_mask:0xf
	v_cndmask_b32_e32 v17, 0, v17, vcc_lo
	v_cmp_gt_i32_e32 vcc_lo, 0, v13
	v_add_nc_u32_e32 v7, v7, v17
	v_cndmask_b32_e32 v18, v13, v9, vcc_lo
	ds_swizzle_b32 v17, v7 offset:swizzle(BROADCAST,32,15)
	v_lshlrev_b32_e32 v18, 2, v18
	s_waitcnt lgkmcnt(0)
	v_and_b32_e32 v17, v12, v17
	v_add_nc_u32_e32 v7, v7, v17
	ds_bpermute_b32 v7, v18, v7
	s_waitcnt lgkmcnt(0)
	v_add_nc_u32_e32 v7, v7, v16
	v_cndmask_b32_e64 v7, v7, v2, s1
	ds_write_b32 v10, v7
	; wave barrier
	ds_read2_b32 v[16:17], v10 offset0:1 offset1:2
	ds_read2_b32 v[18:19], v10 offset0:3 offset1:4
	;; [unrolled: 1-line block ×3, first 2 shown]
	ds_read_b32 v22, v10 offset:28
	s_waitcnt lgkmcnt(3)
	v_add_nc_u32_e32 v7, v16, v7
	v_add_nc_u32_e32 v16, v17, v7
	s_waitcnt lgkmcnt(2)
	v_add_nc_u32_e32 v17, v18, v16
	v_add_nc_u32_e32 v18, v19, v17
	s_waitcnt lgkmcnt(1)
	v_add_nc_u32_e32 v19, v20, v18
	v_add_nc_u32_e32 v20, v21, v19
	s_waitcnt lgkmcnt(0)
	v_add_nc_u32_e32 v21, v22, v20
	ds_write2_b32 v10, v7, v16 offset0:1 offset1:2
	ds_write2_b32 v10, v17, v18 offset0:3 offset1:4
	;; [unrolled: 1-line block ×3, first 2 shown]
	ds_write_b32 v10, v21 offset:28
.LBB218_33:                             ;   in Loop: Header=BB218_29 Depth=1
	s_or_b32 exec_lo, exec_lo, s22
	v_mov_b32_e32 v7, 0
	s_waitcnt lgkmcnt(0)
	s_barrier
	buffer_gl0_inv
	s_and_saveexec_b32 s22, s0
; %bb.34:                               ;   in Loop: Header=BB218_29 Depth=1
	ds_read_b32 v7, v0
; %bb.35:                               ;   in Loop: Header=BB218_29 Depth=1
	s_or_b32 exec_lo, exec_lo, s22
	ds_read_b32 v16, v5 offset:1048
	s_mov_b32 s22, exec_lo
	s_waitcnt lgkmcnt(0)
	s_barrier
	buffer_gl0_inv
	v_cmpx_ne_u32_e32 0, v2
	s_cbranch_execz .LBB218_37
; %bb.36:                               ;   in Loop: Header=BB218_29 Depth=1
	v_add_nc_u32_e32 v22, v7, v3
	v_mad_u64_u32 v[17:18], null, s16, v22, 0
	v_mad_u64_u32 v[19:20], null, s4, v22, 0
	v_mov_b32_e32 v2, v18
	v_mov_b32_e32 v7, v20
	v_mad_u64_u32 v[20:21], null, s17, v22, v[2:3]
	v_mad_u64_u32 v[21:22], null, s5, v22, v[7:8]
	v_mov_b32_e32 v18, v20
	v_mov_b32_e32 v20, v21
	v_lshlrev_b64 v[17:18], 1, v[17:18]
	v_lshlrev_b64 v[19:20], 3, v[19:20]
	v_add_co_u32 v17, vcc_lo, s14, v17
	v_add_co_ci_u32_e64 v18, null, s15, v18, vcc_lo
	v_add_co_u32 v19, vcc_lo, s18, v19
	v_add_co_ci_u32_e64 v20, null, s19, v20, vcc_lo
	global_store_short v[17:18], v15, off
	global_store_dwordx2 v[19:20], v[4:5], off
.LBB218_37:                             ;   in Loop: Header=BB218_29 Depth=1
	s_or_b32 exec_lo, exec_lo, s22
	v_mov_b32_e32 v2, v5
	v_cmp_le_u64_e32 vcc_lo, s[10:11], v[1:2]
	s_cbranch_vccnz .LBB218_28
; %bb.38:                               ;   in Loop: Header=BB218_29 Depth=1
	ds_write_b32 v8, v6
	s_waitcnt lgkmcnt(0)
	s_waitcnt_vscnt null, 0x0
	s_barrier
	buffer_gl0_inv
	s_and_saveexec_b32 s22, s2
	s_cbranch_execz .LBB218_40
; %bb.39:                               ;   in Loop: Header=BB218_29 Depth=1
	ds_read2_b32 v[17:18], v10 offset1:1
	ds_read2_b32 v[19:20], v10 offset0:2 offset1:3
	ds_read2_b32 v[21:22], v10 offset0:4 offset1:5
	ds_read2_b32 v[23:24], v10 offset0:6 offset1:7
	v_cmp_ne_u32_e32 vcc_lo, 0, v11
	; wave barrier
	s_waitcnt lgkmcnt(3)
	v_add_nc_u32_e32 v2, v18, v17
	s_waitcnt lgkmcnt(2)
	v_add3_u32 v2, v2, v19, v20
	s_waitcnt lgkmcnt(1)
	v_add3_u32 v2, v2, v21, v22
	;; [unrolled: 2-line block ×3, first 2 shown]
	v_mov_b32_dpp v7, v2 row_shr:1 row_mask:0xf bank_mask:0xf
	v_cndmask_b32_e32 v7, 0, v7, vcc_lo
	v_cmp_lt_u32_e32 vcc_lo, 1, v11
	v_add_nc_u32_e32 v2, v7, v2
	v_mov_b32_dpp v7, v2 row_shr:2 row_mask:0xf bank_mask:0xf
	v_cndmask_b32_e32 v7, 0, v7, vcc_lo
	v_cmp_lt_u32_e32 vcc_lo, 3, v11
	v_add_nc_u32_e32 v2, v2, v7
	;; [unrolled: 4-line block ×3, first 2 shown]
	v_mov_b32_dpp v7, v2 row_shr:8 row_mask:0xf bank_mask:0xf
	v_cndmask_b32_e32 v7, 0, v7, vcc_lo
	v_cmp_gt_i32_e32 vcc_lo, 0, v13
	v_add_nc_u32_e32 v2, v2, v7
	v_cndmask_b32_e32 v18, v13, v9, vcc_lo
	ds_swizzle_b32 v7, v2 offset:swizzle(BROADCAST,32,15)
	v_lshlrev_b32_e32 v18, 2, v18
	s_waitcnt lgkmcnt(0)
	v_and_b32_e32 v7, v12, v7
	v_add_nc_u32_e32 v2, v2, v7
	ds_bpermute_b32 v2, v18, v2
	s_waitcnt lgkmcnt(0)
	v_add_nc_u32_e32 v2, v2, v17
	v_cndmask_b32_e64 v2, v2, v6, s1
	ds_write_b32 v10, v2
	; wave barrier
	ds_read2_b32 v[17:18], v10 offset0:1 offset1:2
	ds_read2_b32 v[19:20], v10 offset0:3 offset1:4
	;; [unrolled: 1-line block ×3, first 2 shown]
	ds_read_b32 v7, v10 offset:28
	s_waitcnt lgkmcnt(3)
	v_add_nc_u32_e32 v2, v17, v2
	v_add_nc_u32_e32 v17, v18, v2
	s_waitcnt lgkmcnt(2)
	v_add_nc_u32_e32 v18, v19, v17
	v_add_nc_u32_e32 v19, v20, v18
	;; [unrolled: 3-line block ×3, first 2 shown]
	s_waitcnt lgkmcnt(0)
	v_add_nc_u32_e32 v7, v7, v21
	ds_write2_b32 v10, v2, v17 offset0:1 offset1:2
	ds_write2_b32 v10, v18, v19 offset0:3 offset1:4
	;; [unrolled: 1-line block ×3, first 2 shown]
	ds_write_b32 v10, v7 offset:28
.LBB218_40:                             ;   in Loop: Header=BB218_29 Depth=1
	s_or_b32 exec_lo, exec_lo, s22
	v_mov_b32_e32 v7, 0
	s_waitcnt lgkmcnt(0)
	s_barrier
	buffer_gl0_inv
	s_and_saveexec_b32 s22, s0
; %bb.41:                               ;   in Loop: Header=BB218_29 Depth=1
	ds_read_b32 v7, v0
; %bb.42:                               ;   in Loop: Header=BB218_29 Depth=1
	s_or_b32 exec_lo, exec_lo, s22
	ds_read_b32 v2, v5 offset:1048
	s_mov_b32 s22, exec_lo
	s_waitcnt lgkmcnt(0)
	s_barrier
	buffer_gl0_inv
	v_cmpx_ne_u32_e32 0, v6
	s_cbranch_execz .LBB218_27
; %bb.43:                               ;   in Loop: Header=BB218_29 Depth=1
	v_add_nc_u32_e32 v6, v7, v1
	v_mov_b32_e32 v7, v5
	v_cmp_gt_u64_e32 vcc_lo, s[10:11], v[6:7]
	s_and_b32 exec_lo, exec_lo, vcc_lo
	s_cbranch_execz .LBB218_27
; %bb.44:                               ;   in Loop: Header=BB218_29 Depth=1
	v_mad_u64_u32 v[17:18], null, s16, v6, 0
	v_mad_u64_u32 v[19:20], null, s4, v6, 0
	v_mov_b32_e32 v7, v18
	v_mov_b32_e32 v18, v20
	v_mad_u64_u32 v[20:21], null, s17, v6, v[7:8]
	v_mad_u64_u32 v[6:7], null, s5, v6, v[18:19]
	v_mov_b32_e32 v18, v20
	v_mov_b32_e32 v20, v6
	v_lshlrev_b64 v[6:7], 1, v[17:18]
	v_lshlrev_b64 v[17:18], 3, v[19:20]
	v_add_co_u32 v6, vcc_lo, s14, v6
	v_add_co_ci_u32_e64 v7, null, s15, v7, vcc_lo
	v_add_co_u32 v17, vcc_lo, s18, v17
	v_add_co_ci_u32_e64 v18, null, s19, v18, vcc_lo
	global_store_short v[6:7], v15, off
	global_store_dwordx2 v[17:18], v[4:5], off
	s_branch .LBB218_27
	.p2align	6
.LBB218_45:                             ;   in Loop: Header=BB218_46 Depth=1
	s_add_u32 s12, s12, 4
	s_addc_u32 s13, s13, 0
	s_waitcnt lgkmcnt(0)
	s_add_i32 s25, s3, s25
	s_add_u32 s14, s14, 4
	s_addc_u32 s15, s15, 0
	s_add_i32 s2, s2, 1
	s_cmp_lt_u32 s2, s7
	s_cbranch_scc0 .LBB218_24
.LBB218_46:                             ; =>This Inner Loop Header: Depth=1
	s_load_dword s3, s[12:13], 0x0
	s_cmp_ge_u32 s2, s50
	s_cbranch_scc1 .LBB218_45
; %bb.47:                               ;   in Loop: Header=BB218_46 Depth=1
	s_load_dword s18, s[14:15], 0x0
	s_waitcnt lgkmcnt(0)
	s_add_i32 s17, s3, s17
	s_add_i32 s16, s18, s16
	s_branch .LBB218_45
.LBB218_48:
	s_endpgm
	.section	.rodata,"a",@progbits
	.p2align	6, 0x0
	.amdhsa_kernel _ZN2at6native6mbtopk10gatherTopKIN3c108BFloat16EmLi2EEEvNS_4cuda6detail10TensorInfoIKT_T0_EESA_SA_bjSA_NS7_IS8_SA_EESA_NS7_IlSA_EESA_jjPS8_PjSF_j
		.amdhsa_group_segment_fixed_size 1068
		.amdhsa_private_segment_fixed_size 0
		.amdhsa_kernarg_size 1592
		.amdhsa_user_sgpr_count 6
		.amdhsa_user_sgpr_private_segment_buffer 1
		.amdhsa_user_sgpr_dispatch_ptr 0
		.amdhsa_user_sgpr_queue_ptr 0
		.amdhsa_user_sgpr_kernarg_segment_ptr 1
		.amdhsa_user_sgpr_dispatch_id 0
		.amdhsa_user_sgpr_flat_scratch_init 0
		.amdhsa_user_sgpr_private_segment_size 0
		.amdhsa_wavefront_size32 1
		.amdhsa_uses_dynamic_stack 0
		.amdhsa_system_sgpr_private_segment_wavefront_offset 0
		.amdhsa_system_sgpr_workgroup_id_x 1
		.amdhsa_system_sgpr_workgroup_id_y 1
		.amdhsa_system_sgpr_workgroup_id_z 1
		.amdhsa_system_sgpr_workgroup_info 0
		.amdhsa_system_vgpr_workitem_id 0
		.amdhsa_next_free_vgpr 25
		.amdhsa_next_free_sgpr 51
		.amdhsa_reserve_vcc 1
		.amdhsa_reserve_flat_scratch 0
		.amdhsa_float_round_mode_32 0
		.amdhsa_float_round_mode_16_64 0
		.amdhsa_float_denorm_mode_32 3
		.amdhsa_float_denorm_mode_16_64 3
		.amdhsa_dx10_clamp 1
		.amdhsa_ieee_mode 1
		.amdhsa_fp16_overflow 0
		.amdhsa_workgroup_processor_mode 1
		.amdhsa_memory_ordered 1
		.amdhsa_forward_progress 1
		.amdhsa_shared_vgpr_count 0
		.amdhsa_exception_fp_ieee_invalid_op 0
		.amdhsa_exception_fp_denorm_src 0
		.amdhsa_exception_fp_ieee_div_zero 0
		.amdhsa_exception_fp_ieee_overflow 0
		.amdhsa_exception_fp_ieee_underflow 0
		.amdhsa_exception_fp_ieee_inexact 0
		.amdhsa_exception_int_div_zero 0
	.end_amdhsa_kernel
	.section	.text._ZN2at6native6mbtopk10gatherTopKIN3c108BFloat16EmLi2EEEvNS_4cuda6detail10TensorInfoIKT_T0_EESA_SA_bjSA_NS7_IS8_SA_EESA_NS7_IlSA_EESA_jjPS8_PjSF_j,"axG",@progbits,_ZN2at6native6mbtopk10gatherTopKIN3c108BFloat16EmLi2EEEvNS_4cuda6detail10TensorInfoIKT_T0_EESA_SA_bjSA_NS7_IS8_SA_EESA_NS7_IlSA_EESA_jjPS8_PjSF_j,comdat
.Lfunc_end218:
	.size	_ZN2at6native6mbtopk10gatherTopKIN3c108BFloat16EmLi2EEEvNS_4cuda6detail10TensorInfoIKT_T0_EESA_SA_bjSA_NS7_IS8_SA_EESA_NS7_IlSA_EESA_jjPS8_PjSF_j, .Lfunc_end218-_ZN2at6native6mbtopk10gatherTopKIN3c108BFloat16EmLi2EEEvNS_4cuda6detail10TensorInfoIKT_T0_EESA_SA_bjSA_NS7_IS8_SA_EESA_NS7_IlSA_EESA_jjPS8_PjSF_j
                                        ; -- End function
	.set _ZN2at6native6mbtopk10gatherTopKIN3c108BFloat16EmLi2EEEvNS_4cuda6detail10TensorInfoIKT_T0_EESA_SA_bjSA_NS7_IS8_SA_EESA_NS7_IlSA_EESA_jjPS8_PjSF_j.num_vgpr, 25
	.set _ZN2at6native6mbtopk10gatherTopKIN3c108BFloat16EmLi2EEEvNS_4cuda6detail10TensorInfoIKT_T0_EESA_SA_bjSA_NS7_IS8_SA_EESA_NS7_IlSA_EESA_jjPS8_PjSF_j.num_agpr, 0
	.set _ZN2at6native6mbtopk10gatherTopKIN3c108BFloat16EmLi2EEEvNS_4cuda6detail10TensorInfoIKT_T0_EESA_SA_bjSA_NS7_IS8_SA_EESA_NS7_IlSA_EESA_jjPS8_PjSF_j.numbered_sgpr, 51
	.set _ZN2at6native6mbtopk10gatherTopKIN3c108BFloat16EmLi2EEEvNS_4cuda6detail10TensorInfoIKT_T0_EESA_SA_bjSA_NS7_IS8_SA_EESA_NS7_IlSA_EESA_jjPS8_PjSF_j.num_named_barrier, 0
	.set _ZN2at6native6mbtopk10gatherTopKIN3c108BFloat16EmLi2EEEvNS_4cuda6detail10TensorInfoIKT_T0_EESA_SA_bjSA_NS7_IS8_SA_EESA_NS7_IlSA_EESA_jjPS8_PjSF_j.private_seg_size, 0
	.set _ZN2at6native6mbtopk10gatherTopKIN3c108BFloat16EmLi2EEEvNS_4cuda6detail10TensorInfoIKT_T0_EESA_SA_bjSA_NS7_IS8_SA_EESA_NS7_IlSA_EESA_jjPS8_PjSF_j.uses_vcc, 1
	.set _ZN2at6native6mbtopk10gatherTopKIN3c108BFloat16EmLi2EEEvNS_4cuda6detail10TensorInfoIKT_T0_EESA_SA_bjSA_NS7_IS8_SA_EESA_NS7_IlSA_EESA_jjPS8_PjSF_j.uses_flat_scratch, 0
	.set _ZN2at6native6mbtopk10gatherTopKIN3c108BFloat16EmLi2EEEvNS_4cuda6detail10TensorInfoIKT_T0_EESA_SA_bjSA_NS7_IS8_SA_EESA_NS7_IlSA_EESA_jjPS8_PjSF_j.has_dyn_sized_stack, 0
	.set _ZN2at6native6mbtopk10gatherTopKIN3c108BFloat16EmLi2EEEvNS_4cuda6detail10TensorInfoIKT_T0_EESA_SA_bjSA_NS7_IS8_SA_EESA_NS7_IlSA_EESA_jjPS8_PjSF_j.has_recursion, 0
	.set _ZN2at6native6mbtopk10gatherTopKIN3c108BFloat16EmLi2EEEvNS_4cuda6detail10TensorInfoIKT_T0_EESA_SA_bjSA_NS7_IS8_SA_EESA_NS7_IlSA_EESA_jjPS8_PjSF_j.has_indirect_call, 0
	.section	.AMDGPU.csdata,"",@progbits
; Kernel info:
; codeLenInByte = 3088
; TotalNumSgprs: 53
; NumVgprs: 25
; ScratchSize: 0
; MemoryBound: 0
; FloatMode: 240
; IeeeMode: 1
; LDSByteSize: 1068 bytes/workgroup (compile time only)
; SGPRBlocks: 0
; VGPRBlocks: 3
; NumSGPRsForWavesPerEU: 53
; NumVGPRsForWavesPerEU: 25
; Occupancy: 16
; WaveLimiterHint : 1
; COMPUTE_PGM_RSRC2:SCRATCH_EN: 0
; COMPUTE_PGM_RSRC2:USER_SGPR: 6
; COMPUTE_PGM_RSRC2:TRAP_HANDLER: 0
; COMPUTE_PGM_RSRC2:TGID_X_EN: 1
; COMPUTE_PGM_RSRC2:TGID_Y_EN: 1
; COMPUTE_PGM_RSRC2:TGID_Z_EN: 1
; COMPUTE_PGM_RSRC2:TIDIG_COMP_CNT: 0
	.section	.text._ZN2at6native6sbtopk10gatherTopKIN3c108BFloat16EmLi2ELb0EEEvNS_4cuda6detail10TensorInfoIKT_T0_EESA_SA_bSA_SA_NS7_IS8_SA_EESA_NS7_IlSA_EESA_PS8_,"axG",@progbits,_ZN2at6native6sbtopk10gatherTopKIN3c108BFloat16EmLi2ELb0EEEvNS_4cuda6detail10TensorInfoIKT_T0_EESA_SA_bSA_SA_NS7_IS8_SA_EESA_NS7_IlSA_EESA_PS8_,comdat
	.protected	_ZN2at6native6sbtopk10gatherTopKIN3c108BFloat16EmLi2ELb0EEEvNS_4cuda6detail10TensorInfoIKT_T0_EESA_SA_bSA_SA_NS7_IS8_SA_EESA_NS7_IlSA_EESA_PS8_ ; -- Begin function _ZN2at6native6sbtopk10gatherTopKIN3c108BFloat16EmLi2ELb0EEEvNS_4cuda6detail10TensorInfoIKT_T0_EESA_SA_bSA_SA_NS7_IS8_SA_EESA_NS7_IlSA_EESA_PS8_
	.globl	_ZN2at6native6sbtopk10gatherTopKIN3c108BFloat16EmLi2ELb0EEEvNS_4cuda6detail10TensorInfoIKT_T0_EESA_SA_bSA_SA_NS7_IS8_SA_EESA_NS7_IlSA_EESA_PS8_
	.p2align	8
	.type	_ZN2at6native6sbtopk10gatherTopKIN3c108BFloat16EmLi2ELb0EEEvNS_4cuda6detail10TensorInfoIKT_T0_EESA_SA_bSA_SA_NS7_IS8_SA_EESA_NS7_IlSA_EESA_PS8_,@function
_ZN2at6native6sbtopk10gatherTopKIN3c108BFloat16EmLi2ELb0EEEvNS_4cuda6detail10TensorInfoIKT_T0_EESA_SA_bSA_SA_NS7_IS8_SA_EESA_NS7_IlSA_EESA_PS8_: ; @_ZN2at6native6sbtopk10gatherTopKIN3c108BFloat16EmLi2ELb0EEEvNS_4cuda6detail10TensorInfoIKT_T0_EESA_SA_bSA_SA_NS7_IS8_SA_EESA_NS7_IlSA_EESA_PS8_
; %bb.0:
	s_clause 0x1
	s_load_dwordx2 s[14:15], s[4:5], 0x520
	s_load_dwordx4 s[28:31], s[4:5], 0x1b8
	s_add_u32 s12, s4, 0x520
	s_addc_u32 s13, s5, 0
	s_mov_b32 s35, 0
	s_waitcnt lgkmcnt(0)
	s_mul_i32 s0, s15, s8
	s_add_i32 s0, s0, s7
	s_mul_i32 s0, s0, s14
	s_add_i32 s34, s0, s6
	v_cmp_le_u64_e64 s0, s[28:29], s[34:35]
	s_and_b32 vcc_lo, exec_lo, s0
	s_cbranch_vccnz .LBB219_478
; %bb.1:
	s_clause 0x2
	s_load_dwordx2 s[16:17], s[4:5], 0x10
	s_load_dwordx2 s[28:29], s[4:5], 0x380
	;; [unrolled: 1-line block ×3, first 2 shown]
	s_mov_b64 s[48:49], 0
	s_waitcnt lgkmcnt(0)
	v_cmp_lt_u64_e64 s0, s[34:35], s[16:17]
	s_and_b32 vcc_lo, exec_lo, s0
	s_mov_b64 s[0:1], 0
	s_cbranch_vccnz .LBB219_3
; %bb.2:
	v_cvt_f32_u32_e32 v1, s16
	s_sub_i32 s1, 0, s16
	v_rcp_iflag_f32_e32 v1, v1
	v_mul_f32_e32 v1, 0x4f7ffffe, v1
	v_cvt_u32_f32_e32 v1, v1
	v_readfirstlane_b32 s0, v1
	s_mul_i32 s1, s1, s0
	s_mul_hi_u32 s1, s0, s1
	s_add_i32 s0, s0, s1
	s_mul_hi_u32 s0, s34, s0
	s_mul_i32 s1, s0, s16
	s_add_i32 s2, s0, 1
	s_sub_i32 s1, s34, s1
	s_sub_i32 s3, s1, s16
	s_cmp_ge_u32 s1, s16
	s_cselect_b32 s0, s2, s0
	s_cselect_b32 s1, s3, s1
	s_add_i32 s2, s0, 1
	s_cmp_ge_u32 s1, s16
	s_cselect_b32 s0, s2, s0
.LBB219_3:
	v_cmp_lt_u64_e64 s1, s[34:35], s[50:51]
	s_and_b32 vcc_lo, exec_lo, s1
	s_cbranch_vccnz .LBB219_5
; %bb.4:
	v_cvt_f32_u32_e32 v1, s50
	s_sub_i32 s2, 0, s50
	v_rcp_iflag_f32_e32 v1, v1
	v_mul_f32_e32 v1, 0x4f7ffffe, v1
	v_cvt_u32_f32_e32 v1, v1
	v_readfirstlane_b32 s1, v1
	s_mul_i32 s2, s2, s1
	s_mul_hi_u32 s2, s1, s2
	s_add_i32 s1, s1, s2
	s_mul_hi_u32 s1, s34, s1
	s_mul_i32 s2, s1, s50
	s_add_i32 s3, s1, 1
	s_sub_i32 s2, s34, s2
	s_sub_i32 s7, s2, s50
	s_cmp_ge_u32 s2, s50
	s_cselect_b32 s1, s3, s1
	s_cselect_b32 s2, s7, s2
	s_add_i32 s3, s1, 1
	s_cmp_ge_u32 s2, s50
	s_cselect_b32 s48, s3, s1
.LBB219_5:
	s_load_dwordx2 s[18:19], s[4:5], 0x0
	v_cmp_lt_u64_e64 s1, s[34:35], s[28:29]
	s_mov_b64 s[52:53], 0
	s_and_b32 vcc_lo, exec_lo, s1
	s_cbranch_vccnz .LBB219_7
; %bb.6:
	v_cvt_f32_u32_e32 v1, s28
	s_sub_i32 s2, 0, s28
	v_rcp_iflag_f32_e32 v1, v1
	v_mul_f32_e32 v1, 0x4f7ffffe, v1
	v_cvt_u32_f32_e32 v1, v1
	v_readfirstlane_b32 s1, v1
	s_mul_i32 s2, s2, s1
	s_mul_hi_u32 s2, s1, s2
	s_add_i32 s1, s1, s2
	s_mul_hi_u32 s1, s34, s1
	s_mul_i32 s2, s1, s28
	s_add_i32 s3, s1, 1
	s_sub_i32 s2, s34, s2
	s_sub_i32 s7, s2, s28
	s_cmp_ge_u32 s2, s28
	s_cselect_b32 s1, s3, s1
	s_cselect_b32 s2, s7, s2
	s_add_i32 s3, s1, 1
	s_cmp_ge_u32 s2, s28
	s_cselect_b32 s52, s3, s1
.LBB219_7:
	s_clause 0x2
	s_load_dwordx2 s[2:3], s[4:5], 0x370
	; meta instruction
	s_load_dwordx4 s[8:11], s[4:5], 0xd0
	s_load_dwordx4 s[36:39], s[4:5], 0x1a0
	s_mov_b32 s59, 0
	s_waitcnt lgkmcnt(0)
	v_writelane_b32 v43, s2, 0
	v_writelane_b32 v43, s3, 1
	s_load_dwordx2 s[2:3], s[4:5], 0x1c8
	s_waitcnt lgkmcnt(0)
	v_writelane_b32 v43, s2, 2
	v_writelane_b32 v43, s3, 3
	v_cmp_eq_u32_e64 s3, 0, v0
	s_and_saveexec_b32 s1, s3
	s_cbranch_execz .LBB219_9
; %bb.8:
	v_mov_b32_e32 v1, 0
	v_mov_b32_e32 v3, s36
	;; [unrolled: 1-line block ×4, first 2 shown]
	ds_write_b32 v1, v1 offset:5144
	ds_write_b128 v1, v[1:4] offset:5120
.LBB219_9:
	s_or_b32 exec_lo, exec_lo, s1
	s_mul_i32 s1, s0, s17
	s_mul_hi_u32 s2, s0, s16
	s_mul_i32 s7, s0, s16
	s_add_i32 s2, s2, s1
	s_sub_u32 s7, s34, s7
	s_subb_u32 s2, 0, s2
	s_mul_i32 s1, s7, s11
	s_mul_hi_u32 s15, s7, s10
	s_load_dword s11, s[4:5], 0x1b0
	s_add_i32 s15, s15, s1
	s_mul_i32 s1, s0, s9
	s_mul_hi_u32 s9, s0, s8
	s_mul_i32 s0, s0, s8
	s_add_i32 s1, s9, s1
	s_mul_i32 s2, s2, s10
	v_mad_u64_u32 v[1:2], null, s30, v0, 0
	s_lshl_b64 s[0:1], s[0:1], 1
	s_add_i32 s9, s15, s2
	s_mul_i32 s8, s7, s10
	s_add_u32 s2, s18, s0
	s_addc_u32 s7, s19, s1
	s_lshl_b64 s[0:1], s[8:9], 1
	s_waitcnt lgkmcnt(0)
	s_add_u32 s33, s2, s0
	s_addc_u32 s35, s7, s1
	s_barrier
	buffer_gl0_inv
	s_load_dword s7, s[12:13], 0xc
	v_mad_u64_u32 v[2:3], null, s31, v0, v[2:3]
	v_mbcnt_lo_u32_b32 v24, -1, 0
	v_cmp_gt_u32_e32 vcc_lo, 32, v0
	v_mov_b32_e32 v3, 0
	s_bitcmp1_b32 s11, 0
	v_lshlrev_b32_e32 v25, 1, v0
	v_cmp_gt_i32_e64 s2, 4, v24
	v_lshlrev_b64 v[4:5], 1, v[1:2]
	v_add_nc_u32_e32 v2, 2, v0
	s_cselect_b32 s1, -1, 0
	v_mov_b32_e32 v1, v3
	s_and_b32 s78, vcc_lo, s2
	s_xor_b32 s53, s1, -1
	v_add_co_u32 v12, vcc_lo, s33, v4
	v_add_co_ci_u32_e64 v13, null, s35, v5, vcc_lo
	v_lshlrev_b64 v[4:5], v24, -1
	v_cmp_gt_u64_e32 vcc_lo, s[36:37], v[2:3]
	s_waitcnt lgkmcnt(0)
	s_and_b32 s49, s7, 0xffff
	v_cmp_lt_u64_e64 s79, 0x600, s[36:37]
	s_bfe_u32 s8, s49, 0x80008
	v_cmp_gt_u64_e64 s2, s[36:37], v[0:1]
	v_not_b32_e32 v23, v4
	v_cndmask_b32_e64 v2, v2, s36, vcc_lo
	v_not_b32_e32 v4, v0
	s_lshl_b32 s80, s8, 3
	s_bfe_u32 s8, s7, 0xb0005
	s_cmp_gt_u32 s49, 31
	v_cndmask_b32_e64 v5, 0, s37, vcc_lo
	s_cselect_b32 s81, -1, 0
	s_add_u32 s82, s49, -1
	s_addc_u32 s83, 0, -1
	v_add_co_u32 v4, vcc_lo, v2, v4
	s_add_u32 s84, s82, s36
	s_addc_u32 s61, s83, s37
	v_add_co_ci_u32_e64 v5, null, -1, v5, vcc_lo
	s_cmp_lt_u32 s6, s14
	v_and_b32_e32 v16, -2, v4
	s_cselect_b32 s7, 12, 18
	v_mov_b32_e32 v17, v5
	s_add_u32 s62, s12, s7
	s_movk_i32 s6, 0x3e0
	s_addc_u32 s63, s13, 0
	s_add_i32 s8, s8, -1
	v_and_or_b32 v27, v0, s6, 0xc00
	s_and_b32 s6, s8, 0xffff
	s_bfe_u32 s86, s49, 0x30005
	v_cmp_lt_u64_e64 s7, 1, v[4:5]
	s_cmp_gt_u32 s6, 6
	v_cmp_ne_u64_e64 s8, v[4:5], v[16:17]
	v_mov_b32_e32 v19, s38
	v_cmp_eq_u32_e64 s0, 0, v24
	v_lshlrev_b32_e32 v14, 2, v0
	v_mov_b32_e32 v15, v3
	v_cmp_gt_u32_e64 s10, 2, v0
	v_add_nc_u32_e32 v26, 0xc00, v25
	v_add_co_u32 v18, vcc_lo, v16, v0
	v_lshlrev_b32_e32 v29, 3, v0
	v_lshl_or_b32 v30, v24, 3, 0xc00
	v_mov_b32_e32 v20, s39
	v_mov_b32_e32 v31, 0x8000
	v_mov_b32_e32 v32, -1
	v_mov_b32_e32 v34, 0
	v_mov_b32_e32 v28, 0
	;; [unrolled: 1-line block ×3, first 2 shown]
	s_cselect_b32 s88, -1, 0
	s_cmp_lg_u32 s86, 0
	s_mov_b32 s85, s30
	s_mov_b32 s87, s31
	s_cselect_b32 s89, -1, 0
	s_lshl_b32 s90, s49, 1
	s_mov_b32 s91, 14
	s_movk_i32 s93, 0x3f80
	s_mov_b32 s92, 0
	s_mov_b32 s95, 0
	v_add_co_ci_u32_e64 v2, null, 0, v5, vcc_lo
                                        ; implicit-def: $sgpr94
                                        ; implicit-def: $sgpr98
                                        ; implicit-def: $sgpr97
                                        ; implicit-def: $sgpr99
                                        ; implicit-def: $sgpr96
                                        ; implicit-def: $sgpr41
                                        ; implicit-def: $sgpr42
                                        ; implicit-def: $sgpr104
                                        ; implicit-def: $sgpr40
                                        ; implicit-def: $vcc_hi
	s_branch .LBB219_12
.LBB219_10:                             ;   in Loop: Header=BB219_12 Depth=1
	s_or_b32 exec_lo, exec_lo, s12
	v_mov_b32_e32 v20, v5
	v_mov_b32_e32 v19, v4
	s_andn2_b32 s12, vcc_hi, exec_lo
	s_and_b32 s11, s11, exec_lo
	s_andn2_b32 s40, s40, exec_lo
	s_or_b32 vcc_hi, s12, s11
	s_andn2_b32 s104, s104, exec_lo
	s_andn2_b32 s42, s42, exec_lo
	;; [unrolled: 1-line block ×3, first 2 shown]
	s_orn2_b32 s11, s9, exec_lo
.LBB219_11:                             ;   in Loop: Header=BB219_12 Depth=1
	s_or_b32 exec_lo, exec_lo, s6
	s_and_b32 s6, exec_lo, s11
	s_or_b32 s92, s6, s92
	s_andn2_b32 s6, s96, exec_lo
	s_and_b32 s9, vcc_hi, exec_lo
	s_andn2_b32 s11, s99, exec_lo
	s_or_b32 s96, s6, s9
	s_and_b32 s6, s40, exec_lo
	s_andn2_b32 s9, s97, exec_lo
	s_and_b32 s12, s104, exec_lo
	s_or_b32 s99, s11, s6
	s_or_b32 s97, s9, s12
	s_andn2_b32 s6, s98, exec_lo
	s_and_b32 s9, s42, exec_lo
	s_andn2_b32 s11, s94, exec_lo
	s_and_b32 s12, s41, exec_lo
	s_or_b32 s98, s6, s9
	s_or_b32 s94, s11, s12
	s_andn2_b32 exec_lo, exec_lo, s92
	s_cbranch_execz .LBB219_474
.LBB219_12:                             ; =>This Loop Header: Depth=1
                                        ;     Child Loop BB219_17 Depth 2
                                        ;     Child Loop BB219_31 Depth 2
	;; [unrolled: 1-line block ×25, first 2 shown]
	ds_read_b128 v[4:7], v3 offset:5120
	s_waitcnt lgkmcnt(0)
	v_readfirstlane_b32 s65, v5
	v_readfirstlane_b32 s64, v4
	s_cmp_lg_u64 s[64:65], 0
	s_cbranch_scc1 .LBB219_44
; %bb.13:                               ;   in Loop: Header=BB219_12 Depth=1
	s_and_b32 vcc_lo, exec_lo, s79
	s_cbranch_vccz .LBB219_25
; %bb.14:                               ;   in Loop: Header=BB219_12 Depth=1
	v_cmp_gt_u64_e32 vcc_lo, 0x601, v[6:7]
	s_mov_b32 s11, 0
	s_mov_b32 s6, 0
	s_cbranch_vccz .LBB219_26
; %bb.15:                               ;   in Loop: Header=BB219_12 Depth=1
	global_load_ushort v2, v3, s[62:63]
	global_load_ushort v6, v[12:13], off
	v_mov_b32_e32 v5, v1
	v_mov_b32_e32 v4, v0
	s_mov_b32 s12, 0
	s_waitcnt vmcnt(1)
	v_and_b32_e32 v2, 0xffff, v2
	s_branch .LBB219_17
.LBB219_16:                             ;   in Loop: Header=BB219_17 Depth=2
	s_or_b32 exec_lo, exec_lo, s9
	v_mov_b32_e32 v6, v7
	s_andn2_b32 exec_lo, exec_lo, s12
	s_cbranch_execz .LBB219_98
.LBB219_17:                             ;   Parent Loop BB219_12 Depth=1
                                        ; =>  This Inner Loop Header: Depth=2
	v_add_co_u32 v4, vcc_lo, v4, v2
	v_add_co_ci_u32_e64 v5, null, 0, v5, vcc_lo
	s_waitcnt lgkmcnt(0)
	v_mov_b32_e32 v8, 0
	v_mov_b32_e32 v7, 0
	s_mov_b32 s9, exec_lo
	v_cmp_le_u64_e32 vcc_lo, s[36:37], v[4:5]
	v_cmpx_gt_u64_e64 s[36:37], v[4:5]
	s_cbranch_execz .LBB219_19
; %bb.18:                               ;   in Loop: Header=BB219_17 Depth=2
	v_mul_lo_u32 v7, v5, s30
	v_mul_lo_u32 v11, v4, s31
	v_mad_u64_u32 v[9:10], null, v4, s30, 0
	v_add3_u32 v10, v10, v11, v7
	v_lshlrev_b64 v[9:10], 1, v[9:10]
	v_add_co_u32 v9, s6, s33, v9
	v_add_co_ci_u32_e64 v10, null, s35, v10, s6
	global_load_ushort v7, v[9:10], off
.LBB219_19:                             ;   in Loop: Header=BB219_17 Depth=2
	s_or_b32 exec_lo, exec_lo, s9
	s_waitcnt vmcnt(0)
	v_cmp_lt_i16_e64 s6, -1, v6
	v_lshlrev_b32_e32 v10, 16, v6
	v_cndmask_b32_e64 v9, 0xffff, v31, s6
	v_cmp_o_f32_e64 s6, v10, v10
	v_xor_b32_sdwa v9, v9, v6 dst_sel:DWORD dst_unused:UNUSED_PAD src0_sel:DWORD src1_sel:WORD_0
	v_cndmask_b32_e64 v9, 0xffff, v9, s6
	v_and_b32_e32 v9, v9, v33
	v_cmp_eq_u32_e64 s6, v9, v28
	s_cmp_lg_u32 s6, 0
	s_cselect_b32 s9, -1, 0
	s_and_b32 s9, s0, s9
	s_and_saveexec_b32 s13, s9
	s_cbranch_execz .LBB219_23
; %bb.20:                               ;   in Loop: Header=BB219_17 Depth=2
	s_mov_b32 s16, exec_lo
	s_bcnt1_i32_b32 s14, s6
	v_mbcnt_lo_u32_b32 v8, s16, 0
	s_mov_b32 s15, exec_lo
                                        ; implicit-def: $vgpr9
	v_cmpx_eq_u32_e32 0, v8
; %bb.21:                               ;   in Loop: Header=BB219_17 Depth=2
	s_bcnt1_i32_b32 s9, s16
	s_mul_i32 s9, s14, s9
	v_mov_b32_e32 v9, s9
	ds_add_rtn_u32 v9, v3, v9 offset:5144
; %bb.22:                               ;   in Loop: Header=BB219_17 Depth=2
	s_or_b32 exec_lo, exec_lo, s15
	s_waitcnt lgkmcnt(0)
	v_readfirstlane_b32 s9, v9
	v_mad_u32_u24 v8, s14, v8, s9
.LBB219_23:                             ;   in Loop: Header=BB219_17 Depth=2
	s_or_b32 exec_lo, exec_lo, s13
	ds_bpermute_b32 v8, v3, v8
	s_and_b32 s9, exec_lo, vcc_lo
	s_or_b32 s12, s9, s12
	s_and_saveexec_b32 s9, s6
	s_cbranch_execz .LBB219_16
; %bb.24:                               ;   in Loop: Header=BB219_17 Depth=2
	v_and_b32_e32 v9, s6, v23
	v_bcnt_u32_b32 v9, v9, 0
	v_lshlrev_b32_e32 v9, 1, v9
	s_waitcnt lgkmcnt(0)
	v_lshl_add_u32 v8, v8, 1, v9
	ds_write_b16 v8, v6
	s_branch .LBB219_16
.LBB219_25:                             ;   in Loop: Header=BB219_12 Depth=1
	s_mov_b32 s11, -1
	s_mov_b32 s6, 0
.LBB219_26:                             ;   in Loop: Header=BB219_12 Depth=1
	s_and_b32 vcc_lo, exec_lo, s11
	s_cbranch_vccz .LBB219_42
.LBB219_27:                             ;   in Loop: Header=BB219_12 Depth=1
	s_and_saveexec_b32 s9, s2
	s_cbranch_execz .LBB219_39
; %bb.28:                               ;   in Loop: Header=BB219_12 Depth=1
	global_load_ushort v4, v3, s[62:63]
	global_load_ushort v10, v[12:13], off
	v_mov_b32_e32 v8, v0
	s_mov_b32 s11, exec_lo
	s_waitcnt vmcnt(1)
	v_add_nc_u32_sdwa v2, v4, v0 dst_sel:DWORD dst_unused:UNUSED_PAD src0_sel:WORD_0 src1_sel:DWORD
	v_readfirstlane_b32 s6, v4
	v_cmpx_gt_u64_e64 s[36:37], v[2:3]
	s_cbranch_execz .LBB219_38
; %bb.29:                               ;   in Loop: Header=BB219_12 Depth=1
	s_and_b32 s12, s6, 0xffff
	v_mov_b32_e32 v5, v1
	s_cmp_eq_u32 s12, 1
	v_mov_b32_e32 v7, v3
	v_mov_b32_e32 v4, v0
	;; [unrolled: 1-line block ×3, first 2 shown]
	s_cselect_b32 s6, -1, 0
                                        ; implicit-def: $vgpr8_vgpr9
	s_and_b32 s14, s7, s6
	s_mov_b32 s6, -1
	s_and_saveexec_b32 s13, s14
	s_cbranch_execz .LBB219_33
; %bb.30:                               ;   in Loop: Header=BB219_12 Depth=1
	v_add_co_u32 v4, s6, v2, 1
	v_add_co_ci_u32_e64 v5, null, 0, 0, s6
	v_mov_b32_e32 v8, v16
	s_waitcnt vmcnt(0)
	v_lshlrev_b32_e32 v21, 16, v10
	v_mov_b32_e32 v9, v17
	v_mov_b32_e32 v7, v5
	v_mov_b32_e32 v11, v25
	v_mov_b32_e32 v6, v4
	v_mov_b32_e32 v5, v3
	v_mov_b32_e32 v4, v2
	s_mov_b32 s14, 0
.LBB219_31:                             ;   Parent Loop BB219_12 Depth=1
                                        ; =>  This Inner Loop Header: Depth=2
	v_mul_lo_u32 v10, v5, s85
	v_mul_lo_u32 v22, v4, s87
	v_mad_u64_u32 v[35:36], null, v4, s85, 0
	v_mul_lo_u32 v39, v7, s30
	v_mul_lo_u32 v40, v6, s31
	v_mad_u64_u32 v[37:38], null, v6, s30, 0
	v_add3_u32 v36, v36, v22, v10
	v_add3_u32 v38, v38, v40, v39
	v_lshlrev_b64 v[35:36], 1, v[35:36]
	v_lshlrev_b64 v[37:38], 1, v[37:38]
	v_add_co_u32 v35, vcc_lo, s33, v35
	v_add_co_ci_u32_e64 v36, null, s35, v36, vcc_lo
	v_add_co_u32 v37, vcc_lo, s33, v37
	v_add_co_ci_u32_e64 v38, null, s35, v38, vcc_lo
	s_clause 0x1
	global_load_ushort v22, v[35:36], off
	global_load_ushort v10, v[37:38], off
	v_add_co_u32 v8, vcc_lo, v8, -2
	v_add_co_ci_u32_e64 v9, null, -1, v9, vcc_lo
	v_add_co_u32 v6, vcc_lo, v6, 2
	v_add_co_ci_u32_e64 v7, null, 0, v7, vcc_lo
	v_cmp_eq_u64_e64 s6, 0, v[8:9]
	v_add_co_u32 v4, vcc_lo, v4, 2
	v_add_co_ci_u32_e64 v5, null, 0, v5, vcc_lo
	s_or_b32 s14, s6, s14
	s_waitcnt vmcnt(1)
	v_alignbit_b32 v21, v22, v21, 16
	s_waitcnt vmcnt(0)
	v_perm_b32 v22, v10, v22, 0x5040100
	ds_write_b32 v11, v21
	v_add_nc_u32_e32 v11, 4, v11
	v_mov_b32_e32 v21, v22
	s_andn2_b32 exec_lo, exec_lo, s14
	s_cbranch_execnz .LBB219_31
; %bb.32:                               ;   in Loop: Header=BB219_12 Depth=1
	s_or_b32 exec_lo, exec_lo, s14
	v_add_co_u32 v6, vcc_lo, v2, v16
	v_add_co_ci_u32_e64 v7, null, 0, v17, vcc_lo
	v_mov_b32_e32 v4, v18
	v_add_co_u32 v8, vcc_lo, v6, -1
	s_orn2_b32 s6, s8, exec_lo
	v_add_co_ci_u32_e64 v2, null, -1, v7, vcc_lo
	v_mov_b32_e32 v5, v19
.LBB219_33:                             ;   in Loop: Header=BB219_12 Depth=1
	s_or_b32 exec_lo, exec_lo, s13
	s_and_saveexec_b32 s13, s6
	s_cbranch_execz .LBB219_37
; %bb.34:                               ;   in Loop: Header=BB219_12 Depth=1
	s_sub_u32 s14, 0, s12
	s_subb_u32 s16, 0, 0
	s_mov_b32 s15, 0
	s_inst_prefetch 0x1
	.p2align	6
.LBB219_35:                             ;   Parent Loop BB219_12 Depth=1
                                        ; =>  This Inner Loop Header: Depth=2
	v_mov_b32_e32 v9, v7
	v_mov_b32_e32 v8, v6
	v_lshlrev_b32_e32 v11, 1, v4
	v_mul_lo_u32 v2, v9, s30
	v_mul_lo_u32 v7, v8, s31
	v_mad_u64_u32 v[5:6], null, v8, s30, 0
	v_add3_u32 v6, v6, v7, v2
	s_waitcnt vmcnt(0)
	v_mov_b32_e32 v2, v10
	v_lshlrev_b64 v[5:6], 1, v[5:6]
	ds_write_b16 v11, v2
	v_add_co_u32 v5, vcc_lo, s33, v5
	v_add_co_ci_u32_e64 v6, null, s35, v6, vcc_lo
	global_load_ushort v10, v[5:6], off
	v_add_co_u32 v6, vcc_lo, v8, s12
	v_add_co_ci_u32_e64 v7, null, 0, v9, vcc_lo
	v_mov_b32_e32 v4, v8
	v_mov_b32_e32 v5, v9
	v_add_co_u32 v8, s6, s14, v6
	v_cmp_le_u64_e32 vcc_lo, s[36:37], v[6:7]
	v_add_co_ci_u32_e64 v5, null, s16, v7, s6
	s_or_b32 s15, vcc_lo, s15
	s_andn2_b32 exec_lo, exec_lo, s15
	s_cbranch_execnz .LBB219_35
; %bb.36:                               ;   in Loop: Header=BB219_12 Depth=1
	s_inst_prefetch 0x2
	s_or_b32 exec_lo, exec_lo, s15
.LBB219_37:                             ;   in Loop: Header=BB219_12 Depth=1
	s_or_b32 exec_lo, exec_lo, s13
.LBB219_38:                             ;   in Loop: Header=BB219_12 Depth=1
	s_or_b32 exec_lo, exec_lo, s11
	v_lshlrev_b32_e32 v2, 1, v8
	s_waitcnt vmcnt(0)
	ds_write_b16 v2, v10
.LBB219_39:                             ;   in Loop: Header=BB219_12 Depth=1
	s_or_b32 exec_lo, exec_lo, s9
	s_waitcnt lgkmcnt(0)
	s_barrier
	buffer_gl0_inv
	s_and_saveexec_b32 s6, s3
; %bb.40:                               ;   in Loop: Header=BB219_12 Depth=1
	v_mov_b32_e32 v4, s36
	v_mov_b32_e32 v5, s37
	ds_write_b64 v3, v[4:5] offset:5120
; %bb.41:                               ;   in Loop: Header=BB219_12 Depth=1
	s_or_b32 exec_lo, exec_lo, s6
	s_mov_b32 s6, -1
	s_waitcnt lgkmcnt(0)
	s_barrier
.LBB219_42:                             ;   in Loop: Header=BB219_12 Depth=1
	s_and_b32 vcc_lo, exec_lo, s6
	s_mov_b64 s[64:65], 0
	s_cbranch_vccz .LBB219_44
; %bb.43:                               ;   in Loop: Header=BB219_12 Depth=1
	buffer_gl0_inv
	ds_read_b64 v[4:5], v3 offset:5120
	s_waitcnt lgkmcnt(0)
	v_readfirstlane_b32 s64, v4
.LBB219_44:                             ;   in Loop: Header=BB219_12 Depth=1
	s_cmp_lt_i32 s64, 1
	s_mov_b32 s6, -1
                                        ; implicit-def: $vgpr4_vgpr5
                                        ; implicit-def: $vgpr8_vgpr9
	s_cbranch_scc1 .LBB219_54
; %bb.45:                               ;   in Loop: Header=BB219_12 Depth=1
	s_and_b32 vcc_lo, exec_lo, s6
	s_cbranch_vccnz .LBB219_68
.LBB219_46:                             ;   in Loop: Header=BB219_12 Depth=1
	s_lshl_b32 s6, s95, 7
	s_and_saveexec_b32 s9, s0
	s_cbranch_execz .LBB219_48
.LBB219_47:                             ;   in Loop: Header=BB219_12 Depth=1
	v_lshl_add_u32 v2, s6, 3, v27
	ds_write_b128 v2, v[4:7]
	ds_write_b128 v2, v[8:11] offset:16
.LBB219_48:                             ;   in Loop: Header=BB219_12 Depth=1
	s_or_b32 exec_lo, exec_lo, s9
	s_waitcnt lgkmcnt(0)
	s_barrier
	buffer_gl0_inv
	s_and_saveexec_b32 s9, s78
	s_cbranch_execz .LBB219_82
; %bb.49:                               ;   in Loop: Header=BB219_12 Depth=1
	v_mov_b32_e32 v4, 0
	v_mov_b32_e32 v5, 0
	s_andn2_b32 vcc_lo, exec_lo, s81
	s_cbranch_vccnz .LBB219_81
; %bb.50:                               ;   in Loop: Header=BB219_12 Depth=1
	v_mov_b32_e32 v4, 0
	v_mov_b32_e32 v5, 0
	s_andn2_b32 vcc_lo, exec_lo, s88
	s_cbranch_vccnz .LBB219_78
; %bb.51:                               ;   in Loop: Header=BB219_12 Depth=1
	v_lshl_add_u32 v2, s95, 10, v30
	s_mov_b32 s11, 0
	s_inst_prefetch 0x1
	.p2align	6
.LBB219_52:                             ;   Parent Loop BB219_12 Depth=1
                                        ; =>  This Inner Loop Header: Depth=2
	ds_read2_b64 v[6:9], v2 offset1:4
	ds_read2_b64 v[35:38], v2 offset0:8 offset1:12
	ds_read2_b64 v[39:42], v2 offset0:16 offset1:20
	s_add_i32 s11, s11, 8
	s_cmp_eq_u32 s80, s11
	s_waitcnt lgkmcnt(2)
	v_add_co_u32 v4, vcc_lo, v6, v4
	v_add_co_ci_u32_e64 v5, null, v7, v5, vcc_lo
	v_add_co_u32 v8, vcc_lo, v8, v4
	v_add_co_ci_u32_e64 v9, null, v9, v5, vcc_lo
	ds_read2_b64 v[4:7], v2 offset0:24 offset1:28
	s_waitcnt lgkmcnt(2)
	v_add_co_u32 v8, vcc_lo, v35, v8
	v_add_co_ci_u32_e64 v9, null, v36, v9, vcc_lo
	v_add_nc_u32_e32 v2, 0x100, v2
	v_add_co_u32 v8, vcc_lo, v37, v8
	v_add_co_ci_u32_e64 v9, null, v38, v9, vcc_lo
	s_waitcnt lgkmcnt(1)
	v_add_co_u32 v8, vcc_lo, v39, v8
	v_add_co_ci_u32_e64 v9, null, v40, v9, vcc_lo
	v_add_co_u32 v8, vcc_lo, v41, v8
	v_add_co_ci_u32_e64 v9, null, v42, v9, vcc_lo
	s_waitcnt lgkmcnt(0)
	v_add_co_u32 v4, vcc_lo, v4, v8
	v_add_co_ci_u32_e64 v5, null, v5, v9, vcc_lo
	v_add_co_u32 v4, vcc_lo, v6, v4
	v_add_co_ci_u32_e64 v5, null, v7, v5, vcc_lo
	s_cbranch_scc0 .LBB219_52
; %bb.53:                               ;   in Loop: Header=BB219_12 Depth=1
	s_inst_prefetch 0x2
	s_mov_b32 s11, s80
	s_andn2_b32 vcc_lo, exec_lo, s89
	s_cbranch_vccz .LBB219_79
	s_branch .LBB219_81
.LBB219_54:                             ;   in Loop: Header=BB219_12 Depth=1
	global_load_ushort v2, v3, s[62:63]
	s_mov_b32 s12, s59
	s_mov_b32 s13, s37
	s_waitcnt vmcnt(0)
	v_readfirstlane_b32 s6, v2
	s_and_b32 s6, 0xffff, s6
	s_lshl_b32 s27, s6, 2
	s_cmp_lg_u64 s[12:13], 0
	s_cbranch_scc0 .LBB219_77
; %bb.55:                               ;   in Loop: Header=BB219_12 Depth=1
	v_cvt_f32_u32_e32 v4, s27
	s_sub_u32 s11, 0, s27
	s_subb_u32 s12, 0, 0
	v_fmac_f32_e64 v4, 0x4f800000, 0
	v_rcp_f32_e32 v4, v4
	v_mul_f32_e32 v4, 0x5f7ffffc, v4
	v_mul_f32_e32 v5, 0x2f800000, v4
	v_trunc_f32_e32 v5, v5
	v_fmac_f32_e32 v4, 0xcf800000, v5
	v_cvt_u32_f32_e32 v5, v5
	v_cvt_u32_f32_e32 v4, v4
	v_readfirstlane_b32 s6, v5
	v_readfirstlane_b32 s9, v4
	s_mul_i32 s13, s11, s6
	s_mul_hi_u32 s15, s11, s9
	s_mul_i32 s14, s12, s9
	s_add_i32 s13, s15, s13
	s_mul_i32 s16, s11, s9
	s_add_i32 s13, s13, s14
	s_mul_hi_u32 s15, s9, s16
	s_mul_i32 s18, s9, s13
	s_mul_hi_u32 s17, s6, s16
	s_mul_i32 s14, s6, s16
	s_mul_hi_u32 s16, s9, s13
	s_add_u32 s15, s15, s18
	s_addc_u32 s16, 0, s16
	s_mul_hi_u32 s19, s6, s13
	s_add_u32 s14, s15, s14
	s_mul_i32 s13, s6, s13
	s_addc_u32 s14, s16, s17
	s_addc_u32 s15, s19, 0
	s_add_u32 s13, s14, s13
	s_addc_u32 s14, 0, s15
	s_add_u32 s9, s9, s13
	s_cselect_b32 s13, -1, 0
	s_mul_hi_u32 s15, s11, s9
	s_cmp_lg_u32 s13, 0
	s_mul_i32 s13, s11, s9
	s_addc_u32 s6, s6, s14
	s_mul_i32 s12, s12, s9
	s_mul_i32 s11, s11, s6
	s_mul_hi_u32 s14, s9, s13
	s_add_i32 s11, s15, s11
	s_mul_hi_u32 s15, s6, s13
	s_add_i32 s11, s11, s12
	s_mul_i32 s12, s6, s13
	s_mul_i32 s17, s9, s11
	s_mul_hi_u32 s16, s9, s11
	s_add_u32 s14, s14, s17
	s_addc_u32 s16, 0, s16
	s_mul_hi_u32 s13, s6, s11
	s_add_u32 s12, s14, s12
	s_mul_i32 s11, s6, s11
	s_addc_u32 s12, s16, s15
	s_addc_u32 s13, s13, 0
	s_add_u32 s11, s12, s11
	s_addc_u32 s12, 0, s13
	s_add_u32 s9, s9, s11
	s_cselect_b32 s11, -1, 0
	s_mul_hi_u32 s13, s36, s9
	s_cmp_lg_u32 s11, 0
	s_mul_hi_u32 s11, s37, s9
	s_addc_u32 s6, s6, s12
	s_mul_i32 s9, s37, s9
	s_mul_i32 s14, s36, s6
	s_mul_hi_u32 s12, s36, s6
	s_add_u32 s13, s13, s14
	s_addc_u32 s12, 0, s12
	s_mul_hi_u32 s15, s37, s6
	s_add_u32 s9, s13, s9
	s_mul_i32 s6, s37, s6
	s_addc_u32 s9, s12, s11
	s_addc_u32 s11, s15, 0
	s_add_u32 s6, s9, s6
	s_addc_u32 s9, 0, s11
	s_mul_hi_u32 s11, s27, s6
	s_mul_i32 s9, s27, s9
	s_mul_i32 s6, s27, s6
	s_add_i32 s11, s11, s9
	s_sub_u32 s6, s36, s6
	s_cselect_b32 s9, -1, 0
	s_cmp_lg_u32 s9, 0
	s_subb_u32 s9, s37, s11
	s_sub_u32 s11, s6, s27
	s_cselect_b32 s12, -1, 0
	s_cmp_lg_u32 s12, 0
	s_subb_u32 s12, s9, 0
	;; [unrolled: 4-line block ×3, first 2 shown]
	s_cmp_ge_u32 s11, s27
	s_cselect_b32 s15, -1, 0
	s_cmp_eq_u32 s12, 0
	s_cselect_b32 s15, s15, -1
	s_cmp_lg_u32 s15, 0
	s_cselect_b32 s12, s14, s12
	s_cselect_b32 s11, s13, s11
	s_cmp_ge_u32 s6, s27
	s_cselect_b32 s13, -1, 0
	s_cmp_eq_u32 s9, 0
	s_cselect_b32 s13, s13, -1
	s_cmp_lg_u32 s13, 0
	s_cselect_b32 s13, s12, s9
	s_cselect_b32 s12, s11, s6
	s_cbranch_execnz .LBB219_57
.LBB219_56:                             ;   in Loop: Header=BB219_12 Depth=1
	v_cvt_f32_u32_e32 v4, s27
	s_sub_i32 s9, 0, s27
	v_rcp_iflag_f32_e32 v4, v4
	v_mul_f32_e32 v4, 0x4f7ffffe, v4
	v_cvt_u32_f32_e32 v4, v4
	v_readfirstlane_b32 s6, v4
	s_mul_i32 s9, s9, s6
	s_mul_hi_u32 s9, s6, s9
	s_add_i32 s6, s6, s9
	s_mul_hi_u32 s6, s36, s6
	s_mul_i32 s6, s6, s27
	s_sub_i32 s6, s36, s6
	s_sub_i32 s9, s6, s27
	s_cmp_ge_u32 s6, s27
	s_cselect_b32 s6, s9, s6
	s_sub_i32 s9, s6, s27
	s_cmp_ge_u32 s6, s27
	s_cselect_b32 s58, s9, s6
	s_mov_b64 s[12:13], s[58:59]
.LBB219_57:                             ;   in Loop: Header=BB219_12 Depth=1
	v_mov_b32_e32 v4, 0
	v_mov_b32_e32 v6, 0
	;; [unrolled: 1-line block ×8, first 2 shown]
	s_sub_u32 s66, s36, s12
	s_subb_u32 s67, s37, s13
	s_mov_b32 s43, exec_lo
	v_cmpx_gt_u64_e64 s[66:67], v[14:15]
	s_cbranch_execz .LBB219_61
; %bb.58:                               ;   in Loop: Header=BB219_12 Depth=1
	v_mov_b32_e32 v22, v15
	v_mov_b32_e32 v21, v14
	s_mov_b64 s[68:69], 0
	s_mov_b32 s54, 0
	s_mov_b64 s[70:71], 0
	s_mov_b64 s[72:73], 0
	;; [unrolled: 1-line block ×3, first 2 shown]
.LBB219_59:                             ;   Parent Loop BB219_12 Depth=1
                                        ; =>  This Inner Loop Header: Depth=2
	v_mul_lo_u32 v6, v22, s30
	v_mul_lo_u32 v7, v21, s31
	v_mad_u64_u32 v[4:5], null, v21, s30, 0
	s_lshl_b64 s[12:13], s[30:31], 1
	v_add3_u32 v5, v5, v7, v6
	v_lshlrev_b64 v[4:5], 1, v[4:5]
	v_add_co_u32 v4, vcc_lo, s33, v4
	v_add_co_ci_u32_e64 v5, null, s35, v5, vcc_lo
	v_add_co_u32 v6, vcc_lo, v4, s12
	v_add_co_ci_u32_e64 v7, null, s13, v5, vcc_lo
	global_load_ushort v8, v[4:5], off
	v_add_co_u32 v4, vcc_lo, v6, s12
	v_add_co_ci_u32_e64 v5, null, s13, v7, vcc_lo
	s_clause 0x1
	global_load_ushort v6, v[6:7], off
	global_load_ushort v7, v[4:5], off
	v_add_co_u32 v4, vcc_lo, v4, s12
	v_add_co_ci_u32_e64 v5, null, s13, v5, vcc_lo
	v_add_co_u32 v21, vcc_lo, v21, s27
	v_add_co_ci_u32_e64 v22, null, 0, v22, vcc_lo
	global_load_ushort v4, v[4:5], off
	v_cmp_le_u64_e32 vcc_lo, s[66:67], v[21:22]
	s_waitcnt vmcnt(3)
	v_cmp_lt_i16_e64 s6, -1, v8
	v_lshlrev_b32_e32 v9, 16, v8
	v_cndmask_b32_e64 v5, 0xffff, v31, s6
	s_waitcnt vmcnt(2)
	v_cmp_lt_i16_e64 s6, -1, v6
	s_waitcnt vmcnt(1)
	v_cmp_lt_i16_e64 s9, -1, v7
	v_xor_b32_sdwa v5, v5, v8 dst_sel:DWORD dst_unused:UNUSED_PAD src0_sel:DWORD src1_sel:WORD_0
	v_cndmask_b32_e64 v10, 0xffff, v31, s6
	v_cmp_o_f32_e64 s6, v9, v9
	v_lshlrev_b32_e32 v8, 16, v6
	v_cndmask_b32_e64 v9, 0xffff, v31, s9
	v_xor_b32_sdwa v6, v10, v6 dst_sel:DWORD dst_unused:UNUSED_PAD src0_sel:DWORD src1_sel:WORD_0
	v_cndmask_b32_e64 v5, 0xffff, v5, s6
	v_cmp_o_f32_e64 s6, v8, v8
	v_lshlrev_b32_e32 v10, 16, v7
	v_xor_b32_sdwa v7, v9, v7 dst_sel:DWORD dst_unused:UNUSED_PAD src0_sel:DWORD src1_sel:WORD_0
	s_waitcnt vmcnt(0)
	v_lshlrev_b32_e32 v9, 16, v4
	v_and_b32_e32 v11, v5, v33
	v_cndmask_b32_e64 v6, 0xffff, v6, s6
	v_cmp_lt_i16_e64 s6, -1, v4
	v_bfe_u32 v5, v5, s91, 2
	v_cmp_o_f32_e64 s14, v9, v9
	v_cndmask_b32_e64 v8, 0xffff, v31, s6
	v_cmp_o_f32_e64 s6, v10, v10
	v_cmp_eq_u32_e64 s9, 0, v5
	v_cmp_eq_u32_e64 s11, 1, v5
	v_cmp_eq_u32_e64 s12, 2, v5
	v_xor_b32_sdwa v4, v8, v4 dst_sel:DWORD dst_unused:UNUSED_PAD src0_sel:DWORD src1_sel:WORD_0
	v_cndmask_b32_e64 v7, 0xffff, v7, s6
	v_cmp_eq_u32_e64 s6, v11, v28
	v_and_b32_e32 v8, v6, v33
	v_bfe_u32 v6, v6, s91, 2
	v_cmp_eq_u32_e64 s13, 3, v5
	v_cndmask_b32_e64 v4, 0xffff, v4, s14
	v_and_b32_e32 v5, v7, v33
	v_cmp_eq_u32_e64 s14, v8, v28
	v_bfe_u32 v7, v7, s91, 2
	v_cmp_eq_u32_e64 s15, 0, v6
	s_and_b32 s9, s6, s9
	v_cmp_eq_u32_e64 s18, v5, v28
	v_cndmask_b32_e64 v8, 0, 1, s9
	v_and_b32_e32 v5, v4, v33
	v_bfe_u32 v4, v4, s91, 2
	v_cmp_eq_u32_e64 s19, 0, v7
	s_and_b32 s15, s14, s15
	v_cmp_eq_u32_e64 s9, 1, v6
	v_cmp_eq_u32_e64 s16, 2, v6
	;; [unrolled: 1-line block ×3, first 2 shown]
	v_cmp_ne_u32_e64 s20, 0, v8
	v_cndmask_b32_e64 v6, 0, 1, s15
	v_cmp_eq_u32_e64 s23, v5, v28
	v_cmp_eq_u32_e64 s24, 0, v4
	s_and_b32 s19, s18, s19
	s_bcnt1_i32_b32 s55, s20
	v_cmp_ne_u32_e64 s20, 0, v6
	v_cndmask_b32_e64 v5, 0, 1, s19
	s_and_b32 s24, s23, s24
	v_cmp_eq_u32_e64 s19, 1, v4
	v_cmp_eq_u32_e64 s25, 2, v4
	;; [unrolled: 1-line block ×3, first 2 shown]
	v_cndmask_b32_e64 v4, 0, 1, s24
	s_bcnt1_i32_b32 s24, s20
	v_cmp_ne_u32_e64 s20, 0, v5
	s_add_i32 s55, s24, s55
	v_cmp_eq_u32_e64 s15, 1, v7
	v_cmp_ne_u32_e64 s24, 0, v4
	v_cmp_eq_u32_e64 s21, 2, v7
	s_bcnt1_i32_b32 s20, s20
	v_cmp_eq_u32_e64 s22, 3, v7
	s_add_i32 s20, s55, s20
	s_bcnt1_i32_b32 s24, s24
	s_add_i32 s20, s20, s24
	s_add_u32 s74, s74, s20
	s_addc_u32 s75, s75, 0
	s_and_b32 s11, s6, s11
	s_and_b32 s9, s14, s9
	v_cndmask_b32_e64 v4, 0, 1, s11
	v_cndmask_b32_e64 v5, 0, 1, s9
	s_and_b32 s9, s18, s15
	v_cndmask_b32_e64 v6, 0, 1, s9
	s_and_b32 s9, s23, s19
	v_cmp_ne_u32_e64 s11, 0, v5
	v_cndmask_b32_e64 v7, 0, 1, s9
	v_cmp_ne_u32_e64 s9, 0, v4
	v_cmp_ne_u32_e64 s15, 0, v6
	s_bcnt1_i32_b32 s11, s11
	v_cmp_ne_u32_e64 s19, 0, v7
	s_bcnt1_i32_b32 s9, s9
	s_bcnt1_i32_b32 s15, s15
	s_add_i32 s9, s11, s9
	s_bcnt1_i32_b32 s19, s19
	s_add_i32 s9, s9, s15
	s_add_i32 s9, s9, s19
	s_add_u32 s72, s72, s9
	s_addc_u32 s73, s73, 0
	s_and_b32 s9, s6, s12
	v_cndmask_b32_e64 v4, 0, 1, s9
	s_and_b32 s9, s14, s16
	v_cndmask_b32_e64 v5, 0, 1, s9
	;; [unrolled: 2-line block ×3, first 2 shown]
	s_and_b32 s9, s23, s25
	v_cmp_ne_u32_e64 s11, 0, v5
	v_cndmask_b32_e64 v7, 0, 1, s9
	v_cmp_ne_u32_e64 s9, 0, v4
	v_cmp_ne_u32_e64 s12, 0, v6
	s_bcnt1_i32_b32 s11, s11
	v_cmp_ne_u32_e64 s15, 0, v7
	s_bcnt1_i32_b32 s9, s9
	s_bcnt1_i32_b32 s12, s12
	s_add_i32 s9, s11, s9
	s_bcnt1_i32_b32 s15, s15
	s_add_i32 s9, s9, s12
	s_add_i32 s9, s9, s15
	s_add_u32 s70, s70, s9
	s_addc_u32 s71, s71, 0
	s_and_b32 s6, s6, s13
	v_mov_b32_e32 v8, s70
	v_cndmask_b32_e64 v4, 0, 1, s6
	s_and_b32 s6, s14, s17
	v_mov_b32_e32 v9, s71
	v_cndmask_b32_e64 v5, 0, 1, s6
	s_and_b32 s6, s18, s22
	v_cndmask_b32_e64 v6, 0, 1, s6
	s_and_b32 s6, s23, s26
	v_cmp_ne_u32_e64 s9, 0, v5
	v_cndmask_b32_e64 v7, 0, 1, s6
	v_cmp_ne_u32_e64 s6, 0, v4
	v_cmp_ne_u32_e64 s11, 0, v6
	v_mov_b32_e32 v4, s74
	s_bcnt1_i32_b32 s9, s9
	v_cmp_ne_u32_e64 s12, 0, v7
	s_bcnt1_i32_b32 s6, s6
	s_bcnt1_i32_b32 s11, s11
	s_add_i32 s6, s9, s6
	v_mov_b32_e32 v6, s72
	s_bcnt1_i32_b32 s9, s12
	s_add_i32 s6, s6, s11
	v_mov_b32_e32 v5, s75
	s_add_i32 s6, s6, s9
	v_mov_b32_e32 v7, s73
	s_add_u32 s68, s68, s6
	s_addc_u32 s69, s69, 0
	v_mov_b32_e32 v10, s68
	v_mov_b32_e32 v11, s69
	s_or_b32 s54, vcc_lo, s54
	s_andn2_b32 exec_lo, exec_lo, s54
	s_cbranch_execnz .LBB219_59
; %bb.60:                               ;   in Loop: Header=BB219_12 Depth=1
	s_or_b32 exec_lo, exec_lo, s54
.LBB219_61:                             ;   in Loop: Header=BB219_12 Depth=1
	s_or_b32 exec_lo, exec_lo, s43
	v_add_co_u32 v21, s6, s66, v0
	v_and_b32_e32 v2, 0xffff, v2
	v_add_co_ci_u32_e64 v22, null, s67, 0, s6
	s_mov_b32 s13, exec_lo
	v_cmpx_gt_u64_e64 s[36:37], v[21:22]
	s_cbranch_execz .LBB219_67
; %bb.62:                               ;   in Loop: Header=BB219_12 Depth=1
	v_mul_lo_u32 v37, v22, s30
	v_mul_lo_u32 v38, v21, s31
	v_mad_u64_u32 v[35:36], null, v21, s30, 0
	s_mov_b32 s14, 0
	v_add3_u32 v36, v36, v38, v37
	v_lshlrev_b64 v[35:36], 1, v[35:36]
	v_add_co_u32 v35, vcc_lo, s33, v35
	v_add_co_ci_u32_e64 v36, null, s35, v36, vcc_lo
	global_load_ushort v36, v[35:36], off
	s_branch .LBB219_64
.LBB219_63:                             ;   in Loop: Header=BB219_64 Depth=2
	s_or_b32 exec_lo, exec_lo, s9
	s_waitcnt vmcnt(0)
	v_cmp_lt_i16_e64 s6, -1, v36
	v_lshlrev_b32_e32 v38, 16, v36
	s_and_b32 s9, exec_lo, vcc_lo
	s_or_b32 s14, s9, s14
	v_cndmask_b32_e64 v37, 0xffff, v31, s6
	v_cmp_o_f32_e64 s6, v38, v38
	v_xor_b32_sdwa v36, v37, v36 dst_sel:DWORD dst_unused:UNUSED_PAD src0_sel:DWORD src1_sel:WORD_0
	v_cndmask_b32_e64 v36, 0xffff, v36, s6
	v_and_b32_e32 v37, v36, v33
	v_bfe_u32 v36, v36, s91, 2
	v_cmp_eq_u32_e32 vcc_lo, v37, v28
	v_cmp_eq_u32_e64 s6, 0, v36
	v_cmp_eq_u32_e64 s9, 1, v36
	;; [unrolled: 1-line block ×4, first 2 shown]
	s_and_b32 s6, vcc_lo, s6
	v_cndmask_b32_e64 v36, 0, 1, s6
	s_and_b32 s6, vcc_lo, s9
	v_cndmask_b32_e64 v37, 0, 1, s6
	;; [unrolled: 2-line block ×3, first 2 shown]
	s_and_b32 s6, vcc_lo, s12
	v_cmp_ne_u32_e32 vcc_lo, 0, v36
	v_cndmask_b32_e64 v39, 0, 1, s6
	v_cmp_ne_u32_e64 s6, 0, v37
	v_cmp_ne_u32_e64 s9, 0, v38
	v_mov_b32_e32 v36, v35
	s_bcnt1_i32_b32 s12, vcc_lo
	v_cmp_ne_u32_e64 s11, 0, v39
	s_bcnt1_i32_b32 s6, s6
	v_add_co_u32 v4, vcc_lo, v4, s12
	s_bcnt1_i32_b32 s9, s9
	v_add_co_ci_u32_e64 v5, null, 0, v5, vcc_lo
	v_add_co_u32 v6, vcc_lo, v6, s6
	v_add_co_ci_u32_e64 v7, null, 0, v7, vcc_lo
	v_add_co_u32 v8, vcc_lo, v8, s9
	s_bcnt1_i32_b32 s6, s11
	v_add_co_ci_u32_e64 v9, null, 0, v9, vcc_lo
	v_add_co_u32 v10, vcc_lo, v10, s6
	v_add_co_ci_u32_e64 v11, null, 0, v11, vcc_lo
	s_andn2_b32 exec_lo, exec_lo, s14
	s_cbranch_execz .LBB219_66
.LBB219_64:                             ;   Parent Loop BB219_12 Depth=1
                                        ; =>  This Inner Loop Header: Depth=2
	v_add_co_u32 v21, vcc_lo, v21, v2
	v_add_co_ci_u32_e64 v22, null, 0, v22, vcc_lo
	v_mov_b32_e32 v35, 0
	s_mov_b32 s9, exec_lo
	v_cmp_le_u64_e32 vcc_lo, s[36:37], v[21:22]
	v_cmpx_gt_u64_e64 s[36:37], v[21:22]
	s_cbranch_execz .LBB219_63
; %bb.65:                               ;   in Loop: Header=BB219_64 Depth=2
	v_mul_lo_u32 v35, v22, s30
	v_mul_lo_u32 v39, v21, s31
	v_mad_u64_u32 v[37:38], null, v21, s30, 0
	v_add3_u32 v38, v38, v39, v35
	v_lshlrev_b64 v[37:38], 1, v[37:38]
	v_add_co_u32 v37, s6, s33, v37
	v_add_co_ci_u32_e64 v38, null, s35, v38, s6
	global_load_ushort v35, v[37:38], off
	s_branch .LBB219_63
.LBB219_66:                             ;   in Loop: Header=BB219_12 Depth=1
	s_or_b32 exec_lo, exec_lo, s14
.LBB219_67:                             ;   in Loop: Header=BB219_12 Depth=1
	s_or_b32 exec_lo, exec_lo, s13
	s_branch .LBB219_46
.LBB219_68:                             ;   in Loop: Header=BB219_12 Depth=1
	global_load_ushort v2, v3, s[62:63]
	v_mov_b32_e32 v6, 0
	v_mov_b32_e32 v8, 0
	;; [unrolled: 1-line block ×6, first 2 shown]
	s_mov_b32 s55, exec_lo
	s_waitcnt vmcnt(0)
	v_readfirstlane_b32 s6, v2
	s_and_b32 s43, 0xffff, s6
	s_lshl_b32 s54, s43, 2
	v_cvt_f32_u32_e32 v4, s54
	s_sub_i32 s9, 0, s54
	v_rcp_iflag_f32_e32 v4, v4
	v_mul_f32_e32 v4, 0x4f7ffffe, v4
	v_cvt_u32_f32_e32 v4, v4
	v_readfirstlane_b32 s6, v4
	v_mov_b32_e32 v4, 0
	v_mov_b32_e32 v5, 0
	s_mul_i32 s9, s9, s6
	s_mul_hi_u32 s9, s6, s9
	s_add_i32 s6, s6, s9
	s_mul_hi_u32 s6, s64, s6
	s_mul_i32 s9, s6, s54
	s_add_i32 s11, s6, 1
	s_sub_i32 s9, s64, s9
	s_sub_i32 s12, s9, s54
	s_cmp_ge_u32 s9, s54
	s_cselect_b32 s6, s11, s6
	s_cselect_b32 s9, s12, s9
	s_add_i32 s11, s6, 1
	s_cmp_ge_u32 s9, s54
	s_cselect_b32 s6, s11, s6
	s_mul_hi_u32 s67, s43, s6
	s_mul_i32 s66, s43, s6
	s_lshl_b64 s[68:69], s[66:67], 2
	v_cmpx_gt_u64_e64 s[68:69], v[14:15]
	s_cbranch_execz .LBB219_72
; %bb.69:                               ;   in Loop: Header=BB219_12 Depth=1
	v_mov_b32_e32 v22, v15
	v_mov_b32_e32 v35, v29
	;; [unrolled: 1-line block ×3, first 2 shown]
	s_lshl_b32 s58, s43, 3
	s_mov_b64 s[70:71], 0
	s_mov_b32 s60, 0
	s_mov_b64 s[72:73], 0
	s_mov_b64 s[74:75], 0
	;; [unrolled: 1-line block ×3, first 2 shown]
.LBB219_70:                             ;   Parent Loop BB219_12 Depth=1
                                        ; =>  This Inner Loop Header: Depth=2
	ds_read_b64 v[4:5], v35
	v_add_nc_u32_e32 v35, s58, v35
	s_waitcnt lgkmcnt(0)
	v_cmp_lt_i16_e32 vcc_lo, -1, v4
	v_cmp_gt_i16_sdwa s6, v4, v32 src0_sel:WORD_1 src1_sel:DWORD
	v_cmp_lt_i16_e64 s9, -1, v5
	v_cmp_gt_i16_sdwa s11, v5, v32 src0_sel:WORD_1 src1_sel:DWORD
	v_lshlrev_b32_e32 v10, 16, v4
	v_cndmask_b32_e32 v6, 0xffff, v31, vcc_lo
	v_cndmask_b32_e64 v7, 0xffff, v31, s6
	v_cndmask_b32_e64 v8, 0xffff, v31, s9
	;; [unrolled: 1-line block ×3, first 2 shown]
	v_cmp_o_f32_e32 vcc_lo, v10, v10
	v_xor_b32_sdwa v6, v6, v4 dst_sel:DWORD dst_unused:UNUSED_PAD src0_sel:DWORD src1_sel:WORD_0
	v_xor_b32_sdwa v7, v7, v4 dst_sel:DWORD dst_unused:UNUSED_PAD src0_sel:DWORD src1_sel:WORD_1
	v_and_b32_e32 v4, 0xffff0000, v4
	v_xor_b32_sdwa v8, v8, v5 dst_sel:DWORD dst_unused:UNUSED_PAD src0_sel:DWORD src1_sel:WORD_0
	v_xor_b32_sdwa v9, v9, v5 dst_sel:DWORD dst_unused:UNUSED_PAD src0_sel:DWORD src1_sel:WORD_1
	v_lshlrev_b32_e32 v11, 16, v5
	v_and_b32_e32 v5, 0xffff0000, v5
	v_cmp_o_f32_e64 s6, v4, v4
	v_cndmask_b32_e32 v4, 0xffff, v6, vcc_lo
	v_cmp_o_f32_e64 s9, v11, v11
	v_cmp_o_f32_e64 s11, v5, v5
	v_and_b32_e32 v5, v4, v33
	v_bfe_u32 v4, v4, s91, 2
	v_cmp_eq_u32_e32 vcc_lo, v5, v28
	v_cndmask_b32_e64 v5, 0xffff, v7, s6
	v_cmp_eq_u32_e64 s12, 0, v4
	v_cmp_eq_u32_e64 s13, 1, v4
	;; [unrolled: 1-line block ×4, first 2 shown]
	v_and_b32_e32 v6, v5, v33
	v_bfe_u32 v4, v5, s91, 2
	s_and_b32 s12, vcc_lo, s12
	v_cmp_eq_u32_e64 s6, v6, v28
	v_cndmask_b32_e64 v6, 0xffff, v8, s9
	v_cmp_eq_u32_e64 s16, 0, v4
	v_cmp_eq_u32_e64 s17, 1, v4
	;; [unrolled: 1-line block ×4, first 2 shown]
	v_and_b32_e32 v7, v6, v33
	v_bfe_u32 v4, v6, s91, 2
	s_and_b32 s16, s6, s16
	v_cmp_eq_u32_e64 s9, v7, v28
	v_cndmask_b32_e64 v7, 0xffff, v9, s11
	v_cmp_eq_u32_e64 s20, 0, v4
	v_cmp_eq_u32_e64 s21, 1, v4
	;; [unrolled: 1-line block ×4, first 2 shown]
	v_bfe_u32 v4, v7, s91, 2
	v_and_b32_e32 v8, v7, v33
	s_and_b32 s20, s9, s20
	v_cmp_eq_u32_e64 s24, 0, v4
	v_cmp_eq_u32_e64 s25, 1, v4
	v_cmp_eq_u32_e64 s26, 2, v4
	v_cmp_eq_u32_e64 s27, 3, v4
	v_cndmask_b32_e64 v4, 0, 1, s12
	v_cmp_eq_u32_e64 s11, v8, v28
	v_cmp_ne_u32_e64 s12, 0, v4
	v_cndmask_b32_e64 v4, 0, 1, s16
	s_and_b32 s24, s11, s24
	s_bcnt1_i32_b32 s12, s12
	v_cmp_ne_u32_e64 s16, 0, v4
	v_cndmask_b32_e64 v4, 0, 1, s20
	s_bcnt1_i32_b32 s16, s16
	v_cmp_ne_u32_e64 s20, 0, v4
	v_cndmask_b32_e64 v4, 0, 1, s24
	s_add_i32 s12, s16, s12
	s_bcnt1_i32_b32 s20, s20
	v_cmp_ne_u32_e64 s24, 0, v4
	s_add_i32 s12, s12, s20
	s_bcnt1_i32_b32 s24, s24
	s_add_i32 s12, s12, s24
	s_add_u32 s76, s76, s12
	s_addc_u32 s77, s77, 0
	s_and_b32 s12, vcc_lo, s13
	s_and_b32 s13, s6, s17
	v_cndmask_b32_e64 v4, 0, 1, s12
	s_and_b32 s16, s9, s21
	s_and_b32 s17, s11, s25
	v_cmp_ne_u32_e64 s12, 0, v4
	v_cndmask_b32_e64 v4, 0, 1, s13
	s_bcnt1_i32_b32 s12, s12
	v_cmp_ne_u32_e64 s13, 0, v4
	v_cndmask_b32_e64 v4, 0, 1, s16
	s_bcnt1_i32_b32 s13, s13
	v_cmp_ne_u32_e64 s16, 0, v4
	v_cndmask_b32_e64 v4, 0, 1, s17
	s_add_i32 s12, s13, s12
	s_bcnt1_i32_b32 s16, s16
	v_cmp_ne_u32_e64 s17, 0, v4
	s_add_i32 s12, s12, s16
	s_bcnt1_i32_b32 s17, s17
	s_add_i32 s12, s12, s17
	s_add_u32 s74, s74, s12
	s_addc_u32 s75, s75, 0
	s_and_b32 s12, vcc_lo, s14
	s_and_b32 s13, s6, s18
	v_cndmask_b32_e64 v4, 0, 1, s12
	s_and_b32 s14, s9, s22
	s_and_b32 s16, s11, s26
	v_mov_b32_e32 v6, s74
	v_mov_b32_e32 v7, s75
	v_cmp_ne_u32_e64 s12, 0, v4
	v_cndmask_b32_e64 v4, 0, 1, s13
	s_bcnt1_i32_b32 s12, s12
	v_cmp_ne_u32_e64 s13, 0, v4
	v_cndmask_b32_e64 v4, 0, 1, s14
	s_bcnt1_i32_b32 s13, s13
	v_cmp_ne_u32_e64 s14, 0, v4
	v_cndmask_b32_e64 v4, 0, 1, s16
	s_add_i32 s12, s13, s12
	s_bcnt1_i32_b32 s14, s14
	v_cmp_ne_u32_e64 s16, 0, v4
	s_add_i32 s12, s12, s14
	s_bcnt1_i32_b32 s16, s16
	s_add_i32 s12, s12, s16
	s_add_u32 s72, s72, s12
	s_addc_u32 s73, s73, 0
	s_and_b32 s12, vcc_lo, s15
	s_and_b32 s6, s6, s19
	v_cndmask_b32_e64 v4, 0, 1, s12
	s_and_b32 s9, s9, s23
	s_and_b32 s11, s11, s27
	v_add_co_u32 v21, s12, v21, s54
	v_cmp_ne_u32_e32 vcc_lo, 0, v4
	v_cndmask_b32_e64 v4, 0, 1, s6
	v_add_co_ci_u32_e64 v22, null, 0, v22, s12
	v_mov_b32_e32 v8, s72
	s_bcnt1_i32_b32 s13, vcc_lo
	v_cmp_ne_u32_e64 s6, 0, v4
	v_cndmask_b32_e64 v4, 0, 1, s9
	v_cmp_le_u64_e64 s12, s[68:69], v[21:22]
	v_mov_b32_e32 v9, s73
	s_bcnt1_i32_b32 s6, s6
	v_cmp_ne_u32_e64 s9, 0, v4
	v_cndmask_b32_e64 v4, 0, 1, s11
	s_add_i32 s6, s6, s13
	s_bcnt1_i32_b32 s9, s9
	v_cmp_ne_u32_e64 s11, 0, v4
	s_add_i32 s6, s6, s9
	v_mov_b32_e32 v4, s76
	v_mov_b32_e32 v5, s77
	s_bcnt1_i32_b32 s11, s11
	s_add_i32 s6, s6, s11
	s_add_u32 s70, s70, s6
	s_addc_u32 s71, s71, 0
	v_mov_b32_e32 v10, s70
	v_mov_b32_e32 v11, s71
	s_or_b32 s60, s12, s60
	s_andn2_b32 exec_lo, exec_lo, s60
	s_cbranch_execnz .LBB219_70
; %bb.71:                               ;   in Loop: Header=BB219_12 Depth=1
	s_or_b32 exec_lo, exec_lo, s60
.LBB219_72:                             ;   in Loop: Header=BB219_12 Depth=1
	s_or_b32 exec_lo, exec_lo, s55
	v_add_co_u32 v21, s6, s68, v0
	v_and_b32_e32 v2, 0xffff, v2
	v_add_co_ci_u32_e64 v22, null, s69, 0, s6
	s_and_b32 s58, s64, 0x7fffffff
	s_mov_b32 s14, exec_lo
	v_cmpx_gt_u64_e64 s[58:59], v[21:22]
	s_cbranch_execz .LBB219_76
; %bb.73:                               ;   in Loop: Header=BB219_12 Depth=1
	v_lshl_add_u32 v35, s66, 3, v25
	s_lshl_b32 s16, s43, 1
	s_mov_b32 s15, 0
.LBB219_74:                             ;   Parent Loop BB219_12 Depth=1
                                        ; =>  This Inner Loop Header: Depth=2
	ds_read_u16 v36, v35
	v_add_co_u32 v21, vcc_lo, v21, v2
	v_add_co_ci_u32_e64 v22, null, 0, v22, vcc_lo
	v_add_nc_u32_e32 v35, s16, v35
	v_cmp_le_u64_e32 vcc_lo, s[58:59], v[21:22]
	s_waitcnt lgkmcnt(0)
	v_cmp_lt_i16_e64 s6, -1, v36
	v_lshlrev_b32_e32 v38, 16, v36
	v_cndmask_b32_e64 v37, 0xffff, v31, s6
	v_cmp_o_f32_e64 s6, v38, v38
	v_xor_b32_sdwa v36, v37, v36 dst_sel:DWORD dst_unused:UNUSED_PAD src0_sel:DWORD src1_sel:WORD_0
	v_cndmask_b32_e64 v36, 0xffff, v36, s6
	v_and_b32_e32 v37, v36, v33
	v_bfe_u32 v36, v36, s91, 2
	v_cmp_eq_u32_e64 s6, v37, v28
	v_cmp_eq_u32_e64 s9, 0, v36
	;; [unrolled: 1-line block ×5, first 2 shown]
	s_and_b32 s9, s6, s9
	v_cndmask_b32_e64 v36, 0, 1, s9
	s_and_b32 s9, s6, s11
	v_cndmask_b32_e64 v37, 0, 1, s9
	s_and_b32 s9, s6, s12
	s_and_b32 s6, s6, s13
	v_cndmask_b32_e64 v38, 0, 1, s9
	v_cndmask_b32_e64 v39, 0, 1, s6
	v_cmp_ne_u32_e64 s6, 0, v36
	v_cmp_ne_u32_e64 s9, 0, v37
	;; [unrolled: 1-line block ×4, first 2 shown]
	s_bcnt1_i32_b32 s6, s6
	s_bcnt1_i32_b32 s9, s9
	v_add_co_u32 v4, s6, v4, s6
	s_bcnt1_i32_b32 s11, s11
	v_add_co_ci_u32_e64 v5, null, 0, v5, s6
	v_add_co_u32 v6, s6, v6, s9
	s_bcnt1_i32_b32 s12, s12
	v_add_co_ci_u32_e64 v7, null, 0, v7, s6
	v_add_co_u32 v8, s6, v8, s11
	v_add_co_ci_u32_e64 v9, null, 0, v9, s6
	v_add_co_u32 v10, s6, v10, s12
	v_add_co_ci_u32_e64 v11, null, 0, v11, s6
	s_or_b32 s15, vcc_lo, s15
	s_andn2_b32 exec_lo, exec_lo, s15
	s_cbranch_execnz .LBB219_74
; %bb.75:                               ;   in Loop: Header=BB219_12 Depth=1
	s_or_b32 exec_lo, exec_lo, s15
.LBB219_76:                             ;   in Loop: Header=BB219_12 Depth=1
	s_or_b32 exec_lo, exec_lo, s14
	s_lshl_b32 s6, s95, 7
	s_and_saveexec_b32 s9, s0
	s_cbranch_execnz .LBB219_47
	s_branch .LBB219_48
.LBB219_77:                             ;   in Loop: Header=BB219_12 Depth=1
                                        ; implicit-def: $sgpr12_sgpr13
	s_branch .LBB219_56
.LBB219_78:                             ;   in Loop: Header=BB219_12 Depth=1
	s_mov_b32 s11, 0
	s_andn2_b32 vcc_lo, exec_lo, s89
	s_cbranch_vccnz .LBB219_81
.LBB219_79:                             ;   in Loop: Header=BB219_12 Depth=1
	s_lshl_b32 s12, s95, 10
	s_lshl_b32 s11, s11, 5
	v_add3_u32 v2, s12, s11, v30
	s_mov_b32 s11, s86
.LBB219_80:                             ;   Parent Loop BB219_12 Depth=1
                                        ; =>  This Inner Loop Header: Depth=2
	ds_read_b64 v[6:7], v2
	v_add_nc_u32_e32 v2, 32, v2
	s_add_i32 s11, s11, -1
	s_cmp_lg_u32 s11, 0
	s_waitcnt lgkmcnt(0)
	v_add_co_u32 v4, vcc_lo, v6, v4
	v_add_co_ci_u32_e64 v5, null, v7, v5, vcc_lo
	s_cbranch_scc1 .LBB219_80
.LBB219_81:                             ;   in Loop: Header=BB219_12 Depth=1
	v_add_lshl_u32 v2, s6, v24, 3
	ds_write_b64 v2, v[4:5] offset:3072
.LBB219_82:                             ;   in Loop: Header=BB219_12 Depth=1
	s_or_b32 exec_lo, exec_lo, s9
	s_lshl_b32 s6, s6, 3
	s_waitcnt lgkmcnt(0)
	v_mov_b32_e32 v2, s6
	s_barrier
	buffer_gl0_inv
	v_cmp_eq_u64_e64 s9, 1, v[19:20]
	s_lshl_b32 s11, 3, s91
	ds_read_b128 v[4:7], v2 offset:3072
	ds_read_b128 v[8:11], v2 offset:3088
	s_mov_b32 s67, -1
	s_not_b32 s26, s11
	s_mov_b32 s27, 0
	s_andn2_b32 vcc_lo, exec_lo, s53
	s_mov_b32 s64, 0
	s_mov_b32 s43, 0
                                        ; implicit-def: $sgpr65
                                        ; implicit-def: $sgpr66
                                        ; implicit-def: $vgpr2
	s_waitcnt lgkmcnt(1)
	v_readfirstlane_b32 s13, v5
	v_readfirstlane_b32 s12, v4
	;; [unrolled: 1-line block ×4, first 2 shown]
	s_waitcnt lgkmcnt(0)
	v_readfirstlane_b32 s17, v9
	v_readfirstlane_b32 s16, v8
	;; [unrolled: 1-line block ×4, first 2 shown]
                                        ; implicit-def: $vgpr4_vgpr5
                                        ; implicit-def: $vgpr8
                                        ; implicit-def: $vgpr9
                                        ; implicit-def: $vgpr10
	s_cbranch_vccnz .LBB219_277
; %bb.83:                               ;   in Loop: Header=BB219_12 Depth=1
	s_cmp_eq_u64 s[12:13], 1
	v_mov_b32_e32 v8, v28
	v_mov_b32_e32 v9, v33
	;; [unrolled: 1-line block ×3, first 2 shown]
	s_cselect_b32 s6, -1, 0
	s_mov_b32 s20, -1
	s_and_b32 s6, s6, s9
                                        ; implicit-def: $sgpr66
                                        ; implicit-def: $sgpr65
	s_and_saveexec_b32 s43, s6
	s_cbranch_execz .LBB219_118
; %bb.84:                               ;   in Loop: Header=BB219_12 Depth=1
	ds_read_b64 v[4:5], v3 offset:5120
	s_waitcnt lgkmcnt(0)
	s_barrier
	buffer_gl0_inv
	v_readfirstlane_b32 s20, v4
	v_readfirstlane_b32 s21, v5
	s_and_saveexec_b32 s22, s10
; %bb.85:                               ;   in Loop: Header=BB219_12 Depth=1
	ds_write_b16 v26, v3
; %bb.86:                               ;   in Loop: Header=BB219_12 Depth=1
	s_or_b32 exec_lo, exec_lo, s22
	v_and_b32_e32 v8, s26, v28
	v_or_b32_e32 v9, s11, v33
	s_mov_b32 s65, -1
	s_mov_b32 s66, 0
	s_cmp_eq_u64 s[20:21], 0
	s_mov_b32 s24, 0
	s_mov_b32 s25, -1
	s_waitcnt lgkmcnt(0)
	s_barrier
	buffer_gl0_inv
                                        ; implicit-def: $vgpr10
	s_cbranch_scc1 .LBB219_103
; %bb.87:                               ;   in Loop: Header=BB219_12 Depth=1
	s_add_u32 s54, s20, s82
	s_addc_u32 s23, s21, s83
	s_mov_b32 s22, s59
	s_cmp_lg_u64 s[22:23], 0
	s_cbranch_scc0 .LBB219_144
; %bb.88:                               ;   in Loop: Header=BB219_12 Depth=1
	v_cvt_f32_u32_e32 v2, s49
	s_sub_u32 s25, 0, s49
	s_subb_u32 s44, 0, 0
	v_fmac_f32_e64 v2, 0x4f800000, 0
	v_rcp_f32_e32 v2, v2
	v_mul_f32_e32 v2, 0x5f7ffffc, v2
	v_mul_f32_e32 v4, 0x2f800000, v2
	v_trunc_f32_e32 v4, v4
	v_fmac_f32_e32 v2, 0xcf800000, v4
	v_cvt_u32_f32_e32 v4, v4
	v_cvt_u32_f32_e32 v2, v2
	v_readfirstlane_b32 s22, v4
	v_readfirstlane_b32 s24, v2
	s_mul_i32 s45, s25, s22
	s_mul_hi_u32 s47, s25, s24
	s_mul_i32 s46, s44, s24
	s_add_i32 s45, s47, s45
	s_mul_i32 s55, s25, s24
	s_add_i32 s45, s45, s46
	s_mul_hi_u32 s47, s24, s55
	s_mul_i32 s57, s24, s45
	s_mul_hi_u32 s56, s22, s55
	s_mul_i32 s46, s22, s55
	s_mul_hi_u32 s55, s24, s45
	s_add_u32 s47, s47, s57
	s_addc_u32 s55, 0, s55
	s_mul_hi_u32 s58, s22, s45
	s_add_u32 s46, s47, s46
	s_mul_i32 s45, s22, s45
	s_addc_u32 s46, s55, s56
	s_addc_u32 s47, s58, 0
	s_add_u32 s45, s46, s45
	s_addc_u32 s46, 0, s47
	s_add_u32 s24, s24, s45
	s_cselect_b32 s45, -1, 0
	s_mul_hi_u32 s47, s25, s24
	s_cmp_lg_u32 s45, 0
	s_mul_i32 s45, s25, s24
	s_addc_u32 s22, s22, s46
	s_mul_i32 s44, s44, s24
	s_mul_i32 s25, s25, s22
	s_mul_hi_u32 s46, s24, s45
	s_add_i32 s25, s47, s25
	s_mul_hi_u32 s47, s22, s45
	s_add_i32 s25, s25, s44
	s_mul_i32 s44, s22, s45
	s_mul_i32 s56, s24, s25
	s_mul_hi_u32 s55, s24, s25
	s_add_u32 s46, s46, s56
	s_addc_u32 s55, 0, s55
	s_mul_hi_u32 s45, s22, s25
	s_add_u32 s44, s46, s44
	s_mul_i32 s25, s22, s25
	s_addc_u32 s44, s55, s47
	s_addc_u32 s45, s45, 0
	s_add_u32 s25, s44, s25
	s_addc_u32 s44, 0, s45
	s_add_u32 s24, s24, s25
	s_cselect_b32 s25, -1, 0
	s_mul_hi_u32 s45, s54, s24
	s_cmp_lg_u32 s25, 0
	s_mul_hi_u32 s25, s23, s24
	s_addc_u32 s22, s22, s44
	s_mul_i32 s24, s23, s24
	s_mul_i32 s46, s54, s22
	s_mul_hi_u32 s44, s54, s22
	s_add_u32 s45, s45, s46
	s_addc_u32 s44, 0, s44
	s_mul_hi_u32 s47, s23, s22
	s_add_u32 s24, s45, s24
	s_mul_i32 s22, s23, s22
	s_addc_u32 s24, s44, s25
	s_addc_u32 s25, s47, 0
	s_add_u32 s22, s24, s22
	s_addc_u32 s24, 0, s25
	s_mul_hi_u32 s25, s49, s22
	s_mul_i32 s24, s49, s24
	s_mul_i32 s22, s49, s22
	s_add_i32 s25, s25, s24
	s_sub_u32 s22, s54, s22
	s_cselect_b32 s24, -1, 0
	s_cmp_lg_u32 s24, 0
	s_subb_u32 s24, s23, s25
	s_sub_u32 s25, s22, s49
	s_cselect_b32 s44, -1, 0
	s_cmp_lg_u32 s44, 0
	s_subb_u32 s44, s24, 0
	s_sub_u32 s45, s25, s49
	s_cselect_b32 s46, -1, 0
	s_cmp_lg_u32 s46, 0
	s_subb_u32 s46, s44, 0
	s_cmp_ge_u32 s25, s49
	s_cselect_b32 s47, -1, 0
	s_cmp_eq_u32 s44, 0
	s_cselect_b32 s47, s47, -1
	s_cmp_lg_u32 s47, 0
	s_cselect_b32 s44, s46, s44
	s_cselect_b32 s45, s45, s25
	s_cmp_ge_u32 s22, s49
	s_cselect_b32 s25, -1, 0
	s_cmp_eq_u32 s24, 0
	s_cselect_b32 s25, s25, -1
	s_cmp_lg_u32 s25, 0
	s_cselect_b32 s25, s44, s24
	s_cselect_b32 s24, s45, s22
	s_cbranch_execnz .LBB219_90
.LBB219_89:                             ;   in Loop: Header=BB219_12 Depth=1
	v_cvt_f32_u32_e32 v2, s49
	s_sub_i32 s24, 0, s49
	v_rcp_iflag_f32_e32 v2, v2
	v_mul_f32_e32 v2, 0x4f7ffffe, v2
	v_cvt_u32_f32_e32 v2, v2
	v_readfirstlane_b32 s22, v2
	s_mul_i32 s24, s24, s22
	s_mul_hi_u32 s24, s22, s24
	s_add_i32 s22, s22, s24
	s_mul_hi_u32 s22, s54, s22
	s_mul_i32 s22, s22, s49
	s_sub_i32 s22, s54, s22
	s_sub_i32 s24, s22, s49
	s_cmp_ge_u32 s22, s49
	s_cselect_b32 s22, s24, s22
	s_sub_i32 s24, s22, s49
	s_cmp_ge_u32 s22, s49
	s_cselect_b32 s58, s24, s22
	s_mov_b64 s[24:25], s[58:59]
.LBB219_90:                             ;   in Loop: Header=BB219_12 Depth=1
	s_sub_u32 s22, s54, s24
	s_subb_u32 s23, s23, s25
	s_mov_b32 s25, 0
	s_mov_b32 s24, 0
	s_mov_b32 s54, exec_lo
                                        ; implicit-def: $vgpr10
	v_cmpx_gt_u64_e64 s[22:23], v[0:1]
	s_cbranch_execz .LBB219_102
; %bb.91:                               ;   in Loop: Header=BB219_12 Depth=1
	v_mov_b32_e32 v5, v1
	v_mov_b32_e32 v2, v25
	;; [unrolled: 1-line block ×3, first 2 shown]
                                        ; implicit-def: $sgpr55
	s_branch .LBB219_94
.LBB219_92:                             ;   in Loop: Header=BB219_94 Depth=2
	s_or_b32 exec_lo, exec_lo, s56
	s_waitcnt lgkmcnt(0)
	s_barrier
	buffer_gl0_inv
	ds_read_b32 v6, v3 offset:3072
	s_mov_b32 s56, -1
	s_mov_b32 s57, -1
	s_waitcnt lgkmcnt(0)
	s_barrier
	buffer_gl0_inv
	v_and_b32_e32 v7, 0x7fff, v6
	v_cmp_ne_u32_e32 vcc_lo, 0, v7
	s_cbranch_vccz .LBB219_97
.LBB219_93:                             ;   in Loop: Header=BB219_94 Depth=2
	s_and_b32 s44, exec_lo, s56
	s_or_b32 s24, s44, s24
	s_andn2_b32 s44, s55, exec_lo
	s_and_b32 s45, s57, exec_lo
	s_or_b32 s55, s44, s45
	s_andn2_b32 exec_lo, exec_lo, s24
	s_cbranch_execz .LBB219_101
.LBB219_94:                             ;   Parent Loop BB219_12 Depth=1
                                        ; =>  This Inner Loop Header: Depth=2
	s_mov_b32 s56, exec_lo
	v_cmpx_gt_u64_e64 s[20:21], v[4:5]
	s_cbranch_execz .LBB219_92
; %bb.95:                               ;   in Loop: Header=BB219_94 Depth=2
	ds_read_u16 v6, v2
	s_waitcnt lgkmcnt(0)
	v_cmp_lt_i16_e32 vcc_lo, -1, v6
	v_lshlrev_b32_e32 v10, 16, v6
	v_cndmask_b32_e32 v7, 0xffff, v31, vcc_lo
	v_cmp_o_f32_e32 vcc_lo, v10, v10
	v_xor_b32_sdwa v7, v7, v6 dst_sel:DWORD dst_unused:UNUSED_PAD src0_sel:DWORD src1_sel:WORD_0
	v_cndmask_b32_e32 v7, 0xffff, v7, vcc_lo
	v_and_b32_e32 v7, v7, v9
	v_cmp_eq_u32_e32 vcc_lo, v7, v8
	s_and_b32 exec_lo, exec_lo, vcc_lo
	s_cbranch_execz .LBB219_92
; %bb.96:                               ;   in Loop: Header=BB219_94 Depth=2
	v_perm_b32 v6, v6, s93, 0x5040100
	ds_write_b32 v3, v6 offset:3072
	s_branch .LBB219_92
.LBB219_97:                             ;   in Loop: Header=BB219_94 Depth=2
	v_add_co_u32 v4, vcc_lo, v4, s49
	v_add_co_ci_u32_e64 v5, null, 0, v5, vcc_lo
	v_add_nc_u32_e32 v2, s90, v2
	s_mov_b32 s57, 0
	v_cmp_le_u64_e32 vcc_lo, s[22:23], v[4:5]
	s_orn2_b32 s56, vcc_lo, exec_lo
	s_branch .LBB219_93
.LBB219_98:                             ;   in Loop: Header=BB219_12 Depth=1
	s_or_b32 exec_lo, exec_lo, s12
	s_waitcnt lgkmcnt(0)
	s_barrier
	buffer_gl0_inv
	s_and_saveexec_b32 s6, s3
	s_cbranch_execz .LBB219_100
; %bb.99:                               ;   in Loop: Header=BB219_12 Depth=1
	ds_read_b32 v4, v3 offset:5144
	s_waitcnt lgkmcnt(0)
	v_ashrrev_i32_e32 v5, 31, v4
	ds_write_b64 v3, v[4:5] offset:5120
.LBB219_100:                            ;   in Loop: Header=BB219_12 Depth=1
	s_or_b32 exec_lo, exec_lo, s6
	s_waitcnt lgkmcnt(0)
	s_mov_b32 s6, -1
	s_barrier
	s_and_b32 vcc_lo, exec_lo, s11
	s_cbranch_vccnz .LBB219_27
	s_branch .LBB219_42
.LBB219_101:                            ;   in Loop: Header=BB219_12 Depth=1
	s_or_b32 exec_lo, exec_lo, s24
	v_lshrrev_b32_e32 v10, 16, v6
	s_and_b32 s24, s55, exec_lo
.LBB219_102:                            ;   in Loop: Header=BB219_12 Depth=1
	s_or_b32 exec_lo, exec_lo, s54
.LBB219_103:                            ;   in Loop: Header=BB219_12 Depth=1
	s_and_b32 vcc_lo, exec_lo, s25
	s_cbranch_vccz .LBB219_117
; %bb.104:                              ;   in Loop: Header=BB219_12 Depth=1
	s_mov_b32 s60, s59
	s_cmp_lg_u64 s[60:61], 0
	s_cbranch_scc0 .LBB219_145
; %bb.105:                              ;   in Loop: Header=BB219_12 Depth=1
	v_cvt_f32_u32_e32 v2, s49
	s_sub_u32 s22, 0, s49
	s_subb_u32 s23, 0, 0
	v_fmac_f32_e64 v2, 0x4f800000, 0
	v_rcp_f32_e32 v2, v2
	v_mul_f32_e32 v2, 0x5f7ffffc, v2
	v_mul_f32_e32 v4, 0x2f800000, v2
	v_trunc_f32_e32 v4, v4
	v_fmac_f32_e32 v2, 0xcf800000, v4
	v_cvt_u32_f32_e32 v4, v4
	v_cvt_u32_f32_e32 v2, v2
	v_readfirstlane_b32 s20, v4
	v_readfirstlane_b32 s21, v2
	s_mul_i32 s25, s22, s20
	s_mul_hi_u32 s45, s22, s21
	s_mul_i32 s44, s23, s21
	s_add_i32 s25, s45, s25
	s_mul_i32 s46, s22, s21
	s_add_i32 s25, s25, s44
	s_mul_hi_u32 s45, s21, s46
	s_mul_i32 s54, s21, s25
	s_mul_hi_u32 s47, s20, s46
	s_mul_i32 s44, s20, s46
	s_mul_hi_u32 s46, s21, s25
	s_add_u32 s45, s45, s54
	s_addc_u32 s46, 0, s46
	s_mul_hi_u32 s55, s20, s25
	s_add_u32 s44, s45, s44
	s_mul_i32 s25, s20, s25
	s_addc_u32 s44, s46, s47
	s_addc_u32 s45, s55, 0
	s_add_u32 s25, s44, s25
	s_addc_u32 s44, 0, s45
	s_add_u32 s21, s21, s25
	s_cselect_b32 s25, -1, 0
	s_mul_hi_u32 s45, s22, s21
	s_cmp_lg_u32 s25, 0
	s_mul_i32 s25, s22, s21
	s_addc_u32 s20, s20, s44
	s_mul_i32 s23, s23, s21
	s_mul_i32 s22, s22, s20
	s_mul_hi_u32 s44, s21, s25
	s_add_i32 s22, s45, s22
	s_mul_hi_u32 s45, s20, s25
	s_add_i32 s22, s22, s23
	s_mul_i32 s23, s20, s25
	s_mul_i32 s47, s21, s22
	s_mul_hi_u32 s46, s21, s22
	s_add_u32 s44, s44, s47
	s_addc_u32 s46, 0, s46
	s_mul_hi_u32 s25, s20, s22
	s_add_u32 s23, s44, s23
	s_mul_i32 s22, s20, s22
	s_addc_u32 s23, s46, s45
	s_addc_u32 s25, s25, 0
	s_add_u32 s22, s23, s22
	s_addc_u32 s23, 0, s25
	s_add_u32 s21, s21, s22
	s_cselect_b32 s22, -1, 0
	s_mul_hi_u32 s25, s84, s21
	s_cmp_lg_u32 s22, 0
	s_mul_hi_u32 s22, s61, s21
	s_addc_u32 s20, s20, s23
	s_mul_i32 s21, s61, s21
	s_mul_i32 s44, s84, s20
	s_mul_hi_u32 s23, s84, s20
	s_add_u32 s25, s25, s44
	s_addc_u32 s23, 0, s23
	s_mul_hi_u32 s45, s61, s20
	s_add_u32 s21, s25, s21
	s_mul_i32 s20, s61, s20
	s_addc_u32 s21, s23, s22
	s_addc_u32 s22, s45, 0
	s_add_u32 s20, s21, s20
	s_addc_u32 s21, 0, s22
	s_mul_hi_u32 s22, s49, s20
	s_mul_i32 s21, s49, s21
	s_mul_i32 s20, s49, s20
	s_add_i32 s22, s22, s21
	s_sub_u32 s20, s84, s20
	s_cselect_b32 s21, -1, 0
	s_cmp_lg_u32 s21, 0
	s_subb_u32 s21, s61, s22
	s_sub_u32 s22, s20, s49
	s_cselect_b32 s23, -1, 0
	s_cmp_lg_u32 s23, 0
	s_subb_u32 s23, s21, 0
	;; [unrolled: 4-line block ×3, first 2 shown]
	s_cmp_ge_u32 s22, s49
	s_cselect_b32 s45, -1, 0
	s_cmp_eq_u32 s23, 0
	s_cselect_b32 s45, s45, -1
	s_cmp_lg_u32 s45, 0
	s_cselect_b32 s23, s44, s23
	s_cselect_b32 s22, s25, s22
	s_cmp_ge_u32 s20, s49
	s_cselect_b32 s25, -1, 0
	s_cmp_eq_u32 s21, 0
	s_cselect_b32 s25, s25, -1
	s_cmp_lg_u32 s25, 0
	s_cselect_b32 s21, s23, s21
	s_cselect_b32 s20, s22, s20
	s_cbranch_execnz .LBB219_107
.LBB219_106:                            ;   in Loop: Header=BB219_12 Depth=1
	v_cvt_f32_u32_e32 v2, s49
	s_sub_i32 s21, 0, s49
	v_rcp_iflag_f32_e32 v2, v2
	v_mul_f32_e32 v2, 0x4f7ffffe, v2
	v_cvt_u32_f32_e32 v2, v2
	v_readfirstlane_b32 s20, v2
	s_mul_i32 s21, s21, s20
	s_mul_hi_u32 s21, s20, s21
	s_add_i32 s20, s20, s21
	s_mul_hi_u32 s20, s84, s20
	s_mul_i32 s20, s20, s49
	s_sub_i32 s20, s84, s20
	s_sub_i32 s21, s20, s49
	s_cmp_ge_u32 s20, s49
	s_cselect_b32 s20, s21, s20
	s_sub_i32 s21, s20, s49
	s_cmp_ge_u32 s20, s49
	s_cselect_b32 s58, s21, s20
	s_mov_b64 s[20:21], s[58:59]
.LBB219_107:                            ;   in Loop: Header=BB219_12 Depth=1
	s_sub_u32 s20, s84, s20
	s_subb_u32 s21, s61, s21
	s_mov_b32 s22, exec_lo
                                        ; implicit-def: $vgpr10
	v_cmpx_gt_u64_e64 s[20:21], v[0:1]
	s_cbranch_execz .LBB219_116
; %bb.108:                              ;   in Loop: Header=BB219_12 Depth=1
	v_mov_b32_e32 v5, v1
	v_mov_b32_e32 v4, v0
	s_mov_b32 s23, 0
                                        ; implicit-def: $sgpr25
	s_branch .LBB219_111
.LBB219_109:                            ;   in Loop: Header=BB219_111 Depth=2
	s_or_b32 exec_lo, exec_lo, s54
	s_waitcnt lgkmcnt(0)
	s_barrier
	buffer_gl0_inv
	ds_read_b32 v2, v3 offset:3072
	s_mov_b32 s55, -1
	s_mov_b32 s54, -1
	s_waitcnt lgkmcnt(0)
	s_barrier
	buffer_gl0_inv
	v_and_b32_e32 v6, 0x7fff, v2
	v_cmp_ne_u32_e32 vcc_lo, 0, v6
	s_cbranch_vccz .LBB219_114
.LBB219_110:                            ;   in Loop: Header=BB219_111 Depth=2
	s_and_b32 s44, exec_lo, s55
	s_or_b32 s23, s44, s23
	s_andn2_b32 s25, s25, exec_lo
	s_and_b32 s44, s54, exec_lo
	s_or_b32 s25, s25, s44
	s_andn2_b32 exec_lo, exec_lo, s23
	s_cbranch_execz .LBB219_115
.LBB219_111:                            ;   Parent Loop BB219_12 Depth=1
                                        ; =>  This Inner Loop Header: Depth=2
	s_mov_b32 s54, exec_lo
	v_cmpx_gt_u64_e64 s[36:37], v[4:5]
	s_cbranch_execz .LBB219_109
; %bb.112:                              ;   in Loop: Header=BB219_111 Depth=2
	v_mul_lo_u32 v2, v5, s30
	v_mul_lo_u32 v10, v4, s31
	v_mad_u64_u32 v[6:7], null, v4, s30, 0
	v_add3_u32 v7, v7, v10, v2
	v_lshlrev_b64 v[6:7], 1, v[6:7]
	v_add_co_u32 v6, vcc_lo, s33, v6
	v_add_co_ci_u32_e64 v7, null, s35, v7, vcc_lo
	global_load_ushort v2, v[6:7], off
	s_waitcnt vmcnt(0)
	v_cmp_lt_i16_e32 vcc_lo, -1, v2
	v_lshlrev_b32_e32 v7, 16, v2
	v_cndmask_b32_e32 v6, 0xffff, v31, vcc_lo
	v_cmp_o_f32_e32 vcc_lo, v7, v7
	v_xor_b32_sdwa v6, v6, v2 dst_sel:DWORD dst_unused:UNUSED_PAD src0_sel:DWORD src1_sel:WORD_0
	v_cndmask_b32_e32 v6, 0xffff, v6, vcc_lo
	v_and_b32_e32 v6, v6, v9
	v_cmp_eq_u32_e32 vcc_lo, v6, v8
	s_and_b32 exec_lo, exec_lo, vcc_lo
	s_cbranch_execz .LBB219_109
; %bb.113:                              ;   in Loop: Header=BB219_111 Depth=2
	v_perm_b32 v2, v2, s93, 0x5040100
	ds_write_b32 v3, v2 offset:3072
	s_branch .LBB219_109
.LBB219_114:                            ;   in Loop: Header=BB219_111 Depth=2
	v_add_co_u32 v4, vcc_lo, v4, s49
	v_add_co_ci_u32_e64 v5, null, 0, v5, vcc_lo
	s_mov_b32 s54, 0
	v_cmp_le_u64_e32 vcc_lo, s[20:21], v[4:5]
	s_orn2_b32 s55, vcc_lo, exec_lo
	s_branch .LBB219_110
.LBB219_115:                            ;   in Loop: Header=BB219_12 Depth=1
	s_or_b32 exec_lo, exec_lo, s23
	v_lshrrev_b32_e32 v10, 16, v2
	s_andn2_b32 s20, s24, exec_lo
	s_and_b32 s21, s25, exec_lo
	s_or_b32 s24, s20, s21
.LBB219_116:                            ;   in Loop: Header=BB219_12 Depth=1
	s_or_b32 exec_lo, exec_lo, s22
	s_mov_b32 s65, 0
	s_mov_b32 s66, -1
.LBB219_117:                            ;   in Loop: Header=BB219_12 Depth=1
	s_orn2_b32 s20, s24, exec_lo
.LBB219_118:                            ;   in Loop: Header=BB219_12 Depth=1
	s_or_b32 exec_lo, exec_lo, s43
	s_mov_b32 s67, 0
	s_mov_b32 s64, 0
	;; [unrolled: 1-line block ×3, first 2 shown]
                                        ; implicit-def: $vgpr4_vgpr5
                                        ; implicit-def: $vgpr2
	s_and_saveexec_b32 s68, s20
	s_cbranch_execz .LBB219_276
; %bb.119:                              ;   in Loop: Header=BB219_12 Depth=1
	v_mov_b32_e32 v4, 1
	v_mov_b32_e32 v5, 0
	;; [unrolled: 1-line block ×3, first 2 shown]
	s_xor_b32 s21, s6, -1
	s_mov_b32 s20, 0
	s_and_saveexec_b32 s6, s21
	s_cbranch_execz .LBB219_128
; %bb.120:                              ;   in Loop: Header=BB219_12 Depth=1
	s_mov_b32 s20, exec_lo
	v_cmpx_ge_u64_e64 s[12:13], v[19:20]
	s_xor_b32 s20, exec_lo, s20
	s_cbranch_execz .LBB219_125
; %bb.121:                              ;   in Loop: Header=BB219_12 Depth=1
	ds_read_b64 v[4:5], v3 offset:5120
	v_and_b32_e32 v8, s26, v8
	v_or_b32_e32 v9, s11, v9
	s_waitcnt lgkmcnt(0)
	v_cmp_ne_u64_e32 vcc_lo, 0, v[4:5]
	s_cbranch_vccnz .LBB219_125
; %bb.122:                              ;   in Loop: Header=BB219_12 Depth=1
	s_and_saveexec_b32 s21, s3
; %bb.123:                              ;   in Loop: Header=BB219_12 Depth=1
	v_mov_b32_e32 v4, s12
	v_mov_b32_e32 v5, s13
	ds_write_b64 v3, v[4:5] offset:5128
; %bb.124:                              ;   in Loop: Header=BB219_12 Depth=1
	s_or_b32 exec_lo, exec_lo, s21
	s_waitcnt lgkmcnt(0)
	s_barrier
	buffer_gl0_inv
.LBB219_125:                            ;   in Loop: Header=BB219_12 Depth=1
	s_or_saveexec_b32 s20, s20
	v_mov_b32_e32 v4, v19
	v_mov_b32_e32 v2, 8
	;; [unrolled: 1-line block ×3, first 2 shown]
	s_mov_b32 s21, 0
	s_xor_b32 exec_lo, exec_lo, s20
; %bb.126:                              ;   in Loop: Header=BB219_12 Depth=1
	v_sub_co_u32 v4, vcc_lo, v19, s12
	v_subrev_co_ci_u32_e64 v5, null, s13, v20, vcc_lo
	v_mov_b32_e32 v2, 0
	s_mov_b32 s21, exec_lo
; %bb.127:                              ;   in Loop: Header=BB219_12 Depth=1
	s_or_b32 exec_lo, exec_lo, s20
	s_and_b32 s20, s21, exec_lo
.LBB219_128:                            ;   in Loop: Header=BB219_12 Depth=1
	s_or_b32 exec_lo, exec_lo, s6
	s_mov_b32 s6, -1
                                        ; implicit-def: $sgpr64
                                        ; implicit-def: $sgpr69
	s_and_saveexec_b32 s21, s20
	s_xor_b32 s43, exec_lo, s21
	s_cbranch_execz .LBB219_273
; %bb.129:                              ;   in Loop: Header=BB219_12 Depth=1
	v_cmp_eq_u64_e32 vcc_lo, 1, v[4:5]
	s_cmp_eq_u64 s[14:15], 1
	s_mov_b32 s20, -1
	s_cselect_b32 s6, -1, 0
                                        ; implicit-def: $sgpr69
                                        ; implicit-def: $sgpr64
	s_and_b32 s6, s6, vcc_lo
	s_and_saveexec_b32 s70, s6
	s_cbranch_execz .LBB219_163
; %bb.130:                              ;   in Loop: Header=BB219_12 Depth=1
	ds_read_b64 v[6:7], v3 offset:5120
	s_waitcnt lgkmcnt(0)
	s_barrier
	buffer_gl0_inv
	v_readfirstlane_b32 s20, v6
	v_readfirstlane_b32 s21, v7
	s_and_saveexec_b32 s22, s10
; %bb.131:                              ;   in Loop: Header=BB219_12 Depth=1
	ds_write_b16 v26, v3
; %bb.132:                              ;   in Loop: Header=BB219_12 Depth=1
	s_or_b32 exec_lo, exec_lo, s22
	s_lshl_b32 s22, 1, s91
	v_or_b32_e32 v9, s11, v9
	v_and_or_b32 v8, v8, s26, s22
	s_mov_b32 s64, -1
	s_mov_b32 s69, 0
	s_cmp_eq_u64 s[20:21], 0
	s_mov_b32 s24, 0
	s_mov_b32 s25, -1
	s_waitcnt lgkmcnt(0)
	s_barrier
	buffer_gl0_inv
                                        ; implicit-def: $vgpr10
	s_cbranch_scc1 .LBB219_148
; %bb.133:                              ;   in Loop: Header=BB219_12 Depth=1
	s_add_u32 s54, s20, s82
	s_addc_u32 s23, s21, s83
	s_mov_b32 s22, s59
	s_cmp_lg_u64 s[22:23], 0
	s_cbranch_scc0 .LBB219_189
; %bb.134:                              ;   in Loop: Header=BB219_12 Depth=1
	v_cvt_f32_u32_e32 v6, s49
	s_sub_u32 s25, 0, s49
	s_subb_u32 s55, 0, 0
	v_fmac_f32_e64 v6, 0x4f800000, 0
	v_rcp_f32_e32 v6, v6
	v_mul_f32_e32 v6, 0x5f7ffffc, v6
	v_mul_f32_e32 v7, 0x2f800000, v6
	v_trunc_f32_e32 v7, v7
	v_fmac_f32_e32 v6, 0xcf800000, v7
	v_cvt_u32_f32_e32 v7, v7
	v_cvt_u32_f32_e32 v6, v6
	v_readfirstlane_b32 s22, v7
	v_readfirstlane_b32 s24, v6
	s_mul_i32 s56, s25, s22
	s_mul_hi_u32 s58, s25, s24
	s_mul_i32 s57, s55, s24
	s_add_i32 s56, s58, s56
	s_mul_i32 s60, s25, s24
	s_add_i32 s56, s56, s57
	s_mul_hi_u32 s58, s24, s60
	s_mul_i32 s72, s24, s56
	s_mul_hi_u32 s71, s22, s60
	s_mul_i32 s57, s22, s60
	s_mul_hi_u32 s60, s24, s56
	s_add_u32 s58, s58, s72
	s_addc_u32 s60, 0, s60
	s_mul_hi_u32 s73, s22, s56
	s_add_u32 s57, s58, s57
	s_mul_i32 s56, s22, s56
	s_addc_u32 s57, s60, s71
	s_addc_u32 s58, s73, 0
	s_add_u32 s56, s57, s56
	s_addc_u32 s57, 0, s58
	s_add_u32 s24, s24, s56
	s_cselect_b32 s56, -1, 0
	s_mul_hi_u32 s58, s25, s24
	s_cmp_lg_u32 s56, 0
	s_mul_i32 s56, s25, s24
	s_addc_u32 s22, s22, s57
	s_mul_i32 s55, s55, s24
	s_mul_i32 s25, s25, s22
	s_mul_hi_u32 s57, s24, s56
	s_add_i32 s25, s58, s25
	s_mul_hi_u32 s58, s22, s56
	s_add_i32 s25, s25, s55
	s_mul_i32 s55, s22, s56
	s_mul_i32 s71, s24, s25
	s_mul_hi_u32 s60, s24, s25
	s_add_u32 s57, s57, s71
	s_addc_u32 s60, 0, s60
	s_mul_hi_u32 s56, s22, s25
	s_add_u32 s55, s57, s55
	s_mul_i32 s25, s22, s25
	s_addc_u32 s55, s60, s58
	s_addc_u32 s56, s56, 0
	s_add_u32 s25, s55, s25
	s_addc_u32 s55, 0, s56
	s_add_u32 s24, s24, s25
	s_cselect_b32 s25, -1, 0
	s_mul_hi_u32 s56, s54, s24
	s_cmp_lg_u32 s25, 0
	s_mul_hi_u32 s25, s23, s24
	s_addc_u32 s22, s22, s55
	s_mul_i32 s24, s23, s24
	s_mul_i32 s57, s54, s22
	s_mul_hi_u32 s55, s54, s22
	s_add_u32 s56, s56, s57
	s_addc_u32 s55, 0, s55
	s_mul_hi_u32 s58, s23, s22
	s_add_u32 s24, s56, s24
	s_mul_i32 s22, s23, s22
	s_addc_u32 s24, s55, s25
	s_addc_u32 s25, s58, 0
	s_add_u32 s22, s24, s22
	s_addc_u32 s24, 0, s25
	s_mul_hi_u32 s25, s49, s22
	s_mul_i32 s24, s49, s24
	s_mul_i32 s22, s49, s22
	s_add_i32 s25, s25, s24
	s_sub_u32 s22, s54, s22
	s_cselect_b32 s24, -1, 0
	s_cmp_lg_u32 s24, 0
	s_subb_u32 s24, s23, s25
	s_sub_u32 s25, s22, s49
	s_cselect_b32 s55, -1, 0
	s_cmp_lg_u32 s55, 0
	s_subb_u32 s55, s24, 0
	;; [unrolled: 4-line block ×3, first 2 shown]
	s_cmp_ge_u32 s25, s49
	s_cselect_b32 s58, -1, 0
	s_cmp_eq_u32 s55, 0
	s_cselect_b32 s58, s58, -1
	s_cmp_lg_u32 s58, 0
	s_cselect_b32 s55, s57, s55
	s_cselect_b32 s56, s56, s25
	s_cmp_ge_u32 s22, s49
	s_cselect_b32 s25, -1, 0
	s_cmp_eq_u32 s24, 0
	s_cselect_b32 s25, s25, -1
	s_cmp_lg_u32 s25, 0
	s_cselect_b32 s25, s55, s24
	s_cselect_b32 s24, s56, s22
	s_cbranch_execnz .LBB219_136
.LBB219_135:                            ;   in Loop: Header=BB219_12 Depth=1
	v_cvt_f32_u32_e32 v6, s49
	s_sub_i32 s24, 0, s49
	v_rcp_iflag_f32_e32 v6, v6
	v_mul_f32_e32 v6, 0x4f7ffffe, v6
	v_cvt_u32_f32_e32 v6, v6
	v_readfirstlane_b32 s22, v6
	s_mul_i32 s24, s24, s22
	s_mul_hi_u32 s24, s22, s24
	s_add_i32 s22, s22, s24
	s_mul_hi_u32 s22, s54, s22
	s_mul_i32 s22, s22, s49
	s_sub_i32 s22, s54, s22
	s_sub_i32 s24, s22, s49
	s_cmp_ge_u32 s22, s49
	s_cselect_b32 s22, s24, s22
	s_sub_i32 s24, s22, s49
	s_cmp_ge_u32 s22, s49
	s_cselect_b32 s58, s24, s22
	s_mov_b64 s[24:25], s[58:59]
.LBB219_136:                            ;   in Loop: Header=BB219_12 Depth=1
	s_sub_u32 s22, s54, s24
	s_subb_u32 s23, s23, s25
	s_mov_b32 s25, 0
	s_mov_b32 s24, 0
	s_mov_b32 s54, exec_lo
                                        ; implicit-def: $vgpr10
	v_cmpx_gt_u64_e64 s[22:23], v[0:1]
	s_cbranch_execz .LBB219_147
; %bb.137:                              ;   in Loop: Header=BB219_12 Depth=1
	v_mov_b32_e32 v7, v1
	v_mov_b32_e32 v10, v25
	;; [unrolled: 1-line block ×3, first 2 shown]
                                        ; implicit-def: $sgpr55
	s_branch .LBB219_140
.LBB219_138:                            ;   in Loop: Header=BB219_140 Depth=2
	s_or_b32 exec_lo, exec_lo, s56
	s_waitcnt lgkmcnt(0)
	s_barrier
	buffer_gl0_inv
	ds_read_b32 v11, v3 offset:3072
	s_mov_b32 s56, -1
	s_mov_b32 s57, -1
	s_waitcnt lgkmcnt(0)
	s_barrier
	buffer_gl0_inv
	v_and_b32_e32 v21, 0x7fff, v11
	v_cmp_ne_u32_e32 vcc_lo, 0, v21
	s_cbranch_vccz .LBB219_143
.LBB219_139:                            ;   in Loop: Header=BB219_140 Depth=2
	s_and_b32 s44, exec_lo, s56
	s_or_b32 s24, s44, s24
	s_andn2_b32 s44, s55, exec_lo
	s_and_b32 s45, s57, exec_lo
	s_or_b32 s55, s44, s45
	s_andn2_b32 exec_lo, exec_lo, s24
	s_cbranch_execz .LBB219_146
.LBB219_140:                            ;   Parent Loop BB219_12 Depth=1
                                        ; =>  This Inner Loop Header: Depth=2
	s_mov_b32 s56, exec_lo
	v_cmpx_gt_u64_e64 s[20:21], v[6:7]
	s_cbranch_execz .LBB219_138
; %bb.141:                              ;   in Loop: Header=BB219_140 Depth=2
	ds_read_u16 v11, v10
	s_waitcnt lgkmcnt(0)
	v_cmp_lt_i16_e32 vcc_lo, -1, v11
	v_lshlrev_b32_e32 v22, 16, v11
	v_cndmask_b32_e32 v21, 0xffff, v31, vcc_lo
	v_cmp_o_f32_e32 vcc_lo, v22, v22
	v_xor_b32_sdwa v21, v21, v11 dst_sel:DWORD dst_unused:UNUSED_PAD src0_sel:DWORD src1_sel:WORD_0
	v_cndmask_b32_e32 v21, 0xffff, v21, vcc_lo
	v_and_b32_e32 v21, v21, v9
	v_cmp_eq_u32_e32 vcc_lo, v21, v8
	s_and_b32 exec_lo, exec_lo, vcc_lo
	s_cbranch_execz .LBB219_138
; %bb.142:                              ;   in Loop: Header=BB219_140 Depth=2
	v_perm_b32 v11, v11, s93, 0x5040100
	ds_write_b32 v3, v11 offset:3072
	s_branch .LBB219_138
.LBB219_143:                            ;   in Loop: Header=BB219_140 Depth=2
	v_add_co_u32 v6, vcc_lo, v6, s49
	v_add_co_ci_u32_e64 v7, null, 0, v7, vcc_lo
	v_add_nc_u32_e32 v10, s90, v10
	s_mov_b32 s57, 0
	v_cmp_le_u64_e32 vcc_lo, s[22:23], v[6:7]
	s_orn2_b32 s56, vcc_lo, exec_lo
	s_branch .LBB219_139
.LBB219_144:                            ;   in Loop: Header=BB219_12 Depth=1
                                        ; implicit-def: $sgpr24_sgpr25
	s_branch .LBB219_89
.LBB219_145:                            ;   in Loop: Header=BB219_12 Depth=1
                                        ; implicit-def: $sgpr20_sgpr21
	s_branch .LBB219_106
.LBB219_146:                            ;   in Loop: Header=BB219_12 Depth=1
	s_or_b32 exec_lo, exec_lo, s24
	v_lshrrev_b32_e32 v10, 16, v11
	s_and_b32 s24, s55, exec_lo
.LBB219_147:                            ;   in Loop: Header=BB219_12 Depth=1
	s_or_b32 exec_lo, exec_lo, s54
.LBB219_148:                            ;   in Loop: Header=BB219_12 Depth=1
	s_and_b32 vcc_lo, exec_lo, s25
	s_cbranch_vccz .LBB219_162
; %bb.149:                              ;   in Loop: Header=BB219_12 Depth=1
	s_mov_b32 s60, s59
	s_cmp_lg_u64 s[60:61], 0
	s_cbranch_scc0 .LBB219_190
; %bb.150:                              ;   in Loop: Header=BB219_12 Depth=1
	v_cvt_f32_u32_e32 v6, s49
	s_sub_u32 s22, 0, s49
	s_subb_u32 s23, 0, 0
	v_fmac_f32_e64 v6, 0x4f800000, 0
	v_rcp_f32_e32 v6, v6
	v_mul_f32_e32 v6, 0x5f7ffffc, v6
	v_mul_f32_e32 v7, 0x2f800000, v6
	v_trunc_f32_e32 v7, v7
	v_fmac_f32_e32 v6, 0xcf800000, v7
	v_cvt_u32_f32_e32 v7, v7
	v_cvt_u32_f32_e32 v6, v6
	v_readfirstlane_b32 s20, v7
	v_readfirstlane_b32 s21, v6
	s_mul_i32 s25, s22, s20
	s_mul_hi_u32 s55, s22, s21
	s_mul_i32 s54, s23, s21
	s_add_i32 s25, s55, s25
	s_mul_i32 s56, s22, s21
	s_add_i32 s25, s25, s54
	s_mul_hi_u32 s55, s21, s56
	s_mul_i32 s58, s21, s25
	s_mul_hi_u32 s57, s20, s56
	s_mul_i32 s54, s20, s56
	s_mul_hi_u32 s56, s21, s25
	s_add_u32 s55, s55, s58
	s_addc_u32 s56, 0, s56
	s_mul_hi_u32 s60, s20, s25
	s_add_u32 s54, s55, s54
	s_mul_i32 s25, s20, s25
	s_addc_u32 s54, s56, s57
	s_addc_u32 s55, s60, 0
	s_add_u32 s25, s54, s25
	s_addc_u32 s54, 0, s55
	s_add_u32 s21, s21, s25
	s_cselect_b32 s25, -1, 0
	s_mul_hi_u32 s55, s22, s21
	s_cmp_lg_u32 s25, 0
	s_mul_i32 s25, s22, s21
	s_addc_u32 s20, s20, s54
	s_mul_i32 s23, s23, s21
	s_mul_i32 s22, s22, s20
	s_mul_hi_u32 s54, s21, s25
	s_add_i32 s22, s55, s22
	s_mul_hi_u32 s55, s20, s25
	s_add_i32 s22, s22, s23
	s_mul_i32 s23, s20, s25
	s_mul_i32 s57, s21, s22
	s_mul_hi_u32 s56, s21, s22
	s_add_u32 s54, s54, s57
	s_addc_u32 s56, 0, s56
	s_mul_hi_u32 s25, s20, s22
	s_add_u32 s23, s54, s23
	s_mul_i32 s22, s20, s22
	s_addc_u32 s23, s56, s55
	s_addc_u32 s25, s25, 0
	s_add_u32 s22, s23, s22
	s_addc_u32 s23, 0, s25
	s_add_u32 s21, s21, s22
	s_cselect_b32 s22, -1, 0
	s_mul_hi_u32 s25, s84, s21
	s_cmp_lg_u32 s22, 0
	s_mul_hi_u32 s22, s61, s21
	s_addc_u32 s20, s20, s23
	s_mul_i32 s21, s61, s21
	s_mul_i32 s54, s84, s20
	s_mul_hi_u32 s23, s84, s20
	s_add_u32 s25, s25, s54
	s_addc_u32 s23, 0, s23
	s_mul_hi_u32 s55, s61, s20
	s_add_u32 s21, s25, s21
	s_mul_i32 s20, s61, s20
	s_addc_u32 s21, s23, s22
	s_addc_u32 s22, s55, 0
	s_add_u32 s20, s21, s20
	s_addc_u32 s21, 0, s22
	s_mul_hi_u32 s22, s49, s20
	s_mul_i32 s21, s49, s21
	s_mul_i32 s20, s49, s20
	s_add_i32 s22, s22, s21
	s_sub_u32 s20, s84, s20
	s_cselect_b32 s21, -1, 0
	s_cmp_lg_u32 s21, 0
	s_subb_u32 s21, s61, s22
	s_sub_u32 s22, s20, s49
	s_cselect_b32 s23, -1, 0
	s_cmp_lg_u32 s23, 0
	s_subb_u32 s23, s21, 0
	;; [unrolled: 4-line block ×3, first 2 shown]
	s_cmp_ge_u32 s22, s49
	s_cselect_b32 s55, -1, 0
	s_cmp_eq_u32 s23, 0
	s_cselect_b32 s55, s55, -1
	s_cmp_lg_u32 s55, 0
	s_cselect_b32 s23, s54, s23
	s_cselect_b32 s22, s25, s22
	s_cmp_ge_u32 s20, s49
	s_cselect_b32 s25, -1, 0
	s_cmp_eq_u32 s21, 0
	s_cselect_b32 s25, s25, -1
	s_cmp_lg_u32 s25, 0
	s_cselect_b32 s21, s23, s21
	s_cselect_b32 s20, s22, s20
	s_cbranch_execnz .LBB219_152
.LBB219_151:                            ;   in Loop: Header=BB219_12 Depth=1
	v_cvt_f32_u32_e32 v6, s49
	s_sub_i32 s21, 0, s49
	v_rcp_iflag_f32_e32 v6, v6
	v_mul_f32_e32 v6, 0x4f7ffffe, v6
	v_cvt_u32_f32_e32 v6, v6
	v_readfirstlane_b32 s20, v6
	s_mul_i32 s21, s21, s20
	s_mul_hi_u32 s21, s20, s21
	s_add_i32 s20, s20, s21
	s_mul_hi_u32 s20, s84, s20
	s_mul_i32 s20, s20, s49
	s_sub_i32 s20, s84, s20
	s_sub_i32 s21, s20, s49
	s_cmp_ge_u32 s20, s49
	s_cselect_b32 s20, s21, s20
	s_sub_i32 s21, s20, s49
	s_cmp_ge_u32 s20, s49
	s_cselect_b32 s58, s21, s20
	s_mov_b64 s[20:21], s[58:59]
.LBB219_152:                            ;   in Loop: Header=BB219_12 Depth=1
	s_sub_u32 s20, s84, s20
	s_subb_u32 s21, s61, s21
	s_mov_b32 s22, exec_lo
                                        ; implicit-def: $vgpr10
	v_cmpx_gt_u64_e64 s[20:21], v[0:1]
	s_cbranch_execz .LBB219_161
; %bb.153:                              ;   in Loop: Header=BB219_12 Depth=1
	v_mov_b32_e32 v7, v1
	v_mov_b32_e32 v6, v0
	s_mov_b32 s23, 0
                                        ; implicit-def: $sgpr25
	s_branch .LBB219_156
.LBB219_154:                            ;   in Loop: Header=BB219_156 Depth=2
	s_or_b32 exec_lo, exec_lo, s54
	s_waitcnt lgkmcnt(0)
	s_barrier
	buffer_gl0_inv
	ds_read_b32 v10, v3 offset:3072
	s_mov_b32 s55, -1
	s_mov_b32 s54, -1
	s_waitcnt lgkmcnt(0)
	s_barrier
	buffer_gl0_inv
	v_and_b32_e32 v11, 0x7fff, v10
	v_cmp_eq_u32_e32 vcc_lo, 0, v11
	s_cbranch_vccnz .LBB219_159
.LBB219_155:                            ;   in Loop: Header=BB219_156 Depth=2
	s_and_b32 s44, exec_lo, s55
	s_or_b32 s23, s44, s23
	s_andn2_b32 s25, s25, exec_lo
	s_and_b32 s44, s54, exec_lo
	s_or_b32 s25, s25, s44
	s_andn2_b32 exec_lo, exec_lo, s23
	s_cbranch_execz .LBB219_160
.LBB219_156:                            ;   Parent Loop BB219_12 Depth=1
                                        ; =>  This Inner Loop Header: Depth=2
	s_mov_b32 s54, exec_lo
	v_cmpx_gt_u64_e64 s[36:37], v[6:7]
	s_cbranch_execz .LBB219_154
; %bb.157:                              ;   in Loop: Header=BB219_156 Depth=2
	v_mul_lo_u32 v21, v7, s30
	v_mul_lo_u32 v22, v6, s31
	v_mad_u64_u32 v[10:11], null, v6, s30, 0
	v_add3_u32 v11, v11, v22, v21
	v_lshlrev_b64 v[10:11], 1, v[10:11]
	v_add_co_u32 v10, vcc_lo, s33, v10
	v_add_co_ci_u32_e64 v11, null, s35, v11, vcc_lo
	global_load_ushort v10, v[10:11], off
	s_waitcnt vmcnt(0)
	v_cmp_lt_i16_e32 vcc_lo, -1, v10
	v_lshlrev_b32_e32 v21, 16, v10
	v_cndmask_b32_e32 v11, 0xffff, v31, vcc_lo
	v_cmp_o_f32_e32 vcc_lo, v21, v21
	v_xor_b32_sdwa v11, v11, v10 dst_sel:DWORD dst_unused:UNUSED_PAD src0_sel:DWORD src1_sel:WORD_0
	v_cndmask_b32_e32 v11, 0xffff, v11, vcc_lo
	v_and_b32_e32 v11, v11, v9
	v_cmp_eq_u32_e32 vcc_lo, v11, v8
	s_and_b32 exec_lo, exec_lo, vcc_lo
	s_cbranch_execz .LBB219_154
; %bb.158:                              ;   in Loop: Header=BB219_156 Depth=2
	v_perm_b32 v10, v10, s93, 0x5040100
	ds_write_b32 v3, v10 offset:3072
	s_branch .LBB219_154
.LBB219_159:                            ;   in Loop: Header=BB219_156 Depth=2
	v_add_co_u32 v6, vcc_lo, v6, s49
	v_add_co_ci_u32_e64 v7, null, 0, v7, vcc_lo
	s_mov_b32 s54, 0
	v_cmp_le_u64_e32 vcc_lo, s[20:21], v[6:7]
	s_orn2_b32 s55, vcc_lo, exec_lo
	s_branch .LBB219_155
.LBB219_160:                            ;   in Loop: Header=BB219_12 Depth=1
	s_or_b32 exec_lo, exec_lo, s23
	v_lshrrev_b32_e32 v10, 16, v10
	s_andn2_b32 s20, s24, exec_lo
	s_and_b32 s21, s25, exec_lo
	s_or_b32 s24, s20, s21
.LBB219_161:                            ;   in Loop: Header=BB219_12 Depth=1
	s_or_b32 exec_lo, exec_lo, s22
	s_mov_b32 s64, 0
	s_mov_b32 s69, -1
.LBB219_162:                            ;   in Loop: Header=BB219_12 Depth=1
	s_orn2_b32 s20, s24, exec_lo
.LBB219_163:                            ;   in Loop: Header=BB219_12 Depth=1
	s_or_b32 exec_lo, exec_lo, s70
	s_mov_b32 s21, 0
	s_and_saveexec_b32 s70, s20
	s_cbranch_execz .LBB219_272
; %bb.164:                              ;   in Loop: Header=BB219_12 Depth=1
	v_mov_b32_e32 v6, 1
	v_mov_b32_e32 v7, 0
	;; [unrolled: 1-line block ×3, first 2 shown]
	s_xor_b32 s21, s6, -1
	s_mov_b32 s20, 0
	s_and_saveexec_b32 s6, s21
	s_cbranch_execz .LBB219_173
; %bb.165:                              ;   in Loop: Header=BB219_12 Depth=1
	s_mov_b32 s20, exec_lo
	v_cmpx_ge_u64_e64 s[14:15], v[4:5]
	s_xor_b32 s20, exec_lo, s20
	s_cbranch_execz .LBB219_170
; %bb.166:                              ;   in Loop: Header=BB219_12 Depth=1
	ds_read_b64 v[6:7], v3 offset:5120
	s_lshl_b32 s21, 1, s91
	v_or_b32_e32 v9, s11, v9
	v_and_or_b32 v8, v8, s26, s21
	s_waitcnt lgkmcnt(0)
	v_cmp_ne_u64_e32 vcc_lo, 0, v[6:7]
	s_cbranch_vccnz .LBB219_170
; %bb.167:                              ;   in Loop: Header=BB219_12 Depth=1
	s_and_saveexec_b32 s21, s3
; %bb.168:                              ;   in Loop: Header=BB219_12 Depth=1
	v_mov_b32_e32 v6, s14
	v_mov_b32_e32 v7, s15
	ds_write_b64 v3, v[6:7] offset:5128
; %bb.169:                              ;   in Loop: Header=BB219_12 Depth=1
	s_or_b32 exec_lo, exec_lo, s21
	s_waitcnt lgkmcnt(0)
	s_barrier
	buffer_gl0_inv
.LBB219_170:                            ;   in Loop: Header=BB219_12 Depth=1
	s_or_saveexec_b32 s20, s20
	v_mov_b32_e32 v2, 8
	s_mov_b32 s21, 0
	s_xor_b32 exec_lo, exec_lo, s20
; %bb.171:                              ;   in Loop: Header=BB219_12 Depth=1
	v_sub_co_u32 v4, vcc_lo, v4, s14
	v_subrev_co_ci_u32_e64 v5, null, s15, v5, vcc_lo
	v_mov_b32_e32 v2, 0
	s_mov_b32 s21, exec_lo
; %bb.172:                              ;   in Loop: Header=BB219_12 Depth=1
	s_or_b32 exec_lo, exec_lo, s20
	v_mov_b32_e32 v7, v5
	v_mov_b32_e32 v6, v4
	s_and_b32 s20, s21, exec_lo
.LBB219_173:                            ;   in Loop: Header=BB219_12 Depth=1
	s_or_b32 exec_lo, exec_lo, s6
	s_mov_b32 s6, -1
                                        ; implicit-def: $sgpr72
                                        ; implicit-def: $sgpr73
	s_and_saveexec_b32 s71, s20
	s_cbranch_execz .LBB219_271
; %bb.174:                              ;   in Loop: Header=BB219_12 Depth=1
	v_cmp_eq_u64_e32 vcc_lo, 1, v[6:7]
	s_cmp_eq_u64 s[16:17], 1
	s_mov_b32 s20, -1
	s_cselect_b32 s6, -1, 0
                                        ; implicit-def: $sgpr73
                                        ; implicit-def: $sgpr72
	s_and_b32 s6, s6, vcc_lo
	s_and_saveexec_b32 s74, s6
	s_cbranch_execz .LBB219_208
; %bb.175:                              ;   in Loop: Header=BB219_12 Depth=1
	ds_read_b64 v[4:5], v3 offset:5120
	s_waitcnt lgkmcnt(0)
	s_barrier
	buffer_gl0_inv
	v_readfirstlane_b32 s20, v4
	v_readfirstlane_b32 s21, v5
	s_and_saveexec_b32 s22, s10
; %bb.176:                              ;   in Loop: Header=BB219_12 Depth=1
	ds_write_b16 v26, v3
; %bb.177:                              ;   in Loop: Header=BB219_12 Depth=1
	s_or_b32 exec_lo, exec_lo, s22
	s_lshl_b32 s22, 2, s91
	v_or_b32_e32 v9, s11, v9
	v_and_or_b32 v8, v8, s26, s22
	s_mov_b32 s72, -1
	s_mov_b32 s73, 0
	s_cmp_eq_u64 s[20:21], 0
	s_mov_b32 s24, 0
	s_mov_b32 s25, -1
	s_waitcnt lgkmcnt(0)
	s_barrier
	buffer_gl0_inv
                                        ; implicit-def: $vgpr10
	s_cbranch_scc1 .LBB219_193
; %bb.178:                              ;   in Loop: Header=BB219_12 Depth=1
	s_add_u32 s54, s20, s82
	s_addc_u32 s23, s21, s83
	s_mov_b32 s22, s59
	s_cmp_lg_u64 s[22:23], 0
	s_cbranch_scc0 .LBB219_225
; %bb.179:                              ;   in Loop: Header=BB219_12 Depth=1
	v_cvt_f32_u32_e32 v4, s49
	s_sub_u32 s25, 0, s49
	s_subb_u32 s55, 0, 0
	v_fmac_f32_e64 v4, 0x4f800000, 0
	v_rcp_f32_e32 v4, v4
	v_mul_f32_e32 v4, 0x5f7ffffc, v4
	v_mul_f32_e32 v5, 0x2f800000, v4
	v_trunc_f32_e32 v5, v5
	v_fmac_f32_e32 v4, 0xcf800000, v5
	v_cvt_u32_f32_e32 v5, v5
	v_cvt_u32_f32_e32 v4, v4
	v_readfirstlane_b32 s22, v5
	v_readfirstlane_b32 s24, v4
	s_mul_i32 s56, s25, s22
	s_mul_hi_u32 s58, s25, s24
	s_mul_i32 s57, s55, s24
	s_add_i32 s56, s58, s56
	s_mul_i32 s60, s25, s24
	s_add_i32 s56, s56, s57
	s_mul_hi_u32 s58, s24, s60
	s_mul_i32 s76, s24, s56
	s_mul_hi_u32 s75, s22, s60
	s_mul_i32 s57, s22, s60
	s_mul_hi_u32 s60, s24, s56
	s_add_u32 s58, s58, s76
	s_addc_u32 s60, 0, s60
	s_mul_hi_u32 s77, s22, s56
	s_add_u32 s57, s58, s57
	s_mul_i32 s56, s22, s56
	s_addc_u32 s57, s60, s75
	s_addc_u32 s58, s77, 0
	s_add_u32 s56, s57, s56
	s_addc_u32 s57, 0, s58
	s_add_u32 s24, s24, s56
	s_cselect_b32 s56, -1, 0
	s_mul_hi_u32 s58, s25, s24
	s_cmp_lg_u32 s56, 0
	s_mul_i32 s56, s25, s24
	s_addc_u32 s22, s22, s57
	s_mul_i32 s55, s55, s24
	s_mul_i32 s25, s25, s22
	s_mul_hi_u32 s57, s24, s56
	s_add_i32 s25, s58, s25
	s_mul_hi_u32 s58, s22, s56
	s_add_i32 s25, s25, s55
	s_mul_i32 s55, s22, s56
	s_mul_i32 s75, s24, s25
	s_mul_hi_u32 s60, s24, s25
	s_add_u32 s57, s57, s75
	s_addc_u32 s60, 0, s60
	s_mul_hi_u32 s56, s22, s25
	s_add_u32 s55, s57, s55
	s_mul_i32 s25, s22, s25
	s_addc_u32 s55, s60, s58
	s_addc_u32 s56, s56, 0
	s_add_u32 s25, s55, s25
	s_addc_u32 s55, 0, s56
	s_add_u32 s24, s24, s25
	s_cselect_b32 s25, -1, 0
	s_mul_hi_u32 s56, s54, s24
	s_cmp_lg_u32 s25, 0
	s_mul_hi_u32 s25, s23, s24
	s_addc_u32 s22, s22, s55
	s_mul_i32 s24, s23, s24
	s_mul_i32 s57, s54, s22
	s_mul_hi_u32 s55, s54, s22
	s_add_u32 s56, s56, s57
	s_addc_u32 s55, 0, s55
	s_mul_hi_u32 s58, s23, s22
	s_add_u32 s24, s56, s24
	s_mul_i32 s22, s23, s22
	s_addc_u32 s24, s55, s25
	s_addc_u32 s25, s58, 0
	s_add_u32 s22, s24, s22
	s_addc_u32 s24, 0, s25
	s_mul_hi_u32 s25, s49, s22
	s_mul_i32 s24, s49, s24
	s_mul_i32 s22, s49, s22
	s_add_i32 s25, s25, s24
	s_sub_u32 s22, s54, s22
	s_cselect_b32 s24, -1, 0
	s_cmp_lg_u32 s24, 0
	s_subb_u32 s24, s23, s25
	s_sub_u32 s25, s22, s49
	s_cselect_b32 s55, -1, 0
	s_cmp_lg_u32 s55, 0
	s_subb_u32 s55, s24, 0
	;; [unrolled: 4-line block ×3, first 2 shown]
	s_cmp_ge_u32 s25, s49
	s_cselect_b32 s58, -1, 0
	s_cmp_eq_u32 s55, 0
	s_cselect_b32 s58, s58, -1
	s_cmp_lg_u32 s58, 0
	s_cselect_b32 s55, s57, s55
	s_cselect_b32 s56, s56, s25
	s_cmp_ge_u32 s22, s49
	s_cselect_b32 s25, -1, 0
	s_cmp_eq_u32 s24, 0
	s_cselect_b32 s25, s25, -1
	s_cmp_lg_u32 s25, 0
	s_cselect_b32 s25, s55, s24
	s_cselect_b32 s24, s56, s22
	s_cbranch_execnz .LBB219_181
.LBB219_180:                            ;   in Loop: Header=BB219_12 Depth=1
	v_cvt_f32_u32_e32 v4, s49
	s_sub_i32 s24, 0, s49
	v_rcp_iflag_f32_e32 v4, v4
	v_mul_f32_e32 v4, 0x4f7ffffe, v4
	v_cvt_u32_f32_e32 v4, v4
	v_readfirstlane_b32 s22, v4
	s_mul_i32 s24, s24, s22
	s_mul_hi_u32 s24, s22, s24
	s_add_i32 s22, s22, s24
	s_mul_hi_u32 s22, s54, s22
	s_mul_i32 s22, s22, s49
	s_sub_i32 s22, s54, s22
	s_sub_i32 s24, s22, s49
	s_cmp_ge_u32 s22, s49
	s_cselect_b32 s22, s24, s22
	s_sub_i32 s24, s22, s49
	s_cmp_ge_u32 s22, s49
	s_cselect_b32 s58, s24, s22
	s_mov_b64 s[24:25], s[58:59]
.LBB219_181:                            ;   in Loop: Header=BB219_12 Depth=1
	s_sub_u32 s22, s54, s24
	s_subb_u32 s23, s23, s25
	s_mov_b32 s25, 0
	s_mov_b32 s24, 0
	s_mov_b32 s54, exec_lo
                                        ; implicit-def: $vgpr10
	v_cmpx_gt_u64_e64 s[22:23], v[0:1]
	s_cbranch_execz .LBB219_192
; %bb.182:                              ;   in Loop: Header=BB219_12 Depth=1
	v_mov_b32_e32 v5, v1
	v_mov_b32_e32 v10, v25
	;; [unrolled: 1-line block ×3, first 2 shown]
                                        ; implicit-def: $sgpr55
	s_branch .LBB219_185
.LBB219_183:                            ;   in Loop: Header=BB219_185 Depth=2
	s_or_b32 exec_lo, exec_lo, s56
	s_waitcnt lgkmcnt(0)
	s_barrier
	buffer_gl0_inv
	ds_read_b32 v11, v3 offset:3072
	s_mov_b32 s56, -1
	s_mov_b32 s57, -1
	s_waitcnt lgkmcnt(0)
	s_barrier
	buffer_gl0_inv
	v_and_b32_e32 v21, 0x7fff, v11
	v_cmp_ne_u32_e32 vcc_lo, 0, v21
	s_cbranch_vccz .LBB219_188
.LBB219_184:                            ;   in Loop: Header=BB219_185 Depth=2
	s_and_b32 s44, exec_lo, s56
	s_or_b32 s24, s44, s24
	s_andn2_b32 s44, s55, exec_lo
	s_and_b32 s45, s57, exec_lo
	s_or_b32 s55, s44, s45
	s_andn2_b32 exec_lo, exec_lo, s24
	s_cbranch_execz .LBB219_191
.LBB219_185:                            ;   Parent Loop BB219_12 Depth=1
                                        ; =>  This Inner Loop Header: Depth=2
	s_mov_b32 s56, exec_lo
	v_cmpx_gt_u64_e64 s[20:21], v[4:5]
	s_cbranch_execz .LBB219_183
; %bb.186:                              ;   in Loop: Header=BB219_185 Depth=2
	ds_read_u16 v11, v10
	s_waitcnt lgkmcnt(0)
	v_cmp_lt_i16_e32 vcc_lo, -1, v11
	v_lshlrev_b32_e32 v22, 16, v11
	v_cndmask_b32_e32 v21, 0xffff, v31, vcc_lo
	v_cmp_o_f32_e32 vcc_lo, v22, v22
	v_xor_b32_sdwa v21, v21, v11 dst_sel:DWORD dst_unused:UNUSED_PAD src0_sel:DWORD src1_sel:WORD_0
	v_cndmask_b32_e32 v21, 0xffff, v21, vcc_lo
	v_and_b32_e32 v21, v21, v9
	v_cmp_eq_u32_e32 vcc_lo, v21, v8
	s_and_b32 exec_lo, exec_lo, vcc_lo
	s_cbranch_execz .LBB219_183
; %bb.187:                              ;   in Loop: Header=BB219_185 Depth=2
	v_perm_b32 v11, v11, s93, 0x5040100
	ds_write_b32 v3, v11 offset:3072
	s_branch .LBB219_183
.LBB219_188:                            ;   in Loop: Header=BB219_185 Depth=2
	v_add_co_u32 v4, vcc_lo, v4, s49
	v_add_co_ci_u32_e64 v5, null, 0, v5, vcc_lo
	v_add_nc_u32_e32 v10, s90, v10
	s_mov_b32 s57, 0
	v_cmp_le_u64_e32 vcc_lo, s[22:23], v[4:5]
	s_orn2_b32 s56, vcc_lo, exec_lo
	s_branch .LBB219_184
.LBB219_189:                            ;   in Loop: Header=BB219_12 Depth=1
                                        ; implicit-def: $sgpr24_sgpr25
	s_branch .LBB219_135
.LBB219_190:                            ;   in Loop: Header=BB219_12 Depth=1
                                        ; implicit-def: $sgpr20_sgpr21
	s_branch .LBB219_151
.LBB219_191:                            ;   in Loop: Header=BB219_12 Depth=1
	s_or_b32 exec_lo, exec_lo, s24
	v_lshrrev_b32_e32 v10, 16, v11
	s_and_b32 s24, s55, exec_lo
.LBB219_192:                            ;   in Loop: Header=BB219_12 Depth=1
	s_or_b32 exec_lo, exec_lo, s54
.LBB219_193:                            ;   in Loop: Header=BB219_12 Depth=1
	s_and_b32 vcc_lo, exec_lo, s25
	s_cbranch_vccz .LBB219_207
; %bb.194:                              ;   in Loop: Header=BB219_12 Depth=1
	s_mov_b32 s60, s59
	s_cmp_lg_u64 s[60:61], 0
	s_cbranch_scc0 .LBB219_226
; %bb.195:                              ;   in Loop: Header=BB219_12 Depth=1
	v_cvt_f32_u32_e32 v4, s49
	s_sub_u32 s22, 0, s49
	s_subb_u32 s23, 0, 0
	v_fmac_f32_e64 v4, 0x4f800000, 0
	v_rcp_f32_e32 v4, v4
	v_mul_f32_e32 v4, 0x5f7ffffc, v4
	v_mul_f32_e32 v5, 0x2f800000, v4
	v_trunc_f32_e32 v5, v5
	v_fmac_f32_e32 v4, 0xcf800000, v5
	v_cvt_u32_f32_e32 v5, v5
	v_cvt_u32_f32_e32 v4, v4
	v_readfirstlane_b32 s20, v5
	v_readfirstlane_b32 s21, v4
	s_mul_i32 s25, s22, s20
	s_mul_hi_u32 s55, s22, s21
	s_mul_i32 s54, s23, s21
	s_add_i32 s25, s55, s25
	s_mul_i32 s56, s22, s21
	s_add_i32 s25, s25, s54
	s_mul_hi_u32 s55, s21, s56
	s_mul_i32 s58, s21, s25
	s_mul_hi_u32 s57, s20, s56
	s_mul_i32 s54, s20, s56
	s_mul_hi_u32 s56, s21, s25
	s_add_u32 s55, s55, s58
	s_addc_u32 s56, 0, s56
	s_mul_hi_u32 s60, s20, s25
	s_add_u32 s54, s55, s54
	s_mul_i32 s25, s20, s25
	s_addc_u32 s54, s56, s57
	s_addc_u32 s55, s60, 0
	s_add_u32 s25, s54, s25
	s_addc_u32 s54, 0, s55
	s_add_u32 s21, s21, s25
	s_cselect_b32 s25, -1, 0
	s_mul_hi_u32 s55, s22, s21
	s_cmp_lg_u32 s25, 0
	s_mul_i32 s25, s22, s21
	s_addc_u32 s20, s20, s54
	s_mul_i32 s23, s23, s21
	s_mul_i32 s22, s22, s20
	s_mul_hi_u32 s54, s21, s25
	s_add_i32 s22, s55, s22
	s_mul_hi_u32 s55, s20, s25
	s_add_i32 s22, s22, s23
	s_mul_i32 s23, s20, s25
	s_mul_i32 s57, s21, s22
	s_mul_hi_u32 s56, s21, s22
	s_add_u32 s54, s54, s57
	s_addc_u32 s56, 0, s56
	s_mul_hi_u32 s25, s20, s22
	s_add_u32 s23, s54, s23
	s_mul_i32 s22, s20, s22
	s_addc_u32 s23, s56, s55
	s_addc_u32 s25, s25, 0
	s_add_u32 s22, s23, s22
	s_addc_u32 s23, 0, s25
	s_add_u32 s21, s21, s22
	s_cselect_b32 s22, -1, 0
	s_mul_hi_u32 s25, s84, s21
	s_cmp_lg_u32 s22, 0
	s_mul_hi_u32 s22, s61, s21
	s_addc_u32 s20, s20, s23
	s_mul_i32 s21, s61, s21
	s_mul_i32 s54, s84, s20
	s_mul_hi_u32 s23, s84, s20
	s_add_u32 s25, s25, s54
	s_addc_u32 s23, 0, s23
	s_mul_hi_u32 s55, s61, s20
	s_add_u32 s21, s25, s21
	s_mul_i32 s20, s61, s20
	s_addc_u32 s21, s23, s22
	s_addc_u32 s22, s55, 0
	s_add_u32 s20, s21, s20
	s_addc_u32 s21, 0, s22
	s_mul_hi_u32 s22, s49, s20
	s_mul_i32 s21, s49, s21
	s_mul_i32 s20, s49, s20
	s_add_i32 s22, s22, s21
	s_sub_u32 s20, s84, s20
	s_cselect_b32 s21, -1, 0
	s_cmp_lg_u32 s21, 0
	s_subb_u32 s21, s61, s22
	s_sub_u32 s22, s20, s49
	s_cselect_b32 s23, -1, 0
	s_cmp_lg_u32 s23, 0
	s_subb_u32 s23, s21, 0
	;; [unrolled: 4-line block ×3, first 2 shown]
	s_cmp_ge_u32 s22, s49
	s_cselect_b32 s55, -1, 0
	s_cmp_eq_u32 s23, 0
	s_cselect_b32 s55, s55, -1
	s_cmp_lg_u32 s55, 0
	s_cselect_b32 s23, s54, s23
	s_cselect_b32 s22, s25, s22
	s_cmp_ge_u32 s20, s49
	s_cselect_b32 s25, -1, 0
	s_cmp_eq_u32 s21, 0
	s_cselect_b32 s25, s25, -1
	s_cmp_lg_u32 s25, 0
	s_cselect_b32 s21, s23, s21
	s_cselect_b32 s20, s22, s20
	s_cbranch_execnz .LBB219_197
.LBB219_196:                            ;   in Loop: Header=BB219_12 Depth=1
	v_cvt_f32_u32_e32 v4, s49
	s_sub_i32 s21, 0, s49
	v_rcp_iflag_f32_e32 v4, v4
	v_mul_f32_e32 v4, 0x4f7ffffe, v4
	v_cvt_u32_f32_e32 v4, v4
	v_readfirstlane_b32 s20, v4
	s_mul_i32 s21, s21, s20
	s_mul_hi_u32 s21, s20, s21
	s_add_i32 s20, s20, s21
	s_mul_hi_u32 s20, s84, s20
	s_mul_i32 s20, s20, s49
	s_sub_i32 s20, s84, s20
	s_sub_i32 s21, s20, s49
	s_cmp_ge_u32 s20, s49
	s_cselect_b32 s20, s21, s20
	s_sub_i32 s21, s20, s49
	s_cmp_ge_u32 s20, s49
	s_cselect_b32 s58, s21, s20
	s_mov_b64 s[20:21], s[58:59]
.LBB219_197:                            ;   in Loop: Header=BB219_12 Depth=1
	s_sub_u32 s20, s84, s20
	s_subb_u32 s21, s61, s21
	s_mov_b32 s22, exec_lo
                                        ; implicit-def: $vgpr10
	v_cmpx_gt_u64_e64 s[20:21], v[0:1]
	s_cbranch_execz .LBB219_206
; %bb.198:                              ;   in Loop: Header=BB219_12 Depth=1
	v_mov_b32_e32 v5, v1
	v_mov_b32_e32 v4, v0
	s_mov_b32 s23, 0
                                        ; implicit-def: $sgpr25
	s_branch .LBB219_201
.LBB219_199:                            ;   in Loop: Header=BB219_201 Depth=2
	s_or_b32 exec_lo, exec_lo, s54
	s_waitcnt lgkmcnt(0)
	s_barrier
	buffer_gl0_inv
	ds_read_b32 v10, v3 offset:3072
	s_mov_b32 s55, -1
	s_mov_b32 s54, -1
	s_waitcnt lgkmcnt(0)
	s_barrier
	buffer_gl0_inv
	v_and_b32_e32 v11, 0x7fff, v10
	v_cmp_eq_u32_e32 vcc_lo, 0, v11
	s_cbranch_vccnz .LBB219_204
.LBB219_200:                            ;   in Loop: Header=BB219_201 Depth=2
	s_and_b32 s44, exec_lo, s55
	s_or_b32 s23, s44, s23
	s_andn2_b32 s25, s25, exec_lo
	s_and_b32 s44, s54, exec_lo
	s_or_b32 s25, s25, s44
	s_andn2_b32 exec_lo, exec_lo, s23
	s_cbranch_execz .LBB219_205
.LBB219_201:                            ;   Parent Loop BB219_12 Depth=1
                                        ; =>  This Inner Loop Header: Depth=2
	s_mov_b32 s54, exec_lo
	v_cmpx_gt_u64_e64 s[36:37], v[4:5]
	s_cbranch_execz .LBB219_199
; %bb.202:                              ;   in Loop: Header=BB219_201 Depth=2
	v_mul_lo_u32 v21, v5, s30
	v_mul_lo_u32 v22, v4, s31
	v_mad_u64_u32 v[10:11], null, v4, s30, 0
	v_add3_u32 v11, v11, v22, v21
	v_lshlrev_b64 v[10:11], 1, v[10:11]
	v_add_co_u32 v10, vcc_lo, s33, v10
	v_add_co_ci_u32_e64 v11, null, s35, v11, vcc_lo
	global_load_ushort v10, v[10:11], off
	s_waitcnt vmcnt(0)
	v_cmp_lt_i16_e32 vcc_lo, -1, v10
	v_lshlrev_b32_e32 v21, 16, v10
	v_cndmask_b32_e32 v11, 0xffff, v31, vcc_lo
	v_cmp_o_f32_e32 vcc_lo, v21, v21
	v_xor_b32_sdwa v11, v11, v10 dst_sel:DWORD dst_unused:UNUSED_PAD src0_sel:DWORD src1_sel:WORD_0
	v_cndmask_b32_e32 v11, 0xffff, v11, vcc_lo
	v_and_b32_e32 v11, v11, v9
	v_cmp_eq_u32_e32 vcc_lo, v11, v8
	s_and_b32 exec_lo, exec_lo, vcc_lo
	s_cbranch_execz .LBB219_199
; %bb.203:                              ;   in Loop: Header=BB219_201 Depth=2
	v_perm_b32 v10, v10, s93, 0x5040100
	ds_write_b32 v3, v10 offset:3072
	s_branch .LBB219_199
.LBB219_204:                            ;   in Loop: Header=BB219_201 Depth=2
	v_add_co_u32 v4, vcc_lo, v4, s49
	v_add_co_ci_u32_e64 v5, null, 0, v5, vcc_lo
	s_mov_b32 s54, 0
	v_cmp_le_u64_e32 vcc_lo, s[20:21], v[4:5]
	s_orn2_b32 s55, vcc_lo, exec_lo
	s_branch .LBB219_200
.LBB219_205:                            ;   in Loop: Header=BB219_12 Depth=1
	s_or_b32 exec_lo, exec_lo, s23
	v_lshrrev_b32_e32 v10, 16, v10
	s_andn2_b32 s20, s24, exec_lo
	s_and_b32 s21, s25, exec_lo
	s_or_b32 s24, s20, s21
.LBB219_206:                            ;   in Loop: Header=BB219_12 Depth=1
	s_or_b32 exec_lo, exec_lo, s22
	s_mov_b32 s72, 0
	s_mov_b32 s73, -1
.LBB219_207:                            ;   in Loop: Header=BB219_12 Depth=1
	s_orn2_b32 s20, s24, exec_lo
.LBB219_208:                            ;   in Loop: Header=BB219_12 Depth=1
	s_or_b32 exec_lo, exec_lo, s74
	s_mov_b32 s21, 0
	s_and_saveexec_b32 s74, s20
	s_cbranch_execz .LBB219_270
; %bb.209:                              ;   in Loop: Header=BB219_12 Depth=1
	v_mov_b32_e32 v4, 1
	v_mov_b32_e32 v5, 0
	;; [unrolled: 1-line block ×3, first 2 shown]
	s_xor_b32 s21, s6, -1
	s_mov_b32 s20, 0
	s_and_saveexec_b32 s6, s21
	s_cbranch_execz .LBB219_218
; %bb.210:                              ;   in Loop: Header=BB219_12 Depth=1
	s_mov_b32 s20, exec_lo
	v_cmpx_ge_u64_e64 s[16:17], v[6:7]
	s_xor_b32 s20, exec_lo, s20
	s_cbranch_execz .LBB219_215
; %bb.211:                              ;   in Loop: Header=BB219_12 Depth=1
	ds_read_b64 v[4:5], v3 offset:5120
	s_lshl_b32 s21, 2, s91
	v_or_b32_e32 v9, s11, v9
	v_and_or_b32 v8, v8, s26, s21
	s_waitcnt lgkmcnt(0)
	v_cmp_ne_u64_e32 vcc_lo, 0, v[4:5]
	s_cbranch_vccnz .LBB219_215
; %bb.212:                              ;   in Loop: Header=BB219_12 Depth=1
	s_and_saveexec_b32 s21, s3
; %bb.213:                              ;   in Loop: Header=BB219_12 Depth=1
	v_mov_b32_e32 v4, s16
	v_mov_b32_e32 v5, s17
	ds_write_b64 v3, v[4:5] offset:5128
; %bb.214:                              ;   in Loop: Header=BB219_12 Depth=1
	s_or_b32 exec_lo, exec_lo, s21
	s_waitcnt lgkmcnt(0)
	s_barrier
	buffer_gl0_inv
.LBB219_215:                            ;   in Loop: Header=BB219_12 Depth=1
	s_or_saveexec_b32 s20, s20
	v_mov_b32_e32 v2, 8
	s_mov_b32 s21, 0
	s_xor_b32 exec_lo, exec_lo, s20
; %bb.216:                              ;   in Loop: Header=BB219_12 Depth=1
	v_sub_co_u32 v6, vcc_lo, v6, s16
	v_subrev_co_ci_u32_e64 v7, null, s17, v7, vcc_lo
	v_mov_b32_e32 v2, 0
	s_mov_b32 s21, exec_lo
; %bb.217:                              ;   in Loop: Header=BB219_12 Depth=1
	s_or_b32 exec_lo, exec_lo, s20
	v_mov_b32_e32 v4, v6
	v_mov_b32_e32 v5, v7
	s_and_b32 s20, s21, exec_lo
.LBB219_218:                            ;   in Loop: Header=BB219_12 Depth=1
	s_or_b32 exec_lo, exec_lo, s6
	s_mov_b32 s6, -1
                                        ; implicit-def: $sgpr54
                                        ; implicit-def: $sgpr60
	s_and_saveexec_b32 s75, s20
	s_cbranch_execz .LBB219_269
; %bb.219:                              ;   in Loop: Header=BB219_12 Depth=1
	v_cmp_eq_u64_e32 vcc_lo, 1, v[4:5]
	s_cmp_eq_u64 s[18:19], 1
	s_mov_b32 s20, -1
	s_cselect_b32 s6, -1, 0
                                        ; implicit-def: $sgpr54
                                        ; implicit-def: $sgpr60
	s_and_b32 s76, s6, vcc_lo
	s_and_saveexec_b32 s77, s76
	s_cbranch_execz .LBB219_257
; %bb.220:                              ;   in Loop: Header=BB219_12 Depth=1
	ds_read_b64 v[6:7], v3 offset:5120
	s_waitcnt lgkmcnt(0)
	s_barrier
	buffer_gl0_inv
	v_readfirstlane_b32 s20, v6
	v_readfirstlane_b32 s21, v7
	s_and_saveexec_b32 s6, s10
; %bb.221:                              ;   in Loop: Header=BB219_12 Depth=1
	ds_write_b16 v26, v3
; %bb.222:                              ;   in Loop: Header=BB219_12 Depth=1
	s_or_b32 exec_lo, exec_lo, s6
	v_or_b32_e32 v8, s11, v8
	v_or_b32_e32 v9, s11, v9
	s_mov_b32 s60, -1
	s_mov_b32 s54, 0
	s_cmp_eq_u64 s[20:21], 0
	s_mov_b32 s6, 0
	s_mov_b32 s24, -1
	s_waitcnt lgkmcnt(0)
	s_barrier
	buffer_gl0_inv
                                        ; implicit-def: $vgpr10
	s_cbranch_scc1 .LBB219_240
; %bb.223:                              ;   in Loop: Header=BB219_12 Depth=1
	s_add_u32 s6, s20, s82
	s_addc_u32 s23, s21, s83
	s_mov_b32 s22, s59
	s_cmp_lg_u64 s[22:23], 0
	s_cbranch_scc0 .LBB219_227
; %bb.224:                              ;   in Loop: Header=BB219_12 Depth=1
	v_cvt_f32_u32_e32 v6, s49
	s_sub_u32 s25, 0, s49
	s_subb_u32 s55, 0, 0
	v_fmac_f32_e64 v6, 0x4f800000, 0
	v_rcp_f32_e32 v6, v6
	v_mul_f32_e32 v6, 0x5f7ffffc, v6
	v_mul_f32_e32 v7, 0x2f800000, v6
	v_trunc_f32_e32 v7, v7
	v_fmac_f32_e32 v6, 0xcf800000, v7
	v_cvt_u32_f32_e32 v7, v7
	v_cvt_u32_f32_e32 v6, v6
	v_readfirstlane_b32 s22, v7
	v_readfirstlane_b32 s24, v6
	s_mul_i32 s56, s25, s22
	s_mul_hi_u32 s58, s25, s24
	s_mul_i32 s57, s55, s24
	s_add_i32 s56, s58, s56
	s_mul_i32 vcc_lo, s25, s24
	s_add_i32 s56, s56, s57
	s_mul_hi_u32 s58, s24, vcc_lo
	s_mul_i32 s47, s24, s56
	s_mul_hi_u32 s46, s24, s56
	s_mul_i32 s45, s22, vcc_lo
	s_add_u32 s47, s58, s47
	s_mul_hi_u32 s44, s22, vcc_lo
	s_addc_u32 s46, 0, s46
	s_mul_hi_u32 s57, s22, s56
	s_add_u32 s45, s47, s45
	s_mul_i32 s56, s22, s56
	s_addc_u32 s44, s46, s44
	s_addc_u32 s45, s57, 0
	s_add_u32 s44, s44, s56
	s_addc_u32 s45, 0, s45
	s_add_u32 s24, s24, s44
	s_cselect_b32 s44, -1, 0
	s_mul_hi_u32 s46, s25, s24
	s_cmp_lg_u32 s44, 0
	s_mul_i32 s44, s25, s24
	s_addc_u32 s22, s22, s45
	s_mul_i32 s55, s55, s24
	s_mul_i32 s25, s25, s22
	s_mul_hi_u32 s45, s24, s44
	s_add_i32 s25, s46, s25
	s_mul_hi_u32 s46, s22, s44
	s_add_i32 s25, s25, s55
	s_mul_i32 s44, s22, s44
	s_mul_i32 s56, s24, s25
	s_mul_hi_u32 s55, s24, s25
	s_add_u32 s45, s45, s56
	s_addc_u32 s55, 0, s55
	s_mul_hi_u32 s47, s22, s25
	s_add_u32 s44, s45, s44
	s_mul_i32 s25, s22, s25
	s_addc_u32 s44, s55, s46
	s_addc_u32 s45, s47, 0
	s_add_u32 s25, s44, s25
	s_addc_u32 s44, 0, s45
	s_add_u32 s24, s24, s25
	s_cselect_b32 s25, -1, 0
	s_mul_hi_u32 s45, s6, s24
	s_cmp_lg_u32 s25, 0
	s_mul_hi_u32 s25, s23, s24
	s_addc_u32 s22, s22, s44
	s_mul_i32 s24, s23, s24
	s_mul_i32 s46, s6, s22
	s_mul_hi_u32 s44, s6, s22
	s_add_u32 s45, s45, s46
	s_addc_u32 s44, 0, s44
	s_mul_hi_u32 s47, s23, s22
	s_add_u32 s24, s45, s24
	s_mul_i32 s22, s23, s22
	s_addc_u32 s24, s44, s25
	s_addc_u32 s25, s47, 0
	s_add_u32 s22, s24, s22
	s_addc_u32 s24, 0, s25
	s_mul_hi_u32 s25, s49, s22
	s_mul_i32 s24, s49, s24
	s_mul_i32 s22, s49, s22
	s_add_i32 s25, s25, s24
	s_sub_u32 s22, s6, s22
	s_cselect_b32 s24, -1, 0
	s_cmp_lg_u32 s24, 0
	s_subb_u32 s24, s23, s25
	s_sub_u32 s25, s22, s49
	s_cselect_b32 s44, -1, 0
	s_cmp_lg_u32 s44, 0
	s_subb_u32 s44, s24, 0
	;; [unrolled: 4-line block ×3, first 2 shown]
	s_cmp_ge_u32 s25, s49
	s_cselect_b32 s47, -1, 0
	s_cmp_eq_u32 s44, 0
	s_cselect_b32 s47, s47, -1
	s_cmp_lg_u32 s47, 0
	s_cselect_b32 s44, s46, s44
	s_cselect_b32 s45, s45, s25
	s_cmp_ge_u32 s22, s49
	s_cselect_b32 s25, -1, 0
	s_cmp_eq_u32 s24, 0
	s_cselect_b32 s25, s25, -1
	s_cmp_lg_u32 s25, 0
	s_cselect_b32 s25, s44, s24
	s_cselect_b32 s24, s45, s22
	s_mov_b32 s22, 0
	s_branch .LBB219_228
.LBB219_225:                            ;   in Loop: Header=BB219_12 Depth=1
                                        ; implicit-def: $sgpr24_sgpr25
	s_branch .LBB219_180
.LBB219_226:                            ;   in Loop: Header=BB219_12 Depth=1
                                        ; implicit-def: $sgpr20_sgpr21
	s_branch .LBB219_196
.LBB219_227:                            ;   in Loop: Header=BB219_12 Depth=1
	s_mov_b32 s22, -1
                                        ; implicit-def: $sgpr24_sgpr25
.LBB219_228:                            ;   in Loop: Header=BB219_12 Depth=1
	s_andn2_b32 vcc_lo, exec_lo, s22
	s_cbranch_vccnz .LBB219_230
; %bb.229:                              ;   in Loop: Header=BB219_12 Depth=1
	v_cvt_f32_u32_e32 v6, s49
	s_sub_i32 s24, 0, s49
	v_rcp_iflag_f32_e32 v6, v6
	v_mul_f32_e32 v6, 0x4f7ffffe, v6
	v_cvt_u32_f32_e32 v6, v6
	v_readfirstlane_b32 s22, v6
	s_mul_i32 s24, s24, s22
	s_mul_hi_u32 s24, s22, s24
	s_add_i32 s22, s22, s24
	s_mul_hi_u32 s22, s6, s22
	s_mul_i32 s22, s22, s49
	s_sub_i32 s22, s6, s22
	s_sub_i32 s24, s22, s49
	s_cmp_ge_u32 s22, s49
	s_cselect_b32 s22, s24, s22
	s_sub_i32 s24, s22, s49
	s_cmp_ge_u32 s22, s49
	s_cselect_b32 s58, s24, s22
	s_mov_b64 s[24:25], s[58:59]
.LBB219_230:                            ;   in Loop: Header=BB219_12 Depth=1
	s_sub_u32 s22, s6, s24
	s_subb_u32 s23, s23, s25
	s_mov_b32 s24, 0
	s_mov_b32 s6, 0
	s_mov_b32 s25, exec_lo
                                        ; implicit-def: $vgpr10
	v_cmpx_gt_u64_e64 s[22:23], v[0:1]
	s_cbranch_execz .LBB219_239
; %bb.231:                              ;   in Loop: Header=BB219_12 Depth=1
	v_mov_b32_e32 v7, v1
	v_mov_b32_e32 v10, v25
	;; [unrolled: 1-line block ×3, first 2 shown]
	s_mov_b32 s55, 0
                                        ; implicit-def: $sgpr58
	s_branch .LBB219_234
.LBB219_232:                            ;   in Loop: Header=BB219_234 Depth=2
	s_or_b32 exec_lo, exec_lo, s56
	s_waitcnt lgkmcnt(0)
	s_barrier
	buffer_gl0_inv
	ds_read_b32 v11, v3 offset:3072
	s_mov_b32 s6, -1
	s_mov_b32 s56, -1
	s_waitcnt lgkmcnt(0)
	s_barrier
	buffer_gl0_inv
	v_and_b32_e32 v21, 0x7fff, v11
	v_cmp_ne_u32_e32 vcc_lo, 0, v21
	s_cbranch_vccz .LBB219_237
.LBB219_233:                            ;   in Loop: Header=BB219_234 Depth=2
	s_and_b32 s6, exec_lo, s6
	s_or_b32 s55, s6, s55
	s_andn2_b32 s6, s58, exec_lo
	s_and_b32 s44, s56, exec_lo
	s_or_b32 s58, s6, s44
	s_andn2_b32 exec_lo, exec_lo, s55
	s_cbranch_execz .LBB219_238
.LBB219_234:                            ;   Parent Loop BB219_12 Depth=1
                                        ; =>  This Inner Loop Header: Depth=2
	s_mov_b32 s56, exec_lo
	v_cmpx_gt_u64_e64 s[20:21], v[6:7]
	s_cbranch_execz .LBB219_232
; %bb.235:                              ;   in Loop: Header=BB219_234 Depth=2
	ds_read_u16 v11, v10
	s_waitcnt lgkmcnt(0)
	v_lshlrev_b32_e32 v21, 16, v11
	v_cmp_lt_i16_e64 s6, -1, v11
	v_cmp_o_f32_e32 vcc_lo, v21, v21
	v_cndmask_b32_e64 v21, 0xffff, v31, s6
	v_xor_b32_sdwa v21, v21, v11 dst_sel:DWORD dst_unused:UNUSED_PAD src0_sel:DWORD src1_sel:WORD_0
	v_cndmask_b32_e32 v21, 0xffff, v21, vcc_lo
	v_and_b32_e32 v21, v21, v9
	v_cmp_eq_u32_e32 vcc_lo, v21, v8
	s_and_b32 exec_lo, exec_lo, vcc_lo
	s_cbranch_execz .LBB219_232
; %bb.236:                              ;   in Loop: Header=BB219_234 Depth=2
	v_perm_b32 v11, v11, s93, 0x5040100
	ds_write_b32 v3, v11 offset:3072
	s_branch .LBB219_232
.LBB219_237:                            ;   in Loop: Header=BB219_234 Depth=2
	v_add_co_u32 v6, vcc_lo, v6, s49
	v_add_co_ci_u32_e64 v7, null, 0, v7, vcc_lo
	v_add_nc_u32_e32 v10, s90, v10
	s_mov_b32 s56, 0
	v_cmp_le_u64_e32 vcc_lo, s[22:23], v[6:7]
	s_orn2_b32 s6, vcc_lo, exec_lo
	s_branch .LBB219_233
.LBB219_238:                            ;   in Loop: Header=BB219_12 Depth=1
	s_or_b32 exec_lo, exec_lo, s55
	v_lshrrev_b32_e32 v10, 16, v11
	s_and_b32 s6, s58, exec_lo
.LBB219_239:                            ;   in Loop: Header=BB219_12 Depth=1
	s_or_b32 exec_lo, exec_lo, s25
.LBB219_240:                            ;   in Loop: Header=BB219_12 Depth=1
	s_and_b32 vcc_lo, exec_lo, s24
	s_cbranch_vccz .LBB219_256
; %bb.241:                              ;   in Loop: Header=BB219_12 Depth=1
	s_mov_b32 s60, s59
	s_cmp_lg_u64 s[60:61], 0
	s_cbranch_scc0 .LBB219_243
; %bb.242:                              ;   in Loop: Header=BB219_12 Depth=1
	v_cvt_f32_u32_e32 v6, s49
	s_sub_u32 s22, 0, s49
	s_subb_u32 s23, 0, 0
	v_fmac_f32_e64 v6, 0x4f800000, 0
	v_rcp_f32_e32 v6, v6
	v_mul_f32_e32 v6, 0x5f7ffffc, v6
	v_mul_f32_e32 v7, 0x2f800000, v6
	v_trunc_f32_e32 v7, v7
	v_fmac_f32_e32 v6, 0xcf800000, v7
	v_cvt_u32_f32_e32 v7, v7
	v_cvt_u32_f32_e32 v6, v6
	v_readfirstlane_b32 s20, v7
	v_readfirstlane_b32 s21, v6
	s_mul_i32 s24, s22, s20
	s_mul_hi_u32 s44, s22, s21
	s_mul_i32 s25, s23, s21
	s_add_i32 s24, s44, s24
	s_mul_i32 s45, s22, s21
	s_add_i32 s24, s24, s25
	s_mul_hi_u32 s44, s21, s45
	s_mul_i32 s47, s21, s24
	s_mul_hi_u32 s46, s20, s45
	s_mul_i32 s25, s20, s45
	s_mul_hi_u32 s45, s21, s24
	s_add_u32 s44, s44, s47
	s_addc_u32 s45, 0, s45
	s_mul_hi_u32 s54, s20, s24
	s_add_u32 s25, s44, s25
	s_mul_i32 s24, s20, s24
	s_addc_u32 s25, s45, s46
	s_addc_u32 s44, s54, 0
	s_add_u32 s24, s25, s24
	s_addc_u32 s25, 0, s44
	s_add_u32 s21, s21, s24
	s_cselect_b32 s24, -1, 0
	s_mul_hi_u32 s44, s22, s21
	s_cmp_lg_u32 s24, 0
	s_mul_i32 s24, s22, s21
	s_addc_u32 s20, s20, s25
	s_mul_i32 s23, s23, s21
	s_mul_i32 s22, s22, s20
	s_mul_hi_u32 s25, s21, s24
	s_add_i32 s22, s44, s22
	s_mul_hi_u32 s44, s20, s24
	s_add_i32 s22, s22, s23
	s_mul_i32 s23, s20, s24
	s_mul_i32 s46, s21, s22
	s_mul_hi_u32 s45, s21, s22
	s_add_u32 s25, s25, s46
	s_addc_u32 s45, 0, s45
	s_mul_hi_u32 s24, s20, s22
	s_add_u32 s23, s25, s23
	s_mul_i32 s22, s20, s22
	s_addc_u32 s23, s45, s44
	s_addc_u32 s24, s24, 0
	s_add_u32 s22, s23, s22
	s_addc_u32 s23, 0, s24
	s_add_u32 s21, s21, s22
	s_cselect_b32 s22, -1, 0
	s_mul_hi_u32 s24, s84, s21
	s_cmp_lg_u32 s22, 0
	s_mul_hi_u32 s22, s61, s21
	s_addc_u32 s20, s20, s23
	s_mul_i32 s21, s61, s21
	s_mul_i32 s25, s84, s20
	s_mul_hi_u32 s23, s84, s20
	s_add_u32 s24, s24, s25
	s_addc_u32 s23, 0, s23
	s_mul_hi_u32 s44, s61, s20
	s_add_u32 s21, s24, s21
	s_mul_i32 s20, s61, s20
	s_addc_u32 s21, s23, s22
	s_addc_u32 s22, s44, 0
	s_add_u32 s20, s21, s20
	s_addc_u32 s21, 0, s22
	s_mul_hi_u32 s22, s49, s20
	s_mul_i32 s21, s49, s21
	s_mul_i32 s20, s49, s20
	s_add_i32 s22, s22, s21
	s_sub_u32 s20, s84, s20
	s_cselect_b32 s21, -1, 0
	s_cmp_lg_u32 s21, 0
	s_subb_u32 s21, s61, s22
	s_sub_u32 s22, s20, s49
	s_cselect_b32 s23, -1, 0
	s_cmp_lg_u32 s23, 0
	s_subb_u32 s23, s21, 0
	;; [unrolled: 4-line block ×3, first 2 shown]
	s_cmp_ge_u32 s22, s49
	s_cselect_b32 s44, -1, 0
	s_cmp_eq_u32 s23, 0
	s_cselect_b32 s44, s44, -1
	s_cmp_lg_u32 s44, 0
	s_cselect_b32 s23, s25, s23
	s_cselect_b32 s22, s24, s22
	s_cmp_ge_u32 s20, s49
	s_cselect_b32 s24, -1, 0
	s_cmp_eq_u32 s21, 0
	s_cselect_b32 s24, s24, -1
	s_cmp_lg_u32 s24, 0
	s_cselect_b32 s21, s23, s21
	s_cselect_b32 s20, s22, s20
	s_mov_b32 s22, 0
	s_branch .LBB219_244
.LBB219_243:                            ;   in Loop: Header=BB219_12 Depth=1
	s_mov_b32 s22, -1
                                        ; implicit-def: $sgpr20_sgpr21
.LBB219_244:                            ;   in Loop: Header=BB219_12 Depth=1
	s_andn2_b32 vcc_lo, exec_lo, s22
	s_cbranch_vccnz .LBB219_246
; %bb.245:                              ;   in Loop: Header=BB219_12 Depth=1
	v_cvt_f32_u32_e32 v6, s49
	s_sub_i32 s21, 0, s49
	v_rcp_iflag_f32_e32 v6, v6
	v_mul_f32_e32 v6, 0x4f7ffffe, v6
	v_cvt_u32_f32_e32 v6, v6
	v_readfirstlane_b32 s20, v6
	s_mul_i32 s21, s21, s20
	s_mul_hi_u32 s21, s20, s21
	s_add_i32 s20, s20, s21
	s_mul_hi_u32 s20, s84, s20
	s_mul_i32 s20, s20, s49
	s_sub_i32 s20, s84, s20
	s_sub_i32 s21, s20, s49
	s_cmp_ge_u32 s20, s49
	s_cselect_b32 s20, s21, s20
	s_sub_i32 s21, s20, s49
	s_cmp_ge_u32 s20, s49
	s_cselect_b32 s58, s21, s20
	s_mov_b64 s[20:21], s[58:59]
.LBB219_246:                            ;   in Loop: Header=BB219_12 Depth=1
	s_sub_u32 s20, s84, s20
	s_subb_u32 s21, s61, s21
	s_mov_b32 s22, exec_lo
                                        ; implicit-def: $vgpr10
	v_cmpx_gt_u64_e64 s[20:21], v[0:1]
	s_cbranch_execz .LBB219_255
; %bb.247:                              ;   in Loop: Header=BB219_12 Depth=1
	v_mov_b32_e32 v7, v1
	v_mov_b32_e32 v6, v0
	s_mov_b32 s23, 0
                                        ; implicit-def: $sgpr24
	s_branch .LBB219_250
.LBB219_248:                            ;   in Loop: Header=BB219_250 Depth=2
	s_or_b32 exec_lo, exec_lo, s25
	s_waitcnt lgkmcnt(0)
	s_barrier
	buffer_gl0_inv
	ds_read_b32 v10, v3 offset:3072
	s_mov_b32 s54, -1
	s_mov_b32 s25, -1
	s_waitcnt lgkmcnt(0)
	s_barrier
	buffer_gl0_inv
	v_and_b32_e32 v11, 0x7fff, v10
	v_cmp_eq_u32_e32 vcc_lo, 0, v11
	s_cbranch_vccnz .LBB219_253
.LBB219_249:                            ;   in Loop: Header=BB219_250 Depth=2
	s_and_b32 s44, exec_lo, s54
	s_or_b32 s23, s44, s23
	s_andn2_b32 s24, s24, exec_lo
	s_and_b32 s25, s25, exec_lo
	s_or_b32 s24, s24, s25
	s_andn2_b32 exec_lo, exec_lo, s23
	s_cbranch_execz .LBB219_254
.LBB219_250:                            ;   Parent Loop BB219_12 Depth=1
                                        ; =>  This Inner Loop Header: Depth=2
	s_mov_b32 s25, exec_lo
	v_cmpx_gt_u64_e64 s[36:37], v[6:7]
	s_cbranch_execz .LBB219_248
; %bb.251:                              ;   in Loop: Header=BB219_250 Depth=2
	v_mul_lo_u32 v21, v7, s30
	v_mul_lo_u32 v22, v6, s31
	v_mad_u64_u32 v[10:11], null, v6, s30, 0
	v_add3_u32 v11, v11, v22, v21
	v_lshlrev_b64 v[10:11], 1, v[10:11]
	v_add_co_u32 v10, vcc_lo, s33, v10
	v_add_co_ci_u32_e64 v11, null, s35, v11, vcc_lo
	global_load_ushort v10, v[10:11], off
	s_waitcnt vmcnt(0)
	v_cmp_lt_i16_e32 vcc_lo, -1, v10
	v_lshlrev_b32_e32 v21, 16, v10
	v_cndmask_b32_e32 v11, 0xffff, v31, vcc_lo
	v_cmp_o_f32_e32 vcc_lo, v21, v21
	v_xor_b32_sdwa v11, v11, v10 dst_sel:DWORD dst_unused:UNUSED_PAD src0_sel:DWORD src1_sel:WORD_0
	v_cndmask_b32_e32 v11, 0xffff, v11, vcc_lo
	v_and_b32_e32 v11, v11, v9
	v_cmp_eq_u32_e32 vcc_lo, v11, v8
	s_and_b32 exec_lo, exec_lo, vcc_lo
	s_cbranch_execz .LBB219_248
; %bb.252:                              ;   in Loop: Header=BB219_250 Depth=2
	v_perm_b32 v10, v10, s93, 0x5040100
	ds_write_b32 v3, v10 offset:3072
	s_branch .LBB219_248
.LBB219_253:                            ;   in Loop: Header=BB219_250 Depth=2
	v_add_co_u32 v6, vcc_lo, v6, s49
	v_add_co_ci_u32_e64 v7, null, 0, v7, vcc_lo
	s_mov_b32 s25, 0
	v_cmp_le_u64_e32 vcc_lo, s[20:21], v[6:7]
	s_orn2_b32 s54, vcc_lo, exec_lo
	s_branch .LBB219_249
.LBB219_254:                            ;   in Loop: Header=BB219_12 Depth=1
	s_or_b32 exec_lo, exec_lo, s23
	v_lshrrev_b32_e32 v10, 16, v10
	s_andn2_b32 s6, s6, exec_lo
	s_and_b32 s20, s24, exec_lo
	s_or_b32 s6, s6, s20
.LBB219_255:                            ;   in Loop: Header=BB219_12 Depth=1
	s_or_b32 exec_lo, exec_lo, s22
	s_mov_b32 s60, 0
	s_mov_b32 s54, -1
.LBB219_256:                            ;   in Loop: Header=BB219_12 Depth=1
	s_orn2_b32 s20, s6, exec_lo
.LBB219_257:                            ;   in Loop: Header=BB219_12 Depth=1
	s_or_b32 exec_lo, exec_lo, s77
	s_mov_b32 s21, 0
	s_and_saveexec_b32 s6, s20
	s_cbranch_execz .LBB219_268
; %bb.258:                              ;   in Loop: Header=BB219_12 Depth=1
	v_mov_b32_e32 v6, 1
	v_mov_b32_e32 v7, 0
	;; [unrolled: 1-line block ×3, first 2 shown]
	s_xor_b32 s21, s76, -1
	s_and_saveexec_b32 s20, s21
	s_cbranch_execz .LBB219_267
; %bb.259:                              ;   in Loop: Header=BB219_12 Depth=1
	s_mov_b32 s21, exec_lo
	v_cmpx_ge_u64_e64 s[18:19], v[4:5]
	s_xor_b32 s21, exec_lo, s21
	s_cbranch_execz .LBB219_264
; %bb.260:                              ;   in Loop: Header=BB219_12 Depth=1
	ds_read_b64 v[6:7], v3 offset:5120
	v_or_b32_e32 v8, s11, v8
	v_or_b32_e32 v9, s11, v9
	s_waitcnt lgkmcnt(0)
	v_cmp_ne_u64_e32 vcc_lo, 0, v[6:7]
	s_cbranch_vccnz .LBB219_264
; %bb.261:                              ;   in Loop: Header=BB219_12 Depth=1
	s_and_saveexec_b32 s22, s3
; %bb.262:                              ;   in Loop: Header=BB219_12 Depth=1
	v_mov_b32_e32 v6, s18
	v_mov_b32_e32 v7, s19
	ds_write_b64 v3, v[6:7] offset:5128
; %bb.263:                              ;   in Loop: Header=BB219_12 Depth=1
	s_or_b32 exec_lo, exec_lo, s22
	s_waitcnt lgkmcnt(0)
	s_barrier
	buffer_gl0_inv
.LBB219_264:                            ;   in Loop: Header=BB219_12 Depth=1
	s_andn2_saveexec_b32 s21, s21
; %bb.265:                              ;   in Loop: Header=BB219_12 Depth=1
	v_sub_co_u32 v4, vcc_lo, v4, s18
	v_subrev_co_ci_u32_e64 v5, null, s19, v5, vcc_lo
; %bb.266:                              ;   in Loop: Header=BB219_12 Depth=1
	s_or_b32 exec_lo, exec_lo, s21
	v_mov_b32_e32 v7, v5
	v_mov_b32_e32 v2, 8
	;; [unrolled: 1-line block ×3, first 2 shown]
.LBB219_267:                            ;   in Loop: Header=BB219_12 Depth=1
	s_or_b32 exec_lo, exec_lo, s20
	v_mov_b32_e32 v4, v6
	v_mov_b32_e32 v5, v7
	s_mov_b32 s21, exec_lo
.LBB219_268:                            ;   in Loop: Header=BB219_12 Depth=1
	s_or_b32 exec_lo, exec_lo, s6
	s_orn2_b32 s6, s21, exec_lo
.LBB219_269:                            ;   in Loop: Header=BB219_12 Depth=1
	s_or_b32 exec_lo, exec_lo, s75
	v_mov_b32_e32 v7, v5
	v_mov_b32_e32 v6, v4
	s_andn2_b32 s20, s73, exec_lo
	s_and_b32 s21, s54, exec_lo
	s_andn2_b32 s22, s72, exec_lo
	s_and_b32 s23, s60, exec_lo
	s_or_b32 s73, s20, s21
	s_or_b32 s72, s22, s23
	s_and_b32 s21, s6, exec_lo
.LBB219_270:                            ;   in Loop: Header=BB219_12 Depth=1
	s_or_b32 exec_lo, exec_lo, s74
	s_orn2_b32 s6, s21, exec_lo
.LBB219_271:                            ;   in Loop: Header=BB219_12 Depth=1
	s_or_b32 exec_lo, exec_lo, s71
	v_mov_b32_e32 v4, v6
	v_mov_b32_e32 v5, v7
	s_andn2_b32 s20, s69, exec_lo
	s_and_b32 s21, s73, exec_lo
	s_andn2_b32 s22, s64, exec_lo
	s_and_b32 s23, s72, exec_lo
	s_or_b32 s69, s20, s21
	s_or_b32 s64, s22, s23
	s_and_b32 s21, s6, exec_lo
.LBB219_272:                            ;   in Loop: Header=BB219_12 Depth=1
	s_or_b32 exec_lo, exec_lo, s70
	s_orn2_b32 s6, s21, exec_lo
.LBB219_273:                            ;   in Loop: Header=BB219_12 Depth=1
	s_or_b32 exec_lo, exec_lo, s43
	s_mov_b32 s20, 0
	s_mov_b32 s21, 0
	s_and_saveexec_b32 s22, s6
	s_xor_b32 s22, exec_lo, s22
; %bb.274:                              ;   in Loop: Header=BB219_12 Depth=1
	v_cmp_ne_u32_e32 vcc_lo, 8, v2
	v_cmp_eq_u32_e64 s6, 8, v2
	s_and_b32 s21, vcc_lo, exec_lo
	s_and_b32 s20, s6, exec_lo
; %bb.275:                              ;   in Loop: Header=BB219_12 Depth=1
	s_or_b32 exec_lo, exec_lo, s22
	s_andn2_b32 s6, s66, exec_lo
	s_and_b32 s22, s69, exec_lo
	s_andn2_b32 s23, s65, exec_lo
	s_and_b32 s24, s64, exec_lo
	s_or_b32 s66, s6, s22
	s_or_b32 s65, s23, s24
	s_and_b32 s43, s21, exec_lo
	s_and_b32 s64, s20, exec_lo
.LBB219_276:                            ;   in Loop: Header=BB219_12 Depth=1
	s_or_b32 exec_lo, exec_lo, s68
.LBB219_277:                            ;   in Loop: Header=BB219_12 Depth=1
	s_and_b32 vcc_lo, exec_lo, s67
	s_cbranch_vccz .LBB219_293
; %bb.278:                              ;   in Loop: Header=BB219_12 Depth=1
	s_cmp_eq_u64 s[18:19], 1
	s_mov_b32 s20, -1
	s_cselect_b32 s6, -1, 0
                                        ; implicit-def: $sgpr27
	s_and_b32 s6, s6, s9
                                        ; implicit-def: $sgpr9
	s_and_saveexec_b32 s65, s6
	s_cbranch_execz .LBB219_311
; %bb.279:                              ;   in Loop: Header=BB219_12 Depth=1
	ds_read_b64 v[4:5], v3 offset:5120
	s_waitcnt lgkmcnt(0)
	s_barrier
	buffer_gl0_inv
	v_readfirstlane_b32 s20, v4
	v_readfirstlane_b32 s21, v5
	s_and_saveexec_b32 s9, s10
; %bb.280:                              ;   in Loop: Header=BB219_12 Depth=1
	ds_write_b16 v26, v3
; %bb.281:                              ;   in Loop: Header=BB219_12 Depth=1
	s_or_b32 exec_lo, exec_lo, s9
	v_or_b32_e32 v28, s11, v28
	v_or_b32_e32 v33, s11, v33
	s_mov_b32 s27, -1
	s_mov_b32 s9, 0
	s_cmp_eq_u64 s[20:21], 0
	s_mov_b32 s24, 0
	s_mov_b32 s25, -1
	s_waitcnt lgkmcnt(0)
	s_barrier
	buffer_gl0_inv
                                        ; implicit-def: $vgpr34
	s_cbranch_scc1 .LBB219_296
; %bb.282:                              ;   in Loop: Header=BB219_12 Depth=1
	s_add_u32 s54, s20, s82
	s_addc_u32 s23, s21, s83
	s_mov_b32 s22, s59
	s_cmp_lg_u64 s[22:23], 0
	s_cbranch_scc0 .LBB219_337
; %bb.283:                              ;   in Loop: Header=BB219_12 Depth=1
	v_cvt_f32_u32_e32 v2, s49
	s_sub_u32 s25, 0, s49
	s_subb_u32 s55, 0, 0
	v_fmac_f32_e64 v2, 0x4f800000, 0
	v_rcp_f32_e32 v2, v2
	v_mul_f32_e32 v2, 0x5f7ffffc, v2
	v_mul_f32_e32 v4, 0x2f800000, v2
	v_trunc_f32_e32 v4, v4
	v_fmac_f32_e32 v2, 0xcf800000, v4
	v_cvt_u32_f32_e32 v4, v4
	v_cvt_u32_f32_e32 v2, v2
	v_readfirstlane_b32 s22, v4
	v_readfirstlane_b32 s24, v2
	s_mul_i32 s56, s25, s22
	s_mul_hi_u32 s58, s25, s24
	s_mul_i32 s57, s55, s24
	s_add_i32 s56, s58, s56
	s_mul_i32 s60, s25, s24
	s_add_i32 s56, s56, s57
	s_mul_hi_u32 s58, s24, s60
	s_mul_i32 s67, s24, s56
	s_mul_hi_u32 s66, s22, s60
	s_mul_i32 s57, s22, s60
	s_mul_hi_u32 s60, s24, s56
	s_add_u32 s58, s58, s67
	s_addc_u32 s60, 0, s60
	s_mul_hi_u32 s68, s22, s56
	s_add_u32 s57, s58, s57
	s_mul_i32 s56, s22, s56
	s_addc_u32 s57, s60, s66
	s_addc_u32 s58, s68, 0
	s_add_u32 s56, s57, s56
	s_addc_u32 s57, 0, s58
	s_add_u32 s24, s24, s56
	s_cselect_b32 s56, -1, 0
	s_mul_hi_u32 s58, s25, s24
	s_cmp_lg_u32 s56, 0
	s_mul_i32 s56, s25, s24
	s_addc_u32 s22, s22, s57
	s_mul_i32 s55, s55, s24
	s_mul_i32 s25, s25, s22
	s_mul_hi_u32 s57, s24, s56
	s_add_i32 s25, s58, s25
	s_mul_hi_u32 s58, s22, s56
	s_add_i32 s25, s25, s55
	s_mul_i32 s55, s22, s56
	s_mul_i32 s66, s24, s25
	s_mul_hi_u32 s60, s24, s25
	s_add_u32 s57, s57, s66
	s_addc_u32 s60, 0, s60
	s_mul_hi_u32 s56, s22, s25
	s_add_u32 s55, s57, s55
	s_mul_i32 s25, s22, s25
	s_addc_u32 s55, s60, s58
	s_addc_u32 s56, s56, 0
	s_add_u32 s25, s55, s25
	s_addc_u32 s55, 0, s56
	s_add_u32 s24, s24, s25
	s_cselect_b32 s25, -1, 0
	s_mul_hi_u32 s56, s54, s24
	s_cmp_lg_u32 s25, 0
	s_mul_hi_u32 s25, s23, s24
	s_addc_u32 s22, s22, s55
	s_mul_i32 s24, s23, s24
	s_mul_i32 s57, s54, s22
	s_mul_hi_u32 s55, s54, s22
	s_add_u32 s56, s56, s57
	s_addc_u32 s55, 0, s55
	s_mul_hi_u32 s58, s23, s22
	s_add_u32 s24, s56, s24
	s_mul_i32 s22, s23, s22
	s_addc_u32 s24, s55, s25
	s_addc_u32 s25, s58, 0
	s_add_u32 s22, s24, s22
	s_addc_u32 s24, 0, s25
	s_mul_hi_u32 s25, s49, s22
	s_mul_i32 s24, s49, s24
	s_mul_i32 s22, s49, s22
	s_add_i32 s25, s25, s24
	s_sub_u32 s22, s54, s22
	s_cselect_b32 s24, -1, 0
	s_cmp_lg_u32 s24, 0
	s_subb_u32 s24, s23, s25
	s_sub_u32 s25, s22, s49
	s_cselect_b32 s55, -1, 0
	s_cmp_lg_u32 s55, 0
	s_subb_u32 s55, s24, 0
	;; [unrolled: 4-line block ×3, first 2 shown]
	s_cmp_ge_u32 s25, s49
	s_cselect_b32 s58, -1, 0
	s_cmp_eq_u32 s55, 0
	s_cselect_b32 s58, s58, -1
	s_cmp_lg_u32 s58, 0
	s_cselect_b32 s55, s57, s55
	s_cselect_b32 s56, s56, s25
	s_cmp_ge_u32 s22, s49
	s_cselect_b32 s25, -1, 0
	s_cmp_eq_u32 s24, 0
	s_cselect_b32 s25, s25, -1
	s_cmp_lg_u32 s25, 0
	s_cselect_b32 s25, s55, s24
	s_cselect_b32 s24, s56, s22
	s_cbranch_execnz .LBB219_285
.LBB219_284:                            ;   in Loop: Header=BB219_12 Depth=1
	v_cvt_f32_u32_e32 v2, s49
	s_sub_i32 s24, 0, s49
	v_rcp_iflag_f32_e32 v2, v2
	v_mul_f32_e32 v2, 0x4f7ffffe, v2
	v_cvt_u32_f32_e32 v2, v2
	v_readfirstlane_b32 s22, v2
	s_mul_i32 s24, s24, s22
	s_mul_hi_u32 s24, s22, s24
	s_add_i32 s22, s22, s24
	s_mul_hi_u32 s22, s54, s22
	s_mul_i32 s22, s22, s49
	s_sub_i32 s22, s54, s22
	s_sub_i32 s24, s22, s49
	s_cmp_ge_u32 s22, s49
	s_cselect_b32 s22, s24, s22
	s_sub_i32 s24, s22, s49
	s_cmp_ge_u32 s22, s49
	s_cselect_b32 s58, s24, s22
	s_mov_b64 s[24:25], s[58:59]
.LBB219_285:                            ;   in Loop: Header=BB219_12 Depth=1
	s_sub_u32 s22, s54, s24
	s_subb_u32 s23, s23, s25
	s_mov_b32 s25, 0
	s_mov_b32 s24, 0
	s_mov_b32 s54, exec_lo
                                        ; implicit-def: $vgpr34
	v_cmpx_gt_u64_e64 s[22:23], v[0:1]
	s_cbranch_execz .LBB219_295
; %bb.286:                              ;   in Loop: Header=BB219_12 Depth=1
	v_mov_b32_e32 v5, v1
	v_mov_b32_e32 v2, v25
	;; [unrolled: 1-line block ×3, first 2 shown]
                                        ; implicit-def: $sgpr55
	s_branch .LBB219_289
.LBB219_287:                            ;   in Loop: Header=BB219_289 Depth=2
	s_or_b32 exec_lo, exec_lo, s56
	s_waitcnt lgkmcnt(0)
	s_barrier
	buffer_gl0_inv
	ds_read_b32 v6, v3 offset:3072
	s_mov_b32 s56, -1
	s_mov_b32 s57, -1
	s_waitcnt lgkmcnt(0)
	s_barrier
	buffer_gl0_inv
	v_and_b32_e32 v7, 0x7fff, v6
	v_cmp_ne_u32_e32 vcc_lo, 0, v7
	s_cbranch_vccz .LBB219_292
.LBB219_288:                            ;   in Loop: Header=BB219_289 Depth=2
	s_and_b32 s44, exec_lo, s56
	s_or_b32 s24, s44, s24
	s_andn2_b32 s44, s55, exec_lo
	s_and_b32 s45, s57, exec_lo
	s_or_b32 s55, s44, s45
	s_andn2_b32 exec_lo, exec_lo, s24
	s_cbranch_execz .LBB219_294
.LBB219_289:                            ;   Parent Loop BB219_12 Depth=1
                                        ; =>  This Inner Loop Header: Depth=2
	s_mov_b32 s56, exec_lo
	v_cmpx_gt_u64_e64 s[20:21], v[4:5]
	s_cbranch_execz .LBB219_287
; %bb.290:                              ;   in Loop: Header=BB219_289 Depth=2
	ds_read_u16 v6, v2
	s_waitcnt lgkmcnt(0)
	v_cmp_lt_i16_e32 vcc_lo, -1, v6
	v_lshlrev_b32_e32 v8, 16, v6
	v_cndmask_b32_e32 v7, 0xffff, v31, vcc_lo
	v_cmp_o_f32_e32 vcc_lo, v8, v8
	v_xor_b32_sdwa v7, v7, v6 dst_sel:DWORD dst_unused:UNUSED_PAD src0_sel:DWORD src1_sel:WORD_0
	v_cndmask_b32_e32 v7, 0xffff, v7, vcc_lo
	v_and_b32_e32 v7, v7, v33
	v_cmp_eq_u32_e32 vcc_lo, v7, v28
	s_and_b32 exec_lo, exec_lo, vcc_lo
	s_cbranch_execz .LBB219_287
; %bb.291:                              ;   in Loop: Header=BB219_289 Depth=2
	v_perm_b32 v6, v6, s93, 0x5040100
	ds_write_b32 v3, v6 offset:3072
	s_branch .LBB219_287
.LBB219_292:                            ;   in Loop: Header=BB219_289 Depth=2
	v_add_co_u32 v4, vcc_lo, v4, s49
	v_add_co_ci_u32_e64 v5, null, 0, v5, vcc_lo
	v_add_nc_u32_e32 v2, s90, v2
	s_mov_b32 s57, 0
	v_cmp_le_u64_e32 vcc_lo, s[22:23], v[4:5]
	s_orn2_b32 s56, vcc_lo, exec_lo
	s_branch .LBB219_288
.LBB219_293:                            ;   in Loop: Header=BB219_12 Depth=1
	v_mov_b32_e32 v28, v8
	v_mov_b32_e32 v33, v9
	;; [unrolled: 1-line block ×3, first 2 shown]
	s_mov_b32 s9, 0
	s_and_saveexec_b32 s6, s64
	s_cbranch_execnz .LBB219_470
	s_branch .LBB219_471
.LBB219_294:                            ;   in Loop: Header=BB219_12 Depth=1
	s_or_b32 exec_lo, exec_lo, s24
	v_lshrrev_b32_e32 v34, 16, v6
	s_and_b32 s24, s55, exec_lo
.LBB219_295:                            ;   in Loop: Header=BB219_12 Depth=1
	s_or_b32 exec_lo, exec_lo, s54
.LBB219_296:                            ;   in Loop: Header=BB219_12 Depth=1
	s_and_b32 vcc_lo, exec_lo, s25
	s_cbranch_vccz .LBB219_310
; %bb.297:                              ;   in Loop: Header=BB219_12 Depth=1
	s_mov_b32 s60, s59
	s_cmp_lg_u64 s[60:61], 0
	s_cbranch_scc0 .LBB219_338
; %bb.298:                              ;   in Loop: Header=BB219_12 Depth=1
	v_cvt_f32_u32_e32 v2, s49
	s_sub_u32 s21, 0, s49
	s_subb_u32 s22, 0, 0
	v_fmac_f32_e64 v2, 0x4f800000, 0
	v_rcp_f32_e32 v2, v2
	v_mul_f32_e32 v2, 0x5f7ffffc, v2
	v_mul_f32_e32 v4, 0x2f800000, v2
	v_trunc_f32_e32 v4, v4
	v_fmac_f32_e32 v2, 0xcf800000, v4
	v_cvt_u32_f32_e32 v4, v4
	v_cvt_u32_f32_e32 v2, v2
	v_readfirstlane_b32 s9, v4
	v_readfirstlane_b32 s20, v2
	s_mul_i32 s23, s21, s9
	s_mul_hi_u32 s27, s21, s20
	s_mul_i32 s25, s22, s20
	s_add_i32 s23, s27, s23
	s_mul_i32 s54, s21, s20
	s_add_i32 s23, s23, s25
	s_mul_hi_u32 s27, s20, s54
	s_mul_i32 s56, s20, s23
	s_mul_hi_u32 s55, s9, s54
	s_mul_i32 s25, s9, s54
	s_mul_hi_u32 s54, s20, s23
	s_add_u32 s27, s27, s56
	s_addc_u32 s54, 0, s54
	s_mul_hi_u32 s57, s9, s23
	s_add_u32 s25, s27, s25
	s_mul_i32 s23, s9, s23
	s_addc_u32 s25, s54, s55
	s_addc_u32 s27, s57, 0
	s_add_u32 s23, s25, s23
	s_addc_u32 s25, 0, s27
	s_add_u32 s20, s20, s23
	s_cselect_b32 s23, -1, 0
	s_mul_hi_u32 s27, s21, s20
	s_cmp_lg_u32 s23, 0
	s_mul_i32 s23, s21, s20
	s_addc_u32 s9, s9, s25
	s_mul_i32 s22, s22, s20
	s_mul_i32 s21, s21, s9
	s_mul_hi_u32 s25, s20, s23
	s_add_i32 s21, s27, s21
	s_mul_hi_u32 s27, s9, s23
	s_add_i32 s21, s21, s22
	s_mul_i32 s22, s9, s23
	s_mul_i32 s55, s20, s21
	s_mul_hi_u32 s54, s20, s21
	s_add_u32 s25, s25, s55
	s_addc_u32 s54, 0, s54
	s_mul_hi_u32 s23, s9, s21
	s_add_u32 s22, s25, s22
	s_mul_i32 s21, s9, s21
	s_addc_u32 s22, s54, s27
	s_addc_u32 s23, s23, 0
	s_add_u32 s21, s22, s21
	s_addc_u32 s22, 0, s23
	s_add_u32 s20, s20, s21
	s_cselect_b32 s21, -1, 0
	s_mul_hi_u32 s23, s84, s20
	s_cmp_lg_u32 s21, 0
	s_mul_hi_u32 s21, s61, s20
	s_addc_u32 s9, s9, s22
	s_mul_i32 s20, s61, s20
	s_mul_i32 s25, s84, s9
	s_mul_hi_u32 s22, s84, s9
	s_add_u32 s23, s23, s25
	s_addc_u32 s22, 0, s22
	s_mul_hi_u32 s27, s61, s9
	s_add_u32 s20, s23, s20
	s_mul_i32 s9, s61, s9
	s_addc_u32 s20, s22, s21
	s_addc_u32 s21, s27, 0
	s_add_u32 s9, s20, s9
	s_addc_u32 s20, 0, s21
	s_mul_hi_u32 s21, s49, s9
	s_mul_i32 s20, s49, s20
	s_mul_i32 s9, s49, s9
	s_add_i32 s21, s21, s20
	s_sub_u32 s9, s84, s9
	s_cselect_b32 s20, -1, 0
	s_cmp_lg_u32 s20, 0
	s_subb_u32 s20, s61, s21
	s_sub_u32 s21, s9, s49
	s_cselect_b32 s22, -1, 0
	s_cmp_lg_u32 s22, 0
	s_subb_u32 s22, s20, 0
	;; [unrolled: 4-line block ×3, first 2 shown]
	s_cmp_ge_u32 s21, s49
	s_cselect_b32 s27, -1, 0
	s_cmp_eq_u32 s22, 0
	s_cselect_b32 s27, s27, -1
	s_cmp_lg_u32 s27, 0
	s_cselect_b32 s22, s25, s22
	s_cselect_b32 s23, s23, s21
	s_cmp_ge_u32 s9, s49
	s_cselect_b32 s21, -1, 0
	s_cmp_eq_u32 s20, 0
	s_cselect_b32 s21, s21, -1
	s_cmp_lg_u32 s21, 0
	s_cselect_b32 s21, s22, s20
	s_cselect_b32 s20, s23, s9
	s_cbranch_execnz .LBB219_300
.LBB219_299:                            ;   in Loop: Header=BB219_12 Depth=1
	v_cvt_f32_u32_e32 v2, s49
	s_sub_i32 s20, 0, s49
	v_rcp_iflag_f32_e32 v2, v2
	v_mul_f32_e32 v2, 0x4f7ffffe, v2
	v_cvt_u32_f32_e32 v2, v2
	v_readfirstlane_b32 s9, v2
	s_mul_i32 s20, s20, s9
	s_mul_hi_u32 s20, s9, s20
	s_add_i32 s9, s9, s20
	s_mul_hi_u32 s9, s84, s9
	s_mul_i32 s9, s9, s49
	s_sub_i32 s9, s84, s9
	s_sub_i32 s20, s9, s49
	s_cmp_ge_u32 s9, s49
	s_cselect_b32 s9, s20, s9
	s_sub_i32 s20, s9, s49
	s_cmp_ge_u32 s9, s49
	s_cselect_b32 s58, s20, s9
	s_mov_b64 s[20:21], s[58:59]
.LBB219_300:                            ;   in Loop: Header=BB219_12 Depth=1
	s_sub_u32 s20, s84, s20
	s_subb_u32 s21, s61, s21
	s_mov_b32 s9, exec_lo
                                        ; implicit-def: $vgpr34
	v_cmpx_gt_u64_e64 s[20:21], v[0:1]
	s_cbranch_execz .LBB219_309
; %bb.301:                              ;   in Loop: Header=BB219_12 Depth=1
	v_mov_b32_e32 v5, v1
	v_mov_b32_e32 v4, v0
	s_mov_b32 s22, 0
                                        ; implicit-def: $sgpr23
	s_branch .LBB219_304
.LBB219_302:                            ;   in Loop: Header=BB219_304 Depth=2
	s_or_b32 exec_lo, exec_lo, s25
	s_waitcnt lgkmcnt(0)
	s_barrier
	buffer_gl0_inv
	ds_read_b32 v2, v3 offset:3072
	s_mov_b32 s27, -1
	s_mov_b32 s25, -1
	s_waitcnt lgkmcnt(0)
	s_barrier
	buffer_gl0_inv
	v_and_b32_e32 v6, 0x7fff, v2
	v_cmp_ne_u32_e32 vcc_lo, 0, v6
	s_cbranch_vccz .LBB219_307
.LBB219_303:                            ;   in Loop: Header=BB219_304 Depth=2
	s_and_b32 s27, exec_lo, s27
	s_or_b32 s22, s27, s22
	s_andn2_b32 s23, s23, exec_lo
	s_and_b32 s25, s25, exec_lo
	s_or_b32 s23, s23, s25
	s_andn2_b32 exec_lo, exec_lo, s22
	s_cbranch_execz .LBB219_308
.LBB219_304:                            ;   Parent Loop BB219_12 Depth=1
                                        ; =>  This Inner Loop Header: Depth=2
	s_mov_b32 s25, exec_lo
	v_cmpx_gt_u64_e64 s[36:37], v[4:5]
	s_cbranch_execz .LBB219_302
; %bb.305:                              ;   in Loop: Header=BB219_304 Depth=2
	v_mul_lo_u32 v2, v5, s30
	v_mul_lo_u32 v8, v4, s31
	v_mad_u64_u32 v[6:7], null, v4, s30, 0
	v_add3_u32 v7, v7, v8, v2
	v_lshlrev_b64 v[6:7], 1, v[6:7]
	v_add_co_u32 v6, vcc_lo, s33, v6
	v_add_co_ci_u32_e64 v7, null, s35, v7, vcc_lo
	global_load_ushort v2, v[6:7], off
	s_waitcnt vmcnt(0)
	v_cmp_lt_i16_e32 vcc_lo, -1, v2
	v_lshlrev_b32_e32 v7, 16, v2
	v_cndmask_b32_e32 v6, 0xffff, v31, vcc_lo
	v_cmp_o_f32_e32 vcc_lo, v7, v7
	v_xor_b32_sdwa v6, v6, v2 dst_sel:DWORD dst_unused:UNUSED_PAD src0_sel:DWORD src1_sel:WORD_0
	v_cndmask_b32_e32 v6, 0xffff, v6, vcc_lo
	v_and_b32_e32 v6, v6, v33
	v_cmp_eq_u32_e32 vcc_lo, v6, v28
	s_and_b32 exec_lo, exec_lo, vcc_lo
	s_cbranch_execz .LBB219_302
; %bb.306:                              ;   in Loop: Header=BB219_304 Depth=2
	v_perm_b32 v2, v2, s93, 0x5040100
	ds_write_b32 v3, v2 offset:3072
	s_branch .LBB219_302
.LBB219_307:                            ;   in Loop: Header=BB219_304 Depth=2
	v_add_co_u32 v4, vcc_lo, v4, s49
	v_add_co_ci_u32_e64 v5, null, 0, v5, vcc_lo
	s_mov_b32 s25, 0
	v_cmp_le_u64_e32 vcc_lo, s[20:21], v[4:5]
	s_orn2_b32 s27, vcc_lo, exec_lo
	s_branch .LBB219_303
.LBB219_308:                            ;   in Loop: Header=BB219_12 Depth=1
	s_or_b32 exec_lo, exec_lo, s22
	v_lshrrev_b32_e32 v34, 16, v2
	s_andn2_b32 s20, s24, exec_lo
	s_and_b32 s21, s23, exec_lo
	s_or_b32 s24, s20, s21
.LBB219_309:                            ;   in Loop: Header=BB219_12 Depth=1
	s_or_b32 exec_lo, exec_lo, s9
	s_mov_b32 s27, 0
	s_mov_b32 s9, -1
.LBB219_310:                            ;   in Loop: Header=BB219_12 Depth=1
	s_orn2_b32 s20, s24, exec_lo
.LBB219_311:                            ;   in Loop: Header=BB219_12 Depth=1
	s_or_b32 exec_lo, exec_lo, s65
                                        ; implicit-def: $vgpr4_vgpr5
                                        ; implicit-def: $vgpr2
	s_and_saveexec_b32 s24, s20
	s_cbranch_execz .LBB219_469
; %bb.312:                              ;   in Loop: Header=BB219_12 Depth=1
	v_mov_b32_e32 v4, 1
	v_mov_b32_e32 v5, 0
	;; [unrolled: 1-line block ×3, first 2 shown]
	s_xor_b32 s21, s6, -1
	s_mov_b32 s20, 0
	s_and_saveexec_b32 s6, s21
	s_cbranch_execz .LBB219_321
; %bb.313:                              ;   in Loop: Header=BB219_12 Depth=1
	s_mov_b32 s20, exec_lo
	v_cmpx_ge_u64_e64 s[18:19], v[19:20]
	s_xor_b32 s20, exec_lo, s20
	s_cbranch_execz .LBB219_318
; %bb.314:                              ;   in Loop: Header=BB219_12 Depth=1
	ds_read_b64 v[4:5], v3 offset:5120
	v_or_b32_e32 v28, s11, v28
	v_or_b32_e32 v33, s11, v33
	s_waitcnt lgkmcnt(0)
	v_cmp_ne_u64_e32 vcc_lo, 0, v[4:5]
	s_cbranch_vccnz .LBB219_318
; %bb.315:                              ;   in Loop: Header=BB219_12 Depth=1
	s_and_saveexec_b32 s21, s3
; %bb.316:                              ;   in Loop: Header=BB219_12 Depth=1
	v_mov_b32_e32 v4, s18
	v_mov_b32_e32 v5, s19
	ds_write_b64 v3, v[4:5] offset:5128
; %bb.317:                              ;   in Loop: Header=BB219_12 Depth=1
	s_or_b32 exec_lo, exec_lo, s21
	s_waitcnt lgkmcnt(0)
	s_barrier
	buffer_gl0_inv
.LBB219_318:                            ;   in Loop: Header=BB219_12 Depth=1
	s_or_saveexec_b32 s20, s20
	v_mov_b32_e32 v2, 5
	s_mov_b32 s21, 0
	s_xor_b32 exec_lo, exec_lo, s20
; %bb.319:                              ;   in Loop: Header=BB219_12 Depth=1
	v_sub_co_u32 v19, vcc_lo, v19, s18
	v_subrev_co_ci_u32_e64 v20, null, s19, v20, vcc_lo
	v_mov_b32_e32 v2, 0
	s_mov_b32 s21, exec_lo
; %bb.320:                              ;   in Loop: Header=BB219_12 Depth=1
	s_or_b32 exec_lo, exec_lo, s20
	v_mov_b32_e32 v4, v19
	v_mov_b32_e32 v5, v20
	s_and_b32 s20, s21, exec_lo
.LBB219_321:                            ;   in Loop: Header=BB219_12 Depth=1
	s_or_b32 exec_lo, exec_lo, s6
	s_mov_b32 s18, -1
                                        ; implicit-def: $sgpr25
                                        ; implicit-def: $sgpr65
	s_and_saveexec_b32 s6, s20
	s_xor_b32 s6, exec_lo, s6
	s_cbranch_execz .LBB219_466
; %bb.322:                              ;   in Loop: Header=BB219_12 Depth=1
	v_cmp_eq_u64_e32 vcc_lo, 1, v[4:5]
	s_cmp_eq_u64 s[16:17], 1
                                        ; implicit-def: $sgpr65
                                        ; implicit-def: $sgpr25
	s_cselect_b32 s18, -1, 0
	s_and_b32 s66, s18, vcc_lo
	s_mov_b32 s18, -1
	s_and_saveexec_b32 s67, s66
	s_cbranch_execz .LBB219_356
; %bb.323:                              ;   in Loop: Header=BB219_12 Depth=1
	ds_read_b64 v[6:7], v3 offset:5120
	s_waitcnt lgkmcnt(0)
	s_barrier
	buffer_gl0_inv
	v_readfirstlane_b32 s18, v6
	v_readfirstlane_b32 s19, v7
	s_and_saveexec_b32 s20, s10
; %bb.324:                              ;   in Loop: Header=BB219_12 Depth=1
	ds_write_b16 v26, v3
; %bb.325:                              ;   in Loop: Header=BB219_12 Depth=1
	s_or_b32 exec_lo, exec_lo, s20
	s_lshl_b32 s20, 2, s91
	v_or_b32_e32 v33, s11, v33
	v_and_or_b32 v28, v28, s26, s20
	s_mov_b32 s25, -1
	s_mov_b32 s65, 0
	s_cmp_eq_u64 s[18:19], 0
	s_mov_b32 s22, 0
	s_mov_b32 s23, -1
	s_waitcnt lgkmcnt(0)
	s_barrier
	buffer_gl0_inv
                                        ; implicit-def: $vgpr34
	s_cbranch_scc1 .LBB219_341
; %bb.326:                              ;   in Loop: Header=BB219_12 Depth=1
	s_add_u32 s54, s18, s82
	s_addc_u32 s21, s19, s83
	s_mov_b32 s20, s59
	s_cmp_lg_u64 s[20:21], 0
	s_cbranch_scc0 .LBB219_382
; %bb.327:                              ;   in Loop: Header=BB219_12 Depth=1
	v_cvt_f32_u32_e32 v6, s49
	s_sub_u32 s23, 0, s49
	s_subb_u32 s55, 0, 0
	v_fmac_f32_e64 v6, 0x4f800000, 0
	v_rcp_f32_e32 v6, v6
	v_mul_f32_e32 v6, 0x5f7ffffc, v6
	v_mul_f32_e32 v7, 0x2f800000, v6
	v_trunc_f32_e32 v7, v7
	v_fmac_f32_e32 v6, 0xcf800000, v7
	v_cvt_u32_f32_e32 v7, v7
	v_cvt_u32_f32_e32 v6, v6
	v_readfirstlane_b32 s20, v7
	v_readfirstlane_b32 s22, v6
	s_mul_i32 s56, s23, s20
	s_mul_hi_u32 s58, s23, s22
	s_mul_i32 s57, s55, s22
	s_add_i32 s56, s58, s56
	s_mul_i32 s60, s23, s22
	s_add_i32 s56, s56, s57
	s_mul_hi_u32 s58, s22, s60
	s_mul_i32 s69, s22, s56
	s_mul_hi_u32 s68, s20, s60
	s_mul_i32 s57, s20, s60
	s_mul_hi_u32 s60, s22, s56
	s_add_u32 s58, s58, s69
	s_addc_u32 s60, 0, s60
	s_mul_hi_u32 s70, s20, s56
	s_add_u32 s57, s58, s57
	s_mul_i32 s56, s20, s56
	s_addc_u32 s57, s60, s68
	s_addc_u32 s58, s70, 0
	s_add_u32 s56, s57, s56
	s_addc_u32 s57, 0, s58
	s_add_u32 s22, s22, s56
	s_cselect_b32 s56, -1, 0
	s_mul_hi_u32 s58, s23, s22
	s_cmp_lg_u32 s56, 0
	s_mul_i32 s56, s23, s22
	s_addc_u32 s20, s20, s57
	s_mul_i32 s55, s55, s22
	s_mul_i32 s23, s23, s20
	s_mul_hi_u32 s57, s22, s56
	s_add_i32 s23, s58, s23
	s_mul_hi_u32 s58, s20, s56
	s_add_i32 s23, s23, s55
	s_mul_i32 s55, s20, s56
	s_mul_i32 s68, s22, s23
	s_mul_hi_u32 s60, s22, s23
	s_add_u32 s57, s57, s68
	s_addc_u32 s60, 0, s60
	s_mul_hi_u32 s56, s20, s23
	s_add_u32 s55, s57, s55
	s_mul_i32 s23, s20, s23
	s_addc_u32 s55, s60, s58
	s_addc_u32 s56, s56, 0
	s_add_u32 s23, s55, s23
	s_addc_u32 s55, 0, s56
	s_add_u32 s22, s22, s23
	s_cselect_b32 s23, -1, 0
	s_mul_hi_u32 s56, s54, s22
	s_cmp_lg_u32 s23, 0
	s_mul_hi_u32 s23, s21, s22
	s_addc_u32 s20, s20, s55
	s_mul_i32 s22, s21, s22
	s_mul_i32 s57, s54, s20
	s_mul_hi_u32 s55, s54, s20
	s_add_u32 s56, s56, s57
	s_addc_u32 s55, 0, s55
	s_mul_hi_u32 s58, s21, s20
	s_add_u32 s22, s56, s22
	s_mul_i32 s20, s21, s20
	s_addc_u32 s22, s55, s23
	s_addc_u32 s23, s58, 0
	s_add_u32 s20, s22, s20
	s_addc_u32 s22, 0, s23
	s_mul_hi_u32 s23, s49, s20
	s_mul_i32 s22, s49, s22
	s_mul_i32 s20, s49, s20
	s_add_i32 s23, s23, s22
	s_sub_u32 s20, s54, s20
	s_cselect_b32 s22, -1, 0
	s_cmp_lg_u32 s22, 0
	s_subb_u32 s22, s21, s23
	s_sub_u32 s23, s20, s49
	s_cselect_b32 s55, -1, 0
	s_cmp_lg_u32 s55, 0
	s_subb_u32 s55, s22, 0
	;; [unrolled: 4-line block ×3, first 2 shown]
	s_cmp_ge_u32 s23, s49
	s_cselect_b32 s58, -1, 0
	s_cmp_eq_u32 s55, 0
	s_cselect_b32 s58, s58, -1
	s_cmp_lg_u32 s58, 0
	s_cselect_b32 s55, s57, s55
	s_cselect_b32 s56, s56, s23
	s_cmp_ge_u32 s20, s49
	s_cselect_b32 s23, -1, 0
	s_cmp_eq_u32 s22, 0
	s_cselect_b32 s23, s23, -1
	s_cmp_lg_u32 s23, 0
	s_cselect_b32 s23, s55, s22
	s_cselect_b32 s22, s56, s20
	s_cbranch_execnz .LBB219_329
.LBB219_328:                            ;   in Loop: Header=BB219_12 Depth=1
	v_cvt_f32_u32_e32 v6, s49
	s_sub_i32 s22, 0, s49
	v_rcp_iflag_f32_e32 v6, v6
	v_mul_f32_e32 v6, 0x4f7ffffe, v6
	v_cvt_u32_f32_e32 v6, v6
	v_readfirstlane_b32 s20, v6
	s_mul_i32 s22, s22, s20
	s_mul_hi_u32 s22, s20, s22
	s_add_i32 s20, s20, s22
	s_mul_hi_u32 s20, s54, s20
	s_mul_i32 s20, s20, s49
	s_sub_i32 s20, s54, s20
	s_sub_i32 s22, s20, s49
	s_cmp_ge_u32 s20, s49
	s_cselect_b32 s20, s22, s20
	s_sub_i32 s22, s20, s49
	s_cmp_ge_u32 s20, s49
	s_cselect_b32 s58, s22, s20
	s_mov_b64 s[22:23], s[58:59]
.LBB219_329:                            ;   in Loop: Header=BB219_12 Depth=1
	s_sub_u32 s20, s54, s22
	s_subb_u32 s21, s21, s23
	s_mov_b32 s23, 0
	s_mov_b32 s22, 0
	s_mov_b32 s54, exec_lo
                                        ; implicit-def: $vgpr34
	v_cmpx_gt_u64_e64 s[20:21], v[0:1]
	s_cbranch_execz .LBB219_340
; %bb.330:                              ;   in Loop: Header=BB219_12 Depth=1
	v_mov_b32_e32 v7, v1
	v_mov_b32_e32 v8, v25
	v_mov_b32_e32 v6, v0
                                        ; implicit-def: $sgpr55
	s_branch .LBB219_333
.LBB219_331:                            ;   in Loop: Header=BB219_333 Depth=2
	s_or_b32 exec_lo, exec_lo, s56
	s_waitcnt lgkmcnt(0)
	s_barrier
	buffer_gl0_inv
	ds_read_b32 v9, v3 offset:3072
	s_mov_b32 s56, -1
	s_mov_b32 s57, -1
	s_waitcnt lgkmcnt(0)
	s_barrier
	buffer_gl0_inv
	v_and_b32_e32 v10, 0x7fff, v9
	v_cmp_ne_u32_e32 vcc_lo, 0, v10
	s_cbranch_vccz .LBB219_336
.LBB219_332:                            ;   in Loop: Header=BB219_333 Depth=2
	s_and_b32 s44, exec_lo, s56
	s_or_b32 s22, s44, s22
	s_andn2_b32 s44, s55, exec_lo
	s_and_b32 s45, s57, exec_lo
	s_or_b32 s55, s44, s45
	s_andn2_b32 exec_lo, exec_lo, s22
	s_cbranch_execz .LBB219_339
.LBB219_333:                            ;   Parent Loop BB219_12 Depth=1
                                        ; =>  This Inner Loop Header: Depth=2
	s_mov_b32 s56, exec_lo
	v_cmpx_gt_u64_e64 s[18:19], v[6:7]
	s_cbranch_execz .LBB219_331
; %bb.334:                              ;   in Loop: Header=BB219_333 Depth=2
	ds_read_u16 v9, v8
	s_waitcnt lgkmcnt(0)
	v_cmp_lt_i16_e32 vcc_lo, -1, v9
	v_lshlrev_b32_e32 v11, 16, v9
	v_cndmask_b32_e32 v10, 0xffff, v31, vcc_lo
	v_cmp_o_f32_e32 vcc_lo, v11, v11
	v_xor_b32_sdwa v10, v10, v9 dst_sel:DWORD dst_unused:UNUSED_PAD src0_sel:DWORD src1_sel:WORD_0
	v_cndmask_b32_e32 v10, 0xffff, v10, vcc_lo
	v_and_b32_e32 v10, v10, v33
	v_cmp_eq_u32_e32 vcc_lo, v10, v28
	s_and_b32 exec_lo, exec_lo, vcc_lo
	s_cbranch_execz .LBB219_331
; %bb.335:                              ;   in Loop: Header=BB219_333 Depth=2
	v_perm_b32 v9, v9, s93, 0x5040100
	ds_write_b32 v3, v9 offset:3072
	s_branch .LBB219_331
.LBB219_336:                            ;   in Loop: Header=BB219_333 Depth=2
	v_add_co_u32 v6, vcc_lo, v6, s49
	v_add_co_ci_u32_e64 v7, null, 0, v7, vcc_lo
	v_add_nc_u32_e32 v8, s90, v8
	s_mov_b32 s57, 0
	v_cmp_le_u64_e32 vcc_lo, s[20:21], v[6:7]
	s_orn2_b32 s56, vcc_lo, exec_lo
	s_branch .LBB219_332
.LBB219_337:                            ;   in Loop: Header=BB219_12 Depth=1
                                        ; implicit-def: $sgpr24_sgpr25
	s_branch .LBB219_284
.LBB219_338:                            ;   in Loop: Header=BB219_12 Depth=1
                                        ; implicit-def: $sgpr20_sgpr21
	s_branch .LBB219_299
.LBB219_339:                            ;   in Loop: Header=BB219_12 Depth=1
	s_or_b32 exec_lo, exec_lo, s22
	v_lshrrev_b32_e32 v34, 16, v9
	s_and_b32 s22, s55, exec_lo
.LBB219_340:                            ;   in Loop: Header=BB219_12 Depth=1
	s_or_b32 exec_lo, exec_lo, s54
.LBB219_341:                            ;   in Loop: Header=BB219_12 Depth=1
	s_and_b32 vcc_lo, exec_lo, s23
	s_cbranch_vccz .LBB219_355
; %bb.342:                              ;   in Loop: Header=BB219_12 Depth=1
	s_mov_b32 s60, s59
	s_cmp_lg_u64 s[60:61], 0
	s_cbranch_scc0 .LBB219_383
; %bb.343:                              ;   in Loop: Header=BB219_12 Depth=1
	v_cvt_f32_u32_e32 v6, s49
	s_sub_u32 s20, 0, s49
	s_subb_u32 s21, 0, 0
	v_fmac_f32_e64 v6, 0x4f800000, 0
	v_rcp_f32_e32 v6, v6
	v_mul_f32_e32 v6, 0x5f7ffffc, v6
	v_mul_f32_e32 v7, 0x2f800000, v6
	v_trunc_f32_e32 v7, v7
	v_fmac_f32_e32 v6, 0xcf800000, v7
	v_cvt_u32_f32_e32 v7, v7
	v_cvt_u32_f32_e32 v6, v6
	v_readfirstlane_b32 s18, v7
	v_readfirstlane_b32 s19, v6
	s_mul_i32 s23, s20, s18
	s_mul_hi_u32 s54, s20, s19
	s_mul_i32 s25, s21, s19
	s_add_i32 s23, s54, s23
	s_mul_i32 s55, s20, s19
	s_add_i32 s23, s23, s25
	s_mul_hi_u32 s54, s19, s55
	s_mul_i32 s57, s19, s23
	s_mul_hi_u32 s56, s18, s55
	s_mul_i32 s25, s18, s55
	s_mul_hi_u32 s55, s19, s23
	s_add_u32 s54, s54, s57
	s_addc_u32 s55, 0, s55
	s_mul_hi_u32 s58, s18, s23
	s_add_u32 s25, s54, s25
	s_mul_i32 s23, s18, s23
	s_addc_u32 s25, s55, s56
	s_addc_u32 s54, s58, 0
	s_add_u32 s23, s25, s23
	s_addc_u32 s25, 0, s54
	s_add_u32 s19, s19, s23
	s_cselect_b32 s23, -1, 0
	s_mul_hi_u32 s54, s20, s19
	s_cmp_lg_u32 s23, 0
	s_mul_i32 s23, s20, s19
	s_addc_u32 s18, s18, s25
	s_mul_i32 s21, s21, s19
	s_mul_i32 s20, s20, s18
	s_mul_hi_u32 s25, s19, s23
	s_add_i32 s20, s54, s20
	s_mul_hi_u32 s54, s18, s23
	s_add_i32 s20, s20, s21
	s_mul_i32 s21, s18, s23
	s_mul_i32 s56, s19, s20
	s_mul_hi_u32 s55, s19, s20
	s_add_u32 s25, s25, s56
	s_addc_u32 s55, 0, s55
	s_mul_hi_u32 s23, s18, s20
	s_add_u32 s21, s25, s21
	s_mul_i32 s20, s18, s20
	s_addc_u32 s21, s55, s54
	s_addc_u32 s23, s23, 0
	s_add_u32 s20, s21, s20
	s_addc_u32 s21, 0, s23
	s_add_u32 s19, s19, s20
	s_cselect_b32 s20, -1, 0
	s_mul_hi_u32 s23, s84, s19
	s_cmp_lg_u32 s20, 0
	s_mul_hi_u32 s20, s61, s19
	s_addc_u32 s18, s18, s21
	s_mul_i32 s19, s61, s19
	s_mul_i32 s25, s84, s18
	s_mul_hi_u32 s21, s84, s18
	s_add_u32 s23, s23, s25
	s_addc_u32 s21, 0, s21
	s_mul_hi_u32 s54, s61, s18
	s_add_u32 s19, s23, s19
	s_mul_i32 s18, s61, s18
	s_addc_u32 s19, s21, s20
	s_addc_u32 s20, s54, 0
	s_add_u32 s18, s19, s18
	s_addc_u32 s19, 0, s20
	s_mul_hi_u32 s20, s49, s18
	s_mul_i32 s19, s49, s19
	s_mul_i32 s18, s49, s18
	s_add_i32 s20, s20, s19
	s_sub_u32 s18, s84, s18
	s_cselect_b32 s19, -1, 0
	s_cmp_lg_u32 s19, 0
	s_subb_u32 s19, s61, s20
	s_sub_u32 s20, s18, s49
	s_cselect_b32 s21, -1, 0
	s_cmp_lg_u32 s21, 0
	s_subb_u32 s21, s19, 0
	;; [unrolled: 4-line block ×3, first 2 shown]
	s_cmp_ge_u32 s20, s49
	s_cselect_b32 s54, -1, 0
	s_cmp_eq_u32 s21, 0
	s_cselect_b32 s54, s54, -1
	s_cmp_lg_u32 s54, 0
	s_cselect_b32 s21, s25, s21
	s_cselect_b32 s20, s23, s20
	s_cmp_ge_u32 s18, s49
	s_cselect_b32 s23, -1, 0
	s_cmp_eq_u32 s19, 0
	s_cselect_b32 s23, s23, -1
	s_cmp_lg_u32 s23, 0
	s_cselect_b32 s19, s21, s19
	s_cselect_b32 s18, s20, s18
	s_cbranch_execnz .LBB219_345
.LBB219_344:                            ;   in Loop: Header=BB219_12 Depth=1
	v_cvt_f32_u32_e32 v6, s49
	s_sub_i32 s19, 0, s49
	v_rcp_iflag_f32_e32 v6, v6
	v_mul_f32_e32 v6, 0x4f7ffffe, v6
	v_cvt_u32_f32_e32 v6, v6
	v_readfirstlane_b32 s18, v6
	s_mul_i32 s19, s19, s18
	s_mul_hi_u32 s19, s18, s19
	s_add_i32 s18, s18, s19
	s_mul_hi_u32 s18, s84, s18
	s_mul_i32 s18, s18, s49
	s_sub_i32 s18, s84, s18
	s_sub_i32 s19, s18, s49
	s_cmp_ge_u32 s18, s49
	s_cselect_b32 s18, s19, s18
	s_sub_i32 s19, s18, s49
	s_cmp_ge_u32 s18, s49
	s_cselect_b32 s58, s19, s18
	s_mov_b64 s[18:19], s[58:59]
.LBB219_345:                            ;   in Loop: Header=BB219_12 Depth=1
	s_sub_u32 s18, s84, s18
	s_subb_u32 s19, s61, s19
	s_mov_b32 s20, exec_lo
                                        ; implicit-def: $vgpr34
	v_cmpx_gt_u64_e64 s[18:19], v[0:1]
	s_cbranch_execz .LBB219_354
; %bb.346:                              ;   in Loop: Header=BB219_12 Depth=1
	v_mov_b32_e32 v7, v1
	v_mov_b32_e32 v6, v0
	s_mov_b32 s21, 0
                                        ; implicit-def: $sgpr23
	s_branch .LBB219_349
.LBB219_347:                            ;   in Loop: Header=BB219_349 Depth=2
	s_or_b32 exec_lo, exec_lo, s25
	s_waitcnt lgkmcnt(0)
	s_barrier
	buffer_gl0_inv
	ds_read_b32 v8, v3 offset:3072
	s_mov_b32 s54, -1
	s_mov_b32 s25, -1
	s_waitcnt lgkmcnt(0)
	s_barrier
	buffer_gl0_inv
	v_and_b32_e32 v9, 0x7fff, v8
	v_cmp_eq_u32_e32 vcc_lo, 0, v9
	s_cbranch_vccnz .LBB219_352
.LBB219_348:                            ;   in Loop: Header=BB219_349 Depth=2
	s_and_b32 s44, exec_lo, s54
	s_or_b32 s21, s44, s21
	s_andn2_b32 s23, s23, exec_lo
	s_and_b32 s25, s25, exec_lo
	s_or_b32 s23, s23, s25
	s_andn2_b32 exec_lo, exec_lo, s21
	s_cbranch_execz .LBB219_353
.LBB219_349:                            ;   Parent Loop BB219_12 Depth=1
                                        ; =>  This Inner Loop Header: Depth=2
	s_mov_b32 s25, exec_lo
	v_cmpx_gt_u64_e64 s[36:37], v[6:7]
	s_cbranch_execz .LBB219_347
; %bb.350:                              ;   in Loop: Header=BB219_349 Depth=2
	v_mul_lo_u32 v10, v7, s30
	v_mul_lo_u32 v11, v6, s31
	v_mad_u64_u32 v[8:9], null, v6, s30, 0
	v_add3_u32 v9, v9, v11, v10
	v_lshlrev_b64 v[8:9], 1, v[8:9]
	v_add_co_u32 v8, vcc_lo, s33, v8
	v_add_co_ci_u32_e64 v9, null, s35, v9, vcc_lo
	global_load_ushort v8, v[8:9], off
	s_waitcnt vmcnt(0)
	v_cmp_lt_i16_e32 vcc_lo, -1, v8
	v_lshlrev_b32_e32 v10, 16, v8
	v_cndmask_b32_e32 v9, 0xffff, v31, vcc_lo
	v_cmp_o_f32_e32 vcc_lo, v10, v10
	v_xor_b32_sdwa v9, v9, v8 dst_sel:DWORD dst_unused:UNUSED_PAD src0_sel:DWORD src1_sel:WORD_0
	v_cndmask_b32_e32 v9, 0xffff, v9, vcc_lo
	v_and_b32_e32 v9, v9, v33
	v_cmp_eq_u32_e32 vcc_lo, v9, v28
	s_and_b32 exec_lo, exec_lo, vcc_lo
	s_cbranch_execz .LBB219_347
; %bb.351:                              ;   in Loop: Header=BB219_349 Depth=2
	v_perm_b32 v8, v8, s93, 0x5040100
	ds_write_b32 v3, v8 offset:3072
	s_branch .LBB219_347
.LBB219_352:                            ;   in Loop: Header=BB219_349 Depth=2
	v_add_co_u32 v6, vcc_lo, v6, s49
	v_add_co_ci_u32_e64 v7, null, 0, v7, vcc_lo
	s_mov_b32 s25, 0
	v_cmp_le_u64_e32 vcc_lo, s[18:19], v[6:7]
	s_orn2_b32 s54, vcc_lo, exec_lo
	s_branch .LBB219_348
.LBB219_353:                            ;   in Loop: Header=BB219_12 Depth=1
	s_or_b32 exec_lo, exec_lo, s21
	v_lshrrev_b32_e32 v34, 16, v8
	s_andn2_b32 s18, s22, exec_lo
	s_and_b32 s19, s23, exec_lo
	s_or_b32 s22, s18, s19
.LBB219_354:                            ;   in Loop: Header=BB219_12 Depth=1
	s_or_b32 exec_lo, exec_lo, s20
	s_mov_b32 s25, 0
	s_mov_b32 s65, -1
.LBB219_355:                            ;   in Loop: Header=BB219_12 Depth=1
	s_orn2_b32 s18, s22, exec_lo
.LBB219_356:                            ;   in Loop: Header=BB219_12 Depth=1
	s_or_b32 exec_lo, exec_lo, s67
	s_mov_b32 s19, 0
	s_and_saveexec_b32 s22, s18
	s_cbranch_execz .LBB219_465
; %bb.357:                              ;   in Loop: Header=BB219_12 Depth=1
	v_mov_b32_e32 v6, 1
	v_mov_b32_e32 v7, 0
	;; [unrolled: 1-line block ×3, first 2 shown]
	s_xor_b32 s20, s66, -1
	s_and_saveexec_b32 s18, s20
	s_cbranch_execz .LBB219_366
; %bb.358:                              ;   in Loop: Header=BB219_12 Depth=1
	s_mov_b32 s19, exec_lo
	v_cmpx_ge_u64_e64 s[16:17], v[4:5]
	s_xor_b32 s19, exec_lo, s19
	s_cbranch_execz .LBB219_363
; %bb.359:                              ;   in Loop: Header=BB219_12 Depth=1
	ds_read_b64 v[6:7], v3 offset:5120
	s_lshl_b32 s20, 2, s91
	v_or_b32_e32 v33, s11, v33
	v_and_or_b32 v28, v28, s26, s20
	s_waitcnt lgkmcnt(0)
	v_cmp_ne_u64_e32 vcc_lo, 0, v[6:7]
	s_cbranch_vccnz .LBB219_363
; %bb.360:                              ;   in Loop: Header=BB219_12 Depth=1
	s_and_saveexec_b32 s20, s3
; %bb.361:                              ;   in Loop: Header=BB219_12 Depth=1
	v_mov_b32_e32 v6, s16
	v_mov_b32_e32 v7, s17
	ds_write_b64 v3, v[6:7] offset:5128
; %bb.362:                              ;   in Loop: Header=BB219_12 Depth=1
	s_or_b32 exec_lo, exec_lo, s20
	s_waitcnt lgkmcnt(0)
	s_barrier
	buffer_gl0_inv
.LBB219_363:                            ;   in Loop: Header=BB219_12 Depth=1
	s_or_saveexec_b32 s19, s19
	v_mov_b32_e32 v2, 5
	s_mov_b32 s20, 0
	s_xor_b32 exec_lo, exec_lo, s19
; %bb.364:                              ;   in Loop: Header=BB219_12 Depth=1
	v_sub_co_u32 v4, vcc_lo, v4, s16
	v_subrev_co_ci_u32_e64 v5, null, s17, v5, vcc_lo
	v_mov_b32_e32 v2, 0
	s_mov_b32 s20, exec_lo
; %bb.365:                              ;   in Loop: Header=BB219_12 Depth=1
	s_or_b32 exec_lo, exec_lo, s19
	v_mov_b32_e32 v7, v5
	v_mov_b32_e32 v6, v4
	s_and_b32 s19, s20, exec_lo
.LBB219_366:                            ;   in Loop: Header=BB219_12 Depth=1
	s_or_b32 exec_lo, exec_lo, s18
	s_mov_b32 s16, -1
                                        ; implicit-def: $sgpr66
                                        ; implicit-def: $sgpr67
	s_and_saveexec_b32 s23, s19
	s_cbranch_execz .LBB219_464
; %bb.367:                              ;   in Loop: Header=BB219_12 Depth=1
	v_cmp_eq_u64_e32 vcc_lo, 1, v[6:7]
	s_cmp_eq_u64 s[14:15], 1
                                        ; implicit-def: $sgpr67
                                        ; implicit-def: $sgpr66
	s_cselect_b32 s16, -1, 0
	s_and_b32 s68, s16, vcc_lo
	s_mov_b32 s16, -1
	s_and_saveexec_b32 s69, s68
	s_cbranch_execz .LBB219_401
; %bb.368:                              ;   in Loop: Header=BB219_12 Depth=1
	ds_read_b64 v[4:5], v3 offset:5120
	s_waitcnt lgkmcnt(0)
	s_barrier
	buffer_gl0_inv
	v_readfirstlane_b32 s16, v4
	v_readfirstlane_b32 s17, v5
	s_and_saveexec_b32 s18, s10
; %bb.369:                              ;   in Loop: Header=BB219_12 Depth=1
	ds_write_b16 v26, v3
; %bb.370:                              ;   in Loop: Header=BB219_12 Depth=1
	s_or_b32 exec_lo, exec_lo, s18
	s_lshl_b32 s18, 1, s91
	v_or_b32_e32 v33, s11, v33
	v_and_or_b32 v28, v28, s26, s18
	s_mov_b32 s66, -1
	s_mov_b32 s67, 0
	s_cmp_eq_u64 s[16:17], 0
	s_mov_b32 s20, 0
	s_mov_b32 s21, -1
	s_waitcnt lgkmcnt(0)
	s_barrier
	buffer_gl0_inv
                                        ; implicit-def: $vgpr34
	s_cbranch_scc1 .LBB219_386
; %bb.371:                              ;   in Loop: Header=BB219_12 Depth=1
	s_add_u32 s54, s16, s82
	s_addc_u32 s19, s17, s83
	s_mov_b32 s18, s59
	s_cmp_lg_u64 s[18:19], 0
	s_cbranch_scc0 .LBB219_418
; %bb.372:                              ;   in Loop: Header=BB219_12 Depth=1
	v_cvt_f32_u32_e32 v4, s49
	s_sub_u32 s21, 0, s49
	s_subb_u32 s55, 0, 0
	v_fmac_f32_e64 v4, 0x4f800000, 0
	v_rcp_f32_e32 v4, v4
	v_mul_f32_e32 v4, 0x5f7ffffc, v4
	v_mul_f32_e32 v5, 0x2f800000, v4
	v_trunc_f32_e32 v5, v5
	v_fmac_f32_e32 v4, 0xcf800000, v5
	v_cvt_u32_f32_e32 v5, v5
	v_cvt_u32_f32_e32 v4, v4
	v_readfirstlane_b32 s18, v5
	v_readfirstlane_b32 s20, v4
	s_mul_i32 s56, s21, s18
	s_mul_hi_u32 s58, s21, s20
	s_mul_i32 s57, s55, s20
	s_add_i32 s56, s58, s56
	s_mul_i32 s60, s21, s20
	s_add_i32 s56, s56, s57
	s_mul_hi_u32 s58, s20, s60
	s_mul_i32 s71, s20, s56
	s_mul_hi_u32 s70, s18, s60
	s_mul_i32 s57, s18, s60
	s_mul_hi_u32 s60, s20, s56
	s_add_u32 s58, s58, s71
	s_addc_u32 s60, 0, s60
	s_mul_hi_u32 s72, s18, s56
	s_add_u32 s57, s58, s57
	s_mul_i32 s56, s18, s56
	s_addc_u32 s57, s60, s70
	s_addc_u32 s58, s72, 0
	s_add_u32 s56, s57, s56
	s_addc_u32 s57, 0, s58
	s_add_u32 s20, s20, s56
	s_cselect_b32 s56, -1, 0
	s_mul_hi_u32 s58, s21, s20
	s_cmp_lg_u32 s56, 0
	s_mul_i32 s56, s21, s20
	s_addc_u32 s18, s18, s57
	s_mul_i32 s55, s55, s20
	s_mul_i32 s21, s21, s18
	s_mul_hi_u32 s57, s20, s56
	s_add_i32 s21, s58, s21
	s_mul_hi_u32 s58, s18, s56
	s_add_i32 s21, s21, s55
	s_mul_i32 s55, s18, s56
	s_mul_i32 s70, s20, s21
	s_mul_hi_u32 s60, s20, s21
	s_add_u32 s57, s57, s70
	s_addc_u32 s60, 0, s60
	s_mul_hi_u32 s56, s18, s21
	s_add_u32 s55, s57, s55
	s_mul_i32 s21, s18, s21
	s_addc_u32 s55, s60, s58
	s_addc_u32 s56, s56, 0
	s_add_u32 s21, s55, s21
	s_addc_u32 s55, 0, s56
	s_add_u32 s20, s20, s21
	s_cselect_b32 s21, -1, 0
	s_mul_hi_u32 s56, s54, s20
	s_cmp_lg_u32 s21, 0
	s_mul_hi_u32 s21, s19, s20
	s_addc_u32 s18, s18, s55
	s_mul_i32 s20, s19, s20
	s_mul_i32 s57, s54, s18
	s_mul_hi_u32 s55, s54, s18
	s_add_u32 s56, s56, s57
	s_addc_u32 s55, 0, s55
	s_mul_hi_u32 s58, s19, s18
	s_add_u32 s20, s56, s20
	s_mul_i32 s18, s19, s18
	s_addc_u32 s20, s55, s21
	s_addc_u32 s21, s58, 0
	s_add_u32 s18, s20, s18
	s_addc_u32 s20, 0, s21
	s_mul_hi_u32 s21, s49, s18
	s_mul_i32 s20, s49, s20
	s_mul_i32 s18, s49, s18
	s_add_i32 s21, s21, s20
	s_sub_u32 s18, s54, s18
	s_cselect_b32 s20, -1, 0
	s_cmp_lg_u32 s20, 0
	s_subb_u32 s20, s19, s21
	s_sub_u32 s21, s18, s49
	s_cselect_b32 s55, -1, 0
	s_cmp_lg_u32 s55, 0
	s_subb_u32 s55, s20, 0
	;; [unrolled: 4-line block ×3, first 2 shown]
	s_cmp_ge_u32 s21, s49
	s_cselect_b32 s58, -1, 0
	s_cmp_eq_u32 s55, 0
	s_cselect_b32 s58, s58, -1
	s_cmp_lg_u32 s58, 0
	s_cselect_b32 s55, s57, s55
	s_cselect_b32 s56, s56, s21
	s_cmp_ge_u32 s18, s49
	s_cselect_b32 s21, -1, 0
	s_cmp_eq_u32 s20, 0
	s_cselect_b32 s21, s21, -1
	s_cmp_lg_u32 s21, 0
	s_cselect_b32 s21, s55, s20
	s_cselect_b32 s20, s56, s18
	s_cbranch_execnz .LBB219_374
.LBB219_373:                            ;   in Loop: Header=BB219_12 Depth=1
	v_cvt_f32_u32_e32 v4, s49
	s_sub_i32 s20, 0, s49
	v_rcp_iflag_f32_e32 v4, v4
	v_mul_f32_e32 v4, 0x4f7ffffe, v4
	v_cvt_u32_f32_e32 v4, v4
	v_readfirstlane_b32 s18, v4
	s_mul_i32 s20, s20, s18
	s_mul_hi_u32 s20, s18, s20
	s_add_i32 s18, s18, s20
	s_mul_hi_u32 s18, s54, s18
	s_mul_i32 s18, s18, s49
	s_sub_i32 s18, s54, s18
	s_sub_i32 s20, s18, s49
	s_cmp_ge_u32 s18, s49
	s_cselect_b32 s18, s20, s18
	s_sub_i32 s20, s18, s49
	s_cmp_ge_u32 s18, s49
	s_cselect_b32 s58, s20, s18
	s_mov_b64 s[20:21], s[58:59]
.LBB219_374:                            ;   in Loop: Header=BB219_12 Depth=1
	s_sub_u32 s18, s54, s20
	s_subb_u32 s19, s19, s21
	s_mov_b32 s21, 0
	s_mov_b32 s20, 0
	s_mov_b32 s54, exec_lo
                                        ; implicit-def: $vgpr34
	v_cmpx_gt_u64_e64 s[18:19], v[0:1]
	s_cbranch_execz .LBB219_385
; %bb.375:                              ;   in Loop: Header=BB219_12 Depth=1
	v_mov_b32_e32 v5, v1
	v_mov_b32_e32 v8, v25
	;; [unrolled: 1-line block ×3, first 2 shown]
                                        ; implicit-def: $sgpr55
	s_branch .LBB219_378
.LBB219_376:                            ;   in Loop: Header=BB219_378 Depth=2
	s_or_b32 exec_lo, exec_lo, s56
	s_waitcnt lgkmcnt(0)
	s_barrier
	buffer_gl0_inv
	ds_read_b32 v9, v3 offset:3072
	s_mov_b32 s56, -1
	s_mov_b32 s57, -1
	s_waitcnt lgkmcnt(0)
	s_barrier
	buffer_gl0_inv
	v_and_b32_e32 v10, 0x7fff, v9
	v_cmp_ne_u32_e32 vcc_lo, 0, v10
	s_cbranch_vccz .LBB219_381
.LBB219_377:                            ;   in Loop: Header=BB219_378 Depth=2
	s_and_b32 s44, exec_lo, s56
	s_or_b32 s20, s44, s20
	s_andn2_b32 s44, s55, exec_lo
	s_and_b32 s45, s57, exec_lo
	s_or_b32 s55, s44, s45
	s_andn2_b32 exec_lo, exec_lo, s20
	s_cbranch_execz .LBB219_384
.LBB219_378:                            ;   Parent Loop BB219_12 Depth=1
                                        ; =>  This Inner Loop Header: Depth=2
	s_mov_b32 s56, exec_lo
	v_cmpx_gt_u64_e64 s[16:17], v[4:5]
	s_cbranch_execz .LBB219_376
; %bb.379:                              ;   in Loop: Header=BB219_378 Depth=2
	ds_read_u16 v9, v8
	s_waitcnt lgkmcnt(0)
	v_cmp_lt_i16_e32 vcc_lo, -1, v9
	v_lshlrev_b32_e32 v11, 16, v9
	v_cndmask_b32_e32 v10, 0xffff, v31, vcc_lo
	v_cmp_o_f32_e32 vcc_lo, v11, v11
	v_xor_b32_sdwa v10, v10, v9 dst_sel:DWORD dst_unused:UNUSED_PAD src0_sel:DWORD src1_sel:WORD_0
	v_cndmask_b32_e32 v10, 0xffff, v10, vcc_lo
	v_and_b32_e32 v10, v10, v33
	v_cmp_eq_u32_e32 vcc_lo, v10, v28
	s_and_b32 exec_lo, exec_lo, vcc_lo
	s_cbranch_execz .LBB219_376
; %bb.380:                              ;   in Loop: Header=BB219_378 Depth=2
	v_perm_b32 v9, v9, s93, 0x5040100
	ds_write_b32 v3, v9 offset:3072
	s_branch .LBB219_376
.LBB219_381:                            ;   in Loop: Header=BB219_378 Depth=2
	v_add_co_u32 v4, vcc_lo, v4, s49
	v_add_co_ci_u32_e64 v5, null, 0, v5, vcc_lo
	v_add_nc_u32_e32 v8, s90, v8
	s_mov_b32 s57, 0
	v_cmp_le_u64_e32 vcc_lo, s[18:19], v[4:5]
	s_orn2_b32 s56, vcc_lo, exec_lo
	s_branch .LBB219_377
.LBB219_382:                            ;   in Loop: Header=BB219_12 Depth=1
                                        ; implicit-def: $sgpr22_sgpr23
	s_branch .LBB219_328
.LBB219_383:                            ;   in Loop: Header=BB219_12 Depth=1
                                        ; implicit-def: $sgpr18_sgpr19
	s_branch .LBB219_344
.LBB219_384:                            ;   in Loop: Header=BB219_12 Depth=1
	s_or_b32 exec_lo, exec_lo, s20
	v_lshrrev_b32_e32 v34, 16, v9
	s_and_b32 s20, s55, exec_lo
.LBB219_385:                            ;   in Loop: Header=BB219_12 Depth=1
	s_or_b32 exec_lo, exec_lo, s54
.LBB219_386:                            ;   in Loop: Header=BB219_12 Depth=1
	s_and_b32 vcc_lo, exec_lo, s21
	s_cbranch_vccz .LBB219_400
; %bb.387:                              ;   in Loop: Header=BB219_12 Depth=1
	s_mov_b32 s60, s59
	s_cmp_lg_u64 s[60:61], 0
	s_cbranch_scc0 .LBB219_419
; %bb.388:                              ;   in Loop: Header=BB219_12 Depth=1
	v_cvt_f32_u32_e32 v4, s49
	s_sub_u32 s18, 0, s49
	s_subb_u32 s19, 0, 0
	v_fmac_f32_e64 v4, 0x4f800000, 0
	v_rcp_f32_e32 v4, v4
	v_mul_f32_e32 v4, 0x5f7ffffc, v4
	v_mul_f32_e32 v5, 0x2f800000, v4
	v_trunc_f32_e32 v5, v5
	v_fmac_f32_e32 v4, 0xcf800000, v5
	v_cvt_u32_f32_e32 v5, v5
	v_cvt_u32_f32_e32 v4, v4
	v_readfirstlane_b32 s16, v5
	v_readfirstlane_b32 s17, v4
	s_mul_i32 s21, s18, s16
	s_mul_hi_u32 s55, s18, s17
	s_mul_i32 s54, s19, s17
	s_add_i32 s21, s55, s21
	s_mul_i32 s56, s18, s17
	s_add_i32 s21, s21, s54
	s_mul_hi_u32 s55, s17, s56
	s_mul_i32 s58, s17, s21
	s_mul_hi_u32 s57, s16, s56
	s_mul_i32 s54, s16, s56
	s_mul_hi_u32 s56, s17, s21
	s_add_u32 s55, s55, s58
	s_addc_u32 s56, 0, s56
	s_mul_hi_u32 s60, s16, s21
	s_add_u32 s54, s55, s54
	s_mul_i32 s21, s16, s21
	s_addc_u32 s54, s56, s57
	s_addc_u32 s55, s60, 0
	s_add_u32 s21, s54, s21
	s_addc_u32 s54, 0, s55
	s_add_u32 s17, s17, s21
	s_cselect_b32 s21, -1, 0
	s_mul_hi_u32 s55, s18, s17
	s_cmp_lg_u32 s21, 0
	s_mul_i32 s21, s18, s17
	s_addc_u32 s16, s16, s54
	s_mul_i32 s19, s19, s17
	s_mul_i32 s18, s18, s16
	s_mul_hi_u32 s54, s17, s21
	s_add_i32 s18, s55, s18
	s_mul_hi_u32 s55, s16, s21
	s_add_i32 s18, s18, s19
	s_mul_i32 s19, s16, s21
	s_mul_i32 s57, s17, s18
	s_mul_hi_u32 s56, s17, s18
	s_add_u32 s54, s54, s57
	s_addc_u32 s56, 0, s56
	s_mul_hi_u32 s21, s16, s18
	s_add_u32 s19, s54, s19
	s_mul_i32 s18, s16, s18
	s_addc_u32 s19, s56, s55
	s_addc_u32 s21, s21, 0
	s_add_u32 s18, s19, s18
	s_addc_u32 s19, 0, s21
	s_add_u32 s17, s17, s18
	s_cselect_b32 s18, -1, 0
	s_mul_hi_u32 s21, s84, s17
	s_cmp_lg_u32 s18, 0
	s_mul_hi_u32 s18, s61, s17
	s_addc_u32 s16, s16, s19
	s_mul_i32 s17, s61, s17
	s_mul_i32 s54, s84, s16
	s_mul_hi_u32 s19, s84, s16
	s_add_u32 s21, s21, s54
	s_addc_u32 s19, 0, s19
	s_mul_hi_u32 s55, s61, s16
	s_add_u32 s17, s21, s17
	s_mul_i32 s16, s61, s16
	s_addc_u32 s17, s19, s18
	s_addc_u32 s18, s55, 0
	s_add_u32 s16, s17, s16
	s_addc_u32 s17, 0, s18
	s_mul_hi_u32 s18, s49, s16
	s_mul_i32 s17, s49, s17
	s_mul_i32 s16, s49, s16
	s_add_i32 s18, s18, s17
	s_sub_u32 s16, s84, s16
	s_cselect_b32 s17, -1, 0
	s_cmp_lg_u32 s17, 0
	s_subb_u32 s17, s61, s18
	s_sub_u32 s18, s16, s49
	s_cselect_b32 s19, -1, 0
	s_cmp_lg_u32 s19, 0
	s_subb_u32 s19, s17, 0
	;; [unrolled: 4-line block ×3, first 2 shown]
	s_cmp_ge_u32 s18, s49
	s_cselect_b32 s55, -1, 0
	s_cmp_eq_u32 s19, 0
	s_cselect_b32 s55, s55, -1
	s_cmp_lg_u32 s55, 0
	s_cselect_b32 s19, s54, s19
	s_cselect_b32 s18, s21, s18
	s_cmp_ge_u32 s16, s49
	s_cselect_b32 s21, -1, 0
	s_cmp_eq_u32 s17, 0
	s_cselect_b32 s21, s21, -1
	s_cmp_lg_u32 s21, 0
	s_cselect_b32 s17, s19, s17
	s_cselect_b32 s16, s18, s16
	s_cbranch_execnz .LBB219_390
.LBB219_389:                            ;   in Loop: Header=BB219_12 Depth=1
	v_cvt_f32_u32_e32 v4, s49
	s_sub_i32 s17, 0, s49
	v_rcp_iflag_f32_e32 v4, v4
	v_mul_f32_e32 v4, 0x4f7ffffe, v4
	v_cvt_u32_f32_e32 v4, v4
	v_readfirstlane_b32 s16, v4
	s_mul_i32 s17, s17, s16
	s_mul_hi_u32 s17, s16, s17
	s_add_i32 s16, s16, s17
	s_mul_hi_u32 s16, s84, s16
	s_mul_i32 s16, s16, s49
	s_sub_i32 s16, s84, s16
	s_sub_i32 s17, s16, s49
	s_cmp_ge_u32 s16, s49
	s_cselect_b32 s16, s17, s16
	s_sub_i32 s17, s16, s49
	s_cmp_ge_u32 s16, s49
	s_cselect_b32 s58, s17, s16
	s_mov_b64 s[16:17], s[58:59]
.LBB219_390:                            ;   in Loop: Header=BB219_12 Depth=1
	s_sub_u32 s16, s84, s16
	s_subb_u32 s17, s61, s17
	s_mov_b32 s18, exec_lo
                                        ; implicit-def: $vgpr34
	v_cmpx_gt_u64_e64 s[16:17], v[0:1]
	s_cbranch_execz .LBB219_399
; %bb.391:                              ;   in Loop: Header=BB219_12 Depth=1
	v_mov_b32_e32 v5, v1
	v_mov_b32_e32 v4, v0
	s_mov_b32 s19, 0
                                        ; implicit-def: $sgpr21
	s_branch .LBB219_394
.LBB219_392:                            ;   in Loop: Header=BB219_394 Depth=2
	s_or_b32 exec_lo, exec_lo, s54
	s_waitcnt lgkmcnt(0)
	s_barrier
	buffer_gl0_inv
	ds_read_b32 v8, v3 offset:3072
	s_mov_b32 s55, -1
	s_mov_b32 s54, -1
	s_waitcnt lgkmcnt(0)
	s_barrier
	buffer_gl0_inv
	v_and_b32_e32 v9, 0x7fff, v8
	v_cmp_eq_u32_e32 vcc_lo, 0, v9
	s_cbranch_vccnz .LBB219_397
.LBB219_393:                            ;   in Loop: Header=BB219_394 Depth=2
	s_and_b32 s44, exec_lo, s55
	s_or_b32 s19, s44, s19
	s_andn2_b32 s21, s21, exec_lo
	s_and_b32 s44, s54, exec_lo
	s_or_b32 s21, s21, s44
	s_andn2_b32 exec_lo, exec_lo, s19
	s_cbranch_execz .LBB219_398
.LBB219_394:                            ;   Parent Loop BB219_12 Depth=1
                                        ; =>  This Inner Loop Header: Depth=2
	s_mov_b32 s54, exec_lo
	v_cmpx_gt_u64_e64 s[36:37], v[4:5]
	s_cbranch_execz .LBB219_392
; %bb.395:                              ;   in Loop: Header=BB219_394 Depth=2
	v_mul_lo_u32 v10, v5, s30
	v_mul_lo_u32 v11, v4, s31
	v_mad_u64_u32 v[8:9], null, v4, s30, 0
	v_add3_u32 v9, v9, v11, v10
	v_lshlrev_b64 v[8:9], 1, v[8:9]
	v_add_co_u32 v8, vcc_lo, s33, v8
	v_add_co_ci_u32_e64 v9, null, s35, v9, vcc_lo
	global_load_ushort v8, v[8:9], off
	s_waitcnt vmcnt(0)
	v_cmp_lt_i16_e32 vcc_lo, -1, v8
	v_lshlrev_b32_e32 v10, 16, v8
	v_cndmask_b32_e32 v9, 0xffff, v31, vcc_lo
	v_cmp_o_f32_e32 vcc_lo, v10, v10
	v_xor_b32_sdwa v9, v9, v8 dst_sel:DWORD dst_unused:UNUSED_PAD src0_sel:DWORD src1_sel:WORD_0
	v_cndmask_b32_e32 v9, 0xffff, v9, vcc_lo
	v_and_b32_e32 v9, v9, v33
	v_cmp_eq_u32_e32 vcc_lo, v9, v28
	s_and_b32 exec_lo, exec_lo, vcc_lo
	s_cbranch_execz .LBB219_392
; %bb.396:                              ;   in Loop: Header=BB219_394 Depth=2
	v_perm_b32 v8, v8, s93, 0x5040100
	ds_write_b32 v3, v8 offset:3072
	s_branch .LBB219_392
.LBB219_397:                            ;   in Loop: Header=BB219_394 Depth=2
	v_add_co_u32 v4, vcc_lo, v4, s49
	v_add_co_ci_u32_e64 v5, null, 0, v5, vcc_lo
	s_mov_b32 s54, 0
	v_cmp_le_u64_e32 vcc_lo, s[16:17], v[4:5]
	s_orn2_b32 s55, vcc_lo, exec_lo
	s_branch .LBB219_393
.LBB219_398:                            ;   in Loop: Header=BB219_12 Depth=1
	s_or_b32 exec_lo, exec_lo, s19
	v_lshrrev_b32_e32 v34, 16, v8
	s_andn2_b32 s16, s20, exec_lo
	s_and_b32 s17, s21, exec_lo
	s_or_b32 s20, s16, s17
.LBB219_399:                            ;   in Loop: Header=BB219_12 Depth=1
	s_or_b32 exec_lo, exec_lo, s18
	s_mov_b32 s66, 0
	s_mov_b32 s67, -1
.LBB219_400:                            ;   in Loop: Header=BB219_12 Depth=1
	s_orn2_b32 s16, s20, exec_lo
.LBB219_401:                            ;   in Loop: Header=BB219_12 Depth=1
	s_or_b32 exec_lo, exec_lo, s69
	s_mov_b32 s17, 0
	s_and_saveexec_b32 s20, s16
	s_cbranch_execz .LBB219_463
; %bb.402:                              ;   in Loop: Header=BB219_12 Depth=1
	v_mov_b32_e32 v4, 1
	v_mov_b32_e32 v5, 0
	;; [unrolled: 1-line block ×3, first 2 shown]
	s_xor_b32 s18, s68, -1
	s_and_saveexec_b32 s16, s18
	s_cbranch_execz .LBB219_411
; %bb.403:                              ;   in Loop: Header=BB219_12 Depth=1
	s_mov_b32 s17, exec_lo
	v_cmpx_ge_u64_e64 s[14:15], v[6:7]
	s_xor_b32 s17, exec_lo, s17
	s_cbranch_execz .LBB219_408
; %bb.404:                              ;   in Loop: Header=BB219_12 Depth=1
	ds_read_b64 v[4:5], v3 offset:5120
	s_lshl_b32 s18, 1, s91
	v_or_b32_e32 v33, s11, v33
	v_and_or_b32 v28, v28, s26, s18
	s_waitcnt lgkmcnt(0)
	v_cmp_ne_u64_e32 vcc_lo, 0, v[4:5]
	s_cbranch_vccnz .LBB219_408
; %bb.405:                              ;   in Loop: Header=BB219_12 Depth=1
	s_and_saveexec_b32 s18, s3
; %bb.406:                              ;   in Loop: Header=BB219_12 Depth=1
	v_mov_b32_e32 v4, s14
	v_mov_b32_e32 v5, s15
	ds_write_b64 v3, v[4:5] offset:5128
; %bb.407:                              ;   in Loop: Header=BB219_12 Depth=1
	s_or_b32 exec_lo, exec_lo, s18
	s_waitcnt lgkmcnt(0)
	s_barrier
	buffer_gl0_inv
.LBB219_408:                            ;   in Loop: Header=BB219_12 Depth=1
	s_or_saveexec_b32 s17, s17
	v_mov_b32_e32 v2, 5
	s_mov_b32 s18, 0
	s_xor_b32 exec_lo, exec_lo, s17
; %bb.409:                              ;   in Loop: Header=BB219_12 Depth=1
	v_sub_co_u32 v6, vcc_lo, v6, s14
	v_subrev_co_ci_u32_e64 v7, null, s15, v7, vcc_lo
	v_mov_b32_e32 v2, 0
	s_mov_b32 s18, exec_lo
; %bb.410:                              ;   in Loop: Header=BB219_12 Depth=1
	s_or_b32 exec_lo, exec_lo, s17
	v_mov_b32_e32 v4, v6
	v_mov_b32_e32 v5, v7
	s_and_b32 s17, s18, exec_lo
.LBB219_411:                            ;   in Loop: Header=BB219_12 Depth=1
	s_or_b32 exec_lo, exec_lo, s16
	s_mov_b32 s14, -1
                                        ; implicit-def: $sgpr54
                                        ; implicit-def: $sgpr60
	s_and_saveexec_b32 s21, s17
	s_cbranch_execz .LBB219_462
; %bb.412:                              ;   in Loop: Header=BB219_12 Depth=1
	v_cmp_eq_u64_e32 vcc_lo, 1, v[4:5]
	s_cmp_eq_u64 s[12:13], 1
	s_mov_b32 s15, -1
	s_cselect_b32 s14, -1, 0
                                        ; implicit-def: $sgpr54
                                        ; implicit-def: $sgpr60
	s_and_b32 s68, s14, vcc_lo
	s_and_saveexec_b32 s69, s68
	s_cbranch_execz .LBB219_450
; %bb.413:                              ;   in Loop: Header=BB219_12 Depth=1
	ds_read_b64 v[6:7], v3 offset:5120
	s_waitcnt lgkmcnt(0)
	s_barrier
	buffer_gl0_inv
	v_readfirstlane_b32 s14, v6
	v_readfirstlane_b32 s15, v7
	s_and_saveexec_b32 s16, s10
; %bb.414:                              ;   in Loop: Header=BB219_12 Depth=1
	ds_write_b16 v26, v3
; %bb.415:                              ;   in Loop: Header=BB219_12 Depth=1
	s_or_b32 exec_lo, exec_lo, s16
	v_and_b32_e32 v28, s26, v28
	v_or_b32_e32 v33, s11, v33
	s_mov_b32 s60, -1
	s_mov_b32 s54, 0
	s_cmp_eq_u64 s[14:15], 0
	s_mov_b32 s18, 0
	s_mov_b32 s19, -1
	s_waitcnt lgkmcnt(0)
	s_barrier
	buffer_gl0_inv
                                        ; implicit-def: $vgpr34
	s_cbranch_scc1 .LBB219_433
; %bb.416:                              ;   in Loop: Header=BB219_12 Depth=1
	s_add_u32 s55, s14, s82
	s_addc_u32 s17, s15, s83
	s_mov_b32 s16, s59
	s_cmp_lg_u64 s[16:17], 0
	s_cbranch_scc0 .LBB219_420
; %bb.417:                              ;   in Loop: Header=BB219_12 Depth=1
	v_cvt_f32_u32_e32 v6, s49
	s_sub_u32 s19, 0, s49
	s_subb_u32 s56, 0, 0
	v_fmac_f32_e64 v6, 0x4f800000, 0
	v_rcp_f32_e32 v6, v6
	v_mul_f32_e32 v6, 0x5f7ffffc, v6
	v_mul_f32_e32 v7, 0x2f800000, v6
	v_trunc_f32_e32 v7, v7
	v_fmac_f32_e32 v6, 0xcf800000, v7
	v_cvt_u32_f32_e32 v7, v7
	v_cvt_u32_f32_e32 v6, v6
	v_readfirstlane_b32 s16, v7
	v_readfirstlane_b32 s18, v6
	s_mul_i32 s57, s19, s16
	s_mul_hi_u32 s70, s19, s18
	s_mul_i32 s58, s56, s18
	s_add_i32 s57, s70, s57
	s_mul_i32 s71, s19, s18
	s_add_i32 s57, s57, s58
	s_mul_hi_u32 s70, s18, s71
	s_mul_i32 s73, s18, s57
	s_mul_hi_u32 s72, s16, s71
	s_mul_i32 s58, s16, s71
	s_mul_hi_u32 s71, s18, s57
	s_add_u32 s70, s70, s73
	s_addc_u32 s71, 0, s71
	s_mul_hi_u32 s74, s16, s57
	s_add_u32 s58, s70, s58
	s_mul_i32 s57, s16, s57
	s_addc_u32 s58, s71, s72
	s_addc_u32 s70, s74, 0
	s_add_u32 s57, s58, s57
	s_addc_u32 s58, 0, s70
	s_add_u32 s18, s18, s57
	s_cselect_b32 s57, -1, 0
	s_mul_hi_u32 s70, s19, s18
	s_cmp_lg_u32 s57, 0
	s_mul_i32 s57, s19, s18
	s_addc_u32 s16, s16, s58
	s_mul_i32 s56, s56, s18
	s_mul_i32 s19, s19, s16
	s_mul_hi_u32 s58, s18, s57
	s_add_i32 s19, s70, s19
	s_mul_hi_u32 s70, s16, s57
	s_add_i32 s19, s19, s56
	s_mul_i32 s56, s16, s57
	s_mul_i32 s72, s18, s19
	s_mul_hi_u32 s71, s18, s19
	s_add_u32 s58, s58, s72
	s_addc_u32 s71, 0, s71
	s_mul_hi_u32 s57, s16, s19
	s_add_u32 s56, s58, s56
	s_mul_i32 s19, s16, s19
	s_addc_u32 s56, s71, s70
	s_addc_u32 s57, s57, 0
	s_add_u32 s19, s56, s19
	s_addc_u32 s56, 0, s57
	s_add_u32 s18, s18, s19
	s_cselect_b32 s19, -1, 0
	s_mul_hi_u32 s57, s55, s18
	s_cmp_lg_u32 s19, 0
	s_mul_hi_u32 s19, s17, s18
	s_addc_u32 s16, s16, s56
	s_mul_i32 s18, s17, s18
	s_mul_i32 s58, s55, s16
	s_mul_hi_u32 s56, s55, s16
	s_add_u32 s57, s57, s58
	s_addc_u32 s56, 0, s56
	s_mul_hi_u32 s70, s17, s16
	s_add_u32 s18, s57, s18
	s_mul_i32 s16, s17, s16
	s_addc_u32 s18, s56, s19
	s_addc_u32 s19, s70, 0
	s_add_u32 s16, s18, s16
	s_addc_u32 s18, 0, s19
	s_mul_hi_u32 s19, s49, s16
	s_mul_i32 s18, s49, s18
	s_mul_i32 s16, s49, s16
	s_add_i32 s19, s19, s18
	s_sub_u32 s16, s55, s16
	s_cselect_b32 s18, -1, 0
	s_cmp_lg_u32 s18, 0
	s_subb_u32 s18, s17, s19
	s_sub_u32 s19, s16, s49
	s_cselect_b32 s56, -1, 0
	s_cmp_lg_u32 s56, 0
	s_subb_u32 s56, s18, 0
	;; [unrolled: 4-line block ×3, first 2 shown]
	s_cmp_ge_u32 s19, s49
	s_cselect_b32 s70, -1, 0
	s_cmp_eq_u32 s56, 0
	s_cselect_b32 s70, s70, -1
	s_cmp_lg_u32 s70, 0
	s_cselect_b32 s56, s58, s56
	s_cselect_b32 s57, s57, s19
	s_cmp_ge_u32 s16, s49
	s_cselect_b32 s19, -1, 0
	s_cmp_eq_u32 s18, 0
	s_cselect_b32 s19, s19, -1
	s_cmp_lg_u32 s19, 0
	s_cselect_b32 s19, s56, s18
	s_cselect_b32 s18, s57, s16
	s_mov_b32 s16, 0
	s_branch .LBB219_421
.LBB219_418:                            ;   in Loop: Header=BB219_12 Depth=1
                                        ; implicit-def: $sgpr20_sgpr21
	s_branch .LBB219_373
.LBB219_419:                            ;   in Loop: Header=BB219_12 Depth=1
                                        ; implicit-def: $sgpr16_sgpr17
	s_branch .LBB219_389
.LBB219_420:                            ;   in Loop: Header=BB219_12 Depth=1
	s_mov_b32 s16, -1
                                        ; implicit-def: $sgpr18_sgpr19
.LBB219_421:                            ;   in Loop: Header=BB219_12 Depth=1
	s_andn2_b32 vcc_lo, exec_lo, s16
	s_cbranch_vccnz .LBB219_423
; %bb.422:                              ;   in Loop: Header=BB219_12 Depth=1
	v_cvt_f32_u32_e32 v6, s49
	s_sub_i32 s18, 0, s49
	v_rcp_iflag_f32_e32 v6, v6
	v_mul_f32_e32 v6, 0x4f7ffffe, v6
	v_cvt_u32_f32_e32 v6, v6
	v_readfirstlane_b32 s16, v6
	s_mul_i32 s18, s18, s16
	s_mul_hi_u32 s18, s16, s18
	s_add_i32 s16, s16, s18
	s_mul_hi_u32 s16, s55, s16
	s_mul_i32 s16, s16, s49
	s_sub_i32 s16, s55, s16
	s_sub_i32 s18, s16, s49
	s_cmp_ge_u32 s16, s49
	s_cselect_b32 s16, s18, s16
	s_sub_i32 s18, s16, s49
	s_cmp_ge_u32 s16, s49
	s_cselect_b32 s58, s18, s16
	s_mov_b64 s[18:19], s[58:59]
.LBB219_423:                            ;   in Loop: Header=BB219_12 Depth=1
	s_sub_u32 s16, s55, s18
	s_subb_u32 s17, s17, s19
	s_mov_b32 s19, 0
	s_mov_b32 s18, 0
	s_mov_b32 s55, exec_lo
                                        ; implicit-def: $vgpr34
	v_cmpx_gt_u64_e64 s[16:17], v[0:1]
	s_cbranch_execz .LBB219_432
; %bb.424:                              ;   in Loop: Header=BB219_12 Depth=1
	v_mov_b32_e32 v7, v1
	v_mov_b32_e32 v8, v25
	;; [unrolled: 1-line block ×3, first 2 shown]
                                        ; implicit-def: $sgpr58
	s_branch .LBB219_427
.LBB219_425:                            ;   in Loop: Header=BB219_427 Depth=2
	s_or_b32 exec_lo, exec_lo, s56
	s_waitcnt lgkmcnt(0)
	s_barrier
	buffer_gl0_inv
	ds_read_b32 v9, v3 offset:3072
	s_mov_b32 s56, -1
	s_mov_b32 s57, -1
	s_waitcnt lgkmcnt(0)
	s_barrier
	buffer_gl0_inv
	v_and_b32_e32 v10, 0x7fff, v9
	v_cmp_ne_u32_e32 vcc_lo, 0, v10
	s_cbranch_vccz .LBB219_430
.LBB219_426:                            ;   in Loop: Header=BB219_427 Depth=2
	s_and_b32 s44, exec_lo, s56
	s_or_b32 s18, s44, s18
	s_andn2_b32 s44, s58, exec_lo
	s_and_b32 s45, s57, exec_lo
	s_or_b32 s58, s44, s45
	s_andn2_b32 exec_lo, exec_lo, s18
	s_cbranch_execz .LBB219_431
.LBB219_427:                            ;   Parent Loop BB219_12 Depth=1
                                        ; =>  This Inner Loop Header: Depth=2
	s_mov_b32 s56, exec_lo
	v_cmpx_gt_u64_e64 s[14:15], v[6:7]
	s_cbranch_execz .LBB219_425
; %bb.428:                              ;   in Loop: Header=BB219_427 Depth=2
	ds_read_u16 v9, v8
	s_waitcnt lgkmcnt(0)
	v_cmp_lt_i16_e32 vcc_lo, -1, v9
	v_lshlrev_b32_e32 v11, 16, v9
	v_cndmask_b32_e32 v10, 0xffff, v31, vcc_lo
	v_cmp_o_f32_e32 vcc_lo, v11, v11
	v_xor_b32_sdwa v10, v10, v9 dst_sel:DWORD dst_unused:UNUSED_PAD src0_sel:DWORD src1_sel:WORD_0
	v_cndmask_b32_e32 v10, 0xffff, v10, vcc_lo
	v_and_b32_e32 v10, v10, v33
	v_cmp_eq_u32_e32 vcc_lo, v10, v28
	s_and_b32 exec_lo, exec_lo, vcc_lo
	s_cbranch_execz .LBB219_425
; %bb.429:                              ;   in Loop: Header=BB219_427 Depth=2
	v_perm_b32 v9, v9, s93, 0x5040100
	ds_write_b32 v3, v9 offset:3072
	s_branch .LBB219_425
.LBB219_430:                            ;   in Loop: Header=BB219_427 Depth=2
	v_add_co_u32 v6, vcc_lo, v6, s49
	v_add_co_ci_u32_e64 v7, null, 0, v7, vcc_lo
	v_add_nc_u32_e32 v8, s90, v8
	s_mov_b32 s57, 0
	v_cmp_le_u64_e32 vcc_lo, s[16:17], v[6:7]
	s_orn2_b32 s56, vcc_lo, exec_lo
	s_branch .LBB219_426
.LBB219_431:                            ;   in Loop: Header=BB219_12 Depth=1
	s_or_b32 exec_lo, exec_lo, s18
	v_lshrrev_b32_e32 v34, 16, v9
	s_and_b32 s18, s58, exec_lo
.LBB219_432:                            ;   in Loop: Header=BB219_12 Depth=1
	s_or_b32 exec_lo, exec_lo, s55
.LBB219_433:                            ;   in Loop: Header=BB219_12 Depth=1
	s_and_b32 vcc_lo, exec_lo, s19
	s_cbranch_vccz .LBB219_449
; %bb.434:                              ;   in Loop: Header=BB219_12 Depth=1
	s_mov_b32 s60, s59
	s_cmp_lg_u64 s[60:61], 0
	s_cbranch_scc0 .LBB219_436
; %bb.435:                              ;   in Loop: Header=BB219_12 Depth=1
	v_cvt_f32_u32_e32 v6, s49
	s_sub_u32 s16, 0, s49
	s_subb_u32 s17, 0, 0
	v_fmac_f32_e64 v6, 0x4f800000, 0
	v_rcp_f32_e32 v6, v6
	v_mul_f32_e32 v6, 0x5f7ffffc, v6
	v_mul_f32_e32 v7, 0x2f800000, v6
	v_trunc_f32_e32 v7, v7
	v_fmac_f32_e32 v6, 0xcf800000, v7
	v_cvt_u32_f32_e32 v7, v7
	v_cvt_u32_f32_e32 v6, v6
	v_readfirstlane_b32 s14, v7
	v_readfirstlane_b32 s15, v6
	s_mul_i32 s19, s16, s14
	s_mul_hi_u32 s55, s16, s15
	s_mul_i32 s54, s17, s15
	s_add_i32 s19, s55, s19
	s_mul_i32 s56, s16, s15
	s_add_i32 s19, s19, s54
	s_mul_hi_u32 s55, s15, s56
	s_mul_i32 s58, s15, s19
	s_mul_hi_u32 s57, s14, s56
	s_mul_i32 s54, s14, s56
	s_mul_hi_u32 s56, s15, s19
	s_add_u32 s55, s55, s58
	s_addc_u32 s56, 0, s56
	s_mul_hi_u32 s60, s14, s19
	s_add_u32 s54, s55, s54
	s_mul_i32 s19, s14, s19
	s_addc_u32 s54, s56, s57
	s_addc_u32 s55, s60, 0
	s_add_u32 s19, s54, s19
	s_addc_u32 s54, 0, s55
	s_add_u32 s15, s15, s19
	s_cselect_b32 s19, -1, 0
	s_mul_hi_u32 s55, s16, s15
	s_cmp_lg_u32 s19, 0
	s_mul_i32 s19, s16, s15
	s_addc_u32 s14, s14, s54
	s_mul_i32 s17, s17, s15
	s_mul_i32 s16, s16, s14
	s_mul_hi_u32 s54, s15, s19
	s_add_i32 s16, s55, s16
	s_mul_hi_u32 s55, s14, s19
	s_add_i32 s16, s16, s17
	s_mul_i32 s17, s14, s19
	s_mul_i32 s57, s15, s16
	s_mul_hi_u32 s56, s15, s16
	s_add_u32 s54, s54, s57
	s_addc_u32 s56, 0, s56
	s_mul_hi_u32 s19, s14, s16
	s_add_u32 s17, s54, s17
	s_mul_i32 s16, s14, s16
	s_addc_u32 s17, s56, s55
	s_addc_u32 s19, s19, 0
	s_add_u32 s16, s17, s16
	s_addc_u32 s17, 0, s19
	s_add_u32 s15, s15, s16
	s_cselect_b32 s16, -1, 0
	s_mul_hi_u32 s19, s84, s15
	s_cmp_lg_u32 s16, 0
	s_mul_hi_u32 s16, s61, s15
	s_addc_u32 s14, s14, s17
	s_mul_i32 s15, s61, s15
	s_mul_i32 s54, s84, s14
	s_mul_hi_u32 s17, s84, s14
	s_add_u32 s19, s19, s54
	s_addc_u32 s17, 0, s17
	s_mul_hi_u32 s55, s61, s14
	s_add_u32 s15, s19, s15
	s_mul_i32 s14, s61, s14
	s_addc_u32 s15, s17, s16
	s_addc_u32 s16, s55, 0
	s_add_u32 s14, s15, s14
	s_addc_u32 s15, 0, s16
	s_mul_hi_u32 s16, s49, s14
	s_mul_i32 s15, s49, s15
	s_mul_i32 s14, s49, s14
	s_add_i32 s16, s16, s15
	s_sub_u32 s14, s84, s14
	s_cselect_b32 s15, -1, 0
	s_cmp_lg_u32 s15, 0
	s_subb_u32 s15, s61, s16
	s_sub_u32 s16, s14, s49
	s_cselect_b32 s17, -1, 0
	s_cmp_lg_u32 s17, 0
	s_subb_u32 s17, s15, 0
	;; [unrolled: 4-line block ×3, first 2 shown]
	s_cmp_ge_u32 s16, s49
	s_cselect_b32 s55, -1, 0
	s_cmp_eq_u32 s17, 0
	s_cselect_b32 s55, s55, -1
	s_cmp_lg_u32 s55, 0
	s_cselect_b32 s17, s54, s17
	s_cselect_b32 s16, s19, s16
	s_cmp_ge_u32 s14, s49
	s_cselect_b32 s19, -1, 0
	s_cmp_eq_u32 s15, 0
	s_cselect_b32 s19, s19, -1
	s_cmp_lg_u32 s19, 0
	s_cselect_b32 s15, s17, s15
	s_cselect_b32 s14, s16, s14
	s_mov_b32 s16, 0
	s_branch .LBB219_437
.LBB219_436:                            ;   in Loop: Header=BB219_12 Depth=1
	s_mov_b32 s16, -1
                                        ; implicit-def: $sgpr14_sgpr15
.LBB219_437:                            ;   in Loop: Header=BB219_12 Depth=1
	s_andn2_b32 vcc_lo, exec_lo, s16
	s_cbranch_vccnz .LBB219_439
; %bb.438:                              ;   in Loop: Header=BB219_12 Depth=1
	v_cvt_f32_u32_e32 v6, s49
	s_sub_i32 s15, 0, s49
	v_rcp_iflag_f32_e32 v6, v6
	v_mul_f32_e32 v6, 0x4f7ffffe, v6
	v_cvt_u32_f32_e32 v6, v6
	v_readfirstlane_b32 s14, v6
	s_mul_i32 s15, s15, s14
	s_mul_hi_u32 s15, s14, s15
	s_add_i32 s14, s14, s15
	s_mul_hi_u32 s14, s84, s14
	s_mul_i32 s14, s14, s49
	s_sub_i32 s14, s84, s14
	s_sub_i32 s15, s14, s49
	s_cmp_ge_u32 s14, s49
	s_cselect_b32 s14, s15, s14
	s_sub_i32 s15, s14, s49
	s_cmp_ge_u32 s14, s49
	s_cselect_b32 s58, s15, s14
	s_mov_b64 s[14:15], s[58:59]
.LBB219_439:                            ;   in Loop: Header=BB219_12 Depth=1
	s_sub_u32 s14, s84, s14
	s_subb_u32 s15, s61, s15
	s_mov_b32 s16, exec_lo
                                        ; implicit-def: $vgpr34
	v_cmpx_gt_u64_e64 s[14:15], v[0:1]
	s_cbranch_execz .LBB219_448
; %bb.440:                              ;   in Loop: Header=BB219_12 Depth=1
	v_mov_b32_e32 v7, v1
	v_mov_b32_e32 v6, v0
	s_mov_b32 s17, 0
                                        ; implicit-def: $sgpr19
	s_branch .LBB219_443
.LBB219_441:                            ;   in Loop: Header=BB219_443 Depth=2
	s_or_b32 exec_lo, exec_lo, s54
	s_waitcnt lgkmcnt(0)
	s_barrier
	buffer_gl0_inv
	ds_read_b32 v8, v3 offset:3072
	s_mov_b32 s55, -1
	s_mov_b32 s54, -1
	s_waitcnt lgkmcnt(0)
	s_barrier
	buffer_gl0_inv
	v_and_b32_e32 v9, 0x7fff, v8
	v_cmp_eq_u32_e32 vcc_lo, 0, v9
	s_cbranch_vccnz .LBB219_446
.LBB219_442:                            ;   in Loop: Header=BB219_443 Depth=2
	s_and_b32 s44, exec_lo, s55
	s_or_b32 s17, s44, s17
	s_andn2_b32 s19, s19, exec_lo
	s_and_b32 s44, s54, exec_lo
	s_or_b32 s19, s19, s44
	s_andn2_b32 exec_lo, exec_lo, s17
	s_cbranch_execz .LBB219_447
.LBB219_443:                            ;   Parent Loop BB219_12 Depth=1
                                        ; =>  This Inner Loop Header: Depth=2
	s_mov_b32 s54, exec_lo
	v_cmpx_gt_u64_e64 s[36:37], v[6:7]
	s_cbranch_execz .LBB219_441
; %bb.444:                              ;   in Loop: Header=BB219_443 Depth=2
	v_mul_lo_u32 v10, v7, s30
	v_mul_lo_u32 v11, v6, s31
	v_mad_u64_u32 v[8:9], null, v6, s30, 0
	v_add3_u32 v9, v9, v11, v10
	v_lshlrev_b64 v[8:9], 1, v[8:9]
	v_add_co_u32 v8, vcc_lo, s33, v8
	v_add_co_ci_u32_e64 v9, null, s35, v9, vcc_lo
	global_load_ushort v8, v[8:9], off
	s_waitcnt vmcnt(0)
	v_cmp_lt_i16_e32 vcc_lo, -1, v8
	v_lshlrev_b32_e32 v10, 16, v8
	v_cndmask_b32_e32 v9, 0xffff, v31, vcc_lo
	v_cmp_o_f32_e32 vcc_lo, v10, v10
	v_xor_b32_sdwa v9, v9, v8 dst_sel:DWORD dst_unused:UNUSED_PAD src0_sel:DWORD src1_sel:WORD_0
	v_cndmask_b32_e32 v9, 0xffff, v9, vcc_lo
	v_and_b32_e32 v9, v9, v33
	v_cmp_eq_u32_e32 vcc_lo, v9, v28
	s_and_b32 exec_lo, exec_lo, vcc_lo
	s_cbranch_execz .LBB219_441
; %bb.445:                              ;   in Loop: Header=BB219_443 Depth=2
	v_perm_b32 v8, v8, s93, 0x5040100
	ds_write_b32 v3, v8 offset:3072
	s_branch .LBB219_441
.LBB219_446:                            ;   in Loop: Header=BB219_443 Depth=2
	v_add_co_u32 v6, vcc_lo, v6, s49
	v_add_co_ci_u32_e64 v7, null, 0, v7, vcc_lo
	s_mov_b32 s54, 0
	v_cmp_le_u64_e32 vcc_lo, s[14:15], v[6:7]
	s_orn2_b32 s55, vcc_lo, exec_lo
	s_branch .LBB219_442
.LBB219_447:                            ;   in Loop: Header=BB219_12 Depth=1
	s_or_b32 exec_lo, exec_lo, s17
	v_lshrrev_b32_e32 v34, 16, v8
	s_andn2_b32 s14, s18, exec_lo
	s_and_b32 s15, s19, exec_lo
	s_or_b32 s18, s14, s15
.LBB219_448:                            ;   in Loop: Header=BB219_12 Depth=1
	s_or_b32 exec_lo, exec_lo, s16
	s_mov_b32 s60, 0
	s_mov_b32 s54, -1
.LBB219_449:                            ;   in Loop: Header=BB219_12 Depth=1
	s_orn2_b32 s15, s18, exec_lo
.LBB219_450:                            ;   in Loop: Header=BB219_12 Depth=1
	s_or_b32 exec_lo, exec_lo, s69
	s_mov_b32 s16, 0
	s_and_saveexec_b32 s14, s15
	s_cbranch_execz .LBB219_461
; %bb.451:                              ;   in Loop: Header=BB219_12 Depth=1
	v_mov_b32_e32 v6, 1
	v_mov_b32_e32 v7, 0
	;; [unrolled: 1-line block ×3, first 2 shown]
	s_xor_b32 s16, s68, -1
	s_and_saveexec_b32 s15, s16
	s_cbranch_execz .LBB219_460
; %bb.452:                              ;   in Loop: Header=BB219_12 Depth=1
	s_mov_b32 s16, exec_lo
	v_cmpx_ge_u64_e64 s[12:13], v[4:5]
	s_xor_b32 s16, exec_lo, s16
	s_cbranch_execz .LBB219_457
; %bb.453:                              ;   in Loop: Header=BB219_12 Depth=1
	ds_read_b64 v[6:7], v3 offset:5120
	v_and_b32_e32 v28, s26, v28
	v_or_b32_e32 v33, s11, v33
	s_waitcnt lgkmcnt(0)
	v_cmp_ne_u64_e32 vcc_lo, 0, v[6:7]
	s_cbranch_vccnz .LBB219_457
; %bb.454:                              ;   in Loop: Header=BB219_12 Depth=1
	s_and_saveexec_b32 s11, s3
; %bb.455:                              ;   in Loop: Header=BB219_12 Depth=1
	v_mov_b32_e32 v6, s12
	v_mov_b32_e32 v7, s13
	ds_write_b64 v3, v[6:7] offset:5128
; %bb.456:                              ;   in Loop: Header=BB219_12 Depth=1
	s_or_b32 exec_lo, exec_lo, s11
	s_waitcnt lgkmcnt(0)
	s_barrier
	buffer_gl0_inv
.LBB219_457:                            ;   in Loop: Header=BB219_12 Depth=1
	s_andn2_saveexec_b32 s11, s16
; %bb.458:                              ;   in Loop: Header=BB219_12 Depth=1
	v_sub_co_u32 v4, vcc_lo, v4, s12
	v_subrev_co_ci_u32_e64 v5, null, s13, v5, vcc_lo
; %bb.459:                              ;   in Loop: Header=BB219_12 Depth=1
	s_or_b32 exec_lo, exec_lo, s11
	v_mov_b32_e32 v7, v5
	v_mov_b32_e32 v2, 5
	;; [unrolled: 1-line block ×3, first 2 shown]
.LBB219_460:                            ;   in Loop: Header=BB219_12 Depth=1
	s_or_b32 exec_lo, exec_lo, s15
	v_mov_b32_e32 v4, v6
	v_mov_b32_e32 v5, v7
	s_mov_b32 s16, exec_lo
.LBB219_461:                            ;   in Loop: Header=BB219_12 Depth=1
	s_or_b32 exec_lo, exec_lo, s14
	s_orn2_b32 s14, s16, exec_lo
.LBB219_462:                            ;   in Loop: Header=BB219_12 Depth=1
	s_or_b32 exec_lo, exec_lo, s21
	v_mov_b32_e32 v7, v5
	v_mov_b32_e32 v6, v4
	s_andn2_b32 s11, s67, exec_lo
	s_and_b32 s12, s54, exec_lo
	s_andn2_b32 s13, s66, exec_lo
	s_and_b32 s15, s60, exec_lo
	s_or_b32 s67, s11, s12
	s_or_b32 s66, s13, s15
	s_and_b32 s17, s14, exec_lo
.LBB219_463:                            ;   in Loop: Header=BB219_12 Depth=1
	s_or_b32 exec_lo, exec_lo, s20
	s_orn2_b32 s16, s17, exec_lo
.LBB219_464:                            ;   in Loop: Header=BB219_12 Depth=1
	s_or_b32 exec_lo, exec_lo, s23
	v_mov_b32_e32 v4, v6
	v_mov_b32_e32 v5, v7
	s_andn2_b32 s11, s65, exec_lo
	s_and_b32 s12, s67, exec_lo
	s_andn2_b32 s13, s25, exec_lo
	s_and_b32 s14, s66, exec_lo
	s_or_b32 s65, s11, s12
	s_or_b32 s25, s13, s14
	s_and_b32 s19, s16, exec_lo
.LBB219_465:                            ;   in Loop: Header=BB219_12 Depth=1
	s_or_b32 exec_lo, exec_lo, s22
	s_orn2_b32 s18, s19, exec_lo
.LBB219_466:                            ;   in Loop: Header=BB219_12 Depth=1
	s_or_b32 exec_lo, exec_lo, s6
	s_mov_b32 s6, s64
	s_mov_b32 s11, s43
	s_and_saveexec_b32 s12, s18
; %bb.467:                              ;   in Loop: Header=BB219_12 Depth=1
	v_cmp_ne_u32_e32 vcc_lo, 5, v2
	v_cmp_eq_u32_e64 s6, 5, v2
	s_andn2_b32 s11, s43, exec_lo
	s_andn2_b32 s13, s64, exec_lo
	s_and_b32 s14, vcc_lo, exec_lo
	s_and_b32 s6, s6, exec_lo
	s_or_b32 s11, s11, s14
	s_or_b32 s6, s13, s6
; %bb.468:                              ;   in Loop: Header=BB219_12 Depth=1
	s_or_b32 exec_lo, exec_lo, s12
	s_andn2_b32 s9, s9, exec_lo
	s_and_b32 s12, s65, exec_lo
	s_andn2_b32 s13, s27, exec_lo
	s_and_b32 s14, s25, exec_lo
	s_or_b32 s9, s9, s12
	s_or_b32 s27, s13, s14
	s_andn2_b32 s12, s43, exec_lo
	s_and_b32 s11, s11, exec_lo
	s_andn2_b32 s13, s64, exec_lo
	s_and_b32 s6, s6, exec_lo
	s_or_b32 s43, s12, s11
	s_or_b32 s64, s13, s6
.LBB219_469:                            ;   in Loop: Header=BB219_12 Depth=1
	s_or_b32 exec_lo, exec_lo, s24
	s_mov_b32 s65, 0
	s_mov_b32 s66, 0
	s_and_saveexec_b32 s6, s64
.LBB219_470:                            ;   in Loop: Header=BB219_12 Depth=1
	v_mov_b32_e32 v2, 0
	s_or_b32 s43, s43, exec_lo
.LBB219_471:                            ;   in Loop: Header=BB219_12 Depth=1
	s_or_b32 exec_lo, exec_lo, s6
	s_andn2_b32 s6, s40, exec_lo
	s_and_b32 s9, s9, exec_lo
	s_andn2_b32 s12, s104, exec_lo
	s_and_b32 s13, s27, exec_lo
	v_mov_b32_e32 v20, v5
	v_mov_b32_e32 v19, v4
	s_or_b32 s40, s6, s9
	s_or_b32 s104, s12, s13
	s_andn2_b32 s6, s42, exec_lo
	s_and_b32 s9, s66, exec_lo
	s_andn2_b32 s12, s41, exec_lo
	s_and_b32 s13, s65, exec_lo
	s_mov_b32 s11, -1
	s_andn2_b32 vcc_hi, vcc_hi, exec_lo
	s_or_b32 s42, s6, s9
	s_or_b32 s41, s12, s13
	s_and_saveexec_b32 s6, s43
	s_xor_b32 s6, exec_lo, s6
	s_cbranch_execz .LBB219_11
; %bb.472:                              ;   in Loop: Header=BB219_12 Depth=1
	s_mov_b32 s9, -1
	s_mov_b32 s12, exec_lo
	v_cmpx_eq_u32_e32 0, v2
	s_cbranch_execz .LBB219_10
; %bb.473:                              ;   in Loop: Header=BB219_12 Depth=1
	s_xor_b32 s95, s95, 1
	s_add_i32 s13, s91, -2
	s_cmp_eq_u32 s91, 0
	s_mov_b32 s91, s13
	s_cselect_b32 s9, -1, 0
	s_xor_b32 s11, exec_lo, -1
	s_orn2_b32 s9, s9, exec_lo
	s_branch .LBB219_10
.LBB219_474:
	s_or_b32 exec_lo, exec_lo, s92
	s_xor_b32 s7, s99, -1
	s_xor_b32 s9, s97, -1
	;; [unrolled: 1-line block ×5, first 2 shown]
	s_mov_b32 s8, 0
	s_and_saveexec_b32 s12, s11
	s_xor_b32 s12, exec_lo, s12
	s_cbranch_execnz .LBB219_479
; %bb.475:
	s_andn2_saveexec_b32 s0, s12
	s_cbranch_execnz .LBB219_498
.LBB219_476:
	s_or_b32 exec_lo, exec_lo, s0
	s_and_saveexec_b32 s0, s8
.LBB219_477:
	; divergent unreachable
.LBB219_478:
	s_endpgm
.LBB219_479:
	s_and_saveexec_b32 s11, s10
	s_xor_b32 s13, exec_lo, s11
	s_cbranch_execz .LBB219_496
; %bb.480:
	s_and_saveexec_b32 s10, s9
	s_xor_b32 s14, exec_lo, s10
	s_cbranch_execz .LBB219_494
; %bb.481:
	;; [unrolled: 4-line block ×3, first 2 shown]
	s_and_saveexec_b32 s7, s6
	s_xor_b32 s6, exec_lo, s7
; %bb.483:
	v_and_b32_e32 v2, 0x8000, v28
	v_mov_b32_e32 v3, 0xffff
	v_cmp_eq_u32_e32 vcc_lo, 0, v2
	v_cndmask_b32_e32 v2, 0x8000, v3, vcc_lo
	v_xor_b32_e32 v34, v2, v28
; %bb.484:
	s_or_b32 exec_lo, exec_lo, s6
	s_and_saveexec_b32 s6, s3
; %bb.485:
	v_mov_b32_e32 v2, 0
	v_mov_b32_e32 v3, v2
	ds_write_b64 v2, v[2:3] offset:5136
; %bb.486:
	s_or_b32 exec_lo, exec_lo, s6
	v_mov_b32_e32 v16, 0
	s_waitcnt lgkmcnt(0)
	s_barrier
	buffer_gl0_inv
	s_and_saveexec_b32 s3, s2
	s_cbranch_execz .LBB219_488
; %bb.487:
	global_load_ushort v16, v[12:13], off
.LBB219_488:
	s_or_b32 exec_lo, exec_lo, s3
	s_clause 0x1
	s_load_dwordx4 s[24:27], s[4:5], 0x298
	s_load_dwordx4 s[40:43], s[4:5], 0x440
	s_add_u32 s3, s36, 31
	s_mul_i32 s8, s48, s51
	s_mul_hi_u32 s9, s48, s50
	s_mul_i32 s10, s48, s50
	s_addc_u32 s7, s37, 0
	s_and_b32 s6, s3, 0xffffffe0
	s_add_i32 s9, s9, s8
	s_sub_u32 s3, s34, s10
	s_subb_u32 s9, 0, s9
	v_mov_b32_e32 v15, 0x8000
	v_cmp_lt_i16_e32 vcc_lo, -1, v34
	v_lshlrev_b32_e32 v2, 16, v34
	s_mov_b32 s21, -1
	v_cndmask_b32_e32 v3, 0xffff, v15, vcc_lo
	v_cmp_o_f32_e32 vcc_lo, v2, v2
	s_waitcnt lgkmcnt(0)
	s_mul_i32 s8, s3, s27
	s_mul_hi_u32 s10, s3, s26
	s_mul_i32 s9, s9, s26
	s_add_i32 s8, s10, s8
	s_mul_i32 s10, s48, s25
	s_mul_hi_u32 s11, s48, s24
	s_add_i32 s17, s8, s9
	s_mul_i32 s8, s52, s29
	s_mul_hi_u32 s9, s52, s28
	s_add_i32 s19, s11, s10
	s_mul_i32 s10, s52, s28
	s_add_i32 s9, s9, s8
	s_sub_u32 s20, s34, s10
	s_mul_i32 s16, s3, s26
	s_mul_i32 s3, s20, s43
	s_mul_hi_u32 s8, s20, s42
	s_subb_u32 s9, 0, s9
	s_add_i32 s3, s8, s3
	s_mul_i32 s9, s9, s42
	s_mul_i32 s18, s48, s24
	s_add_i32 s23, s3, s9
	s_clause 0x1
	s_load_dwordx2 s[8:9], s[4:5], 0x368
	s_load_dwordx2 s[10:11], s[4:5], 0x510
	v_readlane_b32 s24, v43, 2
	v_readlane_b32 s25, v43, 3
	s_mul_i32 s3, s52, s41
	s_mul_hi_u32 s22, s52, s40
	s_lshl_b64 s[4:5], s[18:19], 1
	s_add_i32 s19, s22, s3
	s_add_u32 s3, s24, s4
	v_xor_b32_sdwa v3, v3, v34 dst_sel:DWORD dst_unused:UNUSED_PAD src0_sel:DWORD src1_sel:WORD_0
	s_addc_u32 s4, s25, s5
	s_lshl_b64 s[16:17], s[16:17], 1
	v_readlane_b32 s24, v43, 0
	s_mul_i32 s18, s52, s40
	v_readlane_b32 s25, v43, 1
	s_add_u32 s5, s3, s16
	s_addc_u32 s16, s4, s17
	s_lshl_b64 s[18:19], s[18:19], 3
	s_mul_i32 s22, s20, s42
	v_cndmask_b32_e32 v14, 0xffff, v3, vcc_lo
	s_add_u32 s3, s24, s18
	v_cmp_gt_u64_e32 vcc_lo, s[6:7], v[0:1]
	s_addc_u32 s4, s25, s19
	s_lshl_b64 s[18:19], s[22:23], 3
	s_add_u32 s17, s3, s18
	s_addc_u32 s18, s4, s19
	s_mov_b32 s19, 0
	s_mov_b32 s3, 0
	s_and_saveexec_b32 s20, vcc_lo
	s_cbranch_execnz .LBB219_499
; %bb.489:
	s_or_b32 exec_lo, exec_lo, s20
	s_and_saveexec_b32 s4, s21
	s_cbranch_execnz .LBB219_516
.LBB219_490:
	s_or_b32 exec_lo, exec_lo, s4
	s_and_saveexec_b32 s0, s3
	s_xor_b32 s0, exec_lo, s0
	s_cbranch_execnz .LBB219_541
.LBB219_491:
	s_or_b32 exec_lo, exec_lo, s0
	s_waitcnt lgkmcnt(0)
	s_and_b32 s8, s19, exec_lo
.LBB219_492:
	s_andn2_saveexec_b32 s0, s15
	s_cbranch_execnz .LBB219_543
.LBB219_493:
	s_or_b32 exec_lo, exec_lo, s0
	s_and_b32 s8, s8, exec_lo
.LBB219_494:
	s_andn2_saveexec_b32 s0, s14
	s_cbranch_execnz .LBB219_542
.LBB219_495:
	s_or_b32 exec_lo, exec_lo, s0
	s_and_b32 s8, s8, exec_lo
.LBB219_496:
	s_andn2_saveexec_b32 s0, s13
	s_cbranch_execnz .LBB219_537
.LBB219_497:
	s_or_b32 exec_lo, exec_lo, s0
	s_and_b32 s8, s8, exec_lo
	s_andn2_saveexec_b32 s0, s12
	s_cbranch_execz .LBB219_476
.LBB219_498:
	s_or_b32 s8, s8, exec_lo
	s_trap 2
	s_or_b32 exec_lo, exec_lo, s0
	s_and_saveexec_b32 s0, s8
	s_cbranch_execnz .LBB219_477
	s_branch .LBB219_478
.LBB219_499:
	v_mov_b32_e32 v9, v1
	v_mov_b32_e32 v3, 0
	;; [unrolled: 1-line block ×3, first 2 shown]
	s_mov_b32 s21, 0
                                        ; implicit-def: $sgpr22
                                        ; implicit-def: $vgpr6_vgpr7
	s_branch .LBB219_501
.LBB219_500:                            ;   in Loop: Header=BB219_501 Depth=1
	s_or_b32 exec_lo, exec_lo, s24
	s_xor_b32 s3, s23, -1
	s_and_b32 s4, exec_lo, s4
	v_mov_b32_e32 v9, v5
	v_mov_b32_e32 v8, v4
	s_or_b32 s21, s4, s21
	s_waitcnt vmcnt(0)
	v_mov_b32_e32 v16, v17
	s_andn2_b32 s4, s22, exec_lo
	s_and_b32 s3, s3, exec_lo
	s_or_b32 s22, s4, s3
	s_andn2_b32 exec_lo, exec_lo, s21
	s_cbranch_execz .LBB219_515
.LBB219_501:                            ; =>This Inner Loop Header: Depth=1
	v_add_co_u32 v4, s3, v8, s49
	v_add_co_ci_u32_e64 v5, null, 0, v9, s3
	v_mov_b32_e32 v17, 0
	s_mov_b32 s4, exec_lo
	v_cmpx_gt_u64_e64 s[36:37], v[4:5]
	s_cbranch_execz .LBB219_503
; %bb.502:                              ;   in Loop: Header=BB219_501 Depth=1
	v_mul_lo_u32 v2, v5, s30
	v_mul_lo_u32 v17, v4, s31
	v_mad_u64_u32 v[10:11], null, v4, s30, 0
	v_add3_u32 v11, v11, v17, v2
	v_lshlrev_b64 v[10:11], 1, v[10:11]
	v_add_co_u32 v10, s3, s33, v10
	v_add_co_ci_u32_e64 v11, null, s35, v11, s3
	global_load_ushort v17, v[10:11], off
.LBB219_503:                            ;   in Loop: Header=BB219_501 Depth=1
	s_or_b32 exec_lo, exec_lo, s4
	s_mov_b32 s23, 0
	s_mov_b32 s4, exec_lo
	v_cmpx_gt_u64_e64 s[36:37], v[8:9]
	s_cbranch_execz .LBB219_505
; %bb.504:                              ;   in Loop: Header=BB219_501 Depth=1
	s_waitcnt vmcnt(0)
	v_cmp_lt_i16_e64 s3, -1, v16
	v_lshlrev_b32_e32 v10, 16, v16
	v_cndmask_b32_e64 v2, 0xffff, v15, s3
	v_cmp_o_f32_e64 s3, v10, v10
	v_xor_b32_sdwa v2, v2, v16 dst_sel:DWORD dst_unused:UNUSED_PAD src0_sel:DWORD src1_sel:WORD_0
	v_cndmask_b32_e64 v2, 0xffff, v2, s3
	v_cmp_gt_u32_e64 s3, v2, v14
	v_cndmask_b32_e64 v10, 0, 1, s3
	v_cmp_lt_u32_e64 s3, v2, v14
	v_cndmask_b32_e64 v2, 0, 1, s3
	v_cndmask_b32_e64 v2, v2, v10, s1
	v_and_b32_e32 v2, 1, v2
	v_cmp_eq_u32_e64 s3, 1, v2
	s_and_b32 s23, s3, exec_lo
.LBB219_505:                            ;   in Loop: Header=BB219_501 Depth=1
	s_or_b32 exec_lo, exec_lo, s4
	v_cndmask_b32_e64 v2, 0, 1, s23
	v_cmp_ne_u32_e64 s3, 0, v2
	s_cmp_lg_u32 s3, 0
	s_cselect_b32 s4, -1, 0
	s_and_b32 s4, s0, s4
	s_and_saveexec_b32 s24, s4
	s_cbranch_execz .LBB219_509
; %bb.506:                              ;   in Loop: Header=BB219_501 Depth=1
	s_mov_b32 s27, exec_lo
	s_bcnt1_i32_b32 s25, s3
	v_mbcnt_lo_u32_b32 v10, s27, 0
	s_mov_b32 s26, exec_lo
                                        ; implicit-def: $vgpr6_vgpr7
	v_cmpx_eq_u32_e32 0, v10
	s_cbranch_execz .LBB219_508
; %bb.507:                              ;   in Loop: Header=BB219_501 Depth=1
	s_bcnt1_i32_b32 s4, s27
	s_mul_i32 s4, s25, s4
	v_mov_b32_e32 v2, s4
	s_waitcnt lgkmcnt(0)
	ds_add_rtn_u64 v[6:7], v3, v[2:3] offset:5136
.LBB219_508:                            ;   in Loop: Header=BB219_501 Depth=1
	s_or_b32 exec_lo, exec_lo, s26
	s_waitcnt lgkmcnt(0)
	v_readfirstlane_b32 s27, v7
	v_readfirstlane_b32 s26, v6
	v_mad_u64_u32 v[6:7], null, s25, v10, s[26:27]
.LBB219_509:                            ;   in Loop: Header=BB219_501 Depth=1
	s_or_b32 exec_lo, exec_lo, s24
	s_waitcnt lgkmcnt(0)
	ds_bpermute_b32 v6, v3, v6
	ds_bpermute_b32 v7, v3, v7
	s_mov_b32 s4, -1
	s_mov_b32 s25, -1
	s_and_saveexec_b32 s24, s23
	s_cbranch_execz .LBB219_513
; %bb.510:                              ;   in Loop: Header=BB219_501 Depth=1
	v_and_b32_e32 v2, s3, v23
	s_mov_b32 s23, 0
	s_mov_b32 s25, exec_lo
	v_bcnt_u32_b32 v2, v2, 0
	s_waitcnt lgkmcnt(0)
	v_add_co_u32 v10, s3, v6, v2
	v_add_co_ci_u32_e64 v11, null, 0, v7, s3
	v_cmpx_gt_u64_e64 s[38:39], v[10:11]
	s_cbranch_execz .LBB219_512
; %bb.511:                              ;   in Loop: Header=BB219_501 Depth=1
	v_mul_lo_u32 v2, v11, s8
	v_mul_lo_u32 v20, v10, s9
	v_mad_u64_u32 v[18:19], null, v10, s8, 0
	v_mul_lo_u32 v21, v11, s10
	v_mul_lo_u32 v22, v10, s11
	v_mad_u64_u32 v[10:11], null, v10, s10, 0
	s_mov_b32 s23, exec_lo
	v_add3_u32 v19, v19, v20, v2
	v_add3_u32 v11, v11, v22, v21
	v_lshlrev_b64 v[18:19], 1, v[18:19]
	v_lshlrev_b64 v[10:11], 3, v[10:11]
	v_add_co_u32 v18, s3, s5, v18
	v_add_co_ci_u32_e64 v19, null, s16, v19, s3
	v_add_co_u32 v10, s3, s17, v10
	v_add_co_ci_u32_e64 v11, null, s18, v11, s3
	s_waitcnt vmcnt(0)
	global_store_short v[18:19], v16, off
	global_store_dwordx2 v[10:11], v[8:9], off
.LBB219_512:                            ;   in Loop: Header=BB219_501 Depth=1
	s_or_b32 exec_lo, exec_lo, s25
	s_orn2_b32 s25, s23, exec_lo
.LBB219_513:                            ;   in Loop: Header=BB219_501 Depth=1
	s_or_b32 exec_lo, exec_lo, s24
	s_mov_b32 s23, -1
	s_and_saveexec_b32 s24, s25
	s_cbranch_execz .LBB219_500
; %bb.514:                              ;   in Loop: Header=BB219_501 Depth=1
	v_cmp_le_u64_e64 s3, s[6:7], v[4:5]
	s_xor_b32 s23, exec_lo, -1
	s_orn2_b32 s4, s3, exec_lo
	s_branch .LBB219_500
.LBB219_515:
	s_or_b32 exec_lo, exec_lo, s21
	s_mov_b32 s3, exec_lo
	s_orn2_b32 s21, s22, exec_lo
	s_or_b32 exec_lo, exec_lo, s20
	s_and_saveexec_b32 s4, s21
	s_cbranch_execz .LBB219_490
.LBB219_516:
	v_mov_b32_e32 v11, 0
	s_waitcnt vmcnt(0) lgkmcnt(0)
	s_waitcnt_vscnt null, 0x0
	s_barrier
	buffer_gl0_inv
	s_and_saveexec_b32 s1, s2
	s_cbranch_execz .LBB219_518
; %bb.517:
	global_load_ushort v11, v[12:13], off
.LBB219_518:
	s_or_b32 exec_lo, exec_lo, s1
	s_mov_b32 s1, 0
	s_and_saveexec_b32 s2, vcc_lo
	s_cbranch_execz .LBB219_540
; %bb.519:
	v_mov_b32_e32 v3, 0
	v_mov_b32_e32 v10, 0x8000
	s_mov_b32 s19, 0
                                        ; implicit-def: $sgpr20
                                        ; implicit-def: $vgpr6_vgpr7
	s_branch .LBB219_522
.LBB219_520:                            ;   in Loop: Header=BB219_522 Depth=1
	s_or_b32 exec_lo, exec_lo, s21
	s_orn2_b32 s23, s24, exec_lo
	s_orn2_b32 s22, s22, exec_lo
.LBB219_521:                            ;   in Loop: Header=BB219_522 Depth=1
	s_or_b32 exec_lo, exec_lo, s1
	s_xor_b32 s1, s23, -1
	s_and_b32 s21, exec_lo, s22
	v_mov_b32_e32 v0, v4
	v_mov_b32_e32 v1, v5
	s_or_b32 s19, s21, s19
	s_waitcnt vmcnt(0)
	v_mov_b32_e32 v11, v12
	s_andn2_b32 s20, s20, exec_lo
	s_and_b32 s1, s1, exec_lo
	s_or_b32 s20, s20, s1
	s_andn2_b32 exec_lo, exec_lo, s19
	s_cbranch_execz .LBB219_538
.LBB219_522:                            ; =>This Inner Loop Header: Depth=1
	v_add_co_u32 v4, vcc_lo, v0, s49
	v_add_co_ci_u32_e64 v5, null, 0, v1, vcc_lo
	v_mov_b32_e32 v12, 0
	s_mov_b32 s1, exec_lo
	v_cmpx_gt_u64_e64 s[36:37], v[4:5]
	s_cbranch_execz .LBB219_524
; %bb.523:                              ;   in Loop: Header=BB219_522 Depth=1
	v_mul_lo_u32 v2, v5, s30
	v_mul_lo_u32 v12, v4, s31
	v_mad_u64_u32 v[8:9], null, v4, s30, 0
	v_add3_u32 v9, v9, v12, v2
	v_lshlrev_b64 v[8:9], 1, v[8:9]
	v_add_co_u32 v8, vcc_lo, s33, v8
	v_add_co_ci_u32_e64 v9, null, s35, v9, vcc_lo
	global_load_ushort v12, v[8:9], off
.LBB219_524:                            ;   in Loop: Header=BB219_522 Depth=1
	s_or_b32 exec_lo, exec_lo, s1
	s_mov_b32 s21, 0
	s_mov_b32 s1, exec_lo
	v_cmpx_gt_u64_e64 s[36:37], v[0:1]
	s_cbranch_execz .LBB219_526
; %bb.525:                              ;   in Loop: Header=BB219_522 Depth=1
	s_waitcnt vmcnt(0)
	v_cmp_lt_i16_e32 vcc_lo, -1, v11
	v_lshlrev_b32_e32 v8, 16, v11
	v_cndmask_b32_e32 v2, 0xffff, v10, vcc_lo
	v_cmp_o_f32_e32 vcc_lo, v8, v8
	v_xor_b32_sdwa v2, v2, v11 dst_sel:DWORD dst_unused:UNUSED_PAD src0_sel:DWORD src1_sel:WORD_0
	v_cndmask_b32_e32 v2, 0xffff, v2, vcc_lo
	v_cmp_eq_u32_e32 vcc_lo, v2, v14
	s_and_b32 s21, vcc_lo, exec_lo
.LBB219_526:                            ;   in Loop: Header=BB219_522 Depth=1
	s_or_b32 exec_lo, exec_lo, s1
	v_cndmask_b32_e64 v2, 0, 1, s21
	v_cmp_ne_u32_e32 vcc_lo, 0, v2
	s_cmp_lg_u32 vcc_lo, 0
	s_cselect_b32 s1, -1, 0
	s_and_b32 s1, s0, s1
	s_and_saveexec_b32 s22, s1
	s_cbranch_execz .LBB219_530
; %bb.527:                              ;   in Loop: Header=BB219_522 Depth=1
	s_mov_b32 s25, exec_lo
	s_bcnt1_i32_b32 s23, vcc_lo
	v_mbcnt_lo_u32_b32 v8, s25, 0
	s_mov_b32 s24, exec_lo
                                        ; implicit-def: $vgpr6_vgpr7
	v_cmpx_eq_u32_e32 0, v8
; %bb.528:                              ;   in Loop: Header=BB219_522 Depth=1
	s_bcnt1_i32_b32 s1, s25
	s_mul_i32 s1, s23, s1
	v_mov_b32_e32 v2, s1
	ds_add_rtn_u64 v[6:7], v3, v[2:3] offset:5136
; %bb.529:                              ;   in Loop: Header=BB219_522 Depth=1
	s_or_b32 exec_lo, exec_lo, s24
	s_waitcnt lgkmcnt(0)
	v_readfirstlane_b32 s25, v7
	v_readfirstlane_b32 s24, v6
	v_mad_u64_u32 v[6:7], null, s23, v8, s[24:25]
.LBB219_530:                            ;   in Loop: Header=BB219_522 Depth=1
	s_or_b32 exec_lo, exec_lo, s22
	ds_bpermute_b32 v6, v3, v6
	ds_bpermute_b32 v7, v3, v7
	s_cmp_eq_u32 vcc_lo, 0
	s_mov_b32 s22, -1
	s_cselect_b32 s23, -1, 0
	s_waitcnt lgkmcnt(0)
	v_cmp_gt_u64_e64 s1, s[38:39], v[6:7]
	s_or_b32 s24, s23, s1
	s_mov_b32 s23, -1
	s_and_saveexec_b32 s1, s24
	s_cbranch_execz .LBB219_521
; %bb.531:                              ;   in Loop: Header=BB219_522 Depth=1
	v_and_b32_e32 v2, vcc_lo, v23
	v_sub_co_u32 v8, vcc_lo, s38, v6
	v_sub_co_ci_u32_e64 v9, null, s39, v7, vcc_lo
	v_bcnt_u32_b32 v2, v2, 0
	s_mov_b32 s24, -1
	v_bcnt_u32_b32 v2, 0, v2
	v_cmp_gt_u64_e32 vcc_lo, v[8:9], v[2:3]
	s_and_b32 s25, s21, vcc_lo
	s_and_saveexec_b32 s21, s25
	s_cbranch_execz .LBB219_535
; %bb.532:                              ;   in Loop: Header=BB219_522 Depth=1
	v_add_co_u32 v8, vcc_lo, v6, v2
	v_add_co_ci_u32_e64 v9, null, 0, v7, vcc_lo
	s_mov_b32 s23, 0
	s_mov_b32 s24, exec_lo
	v_cmpx_gt_u64_e64 s[38:39], v[8:9]
	s_cbranch_execz .LBB219_534
; %bb.533:                              ;   in Loop: Header=BB219_522 Depth=1
	v_mul_lo_u32 v2, v9, s8
	v_mul_lo_u32 v13, v8, s9
	v_mad_u64_u32 v[15:16], null, v8, s8, 0
	v_mul_lo_u32 v17, v9, s10
	v_mul_lo_u32 v18, v8, s11
	v_mad_u64_u32 v[8:9], null, v8, s10, 0
	s_mov_b32 s23, exec_lo
	v_add3_u32 v16, v16, v13, v2
	v_add3_u32 v9, v9, v18, v17
	v_lshlrev_b64 v[15:16], 1, v[15:16]
	v_lshlrev_b64 v[8:9], 3, v[8:9]
	v_add_co_u32 v15, vcc_lo, s5, v15
	v_add_co_ci_u32_e64 v16, null, s16, v16, vcc_lo
	v_add_co_u32 v8, vcc_lo, s17, v8
	v_add_co_ci_u32_e64 v9, null, s18, v9, vcc_lo
	s_waitcnt vmcnt(0)
	global_store_short v[15:16], v11, off
	global_store_dwordx2 v[8:9], v[0:1], off
.LBB219_534:                            ;   in Loop: Header=BB219_522 Depth=1
	s_or_b32 exec_lo, exec_lo, s24
	s_xor_b32 s24, exec_lo, -1
	s_orn2_b32 s23, s23, exec_lo
.LBB219_535:                            ;   in Loop: Header=BB219_522 Depth=1
	s_or_b32 exec_lo, exec_lo, s21
	s_and_saveexec_b32 s21, s23
	s_cbranch_execz .LBB219_520
; %bb.536:                              ;   in Loop: Header=BB219_522 Depth=1
	v_cmp_le_u64_e32 vcc_lo, s[6:7], v[4:5]
	s_or_b32 s24, s24, exec_lo
	s_orn2_b32 s22, vcc_lo, exec_lo
	s_branch .LBB219_520
.LBB219_537:
	s_or_b32 s8, s8, exec_lo
	s_trap 2
	s_branch .LBB219_497
.LBB219_538:
	s_or_b32 exec_lo, exec_lo, s19
	s_mov_b32 s0, 0
	s_and_saveexec_b32 s1, s20
	s_xor_b32 s1, exec_lo, s1
	s_cbranch_execnz .LBB219_544
.LBB219_539:
	s_or_b32 exec_lo, exec_lo, s1
	s_and_b32 s1, s0, exec_lo
.LBB219_540:
	s_or_b32 exec_lo, exec_lo, s2
	s_and_b32 s19, s1, exec_lo
	s_andn2_b32 s3, s3, exec_lo
	s_or_b32 exec_lo, exec_lo, s4
	s_and_saveexec_b32 s0, s3
	s_xor_b32 s0, exec_lo, s0
	s_cbranch_execz .LBB219_491
.LBB219_541:
	s_or_b32 s19, s19, exec_lo
	s_trap 2
	s_branch .LBB219_491
.LBB219_542:
	s_or_b32 s8, s8, exec_lo
	s_trap 2
	s_branch .LBB219_495
.LBB219_543:
	s_or_b32 s8, s8, exec_lo
	s_trap 2
	s_branch .LBB219_493
.LBB219_544:
	s_mov_b32 s0, exec_lo
	s_trap 2
	s_branch .LBB219_539
	.section	.rodata,"a",@progbits
	.p2align	6, 0x0
	.amdhsa_kernel _ZN2at6native6sbtopk10gatherTopKIN3c108BFloat16EmLi2ELb0EEEvNS_4cuda6detail10TensorInfoIKT_T0_EESA_SA_bSA_SA_NS7_IS8_SA_EESA_NS7_IlSA_EESA_PS8_
		.amdhsa_group_segment_fixed_size 5152
		.amdhsa_private_segment_fixed_size 0
		.amdhsa_kernarg_size 1568
		.amdhsa_user_sgpr_count 6
		.amdhsa_user_sgpr_private_segment_buffer 1
		.amdhsa_user_sgpr_dispatch_ptr 0
		.amdhsa_user_sgpr_queue_ptr 0
		.amdhsa_user_sgpr_kernarg_segment_ptr 1
		.amdhsa_user_sgpr_dispatch_id 0
		.amdhsa_user_sgpr_flat_scratch_init 0
		.amdhsa_user_sgpr_private_segment_size 0
		.amdhsa_wavefront_size32 1
		.amdhsa_uses_dynamic_stack 0
		.amdhsa_system_sgpr_private_segment_wavefront_offset 0
		.amdhsa_system_sgpr_workgroup_id_x 1
		.amdhsa_system_sgpr_workgroup_id_y 1
		.amdhsa_system_sgpr_workgroup_id_z 1
		.amdhsa_system_sgpr_workgroup_info 0
		.amdhsa_system_vgpr_workitem_id 0
		.amdhsa_next_free_vgpr 44
		.amdhsa_next_free_sgpr 105
		.amdhsa_reserve_vcc 1
		.amdhsa_reserve_flat_scratch 0
		.amdhsa_float_round_mode_32 0
		.amdhsa_float_round_mode_16_64 0
		.amdhsa_float_denorm_mode_32 3
		.amdhsa_float_denorm_mode_16_64 3
		.amdhsa_dx10_clamp 1
		.amdhsa_ieee_mode 1
		.amdhsa_fp16_overflow 0
		.amdhsa_workgroup_processor_mode 1
		.amdhsa_memory_ordered 1
		.amdhsa_forward_progress 1
		.amdhsa_shared_vgpr_count 0
		.amdhsa_exception_fp_ieee_invalid_op 0
		.amdhsa_exception_fp_denorm_src 0
		.amdhsa_exception_fp_ieee_div_zero 0
		.amdhsa_exception_fp_ieee_overflow 0
		.amdhsa_exception_fp_ieee_underflow 0
		.amdhsa_exception_fp_ieee_inexact 0
		.amdhsa_exception_int_div_zero 0
	.end_amdhsa_kernel
	.section	.text._ZN2at6native6sbtopk10gatherTopKIN3c108BFloat16EmLi2ELb0EEEvNS_4cuda6detail10TensorInfoIKT_T0_EESA_SA_bSA_SA_NS7_IS8_SA_EESA_NS7_IlSA_EESA_PS8_,"axG",@progbits,_ZN2at6native6sbtopk10gatherTopKIN3c108BFloat16EmLi2ELb0EEEvNS_4cuda6detail10TensorInfoIKT_T0_EESA_SA_bSA_SA_NS7_IS8_SA_EESA_NS7_IlSA_EESA_PS8_,comdat
.Lfunc_end219:
	.size	_ZN2at6native6sbtopk10gatherTopKIN3c108BFloat16EmLi2ELb0EEEvNS_4cuda6detail10TensorInfoIKT_T0_EESA_SA_bSA_SA_NS7_IS8_SA_EESA_NS7_IlSA_EESA_PS8_, .Lfunc_end219-_ZN2at6native6sbtopk10gatherTopKIN3c108BFloat16EmLi2ELb0EEEvNS_4cuda6detail10TensorInfoIKT_T0_EESA_SA_bSA_SA_NS7_IS8_SA_EESA_NS7_IlSA_EESA_PS8_
                                        ; -- End function
	.set _ZN2at6native6sbtopk10gatherTopKIN3c108BFloat16EmLi2ELb0EEEvNS_4cuda6detail10TensorInfoIKT_T0_EESA_SA_bSA_SA_NS7_IS8_SA_EESA_NS7_IlSA_EESA_PS8_.num_vgpr, 44
	.set _ZN2at6native6sbtopk10gatherTopKIN3c108BFloat16EmLi2ELb0EEEvNS_4cuda6detail10TensorInfoIKT_T0_EESA_SA_bSA_SA_NS7_IS8_SA_EESA_NS7_IlSA_EESA_PS8_.num_agpr, 0
	.set _ZN2at6native6sbtopk10gatherTopKIN3c108BFloat16EmLi2ELb0EEEvNS_4cuda6detail10TensorInfoIKT_T0_EESA_SA_bSA_SA_NS7_IS8_SA_EESA_NS7_IlSA_EESA_PS8_.numbered_sgpr, 105
	.set _ZN2at6native6sbtopk10gatherTopKIN3c108BFloat16EmLi2ELb0EEEvNS_4cuda6detail10TensorInfoIKT_T0_EESA_SA_bSA_SA_NS7_IS8_SA_EESA_NS7_IlSA_EESA_PS8_.num_named_barrier, 0
	.set _ZN2at6native6sbtopk10gatherTopKIN3c108BFloat16EmLi2ELb0EEEvNS_4cuda6detail10TensorInfoIKT_T0_EESA_SA_bSA_SA_NS7_IS8_SA_EESA_NS7_IlSA_EESA_PS8_.private_seg_size, 0
	.set _ZN2at6native6sbtopk10gatherTopKIN3c108BFloat16EmLi2ELb0EEEvNS_4cuda6detail10TensorInfoIKT_T0_EESA_SA_bSA_SA_NS7_IS8_SA_EESA_NS7_IlSA_EESA_PS8_.uses_vcc, 1
	.set _ZN2at6native6sbtopk10gatherTopKIN3c108BFloat16EmLi2ELb0EEEvNS_4cuda6detail10TensorInfoIKT_T0_EESA_SA_bSA_SA_NS7_IS8_SA_EESA_NS7_IlSA_EESA_PS8_.uses_flat_scratch, 0
	.set _ZN2at6native6sbtopk10gatherTopKIN3c108BFloat16EmLi2ELb0EEEvNS_4cuda6detail10TensorInfoIKT_T0_EESA_SA_bSA_SA_NS7_IS8_SA_EESA_NS7_IlSA_EESA_PS8_.has_dyn_sized_stack, 0
	.set _ZN2at6native6sbtopk10gatherTopKIN3c108BFloat16EmLi2ELb0EEEvNS_4cuda6detail10TensorInfoIKT_T0_EESA_SA_bSA_SA_NS7_IS8_SA_EESA_NS7_IlSA_EESA_PS8_.has_recursion, 0
	.set _ZN2at6native6sbtopk10gatherTopKIN3c108BFloat16EmLi2ELb0EEEvNS_4cuda6detail10TensorInfoIKT_T0_EESA_SA_bSA_SA_NS7_IS8_SA_EESA_NS7_IlSA_EESA_PS8_.has_indirect_call, 0
	.section	.AMDGPU.csdata,"",@progbits
; Kernel info:
; codeLenInByte = 26656
; TotalNumSgprs: 107
; NumVgprs: 44
; ScratchSize: 0
; MemoryBound: 0
; FloatMode: 240
; IeeeMode: 1
; LDSByteSize: 5152 bytes/workgroup (compile time only)
; SGPRBlocks: 0
; VGPRBlocks: 5
; NumSGPRsForWavesPerEU: 107
; NumVGPRsForWavesPerEU: 44
; Occupancy: 16
; WaveLimiterHint : 1
; COMPUTE_PGM_RSRC2:SCRATCH_EN: 0
; COMPUTE_PGM_RSRC2:USER_SGPR: 6
; COMPUTE_PGM_RSRC2:TRAP_HANDLER: 0
; COMPUTE_PGM_RSRC2:TGID_X_EN: 1
; COMPUTE_PGM_RSRC2:TGID_Y_EN: 1
; COMPUTE_PGM_RSRC2:TGID_Z_EN: 1
; COMPUTE_PGM_RSRC2:TIDIG_COMP_CNT: 0
	.section	.text._ZN2at6native6mbtopk23computeBlockDigitCountsIN3c108BFloat16EmjLi3EEEvNS_4cuda6detail10TensorInfoIKT_T0_EEjPjjSA_iijT1_PSD_Ps,"axG",@progbits,_ZN2at6native6mbtopk23computeBlockDigitCountsIN3c108BFloat16EmjLi3EEEvNS_4cuda6detail10TensorInfoIKT_T0_EEjPjjSA_iijT1_PSD_Ps,comdat
	.protected	_ZN2at6native6mbtopk23computeBlockDigitCountsIN3c108BFloat16EmjLi3EEEvNS_4cuda6detail10TensorInfoIKT_T0_EEjPjjSA_iijT1_PSD_Ps ; -- Begin function _ZN2at6native6mbtopk23computeBlockDigitCountsIN3c108BFloat16EmjLi3EEEvNS_4cuda6detail10TensorInfoIKT_T0_EEjPjjSA_iijT1_PSD_Ps
	.globl	_ZN2at6native6mbtopk23computeBlockDigitCountsIN3c108BFloat16EmjLi3EEEvNS_4cuda6detail10TensorInfoIKT_T0_EEjPjjSA_iijT1_PSD_Ps
	.p2align	8
	.type	_ZN2at6native6mbtopk23computeBlockDigitCountsIN3c108BFloat16EmjLi3EEEvNS_4cuda6detail10TensorInfoIKT_T0_EEjPjjSA_iijT1_PSD_Ps,@function
_ZN2at6native6mbtopk23computeBlockDigitCountsIN3c108BFloat16EmjLi3EEEvNS_4cuda6detail10TensorInfoIKT_T0_EEjPjjSA_iijT1_PSD_Ps: ; @_ZN2at6native6mbtopk23computeBlockDigitCountsIN3c108BFloat16EmjLi3EEEvNS_4cuda6detail10TensorInfoIKT_T0_EEjPjjSA_iijT1_PSD_Ps
; %bb.0:
	s_clause 0x2
	s_load_dwordx4 s[0:3], s[4:5], 0x1c0
	s_load_dword s12, s[4:5], 0x1b0
	s_load_dwordx2 s[10:11], s[4:5], 0x1e0
	s_waitcnt lgkmcnt(0)
	v_cvt_f32_u32_e32 v1, s2
	s_mul_i32 s8, s11, s8
	s_sub_i32 s11, 0, s2
	s_add_i32 s7, s8, s7
	v_rcp_iflag_f32_e32 v1, v1
	s_mul_i32 s24, s7, s10
	s_add_i32 s24, s24, s6
	v_mul_f32_e32 v1, 0x4f7ffffe, v1
	v_cvt_u32_f32_e32 v1, v1
	v_readfirstlane_b32 s9, v1
	s_mul_i32 s11, s11, s9
	s_mul_hi_u32 s7, s9, s11
	s_add_i32 s9, s9, s7
	s_mul_hi_u32 s6, s24, s9
	s_mul_i32 s7, s6, s2
	s_add_i32 s8, s6, 1
	s_sub_i32 s7, s24, s7
	s_sub_i32 s9, s7, s2
	s_cmp_ge_u32 s7, s2
	s_cselect_b32 s6, s8, s6
	s_cselect_b32 s7, s9, s7
	s_add_i32 s8, s6, 1
	s_cmp_ge_u32 s7, s2
	s_mov_b32 s7, 0
	s_cselect_b32 s6, s8, s6
	s_cmp_ge_u32 s6, s12
	s_cbranch_scc1 .LBB220_25
; %bb.1:
	s_clause 0x1
	s_load_dwordx4 s[12:15], s[4:5], 0x10
	s_load_dwordx4 s[8:11], s[4:5], 0x1d0
	s_lshl_b64 s[16:17], s[6:7], 2
	s_mov_b64 s[20:21], 0
	s_waitcnt lgkmcnt(0)
	v_cmp_lt_u64_e64 s18, s[6:7], s[14:15]
	s_add_u32 s22, s8, s16
	s_addc_u32 s23, s9, s17
	s_mov_b64 s[8:9], 0
	s_and_b32 vcc_lo, exec_lo, s18
	s_cbranch_vccz .LBB220_15
; %bb.2:
	v_cmp_lt_u64_e64 s7, s[20:21], s[12:13]
	s_and_b32 vcc_lo, exec_lo, s7
	s_cbranch_vccz .LBB220_16
.LBB220_3:
	v_cmp_gt_u32_e32 vcc_lo, 0x100, v0
	v_lshlrev_b32_e32 v1, 2, v0
	s_and_saveexec_b32 s7, vcc_lo
.LBB220_4:
	v_mov_b32_e32 v2, 0
	ds_write_b32 v1, v2
.LBB220_5:
	s_or_b32 exec_lo, exec_lo, s7
	s_load_dword s7, s[4:5], 0x1a0
	s_mul_i32 s9, s6, s2
	s_mov_b32 s25, 0
	s_sub_i32 s9, s24, s9
	s_waitcnt lgkmcnt(0)
	s_mul_i32 s16, s1, s9
	s_add_i32 s9, s9, 1
	s_lshl_b32 s26, s16, 8
	s_barrier
	buffer_gl0_inv
	s_sub_i32 s16, s7, s26
	s_add_u32 s16, s16, 0xff
	s_addc_u32 s17, 0, 0
	s_lshr_b64 s[16:17], s[16:17], 8
	s_cmp_lt_u32 s9, s2
	s_cselect_b32 s2, s1, s16
	s_cmp_lt_i32 s2, 1
	s_cbranch_scc1 .LBB220_23
; %bb.6:
	s_clause 0x2
	s_load_dwordx2 s[28:29], s[4:5], 0xe0
	s_load_dwordx4 s[16:19], s[4:5], 0xd0
	s_load_dwordx2 s[30:31], s[4:5], 0x0
	s_load_dword s1, s[22:23], 0x0
	s_mul_i32 s9, s20, s15
	s_mul_hi_u32 s15, s20, s14
	s_mul_i32 s14, s20, s14
	s_add_i32 s15, s15, s9
	s_mul_i32 s13, s8, s13
	s_mul_hi_u32 s22, s8, s12
	s_sub_u32 s6, s6, s14
	s_subb_u32 s9, 0, s15
	s_add_i32 s22, s22, s13
	s_load_dwordx2 s[4:5], s[4:5], 0x1b8
	s_mul_i32 s12, s8, s12
	v_add_nc_u32_e32 v2, s26, v0
	s_waitcnt lgkmcnt(0)
	s_mul_i32 s13, s6, s29
	s_mul_hi_u32 s14, s6, s28
	s_mul_i32 s9, s9, s28
	s_add_i32 s13, s14, s13
	s_mul_i32 s15, s8, s17
	s_add_i32 s13, s13, s9
	s_mul_hi_u32 s17, s8, s16
	s_sub_u32 s12, s20, s12
	s_mul_i32 s8, s8, s16
	s_subb_u32 s14, s21, s22
	s_add_i32 s9, s17, s15
	s_mul_i32 s15, s12, s19
	s_mul_hi_u32 s16, s12, s18
	s_mul_i32 s14, s14, s18
	s_add_i32 s15, s16, s15
	s_lshl_b64 s[8:9], s[8:9], 1
	s_add_i32 s15, s15, s14
	s_mul_i32 s14, s12, s18
	s_add_u32 s16, s30, s8
	s_addc_u32 s17, s31, s9
	s_lshl_b64 s[8:9], s[14:15], 1
	s_mul_i32 s12, s6, s28
	s_add_u32 s6, s16, s8
	s_addc_u32 s14, s17, s9
	s_lshl_b64 s[8:9], s[12:13], 1
	s_add_u32 s8, s6, s8
	s_addc_u32 s9, s14, s9
	s_and_b32 s6, s0, 0xff
	s_cmp_eq_u32 s2, 1
	s_cbranch_scc1 .LBB220_18
; %bb.7:
	v_mov_b32_e32 v3, 1
	v_mov_b32_e32 v4, 0x8000
	;; [unrolled: 1-line block ×3, first 2 shown]
	s_and_b32 s12, s2, 0x7ffffffe
	s_mov_b32 s13, 0
	s_branch .LBB220_9
.LBB220_8:                              ;   in Loop: Header=BB220_9 Depth=1
	s_or_b32 exec_lo, exec_lo, s14
	v_add_nc_u32_e32 v5, 0x200, v5
	s_add_i32 s13, s13, 2
	s_cmp_eq_u32 s12, s13
	s_cbranch_scc1 .LBB220_17
.LBB220_9:                              ; =>This Inner Loop Header: Depth=1
	s_mov_b32 s14, exec_lo
	v_cmpx_gt_u32_e64 s7, v5
	s_cbranch_execz .LBB220_12
; %bb.10:                               ;   in Loop: Header=BB220_9 Depth=1
	v_mad_u64_u32 v[6:7], null, s4, v5, 0
	v_mad_u64_u32 v[7:8], null, s5, v5, v[7:8]
	v_lshlrev_b64 v[6:7], 1, v[6:7]
	v_add_co_u32 v6, s0, s8, v6
	v_add_co_ci_u32_e64 v7, null, s9, v7, s0
	global_load_ushort v6, v[6:7], off
	s_waitcnt vmcnt(0)
	v_cmp_lt_i16_e64 s0, -1, v6
	v_lshlrev_b32_e32 v8, 16, v6
	v_cndmask_b32_e64 v7, 0xffff, v4, s0
	v_cmp_o_f32_e64 s0, v8, v8
	v_xor_b32_sdwa v6, v7, v6 dst_sel:DWORD dst_unused:UNUSED_PAD src0_sel:DWORD src1_sel:WORD_0
	v_cndmask_b32_e64 v6, 0xffff, v6, s0
	v_xor_b32_e32 v7, s1, v6
	v_and_b32_e32 v7, s3, v7
	v_cmp_eq_u32_e64 s0, 0, v7
	s_and_b32 exec_lo, exec_lo, s0
; %bb.11:                               ;   in Loop: Header=BB220_9 Depth=1
	v_bfe_u32 v6, v6, s6, 8
	v_lshlrev_b32_e32 v6, 2, v6
	ds_add_u32 v6, v3
.LBB220_12:                             ;   in Loop: Header=BB220_9 Depth=1
	s_or_b32 exec_lo, exec_lo, s14
	v_add_nc_u32_e32 v6, 0x100, v5
	s_mov_b32 s14, exec_lo
	v_cmpx_gt_u32_e64 s7, v6
	s_cbranch_execz .LBB220_8
; %bb.13:                               ;   in Loop: Header=BB220_9 Depth=1
	v_mad_u64_u32 v[7:8], null, s4, v6, 0
	v_mad_u64_u32 v[8:9], null, s5, v6, v[8:9]
	v_lshlrev_b64 v[6:7], 1, v[7:8]
	v_add_co_u32 v6, s0, s8, v6
	v_add_co_ci_u32_e64 v7, null, s9, v7, s0
	global_load_ushort v6, v[6:7], off
	s_waitcnt vmcnt(0)
	v_cmp_lt_i16_e64 s0, -1, v6
	v_lshlrev_b32_e32 v8, 16, v6
	v_cndmask_b32_e64 v7, 0xffff, v4, s0
	v_cmp_o_f32_e64 s0, v8, v8
	v_xor_b32_sdwa v6, v7, v6 dst_sel:DWORD dst_unused:UNUSED_PAD src0_sel:DWORD src1_sel:WORD_0
	v_cndmask_b32_e64 v6, 0xffff, v6, s0
	v_xor_b32_e32 v7, s1, v6
	v_and_b32_e32 v7, s3, v7
	v_cmp_eq_u32_e64 s0, 0, v7
	s_and_b32 exec_lo, exec_lo, s0
	s_cbranch_execz .LBB220_8
; %bb.14:                               ;   in Loop: Header=BB220_9 Depth=1
	v_bfe_u32 v6, v6, s6, 8
	v_lshlrev_b32_e32 v6, 2, v6
	ds_add_u32 v6, v3
	s_branch .LBB220_8
.LBB220_15:
	v_cvt_f32_u32_e32 v1, s14
	s_sub_i32 s9, 0, s14
	s_mov_b32 s21, 0
	v_rcp_iflag_f32_e32 v1, v1
	v_mul_f32_e32 v1, 0x4f7ffffe, v1
	v_cvt_u32_f32_e32 v1, v1
	v_readfirstlane_b32 s7, v1
	s_mul_i32 s9, s9, s7
	s_mul_hi_u32 s9, s7, s9
	s_add_i32 s7, s7, s9
	s_mul_hi_u32 s7, s6, s7
	s_mul_i32 s9, s7, s14
	s_add_i32 s16, s7, 1
	s_sub_i32 s9, s6, s9
	s_sub_i32 s17, s9, s14
	s_cmp_ge_u32 s9, s14
	s_cselect_b32 s7, s16, s7
	s_cselect_b32 s9, s17, s9
	s_add_i32 s16, s7, 1
	s_cmp_ge_u32 s9, s14
	s_cselect_b32 s20, s16, s7
	v_cmp_lt_u64_e64 s7, s[20:21], s[12:13]
	s_and_b32 vcc_lo, exec_lo, s7
	s_cbranch_vccnz .LBB220_3
.LBB220_16:
	v_cvt_f32_u32_e32 v1, s12
	s_sub_i32 s8, 0, s12
	v_rcp_iflag_f32_e32 v1, v1
	v_mul_f32_e32 v1, 0x4f7ffffe, v1
	v_cvt_u32_f32_e32 v1, v1
	v_readfirstlane_b32 s7, v1
	s_mul_i32 s8, s8, s7
	s_mul_hi_u32 s8, s7, s8
	s_add_i32 s7, s7, s8
	s_mul_hi_u32 s7, s20, s7
	s_mul_i32 s8, s7, s12
	s_add_i32 s9, s7, 1
	s_sub_i32 s8, s20, s8
	s_sub_i32 s16, s8, s12
	s_cmp_ge_u32 s8, s12
	s_cselect_b32 s7, s9, s7
	s_cselect_b32 s8, s16, s8
	s_add_i32 s9, s7, 1
	s_cmp_ge_u32 s8, s12
	s_cselect_b32 s8, s9, s7
	v_cmp_gt_u32_e32 vcc_lo, 0x100, v0
	v_lshlrev_b32_e32 v1, 2, v0
	s_and_saveexec_b32 s7, vcc_lo
	s_cbranch_execnz .LBB220_4
	s_branch .LBB220_5
.LBB220_17:
	s_lshl_b32 s25, s12, 8
.LBB220_18:
	s_bitcmp0_b32 s2, 0
	s_cbranch_scc1 .LBB220_23
; %bb.19:
	v_add_nc_u32_e32 v2, s25, v2
	s_mov_b32 s2, exec_lo
	v_cmpx_gt_u32_e64 s7, v2
	s_cbranch_execz .LBB220_22
; %bb.20:
	v_mad_u64_u32 v[3:4], null, s4, v2, 0
	v_mad_u64_u32 v[4:5], null, s5, v2, v[4:5]
	v_lshlrev_b64 v[2:3], 1, v[3:4]
	v_add_co_u32 v2, s0, s8, v2
	v_add_co_ci_u32_e64 v3, null, s9, v3, s0
	global_load_ushort v2, v[2:3], off
	v_mov_b32_e32 v3, 0x8000
	s_waitcnt vmcnt(0)
	v_cmp_lt_i16_e64 s0, -1, v2
	v_lshlrev_b32_e32 v4, 16, v2
	v_cndmask_b32_e64 v3, 0xffff, v3, s0
	v_cmp_o_f32_e64 s0, v4, v4
	v_xor_b32_sdwa v2, v3, v2 dst_sel:DWORD dst_unused:UNUSED_PAD src0_sel:DWORD src1_sel:WORD_0
	v_cndmask_b32_e64 v2, 0xffff, v2, s0
	v_xor_b32_e32 v3, s1, v2
	v_and_b32_e32 v3, s3, v3
	v_cmp_eq_u32_e64 s0, 0, v3
	s_and_b32 exec_lo, exec_lo, s0
	s_cbranch_execz .LBB220_22
; %bb.21:
	v_bfe_u32 v2, v2, s6, 8
	v_mov_b32_e32 v3, 1
	v_lshlrev_b32_e32 v2, 2, v2
	ds_add_u32 v2, v3
.LBB220_22:
	s_or_b32 exec_lo, exec_lo, s2
.LBB220_23:
	s_waitcnt lgkmcnt(0)
	s_barrier
	buffer_gl0_inv
	s_and_saveexec_b32 s0, vcc_lo
	s_cbranch_execz .LBB220_25
; %bb.24:
	ds_read_b32 v2, v1
	v_lshl_or_b32 v0, s24, 8, v0
	v_mov_b32_e32 v1, 0
	v_lshlrev_b64 v[0:1], 1, v[0:1]
	v_add_co_u32 v0, vcc_lo, s10, v0
	v_add_co_ci_u32_e64 v1, null, s11, v1, vcc_lo
	s_waitcnt lgkmcnt(0)
	global_store_short v[0:1], v2, off
.LBB220_25:
	s_endpgm
	.section	.rodata,"a",@progbits
	.p2align	6, 0x0
	.amdhsa_kernel _ZN2at6native6mbtopk23computeBlockDigitCountsIN3c108BFloat16EmjLi3EEEvNS_4cuda6detail10TensorInfoIKT_T0_EEjPjjSA_iijT1_PSD_Ps
		.amdhsa_group_segment_fixed_size 1024
		.amdhsa_private_segment_fixed_size 0
		.amdhsa_kernarg_size 736
		.amdhsa_user_sgpr_count 6
		.amdhsa_user_sgpr_private_segment_buffer 1
		.amdhsa_user_sgpr_dispatch_ptr 0
		.amdhsa_user_sgpr_queue_ptr 0
		.amdhsa_user_sgpr_kernarg_segment_ptr 1
		.amdhsa_user_sgpr_dispatch_id 0
		.amdhsa_user_sgpr_flat_scratch_init 0
		.amdhsa_user_sgpr_private_segment_size 0
		.amdhsa_wavefront_size32 1
		.amdhsa_uses_dynamic_stack 0
		.amdhsa_system_sgpr_private_segment_wavefront_offset 0
		.amdhsa_system_sgpr_workgroup_id_x 1
		.amdhsa_system_sgpr_workgroup_id_y 1
		.amdhsa_system_sgpr_workgroup_id_z 1
		.amdhsa_system_sgpr_workgroup_info 0
		.amdhsa_system_vgpr_workitem_id 0
		.amdhsa_next_free_vgpr 10
		.amdhsa_next_free_sgpr 32
		.amdhsa_reserve_vcc 1
		.amdhsa_reserve_flat_scratch 0
		.amdhsa_float_round_mode_32 0
		.amdhsa_float_round_mode_16_64 0
		.amdhsa_float_denorm_mode_32 3
		.amdhsa_float_denorm_mode_16_64 3
		.amdhsa_dx10_clamp 1
		.amdhsa_ieee_mode 1
		.amdhsa_fp16_overflow 0
		.amdhsa_workgroup_processor_mode 1
		.amdhsa_memory_ordered 1
		.amdhsa_forward_progress 1
		.amdhsa_shared_vgpr_count 0
		.amdhsa_exception_fp_ieee_invalid_op 0
		.amdhsa_exception_fp_denorm_src 0
		.amdhsa_exception_fp_ieee_div_zero 0
		.amdhsa_exception_fp_ieee_overflow 0
		.amdhsa_exception_fp_ieee_underflow 0
		.amdhsa_exception_fp_ieee_inexact 0
		.amdhsa_exception_int_div_zero 0
	.end_amdhsa_kernel
	.section	.text._ZN2at6native6mbtopk23computeBlockDigitCountsIN3c108BFloat16EmjLi3EEEvNS_4cuda6detail10TensorInfoIKT_T0_EEjPjjSA_iijT1_PSD_Ps,"axG",@progbits,_ZN2at6native6mbtopk23computeBlockDigitCountsIN3c108BFloat16EmjLi3EEEvNS_4cuda6detail10TensorInfoIKT_T0_EEjPjjSA_iijT1_PSD_Ps,comdat
.Lfunc_end220:
	.size	_ZN2at6native6mbtopk23computeBlockDigitCountsIN3c108BFloat16EmjLi3EEEvNS_4cuda6detail10TensorInfoIKT_T0_EEjPjjSA_iijT1_PSD_Ps, .Lfunc_end220-_ZN2at6native6mbtopk23computeBlockDigitCountsIN3c108BFloat16EmjLi3EEEvNS_4cuda6detail10TensorInfoIKT_T0_EEjPjjSA_iijT1_PSD_Ps
                                        ; -- End function
	.set _ZN2at6native6mbtopk23computeBlockDigitCountsIN3c108BFloat16EmjLi3EEEvNS_4cuda6detail10TensorInfoIKT_T0_EEjPjjSA_iijT1_PSD_Ps.num_vgpr, 10
	.set _ZN2at6native6mbtopk23computeBlockDigitCountsIN3c108BFloat16EmjLi3EEEvNS_4cuda6detail10TensorInfoIKT_T0_EEjPjjSA_iijT1_PSD_Ps.num_agpr, 0
	.set _ZN2at6native6mbtopk23computeBlockDigitCountsIN3c108BFloat16EmjLi3EEEvNS_4cuda6detail10TensorInfoIKT_T0_EEjPjjSA_iijT1_PSD_Ps.numbered_sgpr, 32
	.set _ZN2at6native6mbtopk23computeBlockDigitCountsIN3c108BFloat16EmjLi3EEEvNS_4cuda6detail10TensorInfoIKT_T0_EEjPjjSA_iijT1_PSD_Ps.num_named_barrier, 0
	.set _ZN2at6native6mbtopk23computeBlockDigitCountsIN3c108BFloat16EmjLi3EEEvNS_4cuda6detail10TensorInfoIKT_T0_EEjPjjSA_iijT1_PSD_Ps.private_seg_size, 0
	.set _ZN2at6native6mbtopk23computeBlockDigitCountsIN3c108BFloat16EmjLi3EEEvNS_4cuda6detail10TensorInfoIKT_T0_EEjPjjSA_iijT1_PSD_Ps.uses_vcc, 1
	.set _ZN2at6native6mbtopk23computeBlockDigitCountsIN3c108BFloat16EmjLi3EEEvNS_4cuda6detail10TensorInfoIKT_T0_EEjPjjSA_iijT1_PSD_Ps.uses_flat_scratch, 0
	.set _ZN2at6native6mbtopk23computeBlockDigitCountsIN3c108BFloat16EmjLi3EEEvNS_4cuda6detail10TensorInfoIKT_T0_EEjPjjSA_iijT1_PSD_Ps.has_dyn_sized_stack, 0
	.set _ZN2at6native6mbtopk23computeBlockDigitCountsIN3c108BFloat16EmjLi3EEEvNS_4cuda6detail10TensorInfoIKT_T0_EEjPjjSA_iijT1_PSD_Ps.has_recursion, 0
	.set _ZN2at6native6mbtopk23computeBlockDigitCountsIN3c108BFloat16EmjLi3EEEvNS_4cuda6detail10TensorInfoIKT_T0_EEjPjjSA_iijT1_PSD_Ps.has_indirect_call, 0
	.section	.AMDGPU.csdata,"",@progbits
; Kernel info:
; codeLenInByte = 1440
; TotalNumSgprs: 34
; NumVgprs: 10
; ScratchSize: 0
; MemoryBound: 0
; FloatMode: 240
; IeeeMode: 1
; LDSByteSize: 1024 bytes/workgroup (compile time only)
; SGPRBlocks: 0
; VGPRBlocks: 1
; NumSGPRsForWavesPerEU: 34
; NumVGPRsForWavesPerEU: 10
; Occupancy: 16
; WaveLimiterHint : 1
; COMPUTE_PGM_RSRC2:SCRATCH_EN: 0
; COMPUTE_PGM_RSRC2:USER_SGPR: 6
; COMPUTE_PGM_RSRC2:TRAP_HANDLER: 0
; COMPUTE_PGM_RSRC2:TGID_X_EN: 1
; COMPUTE_PGM_RSRC2:TGID_Y_EN: 1
; COMPUTE_PGM_RSRC2:TGID_Z_EN: 1
; COMPUTE_PGM_RSRC2:TIDIG_COMP_CNT: 0
	.section	.text._ZN2at6native6mbtopk10gatherTopKIN3c108BFloat16EmLi3EEEvNS_4cuda6detail10TensorInfoIKT_T0_EESA_SA_bjSA_NS7_IS8_SA_EESA_NS7_IlSA_EESA_jjPS8_PjSF_j,"axG",@progbits,_ZN2at6native6mbtopk10gatherTopKIN3c108BFloat16EmLi3EEEvNS_4cuda6detail10TensorInfoIKT_T0_EESA_SA_bjSA_NS7_IS8_SA_EESA_NS7_IlSA_EESA_jjPS8_PjSF_j,comdat
	.protected	_ZN2at6native6mbtopk10gatherTopKIN3c108BFloat16EmLi3EEEvNS_4cuda6detail10TensorInfoIKT_T0_EESA_SA_bjSA_NS7_IS8_SA_EESA_NS7_IlSA_EESA_jjPS8_PjSF_j ; -- Begin function _ZN2at6native6mbtopk10gatherTopKIN3c108BFloat16EmLi3EEEvNS_4cuda6detail10TensorInfoIKT_T0_EESA_SA_bjSA_NS7_IS8_SA_EESA_NS7_IlSA_EESA_jjPS8_PjSF_j
	.globl	_ZN2at6native6mbtopk10gatherTopKIN3c108BFloat16EmLi3EEEvNS_4cuda6detail10TensorInfoIKT_T0_EESA_SA_bjSA_NS7_IS8_SA_EESA_NS7_IlSA_EESA_jjPS8_PjSF_j
	.p2align	8
	.type	_ZN2at6native6mbtopk10gatherTopKIN3c108BFloat16EmLi3EEEvNS_4cuda6detail10TensorInfoIKT_T0_EESA_SA_bjSA_NS7_IS8_SA_EESA_NS7_IlSA_EESA_jjPS8_PjSF_j,@function
_ZN2at6native6mbtopk10gatherTopKIN3c108BFloat16EmLi3EEEvNS_4cuda6detail10TensorInfoIKT_T0_EESA_SA_bjSA_NS7_IS8_SA_EESA_NS7_IlSA_EESA_jjPS8_PjSF_j: ; @_ZN2at6native6mbtopk10gatherTopKIN3c108BFloat16EmLi3EEEvNS_4cuda6detail10TensorInfoIKT_T0_EESA_SA_bjSA_NS7_IS8_SA_EESA_NS7_IlSA_EESA_jjPS8_PjSF_j
; %bb.0:
	s_clause 0x1
	s_load_dwordx2 s[0:1], s[4:5], 0x538
	s_load_dword s2, s[4:5], 0x530
	s_waitcnt lgkmcnt(0)
	s_mul_i32 s1, s1, s8
	s_add_i32 s1, s1, s7
	s_mul_i32 s0, s1, s0
	s_add_i32 s0, s0, s6
	s_cmp_ge_u32 s0, s2
	s_cbranch_scc1 .LBB221_54
; %bb.1:
	s_clause 0x2
	s_load_dwordx2 s[6:7], s[4:5], 0x510
	s_load_dwordx4 s[8:11], s[4:5], 0x1a0
	s_load_dwordx4 s[12:15], s[4:5], 0x10
	s_mov_b32 s35, 0
	s_waitcnt lgkmcnt(0)
	v_cvt_f32_u32_e32 v1, s7
	s_sub_i32 s2, 0, s7
	s_lshl_b32 s33, s6, 8
	v_rcp_iflag_f32_e32 v1, v1
	v_mul_f32_e32 v1, 0x4f7ffffe, v1
	v_cvt_u32_f32_e32 v1, v1
	v_readfirstlane_b32 s1, v1
	s_mul_i32 s2, s2, s1
	s_mul_hi_u32 s2, s1, s2
	s_add_i32 s1, s1, s2
	s_mul_hi_u32 s1, s0, s1
	s_mul_i32 s2, s1, s7
	s_add_i32 s3, s1, 1
	s_sub_i32 s2, s0, s2
	s_sub_i32 s16, s2, s7
	s_cmp_ge_u32 s2, s7
	s_cselect_b32 s1, s3, s1
	s_cselect_b32 s2, s16, s2
	s_add_i32 s3, s1, 1
	s_cmp_ge_u32 s2, s7
	s_cselect_b32 s34, s3, s1
	s_mul_i32 s20, s34, s7
	s_sub_i32 s72, s0, s20
	s_add_i32 s0, s72, 1
	s_cmp_lt_u32 s0, s7
	s_cbranch_scc1 .LBB221_3
; %bb.2:
	s_mul_i32 s0, s72, s33
	s_sub_u32 s0, s8, s0
	s_subb_u32 s1, s9, 0
	s_add_u32 s0, s0, 0xff
	s_addc_u32 s1, s1, 0
	s_ashr_i32 s2, s1, 31
	s_lshr_b32 s2, s2, 24
	s_add_u32 s0, s0, s2
	s_addc_u32 s1, s1, 0
	s_lshr_b64 s[0:1], s[0:1], 8
	s_mov_b32 s6, s0
.LBB221_3:
	v_cmp_lt_u64_e64 s0, s[34:35], s[14:15]
	s_mov_b64 s[48:49], 0
	s_mov_b64 s[50:51], 0
	s_and_b32 vcc_lo, exec_lo, s0
	s_cbranch_vccnz .LBB221_5
; %bb.4:
	v_cvt_f32_u32_e32 v1, s14
	s_sub_i32 s1, 0, s14
	s_mov_b32 s51, 0
	v_rcp_iflag_f32_e32 v1, v1
	v_mul_f32_e32 v1, 0x4f7ffffe, v1
	v_cvt_u32_f32_e32 v1, v1
	v_readfirstlane_b32 s0, v1
	s_mul_i32 s1, s1, s0
	s_mul_hi_u32 s1, s0, s1
	s_add_i32 s0, s0, s1
	s_mul_hi_u32 s0, s34, s0
	s_mul_i32 s1, s0, s14
	s_add_i32 s2, s0, 1
	s_sub_i32 s1, s34, s1
	s_sub_i32 s3, s1, s14
	s_cmp_ge_u32 s1, s14
	s_cselect_b32 s0, s2, s0
	s_cselect_b32 s1, s3, s1
	s_add_i32 s2, s0, 1
	s_cmp_ge_u32 s1, s14
	s_cselect_b32 s50, s2, s0
.LBB221_5:
	s_load_dwordx4 s[24:27], s[4:5], 0x1d0
	v_cmp_lt_u64_e64 s0, s[50:51], s[12:13]
	s_and_b32 vcc_lo, exec_lo, s0
	s_cbranch_vccnz .LBB221_7
; %bb.6:
	v_cvt_f32_u32_e32 v1, s12
	s_sub_i32 s1, 0, s12
	v_rcp_iflag_f32_e32 v1, v1
	v_mul_f32_e32 v1, 0x4f7ffffe, v1
	v_cvt_u32_f32_e32 v1, v1
	v_readfirstlane_b32 s0, v1
	s_mul_i32 s1, s1, s0
	s_mul_hi_u32 s1, s0, s1
	s_add_i32 s0, s0, s1
	s_mul_hi_u32 s0, s50, s0
	s_mul_i32 s1, s0, s12
	s_add_i32 s2, s0, 1
	s_sub_i32 s1, s50, s1
	s_sub_i32 s3, s1, s12
	s_cmp_ge_u32 s1, s12
	s_cselect_b32 s0, s2, s0
	s_cselect_b32 s1, s3, s1
	s_add_i32 s2, s0, 1
	s_cmp_ge_u32 s1, s12
	s_cselect_b32 s48, s2, s0
.LBB221_7:
	s_waitcnt lgkmcnt(0)
	v_cmp_lt_u64_e64 s0, s[34:35], s[26:27]
	s_mov_b64 s[52:53], 0
	s_mov_b64 s[60:61], 0
	s_and_b32 vcc_lo, exec_lo, s0
	s_cbranch_vccnz .LBB221_9
; %bb.8:
	v_cvt_f32_u32_e32 v1, s26
	s_sub_i32 s1, 0, s26
	s_mov_b32 s61, 0
	v_rcp_iflag_f32_e32 v1, v1
	v_mul_f32_e32 v1, 0x4f7ffffe, v1
	v_cvt_u32_f32_e32 v1, v1
	v_readfirstlane_b32 s0, v1
	s_mul_i32 s1, s1, s0
	s_mul_hi_u32 s1, s0, s1
	s_add_i32 s0, s0, s1
	s_mul_hi_u32 s0, s34, s0
	s_mul_i32 s1, s0, s26
	s_add_i32 s2, s0, 1
	s_sub_i32 s1, s34, s1
	s_sub_i32 s3, s1, s26
	s_cmp_ge_u32 s1, s26
	s_cselect_b32 s0, s2, s0
	s_cselect_b32 s1, s3, s1
	s_add_i32 s2, s0, 1
	s_cmp_ge_u32 s1, s26
	s_cselect_b32 s60, s2, s0
.LBB221_9:
	s_load_dwordx4 s[28:31], s[4:5], 0x378
	v_cmp_lt_u64_e64 s0, s[60:61], s[24:25]
	s_and_b32 vcc_lo, exec_lo, s0
	s_cbranch_vccnz .LBB221_11
; %bb.10:
	v_cvt_f32_u32_e32 v1, s24
	s_sub_i32 s1, 0, s24
	v_rcp_iflag_f32_e32 v1, v1
	v_mul_f32_e32 v1, 0x4f7ffffe, v1
	v_cvt_u32_f32_e32 v1, v1
	v_readfirstlane_b32 s0, v1
	s_mul_i32 s1, s1, s0
	s_mul_hi_u32 s1, s0, s1
	s_add_i32 s0, s0, s1
	s_mul_hi_u32 s0, s60, s0
	s_mul_i32 s1, s0, s24
	s_add_i32 s2, s0, 1
	s_sub_i32 s1, s60, s1
	s_sub_i32 s3, s1, s24
	s_cmp_ge_u32 s1, s24
	s_cselect_b32 s0, s2, s0
	s_cselect_b32 s1, s3, s1
	s_add_i32 s2, s0, 1
	s_cmp_ge_u32 s1, s24
	s_cselect_b32 s52, s2, s0
.LBB221_11:
	s_waitcnt lgkmcnt(0)
	v_cmp_lt_u64_e64 s0, s[34:35], s[30:31]
	s_mov_b64 s[54:55], 0
	s_mov_b64 s[64:65], 0
	s_and_b32 vcc_lo, exec_lo, s0
	s_cbranch_vccnz .LBB221_13
; %bb.12:
	v_cvt_f32_u32_e32 v1, s30
	s_sub_i32 s1, 0, s30
	s_mov_b32 s65, 0
	v_rcp_iflag_f32_e32 v1, v1
	v_mul_f32_e32 v1, 0x4f7ffffe, v1
	v_cvt_u32_f32_e32 v1, v1
	v_readfirstlane_b32 s0, v1
	s_mul_i32 s1, s1, s0
	s_mul_hi_u32 s1, s0, s1
	s_add_i32 s0, s0, s1
	s_mul_hi_u32 s0, s34, s0
	s_mul_i32 s1, s0, s30
	s_add_i32 s2, s0, 1
	s_sub_i32 s1, s34, s1
	s_sub_i32 s3, s1, s30
	s_cmp_ge_u32 s1, s30
	s_cselect_b32 s0, s2, s0
	s_cselect_b32 s1, s3, s1
	s_add_i32 s2, s0, 1
	s_cmp_ge_u32 s1, s30
	s_cselect_b32 s64, s2, s0
.LBB221_13:
	s_clause 0x5
	s_load_dwordx2 s[62:63], s[4:5], 0xe0
	s_load_dwordx4 s[44:47], s[4:5], 0xd0
	s_load_dwordx2 s[58:59], s[4:5], 0x2a0
	s_load_dwordx4 s[40:43], s[4:5], 0x290
	;; [unrolled: 2-line block ×3, first 2 shown]
	v_cmp_lt_u64_e64 s0, s[64:65], s[28:29]
	s_and_b32 vcc_lo, exec_lo, s0
	s_cbranch_vccnz .LBB221_15
; %bb.14:
	v_cvt_f32_u32_e32 v1, s28
	s_sub_i32 s1, 0, s28
	v_rcp_iflag_f32_e32 v1, v1
	v_mul_f32_e32 v1, 0x4f7ffffe, v1
	v_cvt_u32_f32_e32 v1, v1
	v_readfirstlane_b32 s0, v1
	s_mul_i32 s1, s1, s0
	s_mul_hi_u32 s1, s0, s1
	s_add_i32 s0, s0, s1
	s_mul_hi_u32 s0, s64, s0
	s_mul_i32 s1, s0, s28
	s_add_i32 s2, s0, 1
	s_sub_i32 s1, s64, s1
	s_sub_i32 s3, s1, s28
	s_cmp_ge_u32 s1, s28
	s_cselect_b32 s0, s2, s0
	s_cselect_b32 s1, s3, s1
	s_add_i32 s2, s0, 1
	s_cmp_ge_u32 s1, s28
	s_cselect_b32 s54, s2, s0
.LBB221_15:
	s_clause 0x1
	s_load_dwordx4 s[0:3], s[4:5], 0x518
	s_load_dwordx2 s[66:67], s[4:5], 0x0
	s_lshl_b64 s[16:17], s[34:35], 1
	v_mov_b32_e32 v1, 0
	s_mov_b32 s21, 0
	s_waitcnt lgkmcnt(0)
	s_add_u32 s0, s0, s16
	s_addc_u32 s1, s1, s17
	global_load_ushort v1, v1, s[0:1]
	v_cmp_ne_u32_e64 s0, 0, v0
	v_cmp_eq_u32_e64 s1, 0, v0
	s_waitcnt vmcnt(0)
	v_readfirstlane_b32 s35, v1
	s_and_saveexec_b32 s49, s1
	s_cbranch_execz .LBB221_31
; %bb.16:
	s_load_dwordx2 s[22:23], s[4:5], 0x528
	s_lshl_b64 s[68:69], s[20:21], 2
	s_mov_b32 s20, 0
	s_add_u32 s16, s2, s68
	s_addc_u32 s17, s3, s69
	s_mov_b32 s53, 0
	s_waitcnt lgkmcnt(0)
	s_add_u32 s18, s22, s68
	s_addc_u32 s19, s23, s69
	s_cmp_lt_u32 s7, 4
	s_cbranch_scc1 .LBB221_28
; %bb.17:
	s_mov_b32 s55, 0
.LBB221_18:                             ; =>This Inner Loop Header: Depth=1
	s_add_u32 s16, s2, s68
	s_addc_u32 s17, s3, s69
	s_add_u32 s70, s22, s68
	s_load_dwordx4 s[16:19], s[16:17], 0x0
	s_addc_u32 s71, s23, s69
	s_cmp_ge_u32 s55, s72
	s_cbranch_scc0 .LBB221_25
; %bb.19:                               ;   in Loop: Header=BB221_18 Depth=1
	s_add_i32 s73, s55, 1
	s_cmp_ge_u32 s73, s72
	s_cbranch_scc0 .LBB221_26
.LBB221_20:                             ;   in Loop: Header=BB221_18 Depth=1
	s_add_i32 s73, s73, 1
	s_cmp_ge_u32 s73, s72
	s_cbranch_scc0 .LBB221_27
.LBB221_21:                             ;   in Loop: Header=BB221_18 Depth=1
	s_add_i32 s73, s73, 1
	s_cmp_ge_u32 s73, s72
	s_cbranch_scc1 .LBB221_23
.LBB221_22:                             ;   in Loop: Header=BB221_18 Depth=1
	s_load_dword s70, s[70:71], 0xc
	s_waitcnt lgkmcnt(0)
	s_add_i32 s21, s21, s19
	s_add_i32 s20, s70, s20
.LBB221_23:                             ;   in Loop: Header=BB221_18 Depth=1
	s_waitcnt lgkmcnt(0)
	s_add_i32 s16, s16, s53
	s_add_i32 s16, s16, s17
	;; [unrolled: 1-line block ×4, first 2 shown]
	s_add_u32 s2, s2, 16
	s_addc_u32 s3, s3, 0
	s_add_u32 s22, s22, 16
	s_addc_u32 s23, s23, 0
	s_add_i32 s71, s73, 4
	s_add_u32 s18, s22, s68
	s_addc_u32 s19, s23, s69
	s_add_u32 s16, s2, s68
	s_addc_u32 s17, s3, s69
	s_add_i32 s70, s73, 1
	s_cmp_ge_u32 s71, s7
	s_cbranch_scc1 .LBB221_29
; %bb.24:                               ;   in Loop: Header=BB221_18 Depth=1
	s_mov_b32 s55, s70
	s_branch .LBB221_18
.LBB221_25:                             ;   in Loop: Header=BB221_18 Depth=1
	s_load_dword s73, s[70:71], 0x0
	s_waitcnt lgkmcnt(0)
	s_add_i32 s21, s16, s21
	s_add_i32 s20, s73, s20
	;; [unrolled: 1-line block ×3, first 2 shown]
	s_cmp_ge_u32 s73, s72
	s_cbranch_scc1 .LBB221_20
.LBB221_26:                             ;   in Loop: Header=BB221_18 Depth=1
	s_load_dword s74, s[70:71], 0x4
	s_waitcnt lgkmcnt(0)
	s_add_i32 s21, s21, s17
	s_add_i32 s20, s74, s20
	;; [unrolled: 1-line block ×3, first 2 shown]
	s_cmp_ge_u32 s73, s72
	s_cbranch_scc1 .LBB221_21
.LBB221_27:                             ;   in Loop: Header=BB221_18 Depth=1
	s_load_dword s74, s[70:71], 0x8
	s_waitcnt lgkmcnt(0)
	s_add_i32 s21, s21, s18
	s_add_i32 s20, s74, s20
	;; [unrolled: 1-line block ×3, first 2 shown]
	s_cmp_ge_u32 s73, s72
	s_cbranch_scc0 .LBB221_22
	s_branch .LBB221_23
.LBB221_28:
	s_mov_b32 s2, 0
	s_cmp_ge_u32 s2, s7
	s_cbranch_scc0 .LBB221_52
	s_branch .LBB221_30
.LBB221_29:
	s_add_i32 s2, s55, 4
	s_cmp_ge_u32 s2, s7
	s_cbranch_scc0 .LBB221_52
.LBB221_30:
	v_mov_b32_e32 v1, s20
	v_mov_b32_e32 v2, s53
	;; [unrolled: 1-line block ×4, first 2 shown]
	ds_write_b96 v4, v[1:3] offset:1056
.LBB221_31:
	s_or_b32 exec_lo, exec_lo, s49
	s_clause 0x1
	s_load_dwordx4 s[16:19], s[4:5], 0x1b8
	s_load_dwordx4 s[20:23], s[4:5], 0x360
	s_cmp_eq_u32 s6, 0
	s_waitcnt lgkmcnt(0)
	s_barrier
	buffer_gl0_inv
	s_cbranch_scc1 .LBB221_54
; %bb.32:
	s_mul_i32 s2, s64, s31
	s_mul_hi_u32 s3, s64, s30
	s_mul_i32 s7, s64, s30
	s_add_i32 s3, s3, s2
	s_sub_u32 s2, s34, s7
	s_subb_u32 s3, 0, s3
	s_mul_i32 s7, s2, s57
	s_mul_hi_u32 s30, s2, s56
	s_mul_i32 s3, s3, s56
	s_add_i32 s7, s30, s7
	s_mul_hi_u32 s31, s52, s40
	s_add_i32 s3, s7, s3
	s_mul_i32 s7, s52, s25
	s_mul_hi_u32 s25, s52, s24
	s_mul_i32 s24, s52, s24
	s_add_i32 s25, s25, s7
	s_sub_u32 s24, s60, s24
	s_subb_u32 s25, s61, s25
	s_mul_i32 s7, s24, s43
	s_mul_hi_u32 s30, s24, s42
	s_mul_i32 s25, s25, s42
	s_add_i32 s7, s30, s7
	s_mul_i32 s30, s52, s41
	s_add_i32 s25, s7, s25
	s_mul_i32 s7, s60, s27
	s_mul_hi_u32 s27, s60, s26
	s_mul_i32 s26, s60, s26
	s_add_i32 s31, s31, s30
	s_add_i32 s27, s27, s7
	s_sub_u32 s26, s34, s26
	s_subb_u32 s27, 0, s27
	s_mul_i32 s7, s26, s59
	s_mul_hi_u32 s30, s26, s58
	s_mul_i32 s27, s27, s58
	s_add_i32 s7, s30, s7
	s_mul_hi_u32 s41, s48, s44
	s_add_i32 s27, s7, s27
	s_mul_i32 s7, s48, s13
	s_mul_hi_u32 s13, s48, s12
	s_mul_i32 s12, s48, s12
	s_add_i32 s13, s13, s7
	s_sub_u32 s7, s50, s12
	s_subb_u32 s13, s51, s13
	s_mul_i32 s12, s7, s47
	s_mul_hi_u32 s30, s7, s46
	s_mul_i32 s13, s13, s46
	s_add_i32 s12, s30, s12
	s_mul_i32 s30, s48, s45
	s_add_i32 s13, s12, s13
	s_mul_i32 s12, s50, s15
	s_mul_hi_u32 s15, s50, s14
	s_mul_i32 s14, s50, s14
	s_add_i32 s45, s41, s30
	s_add_i32 s15, s15, s12
	s_sub_u32 s14, s34, s14
	s_subb_u32 s15, 0, s15
	s_mul_i32 s12, s14, s63
	s_mul_hi_u32 s30, s14, s62
	s_mul_i32 s15, s15, s62
	s_add_i32 s12, s30, s12
	s_mul_i32 s44, s48, s44
	s_add_i32 s15, s12, s15
	s_mul_i32 s12, s54, s29
	s_mul_hi_u32 s29, s54, s28
	s_mul_i32 s28, s54, s28
	s_add_i32 s29, s29, s12
	s_sub_u32 s28, s64, s28
	s_mul_i32 s12, s7, s46
	s_mul_i32 s7, s28, s39
	s_mul_hi_u32 s30, s28, s38
	s_subb_u32 s29, s65, s29
	s_add_i32 s7, s30, s7
	s_mul_i32 s29, s29, s38
	s_mul_hi_u32 s30, s54, s36
	s_add_i32 s29, s7, s29
	s_mul_i32 s7, s54, s37
	s_lshl_b64 s[44:45], s[44:45], 1
	s_add_i32 s37, s30, s7
	s_add_u32 s7, s66, s44
	s_addc_u32 s30, s67, s45
	s_lshl_b64 s[12:13], s[12:13], 1
	s_mul_i32 s14, s14, s62
	s_add_u32 s7, s7, s12
	s_addc_u32 s34, s30, s13
	s_lshl_b64 s[12:13], s[14:15], 1
	s_mul_i32 s30, s52, s40
	;; [unrolled: 4-line block ×6, first 2 shown]
	v_mov_b32_e32 v5, 0
	s_add_u32 s15, s22, s18
	s_addc_u32 s22, s23, s19
	s_lshl_b64 s[18:19], s[28:29], 3
	s_mul_i32 s2, s2, s56
	s_add_u32 s15, s15, s18
	s_addc_u32 s18, s22, s19
	s_lshl_b64 s[2:3], s[2:3], 3
	ds_read_b96 v[1:3], v5 offset:1056
	s_add_u32 s15, s15, s2
	s_sext_i32_i16 s2, s35
	s_addc_u32 s18, s18, s3
	s_and_b32 s3, 0xffff, s35
	s_cmp_gt_i32 s2, -1
	s_mov_b32 s2, 0x8000
	v_add_nc_u32_e32 v10, -1, v0
	s_cselect_b32 s2, s2, 0xffff
	s_lshl_b32 s19, s35, 16
	s_xor_b32 s2, s2, s3
	v_cmp_o_f32_e64 s19, s19, s19
	v_lshrrev_b32_e32 v4, 3, v0
	v_lshrrev_b32_e32 v6, 3, v10
	v_mbcnt_lo_u32_b32 v9, -1, 0
	v_mov_b32_e32 v14, 0x8000
	s_and_b32 s3, s19, exec_lo
	s_clause 0x1
	s_load_dword s3, s[4:5], 0x1b0
	s_load_dwordx2 s[4:5], s[4:5], 0x508
	v_and_b32_e32 v4, 28, v4
	s_waitcnt lgkmcnt(0)
	v_add_nc_u32_e32 v1, v1, v2
	v_and_b32_e32 v11, 0x1ffffffc, v6
	v_and_b32_e32 v2, 0xfc, v0
	s_cselect_b32 s19, s2, 0xffff
	v_lshl_add_u32 v8, v0, 2, v4
	v_mad_u64_u32 v[6:7], null, s72, s33, v[0:1]
	v_lshlrev_b32_e32 v4, 5, v0
	v_cmp_gt_u32_e64 s2, 32, v0
	v_lshl_add_u32 v0, v10, 2, v11
	v_and_b32_e32 v11, 15, v9
	v_bfe_i32 v12, v9, 4, 1
	v_add_nc_u32_e32 v10, v2, v4
	v_add_nc_u32_e32 v13, -1, v9
	v_mov_b32_e32 v4, v6
                                        ; implicit-def: $vgpr15
	s_bitcmp1_b32 s3, 0
	s_cselect_b32 s3, -1, 0
	s_branch .LBB221_35
.LBB221_33:                             ;   in Loop: Header=BB221_35 Depth=1
	s_or_b32 exec_lo, exec_lo, s22
	v_add_nc_u32_e32 v1, v2, v1
.LBB221_34:                             ;   in Loop: Header=BB221_35 Depth=1
	v_add_nc_u32_e32 v3, v16, v3
	v_add_nc_u32_e32 v4, 0x100, v4
	s_add_i32 s6, s6, -1
	s_cmp_lg_u32 s6, 0
	s_cbranch_scc0 .LBB221_54
.LBB221_35:                             ; =>This Inner Loop Header: Depth=1
	v_mov_b32_e32 v2, v5
	v_mov_b32_e32 v6, v5
	s_mov_b32 s22, exec_lo
	v_cmpx_gt_u64_e64 s[8:9], v[4:5]
	s_cbranch_execz .LBB221_37
; %bb.36:                               ;   in Loop: Header=BB221_35 Depth=1
	v_mad_u64_u32 v[6:7], null, s16, v4, 0
	v_mov_b32_e32 v2, v7
	v_mad_u64_u32 v[15:16], null, s17, v4, v[2:3]
	v_mov_b32_e32 v7, v15
	v_lshlrev_b64 v[6:7], 1, v[6:7]
	v_add_co_u32 v6, vcc_lo, s7, v6
	v_add_co_ci_u32_e64 v7, null, s12, v7, vcc_lo
	global_load_ushort v15, v[6:7], off
	s_waitcnt vmcnt(0)
	v_cmp_lt_i16_e32 vcc_lo, -1, v15
	v_lshlrev_b32_e32 v6, 16, v15
	v_cndmask_b32_e32 v2, 0xffff, v14, vcc_lo
	v_cmp_o_f32_e32 vcc_lo, v6, v6
	v_xor_b32_sdwa v2, v2, v15 dst_sel:DWORD dst_unused:UNUSED_PAD src0_sel:DWORD src1_sel:WORD_0
	v_cndmask_b32_e32 v6, 0xffff, v2, vcc_lo
	v_cmp_lt_u32_e32 vcc_lo, s19, v6
	v_cndmask_b32_e64 v2, 0, 1, vcc_lo
	v_cmp_gt_u32_e32 vcc_lo, s19, v6
	v_cndmask_b32_e64 v7, 0, 1, vcc_lo
	v_cmp_eq_u32_e32 vcc_lo, s19, v6
	v_cndmask_b32_e64 v2, v7, v2, s3
	v_cndmask_b32_e64 v6, 0, 1, vcc_lo
	v_and_b32_e32 v2, 1, v2
.LBB221_37:                             ;   in Loop: Header=BB221_35 Depth=1
	s_or_b32 exec_lo, exec_lo, s22
	ds_write_b32 v8, v2
	s_waitcnt lgkmcnt(0)
	s_barrier
	buffer_gl0_inv
	s_and_saveexec_b32 s22, s2
	s_cbranch_execz .LBB221_39
; %bb.38:                               ;   in Loop: Header=BB221_35 Depth=1
	ds_read2_b32 v[16:17], v10 offset1:1
	ds_read2_b32 v[18:19], v10 offset0:2 offset1:3
	ds_read2_b32 v[20:21], v10 offset0:4 offset1:5
	;; [unrolled: 1-line block ×3, first 2 shown]
	v_cmp_ne_u32_e32 vcc_lo, 0, v11
	; wave barrier
	s_waitcnt lgkmcnt(3)
	v_add_nc_u32_e32 v7, v17, v16
	s_waitcnt lgkmcnt(2)
	v_add3_u32 v7, v7, v18, v19
	s_waitcnt lgkmcnt(1)
	v_add3_u32 v7, v7, v20, v21
	s_waitcnt lgkmcnt(0)
	v_add3_u32 v7, v7, v22, v23
	v_mov_b32_dpp v17, v7 row_shr:1 row_mask:0xf bank_mask:0xf
	v_cndmask_b32_e32 v17, 0, v17, vcc_lo
	v_cmp_lt_u32_e32 vcc_lo, 1, v11
	v_add_nc_u32_e32 v7, v17, v7
	v_mov_b32_dpp v17, v7 row_shr:2 row_mask:0xf bank_mask:0xf
	v_cndmask_b32_e32 v17, 0, v17, vcc_lo
	v_cmp_lt_u32_e32 vcc_lo, 3, v11
	v_add_nc_u32_e32 v7, v7, v17
	;; [unrolled: 4-line block ×3, first 2 shown]
	v_mov_b32_dpp v17, v7 row_shr:8 row_mask:0xf bank_mask:0xf
	v_cndmask_b32_e32 v17, 0, v17, vcc_lo
	v_cmp_gt_i32_e32 vcc_lo, 0, v13
	v_add_nc_u32_e32 v7, v7, v17
	v_cndmask_b32_e32 v18, v13, v9, vcc_lo
	ds_swizzle_b32 v17, v7 offset:swizzle(BROADCAST,32,15)
	v_lshlrev_b32_e32 v18, 2, v18
	s_waitcnt lgkmcnt(0)
	v_and_b32_e32 v17, v12, v17
	v_add_nc_u32_e32 v7, v7, v17
	ds_bpermute_b32 v7, v18, v7
	s_waitcnt lgkmcnt(0)
	v_add_nc_u32_e32 v7, v7, v16
	v_cndmask_b32_e64 v7, v7, v2, s1
	ds_write_b32 v10, v7
	; wave barrier
	ds_read2_b32 v[16:17], v10 offset0:1 offset1:2
	ds_read2_b32 v[18:19], v10 offset0:3 offset1:4
	;; [unrolled: 1-line block ×3, first 2 shown]
	ds_read_b32 v22, v10 offset:28
	s_waitcnt lgkmcnt(3)
	v_add_nc_u32_e32 v7, v16, v7
	v_add_nc_u32_e32 v16, v17, v7
	s_waitcnt lgkmcnt(2)
	v_add_nc_u32_e32 v17, v18, v16
	v_add_nc_u32_e32 v18, v19, v17
	;; [unrolled: 3-line block ×3, first 2 shown]
	s_waitcnt lgkmcnt(0)
	v_add_nc_u32_e32 v21, v22, v20
	ds_write2_b32 v10, v7, v16 offset0:1 offset1:2
	ds_write2_b32 v10, v17, v18 offset0:3 offset1:4
	;; [unrolled: 1-line block ×3, first 2 shown]
	ds_write_b32 v10, v21 offset:28
.LBB221_39:                             ;   in Loop: Header=BB221_35 Depth=1
	s_or_b32 exec_lo, exec_lo, s22
	v_mov_b32_e32 v7, 0
	s_waitcnt lgkmcnt(0)
	s_barrier
	buffer_gl0_inv
	s_and_saveexec_b32 s22, s0
; %bb.40:                               ;   in Loop: Header=BB221_35 Depth=1
	ds_read_b32 v7, v0
; %bb.41:                               ;   in Loop: Header=BB221_35 Depth=1
	s_or_b32 exec_lo, exec_lo, s22
	ds_read_b32 v16, v5 offset:1048
	s_mov_b32 s22, exec_lo
	s_waitcnt lgkmcnt(0)
	s_barrier
	buffer_gl0_inv
	v_cmpx_ne_u32_e32 0, v2
	s_cbranch_execz .LBB221_43
; %bb.42:                               ;   in Loop: Header=BB221_35 Depth=1
	v_add_nc_u32_e32 v22, v7, v3
	v_mad_u64_u32 v[17:18], null, s20, v22, 0
	v_mad_u64_u32 v[19:20], null, s4, v22, 0
	v_mov_b32_e32 v2, v18
	v_mov_b32_e32 v7, v20
	v_mad_u64_u32 v[20:21], null, s21, v22, v[2:3]
	v_mad_u64_u32 v[21:22], null, s5, v22, v[7:8]
	v_mov_b32_e32 v18, v20
	v_mov_b32_e32 v20, v21
	v_lshlrev_b64 v[17:18], 1, v[17:18]
	v_lshlrev_b64 v[19:20], 3, v[19:20]
	v_add_co_u32 v17, vcc_lo, s13, v17
	v_add_co_ci_u32_e64 v18, null, s14, v18, vcc_lo
	v_add_co_u32 v19, vcc_lo, s15, v19
	v_add_co_ci_u32_e64 v20, null, s18, v20, vcc_lo
	global_store_short v[17:18], v15, off
	global_store_dwordx2 v[19:20], v[4:5], off
.LBB221_43:                             ;   in Loop: Header=BB221_35 Depth=1
	s_or_b32 exec_lo, exec_lo, s22
	v_mov_b32_e32 v2, v5
	v_cmp_le_u64_e32 vcc_lo, s[10:11], v[1:2]
	s_cbranch_vccnz .LBB221_34
; %bb.44:                               ;   in Loop: Header=BB221_35 Depth=1
	ds_write_b32 v8, v6
	s_waitcnt lgkmcnt(0)
	s_waitcnt_vscnt null, 0x0
	s_barrier
	buffer_gl0_inv
	s_and_saveexec_b32 s22, s2
	s_cbranch_execz .LBB221_46
; %bb.45:                               ;   in Loop: Header=BB221_35 Depth=1
	ds_read2_b32 v[17:18], v10 offset1:1
	ds_read2_b32 v[19:20], v10 offset0:2 offset1:3
	ds_read2_b32 v[21:22], v10 offset0:4 offset1:5
	;; [unrolled: 1-line block ×3, first 2 shown]
	v_cmp_ne_u32_e32 vcc_lo, 0, v11
	; wave barrier
	s_waitcnt lgkmcnt(3)
	v_add_nc_u32_e32 v2, v18, v17
	s_waitcnt lgkmcnt(2)
	v_add3_u32 v2, v2, v19, v20
	s_waitcnt lgkmcnt(1)
	v_add3_u32 v2, v2, v21, v22
	;; [unrolled: 2-line block ×3, first 2 shown]
	v_mov_b32_dpp v7, v2 row_shr:1 row_mask:0xf bank_mask:0xf
	v_cndmask_b32_e32 v7, 0, v7, vcc_lo
	v_cmp_lt_u32_e32 vcc_lo, 1, v11
	v_add_nc_u32_e32 v2, v7, v2
	v_mov_b32_dpp v7, v2 row_shr:2 row_mask:0xf bank_mask:0xf
	v_cndmask_b32_e32 v7, 0, v7, vcc_lo
	v_cmp_lt_u32_e32 vcc_lo, 3, v11
	v_add_nc_u32_e32 v2, v2, v7
	;; [unrolled: 4-line block ×3, first 2 shown]
	v_mov_b32_dpp v7, v2 row_shr:8 row_mask:0xf bank_mask:0xf
	v_cndmask_b32_e32 v7, 0, v7, vcc_lo
	v_cmp_gt_i32_e32 vcc_lo, 0, v13
	v_add_nc_u32_e32 v2, v2, v7
	v_cndmask_b32_e32 v18, v13, v9, vcc_lo
	ds_swizzle_b32 v7, v2 offset:swizzle(BROADCAST,32,15)
	v_lshlrev_b32_e32 v18, 2, v18
	s_waitcnt lgkmcnt(0)
	v_and_b32_e32 v7, v12, v7
	v_add_nc_u32_e32 v2, v2, v7
	ds_bpermute_b32 v2, v18, v2
	s_waitcnt lgkmcnt(0)
	v_add_nc_u32_e32 v2, v2, v17
	v_cndmask_b32_e64 v2, v2, v6, s1
	ds_write_b32 v10, v2
	; wave barrier
	ds_read2_b32 v[17:18], v10 offset0:1 offset1:2
	ds_read2_b32 v[19:20], v10 offset0:3 offset1:4
	;; [unrolled: 1-line block ×3, first 2 shown]
	ds_read_b32 v7, v10 offset:28
	s_waitcnt lgkmcnt(3)
	v_add_nc_u32_e32 v2, v17, v2
	v_add_nc_u32_e32 v17, v18, v2
	s_waitcnt lgkmcnt(2)
	v_add_nc_u32_e32 v18, v19, v17
	v_add_nc_u32_e32 v19, v20, v18
	;; [unrolled: 3-line block ×3, first 2 shown]
	s_waitcnt lgkmcnt(0)
	v_add_nc_u32_e32 v7, v7, v21
	ds_write2_b32 v10, v2, v17 offset0:1 offset1:2
	ds_write2_b32 v10, v18, v19 offset0:3 offset1:4
	;; [unrolled: 1-line block ×3, first 2 shown]
	ds_write_b32 v10, v7 offset:28
.LBB221_46:                             ;   in Loop: Header=BB221_35 Depth=1
	s_or_b32 exec_lo, exec_lo, s22
	v_mov_b32_e32 v7, 0
	s_waitcnt lgkmcnt(0)
	s_barrier
	buffer_gl0_inv
	s_and_saveexec_b32 s22, s0
; %bb.47:                               ;   in Loop: Header=BB221_35 Depth=1
	ds_read_b32 v7, v0
; %bb.48:                               ;   in Loop: Header=BB221_35 Depth=1
	s_or_b32 exec_lo, exec_lo, s22
	ds_read_b32 v2, v5 offset:1048
	s_mov_b32 s22, exec_lo
	s_waitcnt lgkmcnt(0)
	s_barrier
	buffer_gl0_inv
	v_cmpx_ne_u32_e32 0, v6
	s_cbranch_execz .LBB221_33
; %bb.49:                               ;   in Loop: Header=BB221_35 Depth=1
	v_add_nc_u32_e32 v6, v7, v1
	v_mov_b32_e32 v7, v5
	v_cmp_gt_u64_e32 vcc_lo, s[10:11], v[6:7]
	s_and_b32 exec_lo, exec_lo, vcc_lo
	s_cbranch_execz .LBB221_33
; %bb.50:                               ;   in Loop: Header=BB221_35 Depth=1
	v_mad_u64_u32 v[17:18], null, s20, v6, 0
	v_mad_u64_u32 v[19:20], null, s4, v6, 0
	v_mov_b32_e32 v7, v18
	v_mov_b32_e32 v18, v20
	v_mad_u64_u32 v[20:21], null, s21, v6, v[7:8]
	v_mad_u64_u32 v[6:7], null, s5, v6, v[18:19]
	v_mov_b32_e32 v18, v20
	v_mov_b32_e32 v20, v6
	v_lshlrev_b64 v[6:7], 1, v[17:18]
	v_lshlrev_b64 v[17:18], 3, v[19:20]
	v_add_co_u32 v6, vcc_lo, s13, v6
	v_add_co_ci_u32_e64 v7, null, s14, v7, vcc_lo
	v_add_co_u32 v17, vcc_lo, s15, v17
	v_add_co_ci_u32_e64 v18, null, s18, v18, vcc_lo
	global_store_short v[6:7], v15, off
	global_store_dwordx2 v[17:18], v[4:5], off
	s_branch .LBB221_33
	.p2align	6
.LBB221_51:                             ;   in Loop: Header=BB221_52 Depth=1
	s_add_u32 s16, s16, 4
	s_addc_u32 s17, s17, 0
	s_waitcnt lgkmcnt(0)
	s_add_i32 s53, s3, s53
	s_add_u32 s18, s18, 4
	s_addc_u32 s19, s19, 0
	s_add_i32 s2, s2, 1
	s_cmp_lt_u32 s2, s7
	s_cbranch_scc0 .LBB221_30
.LBB221_52:                             ; =>This Inner Loop Header: Depth=1
	s_load_dword s3, s[16:17], 0x0
	s_cmp_ge_u32 s2, s72
	s_cbranch_scc1 .LBB221_51
; %bb.53:                               ;   in Loop: Header=BB221_52 Depth=1
	s_load_dword s22, s[18:19], 0x0
	s_waitcnt lgkmcnt(0)
	s_add_i32 s21, s3, s21
	s_add_i32 s20, s22, s20
	s_branch .LBB221_51
.LBB221_54:
	s_endpgm
	.section	.rodata,"a",@progbits
	.p2align	6, 0x0
	.amdhsa_kernel _ZN2at6native6mbtopk10gatherTopKIN3c108BFloat16EmLi3EEEvNS_4cuda6detail10TensorInfoIKT_T0_EESA_SA_bjSA_NS7_IS8_SA_EESA_NS7_IlSA_EESA_jjPS8_PjSF_j
		.amdhsa_group_segment_fixed_size 1068
		.amdhsa_private_segment_fixed_size 0
		.amdhsa_kernarg_size 1592
		.amdhsa_user_sgpr_count 6
		.amdhsa_user_sgpr_private_segment_buffer 1
		.amdhsa_user_sgpr_dispatch_ptr 0
		.amdhsa_user_sgpr_queue_ptr 0
		.amdhsa_user_sgpr_kernarg_segment_ptr 1
		.amdhsa_user_sgpr_dispatch_id 0
		.amdhsa_user_sgpr_flat_scratch_init 0
		.amdhsa_user_sgpr_private_segment_size 0
		.amdhsa_wavefront_size32 1
		.amdhsa_uses_dynamic_stack 0
		.amdhsa_system_sgpr_private_segment_wavefront_offset 0
		.amdhsa_system_sgpr_workgroup_id_x 1
		.amdhsa_system_sgpr_workgroup_id_y 1
		.amdhsa_system_sgpr_workgroup_id_z 1
		.amdhsa_system_sgpr_workgroup_info 0
		.amdhsa_system_vgpr_workitem_id 0
		.amdhsa_next_free_vgpr 25
		.amdhsa_next_free_sgpr 75
		.amdhsa_reserve_vcc 1
		.amdhsa_reserve_flat_scratch 0
		.amdhsa_float_round_mode_32 0
		.amdhsa_float_round_mode_16_64 0
		.amdhsa_float_denorm_mode_32 3
		.amdhsa_float_denorm_mode_16_64 3
		.amdhsa_dx10_clamp 1
		.amdhsa_ieee_mode 1
		.amdhsa_fp16_overflow 0
		.amdhsa_workgroup_processor_mode 1
		.amdhsa_memory_ordered 1
		.amdhsa_forward_progress 1
		.amdhsa_shared_vgpr_count 0
		.amdhsa_exception_fp_ieee_invalid_op 0
		.amdhsa_exception_fp_denorm_src 0
		.amdhsa_exception_fp_ieee_div_zero 0
		.amdhsa_exception_fp_ieee_overflow 0
		.amdhsa_exception_fp_ieee_underflow 0
		.amdhsa_exception_fp_ieee_inexact 0
		.amdhsa_exception_int_div_zero 0
	.end_amdhsa_kernel
	.section	.text._ZN2at6native6mbtopk10gatherTopKIN3c108BFloat16EmLi3EEEvNS_4cuda6detail10TensorInfoIKT_T0_EESA_SA_bjSA_NS7_IS8_SA_EESA_NS7_IlSA_EESA_jjPS8_PjSF_j,"axG",@progbits,_ZN2at6native6mbtopk10gatherTopKIN3c108BFloat16EmLi3EEEvNS_4cuda6detail10TensorInfoIKT_T0_EESA_SA_bjSA_NS7_IS8_SA_EESA_NS7_IlSA_EESA_jjPS8_PjSF_j,comdat
.Lfunc_end221:
	.size	_ZN2at6native6mbtopk10gatherTopKIN3c108BFloat16EmLi3EEEvNS_4cuda6detail10TensorInfoIKT_T0_EESA_SA_bjSA_NS7_IS8_SA_EESA_NS7_IlSA_EESA_jjPS8_PjSF_j, .Lfunc_end221-_ZN2at6native6mbtopk10gatherTopKIN3c108BFloat16EmLi3EEEvNS_4cuda6detail10TensorInfoIKT_T0_EESA_SA_bjSA_NS7_IS8_SA_EESA_NS7_IlSA_EESA_jjPS8_PjSF_j
                                        ; -- End function
	.set _ZN2at6native6mbtopk10gatherTopKIN3c108BFloat16EmLi3EEEvNS_4cuda6detail10TensorInfoIKT_T0_EESA_SA_bjSA_NS7_IS8_SA_EESA_NS7_IlSA_EESA_jjPS8_PjSF_j.num_vgpr, 25
	.set _ZN2at6native6mbtopk10gatherTopKIN3c108BFloat16EmLi3EEEvNS_4cuda6detail10TensorInfoIKT_T0_EESA_SA_bjSA_NS7_IS8_SA_EESA_NS7_IlSA_EESA_jjPS8_PjSF_j.num_agpr, 0
	.set _ZN2at6native6mbtopk10gatherTopKIN3c108BFloat16EmLi3EEEvNS_4cuda6detail10TensorInfoIKT_T0_EESA_SA_bjSA_NS7_IS8_SA_EESA_NS7_IlSA_EESA_jjPS8_PjSF_j.numbered_sgpr, 75
	.set _ZN2at6native6mbtopk10gatherTopKIN3c108BFloat16EmLi3EEEvNS_4cuda6detail10TensorInfoIKT_T0_EESA_SA_bjSA_NS7_IS8_SA_EESA_NS7_IlSA_EESA_jjPS8_PjSF_j.num_named_barrier, 0
	.set _ZN2at6native6mbtopk10gatherTopKIN3c108BFloat16EmLi3EEEvNS_4cuda6detail10TensorInfoIKT_T0_EESA_SA_bjSA_NS7_IS8_SA_EESA_NS7_IlSA_EESA_jjPS8_PjSF_j.private_seg_size, 0
	.set _ZN2at6native6mbtopk10gatherTopKIN3c108BFloat16EmLi3EEEvNS_4cuda6detail10TensorInfoIKT_T0_EESA_SA_bjSA_NS7_IS8_SA_EESA_NS7_IlSA_EESA_jjPS8_PjSF_j.uses_vcc, 1
	.set _ZN2at6native6mbtopk10gatherTopKIN3c108BFloat16EmLi3EEEvNS_4cuda6detail10TensorInfoIKT_T0_EESA_SA_bjSA_NS7_IS8_SA_EESA_NS7_IlSA_EESA_jjPS8_PjSF_j.uses_flat_scratch, 0
	.set _ZN2at6native6mbtopk10gatherTopKIN3c108BFloat16EmLi3EEEvNS_4cuda6detail10TensorInfoIKT_T0_EESA_SA_bjSA_NS7_IS8_SA_EESA_NS7_IlSA_EESA_jjPS8_PjSF_j.has_dyn_sized_stack, 0
	.set _ZN2at6native6mbtopk10gatherTopKIN3c108BFloat16EmLi3EEEvNS_4cuda6detail10TensorInfoIKT_T0_EESA_SA_bjSA_NS7_IS8_SA_EESA_NS7_IlSA_EESA_jjPS8_PjSF_j.has_recursion, 0
	.set _ZN2at6native6mbtopk10gatherTopKIN3c108BFloat16EmLi3EEEvNS_4cuda6detail10TensorInfoIKT_T0_EESA_SA_bjSA_NS7_IS8_SA_EESA_NS7_IlSA_EESA_jjPS8_PjSF_j.has_indirect_call, 0
	.section	.AMDGPU.csdata,"",@progbits
; Kernel info:
; codeLenInByte = 3600
; TotalNumSgprs: 77
; NumVgprs: 25
; ScratchSize: 0
; MemoryBound: 0
; FloatMode: 240
; IeeeMode: 1
; LDSByteSize: 1068 bytes/workgroup (compile time only)
; SGPRBlocks: 0
; VGPRBlocks: 3
; NumSGPRsForWavesPerEU: 77
; NumVGPRsForWavesPerEU: 25
; Occupancy: 16
; WaveLimiterHint : 1
; COMPUTE_PGM_RSRC2:SCRATCH_EN: 0
; COMPUTE_PGM_RSRC2:USER_SGPR: 6
; COMPUTE_PGM_RSRC2:TRAP_HANDLER: 0
; COMPUTE_PGM_RSRC2:TGID_X_EN: 1
; COMPUTE_PGM_RSRC2:TGID_Y_EN: 1
; COMPUTE_PGM_RSRC2:TGID_Z_EN: 1
; COMPUTE_PGM_RSRC2:TIDIG_COMP_CNT: 0
	.section	.text._ZN2at6native6sbtopk10gatherTopKIN3c108BFloat16EmLi3ELb0EEEvNS_4cuda6detail10TensorInfoIKT_T0_EESA_SA_bSA_SA_NS7_IS8_SA_EESA_NS7_IlSA_EESA_PS8_,"axG",@progbits,_ZN2at6native6sbtopk10gatherTopKIN3c108BFloat16EmLi3ELb0EEEvNS_4cuda6detail10TensorInfoIKT_T0_EESA_SA_bSA_SA_NS7_IS8_SA_EESA_NS7_IlSA_EESA_PS8_,comdat
	.protected	_ZN2at6native6sbtopk10gatherTopKIN3c108BFloat16EmLi3ELb0EEEvNS_4cuda6detail10TensorInfoIKT_T0_EESA_SA_bSA_SA_NS7_IS8_SA_EESA_NS7_IlSA_EESA_PS8_ ; -- Begin function _ZN2at6native6sbtopk10gatherTopKIN3c108BFloat16EmLi3ELb0EEEvNS_4cuda6detail10TensorInfoIKT_T0_EESA_SA_bSA_SA_NS7_IS8_SA_EESA_NS7_IlSA_EESA_PS8_
	.globl	_ZN2at6native6sbtopk10gatherTopKIN3c108BFloat16EmLi3ELb0EEEvNS_4cuda6detail10TensorInfoIKT_T0_EESA_SA_bSA_SA_NS7_IS8_SA_EESA_NS7_IlSA_EESA_PS8_
	.p2align	8
	.type	_ZN2at6native6sbtopk10gatherTopKIN3c108BFloat16EmLi3ELb0EEEvNS_4cuda6detail10TensorInfoIKT_T0_EESA_SA_bSA_SA_NS7_IS8_SA_EESA_NS7_IlSA_EESA_PS8_,@function
_ZN2at6native6sbtopk10gatherTopKIN3c108BFloat16EmLi3ELb0EEEvNS_4cuda6detail10TensorInfoIKT_T0_EESA_SA_bSA_SA_NS7_IS8_SA_EESA_NS7_IlSA_EESA_PS8_: ; @_ZN2at6native6sbtopk10gatherTopKIN3c108BFloat16EmLi3ELb0EEEvNS_4cuda6detail10TensorInfoIKT_T0_EESA_SA_bSA_SA_NS7_IS8_SA_EESA_NS7_IlSA_EESA_PS8_
; %bb.0:
	s_clause 0x1
	s_load_dwordx2 s[18:19], s[4:5], 0x520
	s_load_dwordx4 s[28:31], s[4:5], 0x1b8
	s_add_u32 s16, s4, 0x520
	s_addc_u32 s17, s5, 0
	s_mov_b32 s35, 0
	s_waitcnt lgkmcnt(0)
	s_mul_i32 s0, s19, s8
	s_add_i32 s0, s0, s7
	s_mul_i32 s0, s0, s18
	s_add_i32 s34, s0, s6
	v_cmp_le_u64_e64 s0, s[28:29], s[34:35]
	s_and_b32 vcc_lo, exec_lo, s0
	s_cbranch_vccnz .LBB222_484
; %bb.1:
	s_load_dwordx4 s[8:11], s[4:5], 0x10
	s_mov_b64 s[0:1], 0
	s_mov_b64 s[20:21], 0
	s_waitcnt lgkmcnt(0)
	v_cmp_lt_u64_e64 s2, s[34:35], s[10:11]
	s_and_b32 vcc_lo, exec_lo, s2
	s_cbranch_vccnz .LBB222_3
; %bb.2:
	v_cvt_f32_u32_e32 v1, s10
	s_sub_i32 s2, 0, s10
	s_mov_b32 s21, 0
	v_rcp_iflag_f32_e32 v1, v1
	v_mul_f32_e32 v1, 0x4f7ffffe, v1
	v_cvt_u32_f32_e32 v1, v1
	v_readfirstlane_b32 s1, v1
	s_mul_i32 s2, s2, s1
	s_mul_hi_u32 s2, s1, s2
	s_add_i32 s1, s1, s2
	s_mul_hi_u32 s1, s34, s1
	s_mul_i32 s2, s1, s10
	s_add_i32 s3, s1, 1
	s_sub_i32 s2, s34, s2
	s_sub_i32 s7, s2, s10
	s_cmp_ge_u32 s2, s10
	s_cselect_b32 s1, s3, s1
	s_cselect_b32 s2, s7, s2
	s_add_i32 s3, s1, 1
	s_cmp_ge_u32 s2, s10
	s_cselect_b32 s20, s3, s1
.LBB222_3:
	s_load_dwordx4 s[12:15], s[4:5], 0x1d8
	v_cmp_lt_u64_e64 s1, s[20:21], s[8:9]
	s_and_b32 vcc_lo, exec_lo, s1
	s_cbranch_vccnz .LBB222_5
; %bb.4:
	v_cvt_f32_u32_e32 v1, s8
	s_sub_i32 s1, 0, s8
	v_rcp_iflag_f32_e32 v1, v1
	v_mul_f32_e32 v1, 0x4f7ffffe, v1
	v_cvt_u32_f32_e32 v1, v1
	v_readfirstlane_b32 s0, v1
	s_mul_i32 s1, s1, s0
	s_mul_hi_u32 s1, s0, s1
	s_add_i32 s0, s0, s1
	s_mul_hi_u32 s0, s20, s0
	s_mul_i32 s1, s0, s8
	s_add_i32 s2, s0, 1
	s_sub_i32 s1, s20, s1
	s_sub_i32 s3, s1, s8
	s_cmp_ge_u32 s1, s8
	s_cselect_b32 s0, s2, s0
	s_cselect_b32 s1, s3, s1
	s_add_i32 s2, s0, 1
	s_cmp_ge_u32 s1, s8
	s_cselect_b32 s0, s2, s0
.LBB222_5:
	s_waitcnt lgkmcnt(0)
	v_cmp_lt_u64_e64 s1, s[34:35], s[14:15]
	s_mov_b64 s[22:23], 0
	s_mov_b64 s[56:57], 0
	s_and_b32 vcc_lo, exec_lo, s1
	s_cbranch_vccnz .LBB222_7
; %bb.6:
	v_cvt_f32_u32_e32 v1, s14
	s_sub_i32 s2, 0, s14
	s_mov_b32 s57, 0
	v_rcp_iflag_f32_e32 v1, v1
	v_mul_f32_e32 v1, 0x4f7ffffe, v1
	v_cvt_u32_f32_e32 v1, v1
	v_readfirstlane_b32 s1, v1
	s_mul_i32 s2, s2, s1
	s_mul_hi_u32 s2, s1, s2
	s_add_i32 s1, s1, s2
	s_mul_hi_u32 s1, s34, s1
	s_mul_i32 s2, s1, s14
	s_add_i32 s3, s1, 1
	s_sub_i32 s2, s34, s2
	s_sub_i32 s7, s2, s14
	s_cmp_ge_u32 s2, s14
	s_cselect_b32 s1, s3, s1
	s_cselect_b32 s2, s7, s2
	s_add_i32 s3, s1, 1
	s_cmp_ge_u32 s2, s14
	s_cselect_b32 s56, s3, s1
.LBB222_7:
	s_load_dwordx4 s[44:47], s[4:5], 0x380
	v_cmp_lt_u64_e64 s1, s[56:57], s[12:13]
	s_and_b32 vcc_lo, exec_lo, s1
	s_cbranch_vccnz .LBB222_9
; %bb.8:
	v_cvt_f32_u32_e32 v1, s12
	s_sub_i32 s2, 0, s12
	v_rcp_iflag_f32_e32 v1, v1
	v_mul_f32_e32 v1, 0x4f7ffffe, v1
	v_cvt_u32_f32_e32 v1, v1
	v_readfirstlane_b32 s1, v1
	s_mul_i32 s2, s2, s1
	s_mul_hi_u32 s2, s1, s2
	s_add_i32 s1, s1, s2
	s_mul_hi_u32 s1, s56, s1
	s_mul_i32 s2, s1, s12
	s_add_i32 s3, s1, 1
	s_sub_i32 s2, s56, s2
	s_sub_i32 s7, s2, s12
	s_cmp_ge_u32 s2, s12
	s_cselect_b32 s1, s3, s1
	s_cselect_b32 s2, s7, s2
	s_add_i32 s3, s1, 1
	s_cmp_ge_u32 s2, s12
	s_cselect_b32 s22, s3, s1
.LBB222_9:
                                        ; implicit-def: $vgpr43 : SGPR spill to VGPR lane
	s_waitcnt lgkmcnt(0)
	v_cmp_lt_u64_e64 s1, s[34:35], s[46:47]
	v_writelane_b32 v43, s22, 0
	s_mov_b64 s[26:27], 0
	s_mov_b64 s[64:65], 0
	v_writelane_b32 v43, s23, 1
	s_clause 0x1
	s_load_dwordx2 s[22:23], s[4:5], 0xe0
	s_load_dwordx4 s[12:15], s[4:5], 0xd0
	s_and_b32 vcc_lo, exec_lo, s1
	s_cbranch_vccnz .LBB222_11
; %bb.10:
	v_cvt_f32_u32_e32 v1, s46
	s_sub_i32 s2, 0, s46
	s_mov_b32 s65, 0
	v_rcp_iflag_f32_e32 v1, v1
	v_mul_f32_e32 v1, 0x4f7ffffe, v1
	v_cvt_u32_f32_e32 v1, v1
	v_readfirstlane_b32 s1, v1
	s_mul_i32 s2, s2, s1
	s_mul_hi_u32 s2, s1, s2
	s_add_i32 s1, s1, s2
	s_mul_hi_u32 s1, s34, s1
	s_mul_i32 s2, s1, s46
	s_add_i32 s3, s1, 1
	s_sub_i32 s2, s34, s2
	s_sub_i32 s7, s2, s46
	s_cmp_ge_u32 s2, s46
	s_cselect_b32 s1, s3, s1
	s_cselect_b32 s2, s7, s2
	s_add_i32 s3, s1, 1
	s_cmp_ge_u32 s2, s46
	s_cselect_b32 s64, s3, s1
.LBB222_11:
	s_load_dwordx2 s[24:25], s[4:5], 0x0
	v_cmp_lt_u64_e64 s1, s[64:65], s[44:45]
	s_and_b32 vcc_lo, exec_lo, s1
	s_cbranch_vccnz .LBB222_13
; %bb.12:
	v_cvt_f32_u32_e32 v1, s44
	s_sub_i32 s2, 0, s44
	v_rcp_iflag_f32_e32 v1, v1
	v_mul_f32_e32 v1, 0x4f7ffffe, v1
	v_cvt_u32_f32_e32 v1, v1
	v_readfirstlane_b32 s1, v1
	s_mul_i32 s2, s2, s1
	s_mul_hi_u32 s2, s1, s2
	s_add_i32 s1, s1, s2
	s_mul_hi_u32 s1, s64, s1
	s_mul_i32 s2, s1, s44
	s_add_i32 s3, s1, 1
	s_sub_i32 s2, s64, s2
	s_sub_i32 s7, s2, s44
	s_cmp_ge_u32 s2, s44
	s_cselect_b32 s1, s3, s1
	s_cselect_b32 s2, s7, s2
	s_add_i32 s3, s1, 1
	s_cmp_ge_u32 s2, s44
	s_cselect_b32 s26, s3, s1
.LBB222_13:
	s_clause 0x1
	s_load_dwordx2 s[2:3], s[4:5], 0x370
	s_load_dwordx4 s[36:39], s[4:5], 0x1a0
	v_writelane_b32 v43, s26, 2
	s_mov_b32 s71, 0
	v_writelane_b32 v43, s27, 3
	s_waitcnt lgkmcnt(0)
	v_writelane_b32 v43, s2, 4
	v_writelane_b32 v43, s3, 5
	v_cmp_eq_u32_e64 s3, 0, v0
	s_and_saveexec_b32 s1, s3
	s_cbranch_execz .LBB222_15
; %bb.14:
	v_mov_b32_e32 v1, 0
	v_mov_b32_e32 v3, s36
	;; [unrolled: 1-line block ×4, first 2 shown]
	ds_write_b32 v1, v1 offset:5144
	ds_write_b128 v1, v[1:4] offset:5120
.LBB222_15:
	s_or_b32 exec_lo, exec_lo, s1
	s_mul_i32 s1, s0, s9
	s_mul_hi_u32 s2, s0, s8
	s_mul_i32 s7, s0, s8
	s_add_i32 s2, s2, s1
	s_sub_u32 s7, s20, s7
	s_subb_u32 s2, s21, s2
	s_mul_i32 s1, s7, s15
	s_mul_hi_u32 s8, s7, s14
	s_mul_i32 s2, s2, s14
	s_add_i32 s1, s8, s1
	s_mul_i32 s8, s0, s13
	s_mul_hi_u32 s13, s0, s12
	s_add_i32 s9, s1, s2
	s_add_i32 s1, s13, s8
	s_mul_i32 s2, s20, s11
	s_mul_hi_u32 s8, s20, s10
	s_mul_i32 s10, s20, s10
	s_add_i32 s2, s8, s2
	s_sub_u32 s10, s34, s10
	s_mul_i32 s8, s7, s14
	s_mul_i32 s7, s10, s23
	s_mul_hi_u32 s11, s10, s22
	s_subb_u32 s2, 0, s2
	s_mul_i32 s0, s0, s12
	s_add_i32 s7, s11, s7
	s_mul_i32 s2, s2, s22
	s_lshl_b64 s[0:1], s[0:1], 1
	s_load_dword s13, s[4:5], 0x1b0
	s_add_i32 s11, s7, s2
	v_mad_u64_u32 v[1:2], null, s30, v0, 0
	s_add_u32 s2, s24, s0
	s_addc_u32 s7, s25, s1
	s_lshl_b64 s[0:1], s[8:9], 1
	s_mul_i32 s10, s10, s22
	s_add_u32 s2, s2, s0
	s_addc_u32 s7, s7, s1
	s_lshl_b64 s[0:1], s[10:11], 1
	v_mad_u64_u32 v[2:3], null, s31, v0, v[2:3]
	s_add_u32 s29, s2, s0
	s_addc_u32 s33, s7, s1
	s_waitcnt lgkmcnt(0)
	s_barrier
	buffer_gl0_inv
	s_load_dword s7, s[16:17], 0xc
	v_mbcnt_lo_u32_b32 v24, -1, 0
	v_lshlrev_b64 v[4:5], 1, v[1:2]
	v_cmp_gt_u32_e32 vcc_lo, 32, v0
	v_mov_b32_e32 v3, 0
	v_add_nc_u32_e32 v2, 2, v0
	v_cmp_gt_i32_e64 s2, 4, v24
	s_bitcmp1_b32 s13, 0
	v_lshlrev_b32_e32 v25, 1, v0
	s_cselect_b32 s0, -1, 0
	v_mov_b32_e32 v1, v3
	s_and_b32 s90, vcc_lo, s2
	v_add_co_u32 v12, vcc_lo, s29, v4
	v_add_co_ci_u32_e64 v13, null, s33, v5, vcc_lo
	v_lshlrev_b64 v[4:5], v24, -1
	v_cmp_gt_u64_e32 vcc_lo, s[36:37], v[2:3]
	s_xor_b32 s59, s0, -1
	v_writelane_b32 v43, s0, 6
	s_waitcnt lgkmcnt(0)
	s_and_b32 s35, s7, 0xffff
	v_cmp_lt_u64_e64 s91, 0x600, s[36:37]
	s_bfe_u32 s8, s35, 0x80008
	v_not_b32_e32 v23, v4
	v_cndmask_b32_e64 v2, v2, s36, vcc_lo
	v_not_b32_e32 v4, v0
	s_lshl_b32 s92, s8, 3
	s_bfe_u32 s8, s7, 0xb0005
	v_cndmask_b32_e64 v5, 0, s37, vcc_lo
	s_cmp_gt_u32 s35, 31
	v_add_co_u32 v4, vcc_lo, v2, v4
	s_cselect_b32 s93, -1, 0
	s_add_u32 s94, s35, -1
	s_addc_u32 s95, 0, -1
	s_add_u32 s96, s94, s36
	v_add_co_ci_u32_e64 v5, null, -1, v5, vcc_lo
	s_addc_u32 s73, s95, s37
	s_cmp_lt_u32 s6, s18
	v_and_b32_e32 v16, -2, v4
	s_cselect_b32 s7, 12, 18
	v_cmp_lt_u64_e64 s1, 1, v[4:5]
	s_add_u32 s74, s16, s7
	v_mov_b32_e32 v17, v5
	s_movk_i32 s6, 0x3e0
	s_addc_u32 s75, s17, 0
	s_add_i32 s8, s8, -1
	v_and_or_b32 v27, v0, s6, 0xc00
	s_and_b32 s6, s8, 0xffff
	s_bfe_u32 s98, s35, 0x30005
	v_cmp_gt_u64_e64 s2, s[36:37], v[0:1]
	v_writelane_b32 v43, s1, 7
	s_cmp_gt_u32 s6, 6
	v_cmp_ne_u64_e64 s1, v[4:5], v[16:17]
	v_mov_b32_e32 v19, s38
	v_cmp_eq_u32_e64 s0, 0, v24
	v_lshlrev_b32_e32 v14, 2, v0
	v_mov_b32_e32 v15, v3
	v_cmp_gt_u32_e64 s10, 2, v0
	v_add_nc_u32_e32 v26, 0xc00, v25
	v_add_co_u32 v18, vcc_lo, v16, v0
	v_lshlrev_b32_e32 v29, 3, v0
	v_lshl_or_b32 v30, v24, 3, 0xc00
	v_mov_b32_e32 v20, s39
	v_mov_b32_e32 v31, 0x8000
	v_mov_b32_e32 v32, -1
	v_mov_b32_e32 v34, 0
	v_mov_b32_e32 v28, 0
	;; [unrolled: 1-line block ×3, first 2 shown]
	s_cselect_b32 s104, -1, 0
	s_cmp_lg_u32 s98, 0
	s_mov_b32 s97, s30
	s_mov_b32 s99, s31
	s_cselect_b32 vcc_hi, -1, 0
	s_lshl_b32 s68, s35, 1
	s_mov_b32 s69, 14
	s_movk_i32 s63, 0x3f80
	s_mov_b32 s62, 0
	s_mov_b32 s53, 0
	v_add_co_ci_u32_e64 v2, null, 0, v5, vcc_lo
	v_writelane_b32 v43, s1, 8
                                        ; implicit-def: $sgpr52
                                        ; implicit-def: $sgpr66
                                        ; implicit-def: $sgpr55
                                        ; implicit-def: $sgpr67
                                        ; implicit-def: $sgpr54
                                        ; implicit-def: $sgpr49
                                        ; implicit-def: $sgpr50
                                        ; implicit-def: $sgpr60
                                        ; implicit-def: $sgpr48
                                        ; implicit-def: $sgpr61
	s_branch .LBB222_18
.LBB222_16:                             ;   in Loop: Header=BB222_18 Depth=1
	s_or_b32 exec_lo, exec_lo, s11
	v_mov_b32_e32 v20, v5
	v_mov_b32_e32 v19, v4
	s_andn2_b32 s1, s61, exec_lo
	s_and_b32 s7, s9, exec_lo
	s_andn2_b32 s48, s48, exec_lo
	s_or_b32 s61, s1, s7
	s_andn2_b32 s60, s60, exec_lo
	s_andn2_b32 s50, s50, exec_lo
	;; [unrolled: 1-line block ×3, first 2 shown]
	s_orn2_b32 s8, s8, exec_lo
.LBB222_17:                             ;   in Loop: Header=BB222_18 Depth=1
	s_or_b32 exec_lo, exec_lo, s6
	s_and_b32 s6, exec_lo, s8
	s_or_b32 s62, s6, s62
	s_andn2_b32 s6, s54, exec_lo
	s_and_b32 s8, s61, exec_lo
	s_andn2_b32 s9, s67, exec_lo
	s_or_b32 s54, s6, s8
	s_and_b32 s6, s48, exec_lo
	s_andn2_b32 s8, s55, exec_lo
	s_and_b32 s11, s60, exec_lo
	s_or_b32 s67, s9, s6
	s_or_b32 s55, s8, s11
	s_andn2_b32 s6, s66, exec_lo
	s_and_b32 s8, s50, exec_lo
	s_andn2_b32 s9, s52, exec_lo
	s_and_b32 s11, s49, exec_lo
	s_or_b32 s66, s6, s8
	s_or_b32 s52, s9, s11
	s_andn2_b32 exec_lo, exec_lo, s62
	s_cbranch_execz .LBB222_480
.LBB222_18:                             ; =>This Loop Header: Depth=1
                                        ;     Child Loop BB222_23 Depth 2
                                        ;     Child Loop BB222_37 Depth 2
	;; [unrolled: 1-line block ×25, first 2 shown]
	ds_read_b128 v[4:7], v3 offset:5120
	s_waitcnt lgkmcnt(0)
	v_readfirstlane_b32 s77, v5
	v_readfirstlane_b32 s76, v4
	s_cmp_lg_u64 s[76:77], 0
	s_cbranch_scc1 .LBB222_50
; %bb.19:                               ;   in Loop: Header=BB222_18 Depth=1
	s_and_b32 vcc_lo, exec_lo, s91
	s_cbranch_vccz .LBB222_31
; %bb.20:                               ;   in Loop: Header=BB222_18 Depth=1
	v_cmp_gt_u64_e32 vcc_lo, 0x601, v[6:7]
	s_mov_b32 s8, 0
	s_mov_b32 s6, 0
	s_cbranch_vccz .LBB222_32
; %bb.21:                               ;   in Loop: Header=BB222_18 Depth=1
	global_load_ushort v2, v3, s[74:75]
	global_load_ushort v6, v[12:13], off
	v_mov_b32_e32 v5, v1
	v_mov_b32_e32 v4, v0
	s_mov_b32 s11, 0
	s_waitcnt vmcnt(1)
	v_and_b32_e32 v2, 0xffff, v2
	s_branch .LBB222_23
.LBB222_22:                             ;   in Loop: Header=BB222_23 Depth=2
	s_or_b32 exec_lo, exec_lo, s9
	v_mov_b32_e32 v6, v7
	s_andn2_b32 exec_lo, exec_lo, s11
	s_cbranch_execz .LBB222_104
.LBB222_23:                             ;   Parent Loop BB222_18 Depth=1
                                        ; =>  This Inner Loop Header: Depth=2
	v_add_co_u32 v4, vcc_lo, v4, v2
	v_add_co_ci_u32_e64 v5, null, 0, v5, vcc_lo
	s_waitcnt lgkmcnt(0)
	v_mov_b32_e32 v8, 0
	v_mov_b32_e32 v7, 0
	s_mov_b32 s9, exec_lo
	v_cmp_le_u64_e32 vcc_lo, s[36:37], v[4:5]
	v_cmpx_gt_u64_e64 s[36:37], v[4:5]
	s_cbranch_execz .LBB222_25
; %bb.24:                               ;   in Loop: Header=BB222_23 Depth=2
	v_mul_lo_u32 v7, v5, s30
	v_mul_lo_u32 v11, v4, s31
	v_mad_u64_u32 v[9:10], null, v4, s30, 0
	v_add3_u32 v10, v10, v11, v7
	v_lshlrev_b64 v[9:10], 1, v[9:10]
	v_add_co_u32 v9, s6, s29, v9
	v_add_co_ci_u32_e64 v10, null, s33, v10, s6
	global_load_ushort v7, v[9:10], off
.LBB222_25:                             ;   in Loop: Header=BB222_23 Depth=2
	s_or_b32 exec_lo, exec_lo, s9
	s_waitcnt vmcnt(0)
	v_cmp_lt_i16_e64 s6, -1, v6
	v_lshlrev_b32_e32 v10, 16, v6
	v_cndmask_b32_e64 v9, 0xffff, v31, s6
	v_cmp_o_f32_e64 s6, v10, v10
	v_xor_b32_sdwa v9, v9, v6 dst_sel:DWORD dst_unused:UNUSED_PAD src0_sel:DWORD src1_sel:WORD_0
	v_cndmask_b32_e64 v9, 0xffff, v9, s6
	v_and_b32_e32 v9, v9, v33
	v_cmp_eq_u32_e64 s6, v9, v28
	s_cmp_lg_u32 s6, 0
	s_cselect_b32 s9, -1, 0
	s_and_b32 s9, s0, s9
	s_and_saveexec_b32 s12, s9
	s_cbranch_execz .LBB222_29
; %bb.26:                               ;   in Loop: Header=BB222_23 Depth=2
	s_mov_b32 s15, exec_lo
	s_bcnt1_i32_b32 s13, s6
	v_mbcnt_lo_u32_b32 v8, s15, 0
	s_mov_b32 s14, exec_lo
                                        ; implicit-def: $vgpr9
	v_cmpx_eq_u32_e32 0, v8
; %bb.27:                               ;   in Loop: Header=BB222_23 Depth=2
	s_bcnt1_i32_b32 s9, s15
	s_mul_i32 s9, s13, s9
	v_mov_b32_e32 v9, s9
	ds_add_rtn_u32 v9, v3, v9 offset:5144
; %bb.28:                               ;   in Loop: Header=BB222_23 Depth=2
	s_or_b32 exec_lo, exec_lo, s14
	s_waitcnt lgkmcnt(0)
	v_readfirstlane_b32 s9, v9
	v_mad_u32_u24 v8, s13, v8, s9
.LBB222_29:                             ;   in Loop: Header=BB222_23 Depth=2
	s_or_b32 exec_lo, exec_lo, s12
	ds_bpermute_b32 v8, v3, v8
	s_and_b32 s9, exec_lo, vcc_lo
	s_or_b32 s11, s9, s11
	s_and_saveexec_b32 s9, s6
	s_cbranch_execz .LBB222_22
; %bb.30:                               ;   in Loop: Header=BB222_23 Depth=2
	v_and_b32_e32 v9, s6, v23
	v_bcnt_u32_b32 v9, v9, 0
	v_lshlrev_b32_e32 v9, 1, v9
	s_waitcnt lgkmcnt(0)
	v_lshl_add_u32 v8, v8, 1, v9
	ds_write_b16 v8, v6
	s_branch .LBB222_22
.LBB222_31:                             ;   in Loop: Header=BB222_18 Depth=1
	s_mov_b32 s8, -1
	s_mov_b32 s6, 0
.LBB222_32:                             ;   in Loop: Header=BB222_18 Depth=1
	s_and_b32 vcc_lo, exec_lo, s8
	s_cbranch_vccz .LBB222_48
.LBB222_33:                             ;   in Loop: Header=BB222_18 Depth=1
	s_and_saveexec_b32 s8, s2
	s_cbranch_execz .LBB222_45
; %bb.34:                               ;   in Loop: Header=BB222_18 Depth=1
	global_load_ushort v4, v3, s[74:75]
	global_load_ushort v10, v[12:13], off
	v_mov_b32_e32 v8, v0
	s_mov_b32 s9, exec_lo
	s_waitcnt vmcnt(1)
	v_add_nc_u32_sdwa v2, v4, v0 dst_sel:DWORD dst_unused:UNUSED_PAD src0_sel:WORD_0 src1_sel:DWORD
	v_readfirstlane_b32 s6, v4
	v_cmpx_gt_u64_e64 s[36:37], v[2:3]
	s_cbranch_execz .LBB222_44
; %bb.35:                               ;   in Loop: Header=BB222_18 Depth=1
	s_and_b32 s11, s6, 0xffff
	v_readlane_b32 s1, v43, 7
	v_mov_b32_e32 v5, v1
	s_cmp_eq_u32 s11, 1
	v_mov_b32_e32 v7, v3
	v_mov_b32_e32 v4, v0
	;; [unrolled: 1-line block ×3, first 2 shown]
	s_cselect_b32 s6, -1, 0
                                        ; implicit-def: $vgpr8_vgpr9
	s_and_b32 s13, s1, s6
	s_mov_b32 s6, -1
	s_and_saveexec_b32 s12, s13
	s_cbranch_execz .LBB222_39
; %bb.36:                               ;   in Loop: Header=BB222_18 Depth=1
	v_add_co_u32 v4, s6, v2, 1
	v_add_co_ci_u32_e64 v5, null, 0, 0, s6
	v_mov_b32_e32 v8, v16
	s_waitcnt vmcnt(0)
	v_lshlrev_b32_e32 v21, 16, v10
	v_mov_b32_e32 v9, v17
	v_mov_b32_e32 v7, v5
	;; [unrolled: 1-line block ×6, first 2 shown]
	s_mov_b32 s13, 0
.LBB222_37:                             ;   Parent Loop BB222_18 Depth=1
                                        ; =>  This Inner Loop Header: Depth=2
	v_mul_lo_u32 v10, v5, s97
	v_mul_lo_u32 v22, v4, s99
	v_mad_u64_u32 v[35:36], null, v4, s97, 0
	v_mul_lo_u32 v39, v7, s30
	v_mul_lo_u32 v40, v6, s31
	v_mad_u64_u32 v[37:38], null, v6, s30, 0
	v_add3_u32 v36, v36, v22, v10
	v_add3_u32 v38, v38, v40, v39
	v_lshlrev_b64 v[35:36], 1, v[35:36]
	v_lshlrev_b64 v[37:38], 1, v[37:38]
	v_add_co_u32 v35, vcc_lo, s29, v35
	v_add_co_ci_u32_e64 v36, null, s33, v36, vcc_lo
	v_add_co_u32 v37, vcc_lo, s29, v37
	v_add_co_ci_u32_e64 v38, null, s33, v38, vcc_lo
	s_clause 0x1
	global_load_ushort v22, v[35:36], off
	global_load_ushort v10, v[37:38], off
	v_add_co_u32 v8, vcc_lo, v8, -2
	v_add_co_ci_u32_e64 v9, null, -1, v9, vcc_lo
	v_add_co_u32 v6, vcc_lo, v6, 2
	v_add_co_ci_u32_e64 v7, null, 0, v7, vcc_lo
	v_cmp_eq_u64_e64 s6, 0, v[8:9]
	v_add_co_u32 v4, vcc_lo, v4, 2
	v_add_co_ci_u32_e64 v5, null, 0, v5, vcc_lo
	s_or_b32 s13, s6, s13
	s_waitcnt vmcnt(1)
	v_alignbit_b32 v21, v22, v21, 16
	s_waitcnt vmcnt(0)
	v_perm_b32 v22, v10, v22, 0x5040100
	ds_write_b32 v11, v21
	v_add_nc_u32_e32 v11, 4, v11
	v_mov_b32_e32 v21, v22
	s_andn2_b32 exec_lo, exec_lo, s13
	s_cbranch_execnz .LBB222_37
; %bb.38:                               ;   in Loop: Header=BB222_18 Depth=1
	s_or_b32 exec_lo, exec_lo, s13
	v_add_co_u32 v6, vcc_lo, v2, v16
	v_readlane_b32 s1, v43, 8
	v_add_co_ci_u32_e64 v7, null, 0, v17, vcc_lo
	v_add_co_u32 v8, vcc_lo, v6, -1
	v_mov_b32_e32 v4, v18
	s_orn2_b32 s6, s1, exec_lo
	v_add_co_ci_u32_e64 v2, null, -1, v7, vcc_lo
	v_mov_b32_e32 v5, v19
.LBB222_39:                             ;   in Loop: Header=BB222_18 Depth=1
	s_or_b32 exec_lo, exec_lo, s12
	s_and_saveexec_b32 s12, s6
	s_cbranch_execz .LBB222_43
; %bb.40:                               ;   in Loop: Header=BB222_18 Depth=1
	s_sub_u32 s13, 0, s11
	s_subb_u32 s15, 0, 0
	s_mov_b32 s14, 0
	s_inst_prefetch 0x1
	.p2align	6
.LBB222_41:                             ;   Parent Loop BB222_18 Depth=1
                                        ; =>  This Inner Loop Header: Depth=2
	v_mov_b32_e32 v9, v7
	v_mov_b32_e32 v8, v6
	v_lshlrev_b32_e32 v11, 1, v4
	v_mul_lo_u32 v2, v9, s30
	v_mul_lo_u32 v7, v8, s31
	v_mad_u64_u32 v[5:6], null, v8, s30, 0
	v_add3_u32 v6, v6, v7, v2
	s_waitcnt vmcnt(0)
	v_mov_b32_e32 v2, v10
	v_lshlrev_b64 v[5:6], 1, v[5:6]
	ds_write_b16 v11, v2
	v_add_co_u32 v5, vcc_lo, s29, v5
	v_add_co_ci_u32_e64 v6, null, s33, v6, vcc_lo
	global_load_ushort v10, v[5:6], off
	v_add_co_u32 v6, vcc_lo, v8, s11
	v_add_co_ci_u32_e64 v7, null, 0, v9, vcc_lo
	v_mov_b32_e32 v4, v8
	v_mov_b32_e32 v5, v9
	v_add_co_u32 v8, s6, s13, v6
	v_cmp_le_u64_e32 vcc_lo, s[36:37], v[6:7]
	v_add_co_ci_u32_e64 v5, null, s15, v7, s6
	s_or_b32 s14, vcc_lo, s14
	s_andn2_b32 exec_lo, exec_lo, s14
	s_cbranch_execnz .LBB222_41
; %bb.42:                               ;   in Loop: Header=BB222_18 Depth=1
	s_inst_prefetch 0x2
	s_or_b32 exec_lo, exec_lo, s14
.LBB222_43:                             ;   in Loop: Header=BB222_18 Depth=1
	s_or_b32 exec_lo, exec_lo, s12
.LBB222_44:                             ;   in Loop: Header=BB222_18 Depth=1
	s_or_b32 exec_lo, exec_lo, s9
	v_lshlrev_b32_e32 v2, 1, v8
	s_waitcnt vmcnt(0)
	ds_write_b16 v2, v10
.LBB222_45:                             ;   in Loop: Header=BB222_18 Depth=1
	s_or_b32 exec_lo, exec_lo, s8
	s_waitcnt lgkmcnt(0)
	s_barrier
	buffer_gl0_inv
	s_and_saveexec_b32 s6, s3
; %bb.46:                               ;   in Loop: Header=BB222_18 Depth=1
	v_mov_b32_e32 v4, s36
	v_mov_b32_e32 v5, s37
	ds_write_b64 v3, v[4:5] offset:5120
; %bb.47:                               ;   in Loop: Header=BB222_18 Depth=1
	s_or_b32 exec_lo, exec_lo, s6
	s_mov_b32 s6, -1
	s_waitcnt lgkmcnt(0)
	s_barrier
.LBB222_48:                             ;   in Loop: Header=BB222_18 Depth=1
	s_and_b32 vcc_lo, exec_lo, s6
	s_mov_b64 s[76:77], 0
	s_cbranch_vccz .LBB222_50
; %bb.49:                               ;   in Loop: Header=BB222_18 Depth=1
	buffer_gl0_inv
	ds_read_b64 v[4:5], v3 offset:5120
	s_waitcnt lgkmcnt(0)
	v_readfirstlane_b32 s76, v4
.LBB222_50:                             ;   in Loop: Header=BB222_18 Depth=1
	s_cmp_lt_i32 s76, 1
	s_mov_b32 s6, -1
                                        ; implicit-def: $vgpr4_vgpr5
                                        ; implicit-def: $vgpr8_vgpr9
	s_cbranch_scc1 .LBB222_60
; %bb.51:                               ;   in Loop: Header=BB222_18 Depth=1
	s_and_b32 vcc_lo, exec_lo, s6
	s_cbranch_vccnz .LBB222_74
.LBB222_52:                             ;   in Loop: Header=BB222_18 Depth=1
	s_lshl_b32 s6, s53, 7
	s_and_saveexec_b32 s8, s0
	s_cbranch_execz .LBB222_54
.LBB222_53:                             ;   in Loop: Header=BB222_18 Depth=1
	v_lshl_add_u32 v2, s6, 3, v27
	ds_write_b128 v2, v[4:7]
	ds_write_b128 v2, v[8:11] offset:16
.LBB222_54:                             ;   in Loop: Header=BB222_18 Depth=1
	s_or_b32 exec_lo, exec_lo, s8
	s_waitcnt lgkmcnt(0)
	s_barrier
	buffer_gl0_inv
	s_and_saveexec_b32 s8, s90
	s_cbranch_execz .LBB222_88
; %bb.55:                               ;   in Loop: Header=BB222_18 Depth=1
	v_mov_b32_e32 v4, 0
	v_mov_b32_e32 v5, 0
	s_andn2_b32 vcc_lo, exec_lo, s93
	s_cbranch_vccnz .LBB222_87
; %bb.56:                               ;   in Loop: Header=BB222_18 Depth=1
	v_mov_b32_e32 v4, 0
	v_mov_b32_e32 v5, 0
	s_andn2_b32 vcc_lo, exec_lo, s104
	s_cbranch_vccnz .LBB222_84
; %bb.57:                               ;   in Loop: Header=BB222_18 Depth=1
	v_lshl_add_u32 v2, s53, 10, v30
	s_mov_b32 s9, 0
	s_inst_prefetch 0x1
	.p2align	6
.LBB222_58:                             ;   Parent Loop BB222_18 Depth=1
                                        ; =>  This Inner Loop Header: Depth=2
	ds_read2_b64 v[6:9], v2 offset1:4
	ds_read2_b64 v[35:38], v2 offset0:8 offset1:12
	ds_read2_b64 v[39:42], v2 offset0:16 offset1:20
	s_add_i32 s9, s9, 8
	s_cmp_eq_u32 s92, s9
	s_waitcnt lgkmcnt(2)
	v_add_co_u32 v4, vcc_lo, v6, v4
	v_add_co_ci_u32_e64 v5, null, v7, v5, vcc_lo
	v_add_co_u32 v8, vcc_lo, v8, v4
	v_add_co_ci_u32_e64 v9, null, v9, v5, vcc_lo
	ds_read2_b64 v[4:7], v2 offset0:24 offset1:28
	s_waitcnt lgkmcnt(2)
	v_add_co_u32 v8, vcc_lo, v35, v8
	v_add_co_ci_u32_e64 v9, null, v36, v9, vcc_lo
	v_add_nc_u32_e32 v2, 0x100, v2
	v_add_co_u32 v8, vcc_lo, v37, v8
	v_add_co_ci_u32_e64 v9, null, v38, v9, vcc_lo
	s_waitcnt lgkmcnt(1)
	v_add_co_u32 v8, vcc_lo, v39, v8
	v_add_co_ci_u32_e64 v9, null, v40, v9, vcc_lo
	v_add_co_u32 v8, vcc_lo, v41, v8
	v_add_co_ci_u32_e64 v9, null, v42, v9, vcc_lo
	s_waitcnt lgkmcnt(0)
	v_add_co_u32 v4, vcc_lo, v4, v8
	v_add_co_ci_u32_e64 v5, null, v5, v9, vcc_lo
	v_add_co_u32 v4, vcc_lo, v6, v4
	v_add_co_ci_u32_e64 v5, null, v7, v5, vcc_lo
	s_cbranch_scc0 .LBB222_58
; %bb.59:                               ;   in Loop: Header=BB222_18 Depth=1
	s_inst_prefetch 0x2
	s_mov_b32 s9, s92
	s_andn2_b32 vcc_lo, exec_lo, vcc_hi
	s_cbranch_vccz .LBB222_85
	s_branch .LBB222_87
.LBB222_60:                             ;   in Loop: Header=BB222_18 Depth=1
	global_load_ushort v2, v3, s[74:75]
	s_mov_b32 s8, s71
	s_mov_b32 s9, s37
	s_waitcnt vmcnt(0)
	v_readfirstlane_b32 s6, v2
	s_and_b32 s6, 0xffff, s6
	s_lshl_b32 s51, s6, 2
	s_cmp_lg_u64 s[8:9], 0
	s_cbranch_scc0 .LBB222_83
; %bb.61:                               ;   in Loop: Header=BB222_18 Depth=1
	v_cvt_f32_u32_e32 v4, s51
	s_sub_u32 s9, 0, s51
	s_subb_u32 s11, 0, 0
	v_fmac_f32_e64 v4, 0x4f800000, 0
	v_rcp_f32_e32 v4, v4
	v_mul_f32_e32 v4, 0x5f7ffffc, v4
	v_mul_f32_e32 v5, 0x2f800000, v4
	v_trunc_f32_e32 v5, v5
	v_fmac_f32_e32 v4, 0xcf800000, v5
	v_cvt_u32_f32_e32 v5, v5
	v_cvt_u32_f32_e32 v4, v4
	v_readfirstlane_b32 s6, v5
	v_readfirstlane_b32 s8, v4
	s_mul_i32 s12, s9, s6
	s_mul_hi_u32 s14, s9, s8
	s_mul_i32 s13, s11, s8
	s_add_i32 s12, s14, s12
	s_mul_i32 s15, s9, s8
	s_add_i32 s12, s12, s13
	s_mul_hi_u32 s14, s8, s15
	s_mul_i32 s17, s8, s12
	s_mul_hi_u32 s16, s6, s15
	s_mul_i32 s13, s6, s15
	s_mul_hi_u32 s15, s8, s12
	s_add_u32 s14, s14, s17
	s_addc_u32 s15, 0, s15
	s_mul_hi_u32 s18, s6, s12
	s_add_u32 s13, s14, s13
	s_mul_i32 s12, s6, s12
	s_addc_u32 s13, s15, s16
	s_addc_u32 s14, s18, 0
	s_add_u32 s12, s13, s12
	s_addc_u32 s13, 0, s14
	s_add_u32 s8, s8, s12
	s_cselect_b32 s12, -1, 0
	s_mul_hi_u32 s14, s9, s8
	s_cmp_lg_u32 s12, 0
	s_mul_i32 s12, s9, s8
	s_addc_u32 s6, s6, s13
	s_mul_i32 s11, s11, s8
	s_mul_i32 s9, s9, s6
	s_mul_hi_u32 s13, s8, s12
	s_add_i32 s9, s14, s9
	s_mul_hi_u32 s14, s6, s12
	s_add_i32 s9, s9, s11
	s_mul_i32 s11, s6, s12
	s_mul_i32 s16, s8, s9
	s_mul_hi_u32 s15, s8, s9
	s_add_u32 s13, s13, s16
	s_addc_u32 s15, 0, s15
	s_mul_hi_u32 s12, s6, s9
	s_add_u32 s11, s13, s11
	s_mul_i32 s9, s6, s9
	s_addc_u32 s11, s15, s14
	s_addc_u32 s12, s12, 0
	s_add_u32 s9, s11, s9
	s_addc_u32 s11, 0, s12
	s_add_u32 s8, s8, s9
	s_cselect_b32 s9, -1, 0
	s_mul_hi_u32 s12, s36, s8
	s_cmp_lg_u32 s9, 0
	s_mul_hi_u32 s9, s37, s8
	s_addc_u32 s6, s6, s11
	s_mul_i32 s8, s37, s8
	s_mul_i32 s13, s36, s6
	s_mul_hi_u32 s11, s36, s6
	s_add_u32 s12, s12, s13
	s_addc_u32 s11, 0, s11
	s_mul_hi_u32 s14, s37, s6
	s_add_u32 s8, s12, s8
	s_mul_i32 s6, s37, s6
	s_addc_u32 s8, s11, s9
	s_addc_u32 s9, s14, 0
	s_add_u32 s6, s8, s6
	s_addc_u32 s8, 0, s9
	s_mul_hi_u32 s9, s51, s6
	s_mul_i32 s8, s51, s8
	s_mul_i32 s6, s51, s6
	s_add_i32 s9, s9, s8
	s_sub_u32 s6, s36, s6
	s_cselect_b32 s8, -1, 0
	s_cmp_lg_u32 s8, 0
	s_subb_u32 s8, s37, s9
	s_sub_u32 s9, s6, s51
	s_cselect_b32 s11, -1, 0
	s_cmp_lg_u32 s11, 0
	s_subb_u32 s11, s8, 0
	;; [unrolled: 4-line block ×3, first 2 shown]
	s_cmp_ge_u32 s9, s51
	s_cselect_b32 s14, -1, 0
	s_cmp_eq_u32 s11, 0
	s_cselect_b32 s14, s14, -1
	s_cmp_lg_u32 s14, 0
	s_cselect_b32 s11, s13, s11
	s_cselect_b32 s9, s12, s9
	s_cmp_ge_u32 s6, s51
	s_cselect_b32 s12, -1, 0
	s_cmp_eq_u32 s8, 0
	s_cselect_b32 s12, s12, -1
	s_cmp_lg_u32 s12, 0
	s_cselect_b32 s13, s11, s8
	s_cselect_b32 s12, s9, s6
	s_cbranch_execnz .LBB222_63
.LBB222_62:                             ;   in Loop: Header=BB222_18 Depth=1
	v_cvt_f32_u32_e32 v4, s51
	s_sub_i32 s8, 0, s51
	v_rcp_iflag_f32_e32 v4, v4
	v_mul_f32_e32 v4, 0x4f7ffffe, v4
	v_cvt_u32_f32_e32 v4, v4
	v_readfirstlane_b32 s6, v4
	s_mul_i32 s8, s8, s6
	s_mul_hi_u32 s8, s6, s8
	s_add_i32 s6, s6, s8
	s_mul_hi_u32 s6, s36, s6
	s_mul_i32 s6, s6, s51
	s_sub_i32 s6, s36, s6
	s_sub_i32 s8, s6, s51
	s_cmp_ge_u32 s6, s51
	s_cselect_b32 s6, s8, s6
	s_sub_i32 s8, s6, s51
	s_cmp_ge_u32 s6, s51
	s_cselect_b32 s70, s8, s6
	s_mov_b64 s[12:13], s[70:71]
.LBB222_63:                             ;   in Loop: Header=BB222_18 Depth=1
	v_mov_b32_e32 v4, 0
	v_mov_b32_e32 v6, 0
	;; [unrolled: 1-line block ×8, first 2 shown]
	s_sub_u32 s78, s36, s12
	s_subb_u32 s79, s37, s13
	s_mov_b32 s8, exec_lo
	v_cmpx_gt_u64_e64 s[78:79], v[14:15]
	s_cbranch_execz .LBB222_67
; %bb.64:                               ;   in Loop: Header=BB222_18 Depth=1
	v_mov_b32_e32 v22, v15
	v_mov_b32_e32 v21, v14
	s_mov_b64 s[80:81], 0
	s_mov_b32 s70, 0
	s_mov_b64 s[82:83], 0
	s_mov_b64 s[84:85], 0
	s_mov_b64 s[86:87], 0
.LBB222_65:                             ;   Parent Loop BB222_18 Depth=1
                                        ; =>  This Inner Loop Header: Depth=2
	v_mul_lo_u32 v6, v22, s30
	v_mul_lo_u32 v7, v21, s31
	v_mad_u64_u32 v[4:5], null, v21, s30, 0
	s_lshl_b64 s[12:13], s[30:31], 1
	v_add3_u32 v5, v5, v7, v6
	v_lshlrev_b64 v[4:5], 1, v[4:5]
	v_add_co_u32 v4, vcc_lo, s29, v4
	v_add_co_ci_u32_e64 v5, null, s33, v5, vcc_lo
	v_add_co_u32 v6, vcc_lo, v4, s12
	v_add_co_ci_u32_e64 v7, null, s13, v5, vcc_lo
	s_clause 0x1
	global_load_ushort v8, v[4:5], off
	global_load_ushort v9, v[6:7], off
	v_add_co_u32 v4, vcc_lo, v6, s12
	v_add_co_ci_u32_e64 v5, null, s13, v7, vcc_lo
	v_add_co_u32 v6, vcc_lo, v4, s12
	v_add_co_ci_u32_e64 v7, null, s13, v5, vcc_lo
	s_clause 0x1
	global_load_ushort v4, v[4:5], off
	global_load_ushort v5, v[6:7], off
	s_waitcnt vmcnt(3)
	v_lshlrev_b32_e32 v6, 16, v8
	v_cmp_lt_i16_e64 s6, -1, v8
	s_waitcnt vmcnt(2)
	v_lshlrev_b32_e32 v7, 16, v9
	v_cmp_lt_i16_e64 s9, -1, v9
	v_cmp_o_f32_e32 vcc_lo, v6, v6
	v_cndmask_b32_e64 v6, 0xffff, v31, s6
	v_cmp_o_f32_e64 s6, v7, v7
	v_cndmask_b32_e64 v7, 0xffff, v31, s9
	v_xor_b32_sdwa v6, v6, v8 dst_sel:DWORD dst_unused:UNUSED_PAD src0_sel:DWORD src1_sel:WORD_0
	s_waitcnt vmcnt(1)
	v_lshlrev_b32_e32 v8, 16, v4
	v_cmp_lt_i16_e64 s11, -1, v4
	s_waitcnt vmcnt(0)
	v_cmp_lt_i16_e64 s12, -1, v5
	v_cndmask_b32_e32 v6, 0xffff, v6, vcc_lo
	v_xor_b32_sdwa v7, v7, v9 dst_sel:DWORD dst_unused:UNUSED_PAD src0_sel:DWORD src1_sel:WORD_0
	v_cmp_o_f32_e64 s9, v8, v8
	v_cndmask_b32_e64 v8, 0xffff, v31, s11
	v_xor_b32_sdwa v4, v8, v4 dst_sel:DWORD dst_unused:UNUSED_PAD src0_sel:DWORD src1_sel:WORD_0
	v_lshlrev_b32_e32 v8, 16, v5
	v_cndmask_b32_e64 v4, 0xffff, v4, s9
	v_cmp_o_f32_e64 s11, v8, v8
	v_cndmask_b32_e64 v8, 0xffff, v31, s12
	v_xor_b32_sdwa v5, v8, v5 dst_sel:DWORD dst_unused:UNUSED_PAD src0_sel:DWORD src1_sel:WORD_0
	v_and_b32_e32 v8, v6, v33
	v_bfe_u32 v6, v6, s69, 2
	v_cmp_eq_u32_e32 vcc_lo, v8, v28
	v_cmp_eq_u32_e64 s12, 0, v6
	v_cmp_eq_u32_e64 s13, 1, v6
	v_cmp_eq_u32_e64 s14, 2, v6
	v_cmp_eq_u32_e64 s15, 3, v6
	v_cndmask_b32_e64 v6, 0xffff, v7, s6
	s_and_b32 s12, vcc_lo, s12
	v_and_b32_e32 v7, v6, v33
	v_bfe_u32 v6, v6, s69, 2
	v_cmp_eq_u32_e64 s6, v7, v28
	v_cmp_eq_u32_e64 s16, 0, v6
	;; [unrolled: 1-line block ×5, first 2 shown]
	v_and_b32_e32 v6, v4, v33
	v_bfe_u32 v4, v4, s69, 2
	s_and_b32 s16, s6, s16
	v_cmp_eq_u32_e64 s9, v6, v28
	v_cmp_eq_u32_e64 s20, 0, v4
	v_cmp_eq_u32_e64 s21, 1, v4
	v_cmp_eq_u32_e64 s22, 2, v4
	v_cmp_eq_u32_e64 s23, 3, v4
	v_cndmask_b32_e64 v4, 0, 1, s12
	s_and_b32 s20, s9, s20
	v_cmp_ne_u32_e64 s12, 0, v4
	v_cndmask_b32_e64 v4, 0xffff, v5, s11
	s_bcnt1_i32_b32 s12, s12
	v_and_b32_e32 v5, v4, v33
	v_bfe_u32 v4, v4, s69, 2
	v_cmp_eq_u32_e64 s11, v5, v28
	v_cmp_eq_u32_e64 s24, 0, v4
	;; [unrolled: 1-line block ×5, first 2 shown]
	v_cndmask_b32_e64 v4, 0, 1, s16
	s_and_b32 s24, s11, s24
	v_cmp_ne_u32_e64 s16, 0, v4
	v_cndmask_b32_e64 v4, 0, 1, s20
	s_bcnt1_i32_b32 s16, s16
	v_cmp_ne_u32_e64 s20, 0, v4
	v_cndmask_b32_e64 v4, 0, 1, s24
	s_add_i32 s12, s16, s12
	s_bcnt1_i32_b32 s16, s20
	v_cmp_ne_u32_e64 s24, 0, v4
	s_add_i32 s12, s12, s16
	s_bcnt1_i32_b32 s16, s24
	s_add_i32 s12, s12, s16
	s_add_u32 s86, s86, s12
	s_addc_u32 s87, s87, 0
	s_and_b32 s12, vcc_lo, s13
	s_and_b32 s13, s6, s17
	v_cndmask_b32_e64 v4, 0, 1, s12
	s_and_b32 s16, s9, s21
	s_and_b32 s17, s11, s25
	v_cmp_ne_u32_e64 s12, 0, v4
	v_cndmask_b32_e64 v4, 0, 1, s13
	s_bcnt1_i32_b32 s12, s12
	v_cmp_ne_u32_e64 s13, 0, v4
	v_cndmask_b32_e64 v4, 0, 1, s16
	s_bcnt1_i32_b32 s13, s13
	v_cmp_ne_u32_e64 s16, 0, v4
	v_cndmask_b32_e64 v4, 0, 1, s17
	s_add_i32 s12, s13, s12
	s_bcnt1_i32_b32 s16, s16
	v_cmp_ne_u32_e64 s17, 0, v4
	s_add_i32 s12, s12, s16
	s_bcnt1_i32_b32 s17, s17
	s_add_i32 s12, s12, s17
	s_add_u32 s84, s84, s12
	s_addc_u32 s85, s85, 0
	s_and_b32 s12, vcc_lo, s14
	s_and_b32 s13, s6, s18
	v_cndmask_b32_e64 v4, 0, 1, s12
	s_and_b32 s14, s9, s22
	s_and_b32 s16, s11, s26
	v_mov_b32_e32 v6, s84
	v_mov_b32_e32 v7, s85
	v_cmp_ne_u32_e64 s12, 0, v4
	v_cndmask_b32_e64 v4, 0, 1, s13
	s_bcnt1_i32_b32 s12, s12
	v_cmp_ne_u32_e64 s13, 0, v4
	v_cndmask_b32_e64 v4, 0, 1, s14
	s_bcnt1_i32_b32 s13, s13
	v_cmp_ne_u32_e64 s14, 0, v4
	v_cndmask_b32_e64 v4, 0, 1, s16
	s_add_i32 s12, s13, s12
	s_bcnt1_i32_b32 s14, s14
	v_cmp_ne_u32_e64 s16, 0, v4
	s_add_i32 s12, s12, s14
	s_bcnt1_i32_b32 s16, s16
	s_add_i32 s12, s12, s16
	s_add_u32 s82, s82, s12
	s_addc_u32 s83, s83, 0
	s_and_b32 s12, vcc_lo, s15
	s_and_b32 s6, s6, s19
	v_cndmask_b32_e64 v4, 0, 1, s12
	s_and_b32 s9, s9, s23
	s_and_b32 s11, s11, s27
	v_add_co_u32 v21, s12, v21, s51
	v_cmp_ne_u32_e32 vcc_lo, 0, v4
	v_cndmask_b32_e64 v4, 0, 1, s6
	v_add_co_ci_u32_e64 v22, null, 0, v22, s12
	v_mov_b32_e32 v8, s82
	s_bcnt1_i32_b32 s13, vcc_lo
	v_cmp_ne_u32_e64 s6, 0, v4
	v_cndmask_b32_e64 v4, 0, 1, s9
	v_cmp_le_u64_e64 s12, s[78:79], v[21:22]
	v_mov_b32_e32 v9, s83
	s_bcnt1_i32_b32 s6, s6
	v_cmp_ne_u32_e64 s9, 0, v4
	v_cndmask_b32_e64 v4, 0, 1, s11
	s_add_i32 s6, s6, s13
	s_bcnt1_i32_b32 s9, s9
	v_cmp_ne_u32_e64 s11, 0, v4
	s_add_i32 s6, s6, s9
	v_mov_b32_e32 v4, s86
	v_mov_b32_e32 v5, s87
	s_bcnt1_i32_b32 s11, s11
	s_add_i32 s6, s6, s11
	s_add_u32 s80, s80, s6
	s_addc_u32 s81, s81, 0
	v_mov_b32_e32 v10, s80
	v_mov_b32_e32 v11, s81
	s_or_b32 s70, s12, s70
	s_andn2_b32 exec_lo, exec_lo, s70
	s_cbranch_execnz .LBB222_65
; %bb.66:                               ;   in Loop: Header=BB222_18 Depth=1
	s_or_b32 exec_lo, exec_lo, s70
.LBB222_67:                             ;   in Loop: Header=BB222_18 Depth=1
	s_or_b32 exec_lo, exec_lo, s8
	v_add_co_u32 v21, s6, s78, v0
	v_and_b32_e32 v2, 0xffff, v2
	v_add_co_ci_u32_e64 v22, null, s79, 0, s6
	s_mov_b32 s8, exec_lo
	v_cmpx_gt_u64_e64 s[36:37], v[21:22]
	s_cbranch_execz .LBB222_73
; %bb.68:                               ;   in Loop: Header=BB222_18 Depth=1
	v_mul_lo_u32 v37, v22, s30
	v_mul_lo_u32 v38, v21, s31
	v_mad_u64_u32 v[35:36], null, v21, s30, 0
	s_mov_b32 s13, 0
	v_add3_u32 v36, v36, v38, v37
	v_lshlrev_b64 v[35:36], 1, v[35:36]
	v_add_co_u32 v35, vcc_lo, s29, v35
	v_add_co_ci_u32_e64 v36, null, s33, v36, vcc_lo
	global_load_ushort v36, v[35:36], off
	s_branch .LBB222_70
.LBB222_69:                             ;   in Loop: Header=BB222_70 Depth=2
	s_or_b32 exec_lo, exec_lo, s9
	s_waitcnt vmcnt(0)
	v_cmp_lt_i16_e64 s6, -1, v36
	v_lshlrev_b32_e32 v38, 16, v36
	s_and_b32 s9, exec_lo, vcc_lo
	s_or_b32 s13, s9, s13
	v_cndmask_b32_e64 v37, 0xffff, v31, s6
	v_cmp_o_f32_e64 s6, v38, v38
	v_xor_b32_sdwa v36, v37, v36 dst_sel:DWORD dst_unused:UNUSED_PAD src0_sel:DWORD src1_sel:WORD_0
	v_cndmask_b32_e64 v36, 0xffff, v36, s6
	v_and_b32_e32 v37, v36, v33
	v_bfe_u32 v36, v36, s69, 2
	v_cmp_eq_u32_e32 vcc_lo, v37, v28
	v_cmp_eq_u32_e64 s6, 0, v36
	v_cmp_eq_u32_e64 s9, 1, v36
	;; [unrolled: 1-line block ×4, first 2 shown]
	s_and_b32 s6, vcc_lo, s6
	v_cndmask_b32_e64 v36, 0, 1, s6
	s_and_b32 s6, vcc_lo, s9
	v_cndmask_b32_e64 v37, 0, 1, s6
	;; [unrolled: 2-line block ×3, first 2 shown]
	s_and_b32 s6, vcc_lo, s12
	v_cmp_ne_u32_e32 vcc_lo, 0, v36
	v_cndmask_b32_e64 v39, 0, 1, s6
	v_cmp_ne_u32_e64 s6, 0, v37
	v_cmp_ne_u32_e64 s9, 0, v38
	v_mov_b32_e32 v36, v35
	s_bcnt1_i32_b32 s12, vcc_lo
	v_cmp_ne_u32_e64 s11, 0, v39
	s_bcnt1_i32_b32 s6, s6
	v_add_co_u32 v4, vcc_lo, v4, s12
	s_bcnt1_i32_b32 s9, s9
	v_add_co_ci_u32_e64 v5, null, 0, v5, vcc_lo
	v_add_co_u32 v6, vcc_lo, v6, s6
	v_add_co_ci_u32_e64 v7, null, 0, v7, vcc_lo
	v_add_co_u32 v8, vcc_lo, v8, s9
	s_bcnt1_i32_b32 s6, s11
	v_add_co_ci_u32_e64 v9, null, 0, v9, vcc_lo
	v_add_co_u32 v10, vcc_lo, v10, s6
	v_add_co_ci_u32_e64 v11, null, 0, v11, vcc_lo
	s_andn2_b32 exec_lo, exec_lo, s13
	s_cbranch_execz .LBB222_72
.LBB222_70:                             ;   Parent Loop BB222_18 Depth=1
                                        ; =>  This Inner Loop Header: Depth=2
	v_add_co_u32 v21, vcc_lo, v21, v2
	v_add_co_ci_u32_e64 v22, null, 0, v22, vcc_lo
	v_mov_b32_e32 v35, 0
	s_mov_b32 s9, exec_lo
	v_cmp_le_u64_e32 vcc_lo, s[36:37], v[21:22]
	v_cmpx_gt_u64_e64 s[36:37], v[21:22]
	s_cbranch_execz .LBB222_69
; %bb.71:                               ;   in Loop: Header=BB222_70 Depth=2
	v_mul_lo_u32 v35, v22, s30
	v_mul_lo_u32 v39, v21, s31
	v_mad_u64_u32 v[37:38], null, v21, s30, 0
	v_add3_u32 v38, v38, v39, v35
	v_lshlrev_b64 v[37:38], 1, v[37:38]
	v_add_co_u32 v37, s6, s29, v37
	v_add_co_ci_u32_e64 v38, null, s33, v38, s6
	global_load_ushort v35, v[37:38], off
	s_branch .LBB222_69
.LBB222_72:                             ;   in Loop: Header=BB222_18 Depth=1
	s_or_b32 exec_lo, exec_lo, s13
.LBB222_73:                             ;   in Loop: Header=BB222_18 Depth=1
	s_or_b32 exec_lo, exec_lo, s8
	s_branch .LBB222_52
.LBB222_74:                             ;   in Loop: Header=BB222_18 Depth=1
	global_load_ushort v2, v3, s[74:75]
	v_mov_b32_e32 v6, 0
	v_mov_b32_e32 v8, 0
	;; [unrolled: 1-line block ×6, first 2 shown]
	s_mov_b32 s70, exec_lo
	s_waitcnt vmcnt(0)
	v_readfirstlane_b32 s6, v2
	s_and_b32 s8, 0xffff, s6
	s_lshl_b32 s51, s8, 2
	v_cvt_f32_u32_e32 v4, s51
	s_sub_i32 s9, 0, s51
	v_rcp_iflag_f32_e32 v4, v4
	v_mul_f32_e32 v4, 0x4f7ffffe, v4
	v_cvt_u32_f32_e32 v4, v4
	v_readfirstlane_b32 s6, v4
	v_mov_b32_e32 v4, 0
	v_mov_b32_e32 v5, 0
	s_mul_i32 s9, s9, s6
	s_mul_hi_u32 s9, s6, s9
	s_add_i32 s6, s6, s9
	s_mul_hi_u32 s6, s76, s6
	s_mul_i32 s9, s6, s51
	s_add_i32 s11, s6, 1
	s_sub_i32 s9, s76, s9
	s_sub_i32 s12, s9, s51
	s_cmp_ge_u32 s9, s51
	s_cselect_b32 s6, s11, s6
	s_cselect_b32 s9, s12, s9
	s_add_i32 s11, s6, 1
	s_cmp_ge_u32 s9, s51
	s_cselect_b32 s6, s11, s6
	s_mul_hi_u32 s79, s8, s6
	s_mul_i32 s78, s8, s6
	s_lshl_b64 s[80:81], s[78:79], 2
	v_cmpx_gt_u64_e64 s[80:81], v[14:15]
	s_cbranch_execz .LBB222_78
; %bb.75:                               ;   in Loop: Header=BB222_18 Depth=1
	v_mov_b32_e32 v22, v15
	v_mov_b32_e32 v35, v29
	;; [unrolled: 1-line block ×3, first 2 shown]
	s_lshl_b32 s72, s8, 3
	s_mov_b64 s[82:83], 0
	s_mov_b32 s77, 0
	s_mov_b64 s[84:85], 0
	s_mov_b64 s[86:87], 0
	;; [unrolled: 1-line block ×3, first 2 shown]
.LBB222_76:                             ;   Parent Loop BB222_18 Depth=1
                                        ; =>  This Inner Loop Header: Depth=2
	ds_read_b64 v[4:5], v35
	v_add_nc_u32_e32 v35, s72, v35
	s_waitcnt lgkmcnt(0)
	v_cmp_lt_i16_e32 vcc_lo, -1, v4
	v_cmp_gt_i16_sdwa s6, v4, v32 src0_sel:WORD_1 src1_sel:DWORD
	v_cmp_lt_i16_e64 s9, -1, v5
	v_cmp_gt_i16_sdwa s11, v5, v32 src0_sel:WORD_1 src1_sel:DWORD
	v_lshlrev_b32_e32 v10, 16, v4
	v_cndmask_b32_e32 v6, 0xffff, v31, vcc_lo
	v_cndmask_b32_e64 v7, 0xffff, v31, s6
	v_cndmask_b32_e64 v8, 0xffff, v31, s9
	v_cndmask_b32_e64 v9, 0xffff, v31, s11
	v_cmp_o_f32_e32 vcc_lo, v10, v10
	v_xor_b32_sdwa v6, v6, v4 dst_sel:DWORD dst_unused:UNUSED_PAD src0_sel:DWORD src1_sel:WORD_0
	v_xor_b32_sdwa v7, v7, v4 dst_sel:DWORD dst_unused:UNUSED_PAD src0_sel:DWORD src1_sel:WORD_1
	v_and_b32_e32 v4, 0xffff0000, v4
	v_xor_b32_sdwa v8, v8, v5 dst_sel:DWORD dst_unused:UNUSED_PAD src0_sel:DWORD src1_sel:WORD_0
	v_xor_b32_sdwa v9, v9, v5 dst_sel:DWORD dst_unused:UNUSED_PAD src0_sel:DWORD src1_sel:WORD_1
	v_lshlrev_b32_e32 v11, 16, v5
	v_and_b32_e32 v5, 0xffff0000, v5
	v_cmp_o_f32_e64 s6, v4, v4
	v_cndmask_b32_e32 v4, 0xffff, v6, vcc_lo
	v_cmp_o_f32_e64 s9, v11, v11
	v_cmp_o_f32_e64 s11, v5, v5
	v_and_b32_e32 v5, v4, v33
	v_bfe_u32 v4, v4, s69, 2
	v_cmp_eq_u32_e32 vcc_lo, v5, v28
	v_cndmask_b32_e64 v5, 0xffff, v7, s6
	v_cmp_eq_u32_e64 s12, 0, v4
	v_cmp_eq_u32_e64 s13, 1, v4
	;; [unrolled: 1-line block ×4, first 2 shown]
	v_and_b32_e32 v6, v5, v33
	v_bfe_u32 v4, v5, s69, 2
	s_and_b32 s12, vcc_lo, s12
	v_cmp_eq_u32_e64 s6, v6, v28
	v_cndmask_b32_e64 v6, 0xffff, v8, s9
	v_cmp_eq_u32_e64 s16, 0, v4
	v_cmp_eq_u32_e64 s17, 1, v4
	;; [unrolled: 1-line block ×4, first 2 shown]
	v_and_b32_e32 v7, v6, v33
	v_bfe_u32 v4, v6, s69, 2
	s_and_b32 s16, s6, s16
	v_cmp_eq_u32_e64 s9, v7, v28
	v_cndmask_b32_e64 v7, 0xffff, v9, s11
	v_cmp_eq_u32_e64 s20, 0, v4
	v_cmp_eq_u32_e64 s21, 1, v4
	;; [unrolled: 1-line block ×4, first 2 shown]
	v_bfe_u32 v4, v7, s69, 2
	v_and_b32_e32 v8, v7, v33
	s_and_b32 s20, s9, s20
	v_cmp_eq_u32_e64 s24, 0, v4
	v_cmp_eq_u32_e64 s25, 1, v4
	v_cmp_eq_u32_e64 s26, 2, v4
	v_cmp_eq_u32_e64 s27, 3, v4
	v_cndmask_b32_e64 v4, 0, 1, s12
	v_cmp_eq_u32_e64 s11, v8, v28
	v_cmp_ne_u32_e64 s12, 0, v4
	v_cndmask_b32_e64 v4, 0, 1, s16
	s_and_b32 s24, s11, s24
	s_bcnt1_i32_b32 s12, s12
	v_cmp_ne_u32_e64 s16, 0, v4
	v_cndmask_b32_e64 v4, 0, 1, s20
	s_bcnt1_i32_b32 s16, s16
	v_cmp_ne_u32_e64 s20, 0, v4
	v_cndmask_b32_e64 v4, 0, 1, s24
	s_add_i32 s12, s16, s12
	s_bcnt1_i32_b32 s20, s20
	v_cmp_ne_u32_e64 s24, 0, v4
	s_add_i32 s12, s12, s20
	s_bcnt1_i32_b32 s24, s24
	s_add_i32 s12, s12, s24
	s_add_u32 s88, s88, s12
	s_addc_u32 s89, s89, 0
	s_and_b32 s12, vcc_lo, s13
	s_and_b32 s13, s6, s17
	v_cndmask_b32_e64 v4, 0, 1, s12
	s_and_b32 s16, s9, s21
	s_and_b32 s17, s11, s25
	v_cmp_ne_u32_e64 s12, 0, v4
	v_cndmask_b32_e64 v4, 0, 1, s13
	s_bcnt1_i32_b32 s12, s12
	v_cmp_ne_u32_e64 s13, 0, v4
	v_cndmask_b32_e64 v4, 0, 1, s16
	s_bcnt1_i32_b32 s13, s13
	v_cmp_ne_u32_e64 s16, 0, v4
	v_cndmask_b32_e64 v4, 0, 1, s17
	s_add_i32 s12, s13, s12
	s_bcnt1_i32_b32 s16, s16
	v_cmp_ne_u32_e64 s17, 0, v4
	s_add_i32 s12, s12, s16
	s_bcnt1_i32_b32 s17, s17
	s_add_i32 s12, s12, s17
	s_add_u32 s86, s86, s12
	s_addc_u32 s87, s87, 0
	s_and_b32 s12, vcc_lo, s14
	s_and_b32 s13, s6, s18
	v_cndmask_b32_e64 v4, 0, 1, s12
	s_and_b32 s14, s9, s22
	s_and_b32 s16, s11, s26
	v_mov_b32_e32 v6, s86
	v_mov_b32_e32 v7, s87
	v_cmp_ne_u32_e64 s12, 0, v4
	v_cndmask_b32_e64 v4, 0, 1, s13
	s_bcnt1_i32_b32 s12, s12
	v_cmp_ne_u32_e64 s13, 0, v4
	v_cndmask_b32_e64 v4, 0, 1, s14
	s_bcnt1_i32_b32 s13, s13
	v_cmp_ne_u32_e64 s14, 0, v4
	v_cndmask_b32_e64 v4, 0, 1, s16
	s_add_i32 s12, s13, s12
	s_bcnt1_i32_b32 s14, s14
	v_cmp_ne_u32_e64 s16, 0, v4
	s_add_i32 s12, s12, s14
	s_bcnt1_i32_b32 s16, s16
	s_add_i32 s12, s12, s16
	s_add_u32 s84, s84, s12
	s_addc_u32 s85, s85, 0
	s_and_b32 s12, vcc_lo, s15
	s_and_b32 s6, s6, s19
	v_cndmask_b32_e64 v4, 0, 1, s12
	s_and_b32 s9, s9, s23
	s_and_b32 s11, s11, s27
	v_add_co_u32 v21, s12, v21, s51
	v_cmp_ne_u32_e32 vcc_lo, 0, v4
	v_cndmask_b32_e64 v4, 0, 1, s6
	v_add_co_ci_u32_e64 v22, null, 0, v22, s12
	v_mov_b32_e32 v8, s84
	s_bcnt1_i32_b32 s13, vcc_lo
	v_cmp_ne_u32_e64 s6, 0, v4
	v_cndmask_b32_e64 v4, 0, 1, s9
	v_cmp_le_u64_e64 s12, s[80:81], v[21:22]
	v_mov_b32_e32 v9, s85
	s_bcnt1_i32_b32 s6, s6
	v_cmp_ne_u32_e64 s9, 0, v4
	v_cndmask_b32_e64 v4, 0, 1, s11
	s_add_i32 s6, s6, s13
	s_bcnt1_i32_b32 s9, s9
	v_cmp_ne_u32_e64 s11, 0, v4
	s_add_i32 s6, s6, s9
	v_mov_b32_e32 v4, s88
	v_mov_b32_e32 v5, s89
	s_bcnt1_i32_b32 s11, s11
	s_add_i32 s6, s6, s11
	s_add_u32 s82, s82, s6
	s_addc_u32 s83, s83, 0
	v_mov_b32_e32 v10, s82
	v_mov_b32_e32 v11, s83
	s_or_b32 s77, s12, s77
	s_andn2_b32 exec_lo, exec_lo, s77
	s_cbranch_execnz .LBB222_76
; %bb.77:                               ;   in Loop: Header=BB222_18 Depth=1
	s_or_b32 exec_lo, exec_lo, s77
.LBB222_78:                             ;   in Loop: Header=BB222_18 Depth=1
	s_or_b32 exec_lo, exec_lo, s70
	v_add_co_u32 v21, s6, s80, v0
	v_and_b32_e32 v2, 0xffff, v2
	v_add_co_ci_u32_e64 v22, null, s81, 0, s6
	s_and_b32 s70, s76, 0x7fffffff
	s_mov_b32 s14, exec_lo
	v_cmpx_gt_u64_e64 s[70:71], v[21:22]
	s_cbranch_execz .LBB222_82
; %bb.79:                               ;   in Loop: Header=BB222_18 Depth=1
	v_lshl_add_u32 v35, s78, 3, v25
	s_lshl_b32 s15, s8, 1
	s_mov_b32 s8, 0
.LBB222_80:                             ;   Parent Loop BB222_18 Depth=1
                                        ; =>  This Inner Loop Header: Depth=2
	ds_read_u16 v36, v35
	v_add_co_u32 v21, vcc_lo, v21, v2
	v_add_co_ci_u32_e64 v22, null, 0, v22, vcc_lo
	v_add_nc_u32_e32 v35, s15, v35
	v_cmp_le_u64_e32 vcc_lo, s[70:71], v[21:22]
	s_waitcnt lgkmcnt(0)
	v_cmp_lt_i16_e64 s6, -1, v36
	v_lshlrev_b32_e32 v38, 16, v36
	v_cndmask_b32_e64 v37, 0xffff, v31, s6
	v_cmp_o_f32_e64 s6, v38, v38
	v_xor_b32_sdwa v36, v37, v36 dst_sel:DWORD dst_unused:UNUSED_PAD src0_sel:DWORD src1_sel:WORD_0
	v_cndmask_b32_e64 v36, 0xffff, v36, s6
	v_and_b32_e32 v37, v36, v33
	v_bfe_u32 v36, v36, s69, 2
	v_cmp_eq_u32_e64 s6, v37, v28
	v_cmp_eq_u32_e64 s9, 0, v36
	;; [unrolled: 1-line block ×5, first 2 shown]
	s_and_b32 s9, s6, s9
	v_cndmask_b32_e64 v36, 0, 1, s9
	s_and_b32 s9, s6, s11
	v_cndmask_b32_e64 v37, 0, 1, s9
	s_and_b32 s9, s6, s12
	s_and_b32 s6, s6, s13
	v_cndmask_b32_e64 v38, 0, 1, s9
	v_cndmask_b32_e64 v39, 0, 1, s6
	v_cmp_ne_u32_e64 s6, 0, v36
	v_cmp_ne_u32_e64 s9, 0, v37
	;; [unrolled: 1-line block ×4, first 2 shown]
	s_bcnt1_i32_b32 s6, s6
	s_bcnt1_i32_b32 s9, s9
	v_add_co_u32 v4, s6, v4, s6
	s_bcnt1_i32_b32 s11, s11
	v_add_co_ci_u32_e64 v5, null, 0, v5, s6
	v_add_co_u32 v6, s6, v6, s9
	s_bcnt1_i32_b32 s12, s12
	v_add_co_ci_u32_e64 v7, null, 0, v7, s6
	v_add_co_u32 v8, s6, v8, s11
	v_add_co_ci_u32_e64 v9, null, 0, v9, s6
	v_add_co_u32 v10, s6, v10, s12
	v_add_co_ci_u32_e64 v11, null, 0, v11, s6
	s_or_b32 s8, vcc_lo, s8
	s_andn2_b32 exec_lo, exec_lo, s8
	s_cbranch_execnz .LBB222_80
; %bb.81:                               ;   in Loop: Header=BB222_18 Depth=1
	s_or_b32 exec_lo, exec_lo, s8
.LBB222_82:                             ;   in Loop: Header=BB222_18 Depth=1
	s_or_b32 exec_lo, exec_lo, s14
	s_lshl_b32 s6, s53, 7
	s_and_saveexec_b32 s8, s0
	s_cbranch_execnz .LBB222_53
	s_branch .LBB222_54
.LBB222_83:                             ;   in Loop: Header=BB222_18 Depth=1
                                        ; implicit-def: $sgpr12_sgpr13
	s_branch .LBB222_62
.LBB222_84:                             ;   in Loop: Header=BB222_18 Depth=1
	s_mov_b32 s9, 0
	s_andn2_b32 vcc_lo, exec_lo, vcc_hi
	s_cbranch_vccnz .LBB222_87
.LBB222_85:                             ;   in Loop: Header=BB222_18 Depth=1
	s_lshl_b32 s11, s53, 10
	s_lshl_b32 s9, s9, 5
	v_add3_u32 v2, s11, s9, v30
	s_mov_b32 s9, s98
.LBB222_86:                             ;   Parent Loop BB222_18 Depth=1
                                        ; =>  This Inner Loop Header: Depth=2
	ds_read_b64 v[6:7], v2
	v_add_nc_u32_e32 v2, 32, v2
	s_add_i32 s9, s9, -1
	s_cmp_lg_u32 s9, 0
	s_waitcnt lgkmcnt(0)
	v_add_co_u32 v4, vcc_lo, v6, v4
	v_add_co_ci_u32_e64 v5, null, v7, v5, vcc_lo
	s_cbranch_scc1 .LBB222_86
.LBB222_87:                             ;   in Loop: Header=BB222_18 Depth=1
	v_add_lshl_u32 v2, s6, v24, 3
	ds_write_b64 v2, v[4:5] offset:3072
.LBB222_88:                             ;   in Loop: Header=BB222_18 Depth=1
	s_or_b32 exec_lo, exec_lo, s8
	s_lshl_b32 s6, s6, 3
	s_waitcnt lgkmcnt(0)
	v_mov_b32_e32 v2, s6
	s_barrier
	buffer_gl0_inv
	v_cmp_eq_u64_e64 s9, 1, v[19:20]
	s_lshl_b32 s11, 3, s69
	ds_read_b128 v[4:7], v2 offset:3072
	ds_read_b128 v[8:11], v2 offset:3088
	s_mov_b32 s79, -1
	s_not_b32 s26, s11
	s_mov_b32 s27, 0
	s_andn2_b32 vcc_lo, exec_lo, s59
	s_mov_b32 s76, 0
	s_mov_b32 s51, 0
                                        ; implicit-def: $sgpr77
                                        ; implicit-def: $sgpr78
                                        ; implicit-def: $vgpr2
	s_waitcnt lgkmcnt(1)
	v_readfirstlane_b32 s13, v5
	v_readfirstlane_b32 s12, v4
	;; [unrolled: 1-line block ×4, first 2 shown]
	s_waitcnt lgkmcnt(0)
	v_readfirstlane_b32 s17, v9
	v_readfirstlane_b32 s16, v8
	;; [unrolled: 1-line block ×4, first 2 shown]
                                        ; implicit-def: $vgpr4_vgpr5
                                        ; implicit-def: $vgpr8
                                        ; implicit-def: $vgpr9
                                        ; implicit-def: $vgpr10
	s_cbranch_vccnz .LBB222_283
; %bb.89:                               ;   in Loop: Header=BB222_18 Depth=1
	s_cmp_eq_u64 s[12:13], 1
	v_mov_b32_e32 v8, v28
	v_mov_b32_e32 v9, v33
	v_mov_b32_e32 v10, v34
	s_cselect_b32 s6, -1, 0
                                        ; implicit-def: $sgpr78
                                        ; implicit-def: $sgpr77
	s_and_b32 s81, s6, s9
	s_mov_b32 s6, -1
	s_and_saveexec_b32 s51, s81
	s_cbranch_execz .LBB222_124
; %bb.90:                               ;   in Loop: Header=BB222_18 Depth=1
	ds_read_b64 v[4:5], v3 offset:5120
	s_waitcnt lgkmcnt(0)
	s_barrier
	buffer_gl0_inv
	v_readfirstlane_b32 s20, v4
	v_readfirstlane_b32 s21, v5
	s_and_saveexec_b32 s6, s10
; %bb.91:                               ;   in Loop: Header=BB222_18 Depth=1
	ds_write_b16 v26, v3
; %bb.92:                               ;   in Loop: Header=BB222_18 Depth=1
	s_or_b32 exec_lo, exec_lo, s6
	v_and_b32_e32 v8, s26, v28
	v_or_b32_e32 v9, s11, v33
	s_mov_b32 s77, -1
	s_mov_b32 s78, 0
	s_cmp_eq_u64 s[20:21], 0
	s_mov_b32 s6, 0
	s_mov_b32 s8, -1
	s_waitcnt lgkmcnt(0)
	s_barrier
	buffer_gl0_inv
                                        ; implicit-def: $vgpr10
	s_cbranch_scc1 .LBB222_109
; %bb.93:                               ;   in Loop: Header=BB222_18 Depth=1
	s_add_u32 s6, s20, s94
	s_addc_u32 s23, s21, s95
	s_mov_b32 s22, s71
	s_cmp_lg_u64 s[22:23], 0
	s_cbranch_scc0 .LBB222_150
; %bb.94:                               ;   in Loop: Header=BB222_18 Depth=1
	v_cvt_f32_u32_e32 v2, s35
	s_sub_u32 s8, 0, s35
	s_subb_u32 s22, 0, 0
	v_fmac_f32_e64 v2, 0x4f800000, 0
	v_rcp_f32_e32 v2, v2
	v_mul_f32_e32 v2, 0x5f7ffffc, v2
	v_mul_f32_e32 v4, 0x2f800000, v2
	v_trunc_f32_e32 v4, v4
	v_fmac_f32_e32 v2, 0xcf800000, v4
	v_cvt_u32_f32_e32 v4, v4
	v_cvt_u32_f32_e32 v2, v2
	v_readfirstlane_b32 s1, v4
	v_readfirstlane_b32 s7, v2
	s_mul_i32 s24, s8, s1
	s_mul_hi_u32 s28, s8, s7
	s_mul_i32 s25, s22, s7
	s_add_i32 s24, s28, s24
	s_mul_i32 s40, s8, s7
	s_add_i32 s24, s24, s25
	s_mul_hi_u32 s28, s7, s40
	s_mul_i32 s42, s7, s24
	s_mul_hi_u32 s41, s1, s40
	s_mul_i32 s25, s1, s40
	s_mul_hi_u32 s40, s7, s24
	s_add_u32 s28, s28, s42
	s_addc_u32 s40, 0, s40
	s_mul_hi_u32 s43, s1, s24
	s_add_u32 s25, s28, s25
	s_mul_i32 s24, s1, s24
	s_addc_u32 s25, s40, s41
	s_addc_u32 s28, s43, 0
	s_add_u32 s24, s25, s24
	s_addc_u32 s25, 0, s28
	s_add_u32 s7, s7, s24
	s_cselect_b32 s24, -1, 0
	s_mul_hi_u32 s28, s8, s7
	s_cmp_lg_u32 s24, 0
	s_mul_i32 s24, s8, s7
	s_addc_u32 s1, s1, s25
	s_mul_i32 s22, s22, s7
	s_mul_i32 s8, s8, s1
	s_mul_hi_u32 s25, s7, s24
	s_add_i32 s8, s28, s8
	s_mul_hi_u32 s28, s1, s24
	s_add_i32 s8, s8, s22
	s_mul_i32 s22, s1, s24
	s_mul_i32 s41, s7, s8
	s_mul_hi_u32 s40, s7, s8
	s_add_u32 s25, s25, s41
	s_addc_u32 s40, 0, s40
	s_mul_hi_u32 s24, s1, s8
	s_add_u32 s22, s25, s22
	s_mul_i32 s8, s1, s8
	s_addc_u32 s22, s40, s28
	s_addc_u32 s24, s24, 0
	s_add_u32 s8, s22, s8
	s_addc_u32 s22, 0, s24
	s_add_u32 s7, s7, s8
	s_cselect_b32 s8, -1, 0
	s_mul_hi_u32 s24, s6, s7
	s_cmp_lg_u32 s8, 0
	s_mul_hi_u32 s8, s23, s7
	s_addc_u32 s1, s1, s22
	s_mul_i32 s7, s23, s7
	s_mul_i32 s25, s6, s1
	s_mul_hi_u32 s22, s6, s1
	s_add_u32 s24, s24, s25
	s_addc_u32 s22, 0, s22
	s_mul_hi_u32 s28, s23, s1
	s_add_u32 s7, s24, s7
	s_mul_i32 s1, s23, s1
	s_addc_u32 s7, s22, s8
	s_addc_u32 s8, s28, 0
	s_add_u32 s1, s7, s1
	s_addc_u32 s7, 0, s8
	s_mul_hi_u32 s8, s35, s1
	s_mul_i32 s7, s35, s7
	s_mul_i32 s1, s35, s1
	s_add_i32 s8, s8, s7
	s_sub_u32 s1, s6, s1
	s_cselect_b32 s7, -1, 0
	s_cmp_lg_u32 s7, 0
	s_subb_u32 s7, s23, s8
	s_sub_u32 s8, s1, s35
	s_cselect_b32 s22, -1, 0
	s_cmp_lg_u32 s22, 0
	s_subb_u32 s22, s7, 0
	s_sub_u32 s24, s8, s35
	s_cselect_b32 s25, -1, 0
	s_cmp_lg_u32 s25, 0
	s_subb_u32 s25, s22, 0
	s_cmp_ge_u32 s8, s35
	s_cselect_b32 s28, -1, 0
	s_cmp_eq_u32 s22, 0
	s_cselect_b32 s28, s28, -1
	s_cmp_lg_u32 s28, 0
	s_cselect_b32 s22, s25, s22
	s_cselect_b32 s8, s24, s8
	s_cmp_ge_u32 s1, s35
	s_cselect_b32 s24, -1, 0
	s_cmp_eq_u32 s7, 0
	s_cselect_b32 s24, s24, -1
	s_cmp_lg_u32 s24, 0
	s_cselect_b32 s25, s22, s7
	s_cselect_b32 s24, s8, s1
	s_cbranch_execnz .LBB222_96
.LBB222_95:                             ;   in Loop: Header=BB222_18 Depth=1
	v_cvt_f32_u32_e32 v2, s35
	s_sub_i32 s7, 0, s35
	v_rcp_iflag_f32_e32 v2, v2
	v_mul_f32_e32 v2, 0x4f7ffffe, v2
	v_cvt_u32_f32_e32 v2, v2
	v_readfirstlane_b32 s1, v2
	s_mul_i32 s7, s7, s1
	s_mul_hi_u32 s7, s1, s7
	s_add_i32 s1, s1, s7
	s_mul_hi_u32 s1, s6, s1
	s_mul_i32 s1, s1, s35
	s_sub_i32 s1, s6, s1
	s_sub_i32 s7, s1, s35
	s_cmp_ge_u32 s1, s35
	s_cselect_b32 s1, s7, s1
	s_sub_i32 s7, s1, s35
	s_cmp_ge_u32 s1, s35
	s_cselect_b32 s70, s7, s1
	s_mov_b64 s[24:25], s[70:71]
.LBB222_96:                             ;   in Loop: Header=BB222_18 Depth=1
	s_sub_u32 s22, s6, s24
	s_subb_u32 s23, s23, s25
	s_mov_b32 s8, 0
	s_mov_b32 s6, 0
	s_mov_b32 s24, exec_lo
                                        ; implicit-def: $vgpr10
	v_cmpx_gt_u64_e64 s[22:23], v[0:1]
	s_cbranch_execz .LBB222_108
; %bb.97:                               ;   in Loop: Header=BB222_18 Depth=1
	v_mov_b32_e32 v5, v1
	v_mov_b32_e32 v2, v25
	;; [unrolled: 1-line block ×3, first 2 shown]
	s_mov_b32 s25, 0
                                        ; implicit-def: $sgpr28
	s_branch .LBB222_100
.LBB222_98:                             ;   in Loop: Header=BB222_100 Depth=2
	s_or_b32 exec_lo, exec_lo, s58
	s_waitcnt lgkmcnt(0)
	s_barrier
	buffer_gl0_inv
	ds_read_b32 v6, v3 offset:3072
	s_mov_b32 s6, -1
	s_mov_b32 s58, -1
	s_waitcnt lgkmcnt(0)
	s_barrier
	buffer_gl0_inv
	v_and_b32_e32 v7, 0x7fff, v6
	v_cmp_ne_u32_e32 vcc_lo, 0, v7
	s_cbranch_vccz .LBB222_103
.LBB222_99:                             ;   in Loop: Header=BB222_100 Depth=2
	s_and_b32 s1, exec_lo, s6
	s_or_b32 s25, s1, s25
	s_andn2_b32 s1, s28, exec_lo
	s_and_b32 s6, s58, exec_lo
	s_or_b32 s28, s1, s6
	s_andn2_b32 exec_lo, exec_lo, s25
	s_cbranch_execz .LBB222_107
.LBB222_100:                            ;   Parent Loop BB222_18 Depth=1
                                        ; =>  This Inner Loop Header: Depth=2
	s_mov_b32 s58, exec_lo
	v_cmpx_gt_u64_e64 s[20:21], v[4:5]
	s_cbranch_execz .LBB222_98
; %bb.101:                              ;   in Loop: Header=BB222_100 Depth=2
	ds_read_u16 v6, v2
	s_waitcnt lgkmcnt(0)
	v_lshlrev_b32_e32 v7, 16, v6
	v_cmp_lt_i16_e64 s6, -1, v6
	v_cmp_o_f32_e32 vcc_lo, v7, v7
	v_cndmask_b32_e64 v7, 0xffff, v31, s6
	v_xor_b32_sdwa v7, v7, v6 dst_sel:DWORD dst_unused:UNUSED_PAD src0_sel:DWORD src1_sel:WORD_0
	v_cndmask_b32_e32 v7, 0xffff, v7, vcc_lo
	v_and_b32_e32 v7, v7, v9
	v_cmp_eq_u32_e32 vcc_lo, v7, v8
	s_and_b32 exec_lo, exec_lo, vcc_lo
	s_cbranch_execz .LBB222_98
; %bb.102:                              ;   in Loop: Header=BB222_100 Depth=2
	v_perm_b32 v6, v6, s63, 0x5040100
	ds_write_b32 v3, v6 offset:3072
	s_branch .LBB222_98
.LBB222_103:                            ;   in Loop: Header=BB222_100 Depth=2
	v_add_co_u32 v4, vcc_lo, v4, s35
	v_add_co_ci_u32_e64 v5, null, 0, v5, vcc_lo
	v_add_nc_u32_e32 v2, s68, v2
	s_mov_b32 s58, 0
	v_cmp_le_u64_e32 vcc_lo, s[22:23], v[4:5]
	s_orn2_b32 s6, vcc_lo, exec_lo
	s_branch .LBB222_99
.LBB222_104:                            ;   in Loop: Header=BB222_18 Depth=1
	s_or_b32 exec_lo, exec_lo, s11
	s_waitcnt lgkmcnt(0)
	s_barrier
	buffer_gl0_inv
	s_and_saveexec_b32 s6, s3
	s_cbranch_execz .LBB222_106
; %bb.105:                              ;   in Loop: Header=BB222_18 Depth=1
	ds_read_b32 v4, v3 offset:5144
	s_waitcnt lgkmcnt(0)
	v_ashrrev_i32_e32 v5, 31, v4
	ds_write_b64 v3, v[4:5] offset:5120
.LBB222_106:                            ;   in Loop: Header=BB222_18 Depth=1
	s_or_b32 exec_lo, exec_lo, s6
	s_waitcnt lgkmcnt(0)
	s_mov_b32 s6, -1
	s_barrier
	s_and_b32 vcc_lo, exec_lo, s8
	s_cbranch_vccnz .LBB222_33
	s_branch .LBB222_48
.LBB222_107:                            ;   in Loop: Header=BB222_18 Depth=1
	s_or_b32 exec_lo, exec_lo, s25
	v_lshrrev_b32_e32 v10, 16, v6
	s_and_b32 s6, s28, exec_lo
.LBB222_108:                            ;   in Loop: Header=BB222_18 Depth=1
	s_or_b32 exec_lo, exec_lo, s24
.LBB222_109:                            ;   in Loop: Header=BB222_18 Depth=1
	s_and_b32 vcc_lo, exec_lo, s8
	s_cbranch_vccz .LBB222_123
; %bb.110:                              ;   in Loop: Header=BB222_18 Depth=1
	s_mov_b32 s72, s71
	s_cmp_lg_u64 s[72:73], 0
	s_cbranch_scc0 .LBB222_151
; %bb.111:                              ;   in Loop: Header=BB222_18 Depth=1
	v_cvt_f32_u32_e32 v2, s35
	s_sub_u32 s8, 0, s35
	s_subb_u32 s20, 0, 0
	v_fmac_f32_e64 v2, 0x4f800000, 0
	v_rcp_f32_e32 v2, v2
	v_mul_f32_e32 v2, 0x5f7ffffc, v2
	v_mul_f32_e32 v4, 0x2f800000, v2
	v_trunc_f32_e32 v4, v4
	v_fmac_f32_e32 v2, 0xcf800000, v4
	v_cvt_u32_f32_e32 v4, v4
	v_cvt_u32_f32_e32 v2, v2
	v_readfirstlane_b32 s1, v4
	v_readfirstlane_b32 s7, v2
	s_mul_i32 s21, s8, s1
	s_mul_hi_u32 s23, s8, s7
	s_mul_i32 s22, s20, s7
	s_add_i32 s21, s23, s21
	s_mul_i32 s24, s8, s7
	s_add_i32 s21, s21, s22
	s_mul_hi_u32 s23, s7, s24
	s_mul_i32 s28, s7, s21
	s_mul_hi_u32 s25, s1, s24
	s_mul_i32 s22, s1, s24
	s_mul_hi_u32 s24, s7, s21
	s_add_u32 s23, s23, s28
	s_addc_u32 s24, 0, s24
	s_mul_hi_u32 s40, s1, s21
	s_add_u32 s22, s23, s22
	s_mul_i32 s21, s1, s21
	s_addc_u32 s22, s24, s25
	s_addc_u32 s23, s40, 0
	s_add_u32 s21, s22, s21
	s_addc_u32 s22, 0, s23
	s_add_u32 s7, s7, s21
	s_cselect_b32 s21, -1, 0
	s_mul_hi_u32 s23, s8, s7
	s_cmp_lg_u32 s21, 0
	s_mul_i32 s21, s8, s7
	s_addc_u32 s1, s1, s22
	s_mul_i32 s20, s20, s7
	s_mul_i32 s8, s8, s1
	s_mul_hi_u32 s22, s7, s21
	s_add_i32 s8, s23, s8
	s_mul_hi_u32 s23, s1, s21
	s_add_i32 s8, s8, s20
	s_mul_i32 s20, s1, s21
	s_mul_i32 s25, s7, s8
	s_mul_hi_u32 s24, s7, s8
	s_add_u32 s22, s22, s25
	s_addc_u32 s24, 0, s24
	s_mul_hi_u32 s21, s1, s8
	s_add_u32 s20, s22, s20
	s_mul_i32 s8, s1, s8
	s_addc_u32 s20, s24, s23
	s_addc_u32 s21, s21, 0
	s_add_u32 s8, s20, s8
	s_addc_u32 s20, 0, s21
	s_add_u32 s7, s7, s8
	s_cselect_b32 s8, -1, 0
	s_mul_hi_u32 s21, s96, s7
	s_cmp_lg_u32 s8, 0
	s_mul_hi_u32 s8, s73, s7
	s_addc_u32 s1, s1, s20
	s_mul_i32 s7, s73, s7
	s_mul_i32 s22, s96, s1
	s_mul_hi_u32 s20, s96, s1
	s_add_u32 s21, s21, s22
	s_addc_u32 s20, 0, s20
	s_mul_hi_u32 s23, s73, s1
	s_add_u32 s7, s21, s7
	s_mul_i32 s1, s73, s1
	s_addc_u32 s7, s20, s8
	s_addc_u32 s8, s23, 0
	s_add_u32 s1, s7, s1
	s_addc_u32 s7, 0, s8
	s_mul_hi_u32 s8, s35, s1
	s_mul_i32 s7, s35, s7
	s_mul_i32 s1, s35, s1
	s_add_i32 s8, s8, s7
	s_sub_u32 s1, s96, s1
	s_cselect_b32 s7, -1, 0
	s_cmp_lg_u32 s7, 0
	s_subb_u32 s7, s73, s8
	s_sub_u32 s8, s1, s35
	s_cselect_b32 s20, -1, 0
	s_cmp_lg_u32 s20, 0
	s_subb_u32 s20, s7, 0
	;; [unrolled: 4-line block ×3, first 2 shown]
	s_cmp_ge_u32 s8, s35
	s_cselect_b32 s23, -1, 0
	s_cmp_eq_u32 s20, 0
	s_cselect_b32 s23, s23, -1
	s_cmp_lg_u32 s23, 0
	s_cselect_b32 s20, s22, s20
	s_cselect_b32 s8, s21, s8
	s_cmp_ge_u32 s1, s35
	s_cselect_b32 s21, -1, 0
	s_cmp_eq_u32 s7, 0
	s_cselect_b32 s21, s21, -1
	s_cmp_lg_u32 s21, 0
	s_cselect_b32 s21, s20, s7
	s_cselect_b32 s20, s8, s1
	s_cbranch_execnz .LBB222_113
.LBB222_112:                            ;   in Loop: Header=BB222_18 Depth=1
	v_cvt_f32_u32_e32 v2, s35
	s_sub_i32 s7, 0, s35
	v_rcp_iflag_f32_e32 v2, v2
	v_mul_f32_e32 v2, 0x4f7ffffe, v2
	v_cvt_u32_f32_e32 v2, v2
	v_readfirstlane_b32 s1, v2
	s_mul_i32 s7, s7, s1
	s_mul_hi_u32 s7, s1, s7
	s_add_i32 s1, s1, s7
	s_mul_hi_u32 s1, s96, s1
	s_mul_i32 s1, s1, s35
	s_sub_i32 s1, s96, s1
	s_sub_i32 s7, s1, s35
	s_cmp_ge_u32 s1, s35
	s_cselect_b32 s1, s7, s1
	s_sub_i32 s7, s1, s35
	s_cmp_ge_u32 s1, s35
	s_cselect_b32 s70, s7, s1
	s_mov_b64 s[20:21], s[70:71]
.LBB222_113:                            ;   in Loop: Header=BB222_18 Depth=1
	s_sub_u32 s20, s96, s20
	s_subb_u32 s21, s73, s21
	s_mov_b32 s8, exec_lo
                                        ; implicit-def: $vgpr10
	v_cmpx_gt_u64_e64 s[20:21], v[0:1]
	s_cbranch_execz .LBB222_122
; %bb.114:                              ;   in Loop: Header=BB222_18 Depth=1
	v_mov_b32_e32 v5, v1
	v_mov_b32_e32 v4, v0
	s_mov_b32 s22, 0
                                        ; implicit-def: $sgpr23
	s_branch .LBB222_117
.LBB222_115:                            ;   in Loop: Header=BB222_117 Depth=2
	s_or_b32 exec_lo, exec_lo, s24
	s_waitcnt lgkmcnt(0)
	s_barrier
	buffer_gl0_inv
	ds_read_b32 v2, v3 offset:3072
	s_mov_b32 s25, -1
	s_mov_b32 s24, -1
	s_waitcnt lgkmcnt(0)
	s_barrier
	buffer_gl0_inv
	v_and_b32_e32 v6, 0x7fff, v2
	v_cmp_ne_u32_e32 vcc_lo, 0, v6
	s_cbranch_vccz .LBB222_120
.LBB222_116:                            ;   in Loop: Header=BB222_117 Depth=2
	s_and_b32 s1, exec_lo, s25
	s_or_b32 s22, s1, s22
	s_andn2_b32 s1, s23, exec_lo
	s_and_b32 s7, s24, exec_lo
	s_or_b32 s23, s1, s7
	s_andn2_b32 exec_lo, exec_lo, s22
	s_cbranch_execz .LBB222_121
.LBB222_117:                            ;   Parent Loop BB222_18 Depth=1
                                        ; =>  This Inner Loop Header: Depth=2
	s_mov_b32 s24, exec_lo
	v_cmpx_gt_u64_e64 s[36:37], v[4:5]
	s_cbranch_execz .LBB222_115
; %bb.118:                              ;   in Loop: Header=BB222_117 Depth=2
	v_mul_lo_u32 v2, v5, s30
	v_mul_lo_u32 v10, v4, s31
	v_mad_u64_u32 v[6:7], null, v4, s30, 0
	v_add3_u32 v7, v7, v10, v2
	v_lshlrev_b64 v[6:7], 1, v[6:7]
	v_add_co_u32 v6, vcc_lo, s29, v6
	v_add_co_ci_u32_e64 v7, null, s33, v7, vcc_lo
	global_load_ushort v2, v[6:7], off
	s_waitcnt vmcnt(0)
	v_cmp_lt_i16_e32 vcc_lo, -1, v2
	v_lshlrev_b32_e32 v7, 16, v2
	v_cndmask_b32_e32 v6, 0xffff, v31, vcc_lo
	v_cmp_o_f32_e32 vcc_lo, v7, v7
	v_xor_b32_sdwa v6, v6, v2 dst_sel:DWORD dst_unused:UNUSED_PAD src0_sel:DWORD src1_sel:WORD_0
	v_cndmask_b32_e32 v6, 0xffff, v6, vcc_lo
	v_and_b32_e32 v6, v6, v9
	v_cmp_eq_u32_e32 vcc_lo, v6, v8
	s_and_b32 exec_lo, exec_lo, vcc_lo
	s_cbranch_execz .LBB222_115
; %bb.119:                              ;   in Loop: Header=BB222_117 Depth=2
	v_perm_b32 v2, v2, s63, 0x5040100
	ds_write_b32 v3, v2 offset:3072
	s_branch .LBB222_115
.LBB222_120:                            ;   in Loop: Header=BB222_117 Depth=2
	v_add_co_u32 v4, vcc_lo, v4, s35
	v_add_co_ci_u32_e64 v5, null, 0, v5, vcc_lo
	s_mov_b32 s24, 0
	v_cmp_le_u64_e32 vcc_lo, s[20:21], v[4:5]
	s_orn2_b32 s25, vcc_lo, exec_lo
	s_branch .LBB222_116
.LBB222_121:                            ;   in Loop: Header=BB222_18 Depth=1
	s_or_b32 exec_lo, exec_lo, s22
	v_lshrrev_b32_e32 v10, 16, v2
	s_andn2_b32 s1, s6, exec_lo
	s_and_b32 s6, s23, exec_lo
	s_or_b32 s6, s1, s6
.LBB222_122:                            ;   in Loop: Header=BB222_18 Depth=1
	s_or_b32 exec_lo, exec_lo, s8
	s_mov_b32 s77, 0
	s_mov_b32 s78, -1
.LBB222_123:                            ;   in Loop: Header=BB222_18 Depth=1
	s_orn2_b32 s6, s6, exec_lo
.LBB222_124:                            ;   in Loop: Header=BB222_18 Depth=1
	s_or_b32 exec_lo, exec_lo, s51
	s_mov_b32 s79, 0
	s_mov_b32 s76, 0
	;; [unrolled: 1-line block ×3, first 2 shown]
                                        ; implicit-def: $vgpr4_vgpr5
                                        ; implicit-def: $vgpr2
	s_and_saveexec_b32 s80, s6
	s_cbranch_execz .LBB222_282
; %bb.125:                              ;   in Loop: Header=BB222_18 Depth=1
	v_mov_b32_e32 v4, 1
	v_mov_b32_e32 v5, 0
	;; [unrolled: 1-line block ×3, first 2 shown]
	s_xor_b32 s1, s81, -1
	s_mov_b32 s8, 0
	s_and_saveexec_b32 s6, s1
	s_cbranch_execz .LBB222_134
; %bb.126:                              ;   in Loop: Header=BB222_18 Depth=1
	s_mov_b32 s1, exec_lo
	v_cmpx_ge_u64_e64 s[12:13], v[19:20]
	s_xor_b32 s8, exec_lo, s1
	s_cbranch_execz .LBB222_131
; %bb.127:                              ;   in Loop: Header=BB222_18 Depth=1
	ds_read_b64 v[4:5], v3 offset:5120
	v_and_b32_e32 v8, s26, v8
	v_or_b32_e32 v9, s11, v9
	s_waitcnt lgkmcnt(0)
	v_cmp_ne_u64_e32 vcc_lo, 0, v[4:5]
	s_cbranch_vccnz .LBB222_131
; %bb.128:                              ;   in Loop: Header=BB222_18 Depth=1
	s_and_saveexec_b32 s20, s3
; %bb.129:                              ;   in Loop: Header=BB222_18 Depth=1
	v_mov_b32_e32 v4, s12
	v_mov_b32_e32 v5, s13
	ds_write_b64 v3, v[4:5] offset:5128
; %bb.130:                              ;   in Loop: Header=BB222_18 Depth=1
	s_or_b32 exec_lo, exec_lo, s20
	s_waitcnt lgkmcnt(0)
	s_barrier
	buffer_gl0_inv
.LBB222_131:                            ;   in Loop: Header=BB222_18 Depth=1
	s_or_saveexec_b32 s8, s8
	v_mov_b32_e32 v4, v19
	v_mov_b32_e32 v2, 8
	v_mov_b32_e32 v5, v20
	s_mov_b32 s20, 0
	s_xor_b32 exec_lo, exec_lo, s8
; %bb.132:                              ;   in Loop: Header=BB222_18 Depth=1
	v_sub_co_u32 v4, vcc_lo, v19, s12
	v_subrev_co_ci_u32_e64 v5, null, s13, v20, vcc_lo
	v_mov_b32_e32 v2, 0
	s_mov_b32 s20, exec_lo
; %bb.133:                              ;   in Loop: Header=BB222_18 Depth=1
	s_or_b32 exec_lo, exec_lo, s8
	s_and_b32 s8, s20, exec_lo
.LBB222_134:                            ;   in Loop: Header=BB222_18 Depth=1
	s_or_b32 exec_lo, exec_lo, s6
	s_mov_b32 s6, -1
                                        ; implicit-def: $sgpr76
                                        ; implicit-def: $sgpr81
	s_and_saveexec_b32 s1, s8
	s_xor_b32 s51, exec_lo, s1
	s_cbranch_execz .LBB222_279
; %bb.135:                              ;   in Loop: Header=BB222_18 Depth=1
	v_cmp_eq_u64_e32 vcc_lo, 1, v[4:5]
	s_cmp_eq_u64 s[14:15], 1
                                        ; implicit-def: $sgpr81
                                        ; implicit-def: $sgpr76
	s_cselect_b32 s6, -1, 0
	s_and_b32 s83, s6, vcc_lo
	s_mov_b32 s6, -1
	s_and_saveexec_b32 s82, s83
	s_cbranch_execz .LBB222_169
; %bb.136:                              ;   in Loop: Header=BB222_18 Depth=1
	ds_read_b64 v[6:7], v3 offset:5120
	s_waitcnt lgkmcnt(0)
	s_barrier
	buffer_gl0_inv
	v_readfirstlane_b32 s20, v6
	v_readfirstlane_b32 s21, v7
	s_and_saveexec_b32 s6, s10
; %bb.137:                              ;   in Loop: Header=BB222_18 Depth=1
	ds_write_b16 v26, v3
; %bb.138:                              ;   in Loop: Header=BB222_18 Depth=1
	s_or_b32 exec_lo, exec_lo, s6
	s_lshl_b32 s6, 1, s69
	v_or_b32_e32 v9, s11, v9
	v_and_or_b32 v8, v8, s26, s6
	s_mov_b32 s76, -1
	s_mov_b32 s81, 0
	s_cmp_eq_u64 s[20:21], 0
	s_mov_b32 s8, 0
	s_mov_b32 s24, -1
	s_waitcnt lgkmcnt(0)
	s_barrier
	buffer_gl0_inv
                                        ; implicit-def: $vgpr10
	s_cbranch_scc1 .LBB222_154
; %bb.139:                              ;   in Loop: Header=BB222_18 Depth=1
	s_add_u32 s6, s20, s94
	s_addc_u32 s23, s21, s95
	s_mov_b32 s22, s71
	s_cmp_lg_u64 s[22:23], 0
	s_cbranch_scc0 .LBB222_195
; %bb.140:                              ;   in Loop: Header=BB222_18 Depth=1
	v_cvt_f32_u32_e32 v6, s35
	s_sub_u32 s24, 0, s35
	s_subb_u32 s25, 0, 0
	v_fmac_f32_e64 v6, 0x4f800000, 0
	v_rcp_f32_e32 v6, v6
	v_mul_f32_e32 v6, 0x5f7ffffc, v6
	v_mul_f32_e32 v7, 0x2f800000, v6
	v_trunc_f32_e32 v7, v7
	v_fmac_f32_e32 v6, 0xcf800000, v7
	v_cvt_u32_f32_e32 v7, v7
	v_cvt_u32_f32_e32 v6, v6
	v_readfirstlane_b32 s8, v7
	v_readfirstlane_b32 s22, v6
	s_mul_i32 s28, s24, s8
	s_mul_hi_u32 s70, s24, s22
	s_mul_i32 s58, s25, s22
	s_add_i32 s28, s70, s28
	s_mul_i32 s72, s24, s22
	s_add_i32 s28, s28, s58
	s_mul_hi_u32 s70, s22, s72
	s_mul_i32 s85, s22, s28
	s_mul_hi_u32 s84, s8, s72
	s_mul_i32 s58, s8, s72
	s_mul_hi_u32 s72, s22, s28
	s_add_u32 s70, s70, s85
	s_addc_u32 s72, 0, s72
	s_mul_hi_u32 s86, s8, s28
	s_add_u32 s58, s70, s58
	s_mul_i32 s28, s8, s28
	s_addc_u32 s58, s72, s84
	s_addc_u32 s70, s86, 0
	s_add_u32 s28, s58, s28
	s_addc_u32 s58, 0, s70
	s_add_u32 s22, s22, s28
	s_cselect_b32 s28, -1, 0
	s_mul_hi_u32 s70, s24, s22
	s_cmp_lg_u32 s28, 0
	s_mul_i32 s28, s24, s22
	s_addc_u32 s8, s8, s58
	s_mul_i32 s25, s25, s22
	s_mul_i32 s24, s24, s8
	s_mul_hi_u32 s58, s22, s28
	s_add_i32 s24, s70, s24
	s_mul_hi_u32 s70, s8, s28
	s_add_i32 s24, s24, s25
	s_mul_i32 s25, s8, s28
	s_mul_i32 s84, s22, s24
	s_mul_hi_u32 s72, s22, s24
	s_add_u32 s58, s58, s84
	s_addc_u32 s72, 0, s72
	s_mul_hi_u32 s28, s8, s24
	s_add_u32 s25, s58, s25
	s_mul_i32 s24, s8, s24
	s_addc_u32 s25, s72, s70
	s_addc_u32 s28, s28, 0
	s_add_u32 s24, s25, s24
	s_addc_u32 s25, 0, s28
	s_add_u32 s22, s22, s24
	s_cselect_b32 s24, -1, 0
	s_mul_hi_u32 s28, s6, s22
	s_cmp_lg_u32 s24, 0
	s_mul_hi_u32 s24, s23, s22
	s_addc_u32 s8, s8, s25
	s_mul_i32 s22, s23, s22
	s_mul_i32 s58, s6, s8
	s_mul_hi_u32 s25, s6, s8
	s_add_u32 s28, s28, s58
	s_addc_u32 s25, 0, s25
	s_mul_hi_u32 s70, s23, s8
	s_add_u32 s22, s28, s22
	s_mul_i32 s8, s23, s8
	s_addc_u32 s22, s25, s24
	s_addc_u32 s24, s70, 0
	s_add_u32 s8, s22, s8
	s_addc_u32 s22, 0, s24
	s_mul_hi_u32 s24, s35, s8
	s_mul_i32 s22, s35, s22
	s_mul_i32 s8, s35, s8
	s_add_i32 s24, s24, s22
	s_sub_u32 s8, s6, s8
	s_cselect_b32 s22, -1, 0
	s_cmp_lg_u32 s22, 0
	s_subb_u32 s22, s23, s24
	s_sub_u32 s24, s8, s35
	s_cselect_b32 s25, -1, 0
	s_cmp_lg_u32 s25, 0
	s_subb_u32 s25, s22, 0
	s_sub_u32 s28, s24, s35
	s_cselect_b32 s58, -1, 0
	s_cmp_lg_u32 s58, 0
	s_subb_u32 s58, s25, 0
	s_cmp_ge_u32 s24, s35
	s_cselect_b32 s70, -1, 0
	s_cmp_eq_u32 s25, 0
	s_cselect_b32 s70, s70, -1
	s_cmp_lg_u32 s70, 0
	s_cselect_b32 s25, s58, s25
	s_cselect_b32 s24, s28, s24
	s_cmp_ge_u32 s8, s35
	s_cselect_b32 s28, -1, 0
	s_cmp_eq_u32 s22, 0
	s_cselect_b32 s28, s28, -1
	s_cmp_lg_u32 s28, 0
	s_cselect_b32 s25, s25, s22
	s_cselect_b32 s24, s24, s8
	s_cbranch_execnz .LBB222_142
.LBB222_141:                            ;   in Loop: Header=BB222_18 Depth=1
	v_cvt_f32_u32_e32 v6, s35
	s_sub_i32 s22, 0, s35
	v_rcp_iflag_f32_e32 v6, v6
	v_mul_f32_e32 v6, 0x4f7ffffe, v6
	v_cvt_u32_f32_e32 v6, v6
	v_readfirstlane_b32 s8, v6
	s_mul_i32 s22, s22, s8
	s_mul_hi_u32 s22, s8, s22
	s_add_i32 s8, s8, s22
	s_mul_hi_u32 s8, s6, s8
	s_mul_i32 s8, s8, s35
	s_sub_i32 s8, s6, s8
	s_sub_i32 s22, s8, s35
	s_cmp_ge_u32 s8, s35
	s_cselect_b32 s8, s22, s8
	s_sub_i32 s22, s8, s35
	s_cmp_ge_u32 s8, s35
	s_cselect_b32 s70, s22, s8
	s_mov_b64 s[24:25], s[70:71]
.LBB222_142:                            ;   in Loop: Header=BB222_18 Depth=1
	s_sub_u32 s22, s6, s24
	s_subb_u32 s23, s23, s25
	s_mov_b32 s24, 0
	s_mov_b32 s8, 0
	s_mov_b32 s25, exec_lo
                                        ; implicit-def: $vgpr10
	v_cmpx_gt_u64_e64 s[22:23], v[0:1]
	s_cbranch_execz .LBB222_153
; %bb.143:                              ;   in Loop: Header=BB222_18 Depth=1
	v_mov_b32_e32 v7, v1
	v_mov_b32_e32 v10, v25
	;; [unrolled: 1-line block ×3, first 2 shown]
                                        ; implicit-def: $sgpr70
	s_branch .LBB222_146
.LBB222_144:                            ;   in Loop: Header=BB222_146 Depth=2
	s_or_b32 exec_lo, exec_lo, s28
	s_waitcnt lgkmcnt(0)
	s_barrier
	buffer_gl0_inv
	ds_read_b32 v11, v3 offset:3072
	s_mov_b32 s6, -1
	s_mov_b32 s28, -1
	s_waitcnt lgkmcnt(0)
	s_barrier
	buffer_gl0_inv
	v_and_b32_e32 v21, 0x7fff, v11
	v_cmp_ne_u32_e32 vcc_lo, 0, v21
	s_cbranch_vccz .LBB222_149
.LBB222_145:                            ;   in Loop: Header=BB222_146 Depth=2
	s_and_b32 s1, exec_lo, s6
	s_or_b32 s8, s1, s8
	s_andn2_b32 s1, s70, exec_lo
	s_and_b32 s6, s28, exec_lo
	s_or_b32 s70, s1, s6
	s_andn2_b32 exec_lo, exec_lo, s8
	s_cbranch_execz .LBB222_152
.LBB222_146:                            ;   Parent Loop BB222_18 Depth=1
                                        ; =>  This Inner Loop Header: Depth=2
	s_mov_b32 s28, exec_lo
	v_cmpx_gt_u64_e64 s[20:21], v[6:7]
	s_cbranch_execz .LBB222_144
; %bb.147:                              ;   in Loop: Header=BB222_146 Depth=2
	ds_read_u16 v11, v10
	s_waitcnt lgkmcnt(0)
	v_lshlrev_b32_e32 v21, 16, v11
	v_cmp_lt_i16_e64 s6, -1, v11
	v_cmp_o_f32_e32 vcc_lo, v21, v21
	v_cndmask_b32_e64 v21, 0xffff, v31, s6
	v_xor_b32_sdwa v21, v21, v11 dst_sel:DWORD dst_unused:UNUSED_PAD src0_sel:DWORD src1_sel:WORD_0
	v_cndmask_b32_e32 v21, 0xffff, v21, vcc_lo
	v_and_b32_e32 v21, v21, v9
	v_cmp_eq_u32_e32 vcc_lo, v21, v8
	s_and_b32 exec_lo, exec_lo, vcc_lo
	s_cbranch_execz .LBB222_144
; %bb.148:                              ;   in Loop: Header=BB222_146 Depth=2
	v_perm_b32 v11, v11, s63, 0x5040100
	ds_write_b32 v3, v11 offset:3072
	s_branch .LBB222_144
.LBB222_149:                            ;   in Loop: Header=BB222_146 Depth=2
	v_add_co_u32 v6, vcc_lo, v6, s35
	v_add_co_ci_u32_e64 v7, null, 0, v7, vcc_lo
	v_add_nc_u32_e32 v10, s68, v10
	s_mov_b32 s28, 0
	v_cmp_le_u64_e32 vcc_lo, s[22:23], v[6:7]
	s_orn2_b32 s6, vcc_lo, exec_lo
	s_branch .LBB222_145
.LBB222_150:                            ;   in Loop: Header=BB222_18 Depth=1
                                        ; implicit-def: $sgpr24_sgpr25
	s_andn2_b32 vcc_lo, exec_lo, s8
	s_cbranch_vccz .LBB222_95
	s_branch .LBB222_96
.LBB222_151:                            ;   in Loop: Header=BB222_18 Depth=1
                                        ; implicit-def: $sgpr20_sgpr21
	s_branch .LBB222_112
.LBB222_152:                            ;   in Loop: Header=BB222_18 Depth=1
	s_or_b32 exec_lo, exec_lo, s8
	v_lshrrev_b32_e32 v10, 16, v11
	s_and_b32 s8, s70, exec_lo
.LBB222_153:                            ;   in Loop: Header=BB222_18 Depth=1
	s_or_b32 exec_lo, exec_lo, s25
.LBB222_154:                            ;   in Loop: Header=BB222_18 Depth=1
	s_and_b32 vcc_lo, exec_lo, s24
	s_cbranch_vccz .LBB222_168
; %bb.155:                              ;   in Loop: Header=BB222_18 Depth=1
	s_mov_b32 s72, s71
	s_cmp_lg_u64 s[72:73], 0
	s_cbranch_scc0 .LBB222_196
; %bb.156:                              ;   in Loop: Header=BB222_18 Depth=1
	v_cvt_f32_u32_e32 v6, s35
	s_sub_u32 s21, 0, s35
	s_subb_u32 s22, 0, 0
	v_fmac_f32_e64 v6, 0x4f800000, 0
	v_rcp_f32_e32 v6, v6
	v_mul_f32_e32 v6, 0x5f7ffffc, v6
	v_mul_f32_e32 v7, 0x2f800000, v6
	v_trunc_f32_e32 v7, v7
	v_fmac_f32_e32 v6, 0xcf800000, v7
	v_cvt_u32_f32_e32 v7, v7
	v_cvt_u32_f32_e32 v6, v6
	v_readfirstlane_b32 s6, v7
	v_readfirstlane_b32 s20, v6
	s_mul_i32 s23, s21, s6
	s_mul_hi_u32 s25, s21, s20
	s_mul_i32 s24, s22, s20
	s_add_i32 s23, s25, s23
	s_mul_i32 s28, s21, s20
	s_add_i32 s23, s23, s24
	s_mul_hi_u32 s25, s20, s28
	s_mul_i32 s70, s20, s23
	s_mul_hi_u32 s58, s6, s28
	s_mul_i32 s24, s6, s28
	s_mul_hi_u32 s28, s20, s23
	s_add_u32 s25, s25, s70
	s_addc_u32 s28, 0, s28
	s_mul_hi_u32 s72, s6, s23
	s_add_u32 s24, s25, s24
	s_mul_i32 s23, s6, s23
	s_addc_u32 s24, s28, s58
	s_addc_u32 s25, s72, 0
	s_add_u32 s23, s24, s23
	s_addc_u32 s24, 0, s25
	s_add_u32 s20, s20, s23
	s_cselect_b32 s23, -1, 0
	s_mul_hi_u32 s25, s21, s20
	s_cmp_lg_u32 s23, 0
	s_mul_i32 s23, s21, s20
	s_addc_u32 s6, s6, s24
	s_mul_i32 s22, s22, s20
	s_mul_i32 s21, s21, s6
	s_mul_hi_u32 s24, s20, s23
	s_add_i32 s21, s25, s21
	s_mul_hi_u32 s25, s6, s23
	s_add_i32 s21, s21, s22
	s_mul_i32 s22, s6, s23
	s_mul_i32 s58, s20, s21
	s_mul_hi_u32 s28, s20, s21
	s_add_u32 s24, s24, s58
	s_addc_u32 s28, 0, s28
	s_mul_hi_u32 s23, s6, s21
	s_add_u32 s22, s24, s22
	s_mul_i32 s21, s6, s21
	s_addc_u32 s22, s28, s25
	s_addc_u32 s23, s23, 0
	s_add_u32 s21, s22, s21
	s_addc_u32 s22, 0, s23
	s_add_u32 s20, s20, s21
	s_cselect_b32 s21, -1, 0
	s_mul_hi_u32 s23, s96, s20
	s_cmp_lg_u32 s21, 0
	s_mul_hi_u32 s21, s73, s20
	s_addc_u32 s6, s6, s22
	s_mul_i32 s20, s73, s20
	s_mul_i32 s24, s96, s6
	s_mul_hi_u32 s22, s96, s6
	s_add_u32 s23, s23, s24
	s_addc_u32 s22, 0, s22
	s_mul_hi_u32 s25, s73, s6
	s_add_u32 s20, s23, s20
	s_mul_i32 s6, s73, s6
	s_addc_u32 s20, s22, s21
	s_addc_u32 s21, s25, 0
	s_add_u32 s6, s20, s6
	s_addc_u32 s20, 0, s21
	s_mul_hi_u32 s21, s35, s6
	s_mul_i32 s20, s35, s20
	s_mul_i32 s6, s35, s6
	s_add_i32 s21, s21, s20
	s_sub_u32 s6, s96, s6
	s_cselect_b32 s20, -1, 0
	s_cmp_lg_u32 s20, 0
	s_subb_u32 s20, s73, s21
	s_sub_u32 s21, s6, s35
	s_cselect_b32 s22, -1, 0
	s_cmp_lg_u32 s22, 0
	s_subb_u32 s22, s20, 0
	;; [unrolled: 4-line block ×3, first 2 shown]
	s_cmp_ge_u32 s21, s35
	s_cselect_b32 s25, -1, 0
	s_cmp_eq_u32 s22, 0
	s_cselect_b32 s25, s25, -1
	s_cmp_lg_u32 s25, 0
	s_cselect_b32 s22, s24, s22
	s_cselect_b32 s23, s23, s21
	s_cmp_ge_u32 s6, s35
	s_cselect_b32 s21, -1, 0
	s_cmp_eq_u32 s20, 0
	s_cselect_b32 s21, s21, -1
	s_cmp_lg_u32 s21, 0
	s_cselect_b32 s21, s22, s20
	s_cselect_b32 s20, s23, s6
	s_cbranch_execnz .LBB222_158
.LBB222_157:                            ;   in Loop: Header=BB222_18 Depth=1
	v_cvt_f32_u32_e32 v6, s35
	s_sub_i32 s20, 0, s35
	v_rcp_iflag_f32_e32 v6, v6
	v_mul_f32_e32 v6, 0x4f7ffffe, v6
	v_cvt_u32_f32_e32 v6, v6
	v_readfirstlane_b32 s6, v6
	s_mul_i32 s20, s20, s6
	s_mul_hi_u32 s20, s6, s20
	s_add_i32 s6, s6, s20
	s_mul_hi_u32 s6, s96, s6
	s_mul_i32 s6, s6, s35
	s_sub_i32 s6, s96, s6
	s_sub_i32 s20, s6, s35
	s_cmp_ge_u32 s6, s35
	s_cselect_b32 s6, s20, s6
	s_sub_i32 s20, s6, s35
	s_cmp_ge_u32 s6, s35
	s_cselect_b32 s70, s20, s6
	s_mov_b64 s[20:21], s[70:71]
.LBB222_158:                            ;   in Loop: Header=BB222_18 Depth=1
	s_sub_u32 s20, s96, s20
	s_subb_u32 s21, s73, s21
	s_mov_b32 s22, exec_lo
                                        ; implicit-def: $vgpr10
	v_cmpx_gt_u64_e64 s[20:21], v[0:1]
	s_cbranch_execz .LBB222_167
; %bb.159:                              ;   in Loop: Header=BB222_18 Depth=1
	v_mov_b32_e32 v7, v1
	v_mov_b32_e32 v6, v0
	s_mov_b32 s23, 0
                                        ; implicit-def: $sgpr24
	s_branch .LBB222_162
.LBB222_160:                            ;   in Loop: Header=BB222_162 Depth=2
	s_or_b32 exec_lo, exec_lo, s25
	s_waitcnt lgkmcnt(0)
	s_barrier
	buffer_gl0_inv
	ds_read_b32 v10, v3 offset:3072
	s_mov_b32 s25, -1
	s_mov_b32 s6, -1
	s_waitcnt lgkmcnt(0)
	s_barrier
	buffer_gl0_inv
	v_and_b32_e32 v11, 0x7fff, v10
	v_cmp_eq_u32_e32 vcc_lo, 0, v11
	s_cbranch_vccnz .LBB222_165
.LBB222_161:                            ;   in Loop: Header=BB222_162 Depth=2
	s_and_b32 s1, exec_lo, s25
	s_or_b32 s23, s1, s23
	s_andn2_b32 s1, s24, exec_lo
	s_and_b32 s6, s6, exec_lo
	s_or_b32 s24, s1, s6
	s_andn2_b32 exec_lo, exec_lo, s23
	s_cbranch_execz .LBB222_166
.LBB222_162:                            ;   Parent Loop BB222_18 Depth=1
                                        ; =>  This Inner Loop Header: Depth=2
	s_mov_b32 s25, exec_lo
	v_cmpx_gt_u64_e64 s[36:37], v[6:7]
	s_cbranch_execz .LBB222_160
; %bb.163:                              ;   in Loop: Header=BB222_162 Depth=2
	v_mul_lo_u32 v21, v7, s30
	v_mul_lo_u32 v22, v6, s31
	v_mad_u64_u32 v[10:11], null, v6, s30, 0
	v_add3_u32 v11, v11, v22, v21
	v_lshlrev_b64 v[10:11], 1, v[10:11]
	v_add_co_u32 v10, vcc_lo, s29, v10
	v_add_co_ci_u32_e64 v11, null, s33, v11, vcc_lo
	global_load_ushort v10, v[10:11], off
	s_waitcnt vmcnt(0)
	v_lshlrev_b32_e32 v11, 16, v10
	v_cmp_lt_i16_e64 s6, -1, v10
	v_cmp_o_f32_e32 vcc_lo, v11, v11
	v_cndmask_b32_e64 v11, 0xffff, v31, s6
	v_xor_b32_sdwa v11, v11, v10 dst_sel:DWORD dst_unused:UNUSED_PAD src0_sel:DWORD src1_sel:WORD_0
	v_cndmask_b32_e32 v11, 0xffff, v11, vcc_lo
	v_and_b32_e32 v11, v11, v9
	v_cmp_eq_u32_e32 vcc_lo, v11, v8
	s_and_b32 exec_lo, exec_lo, vcc_lo
	s_cbranch_execz .LBB222_160
; %bb.164:                              ;   in Loop: Header=BB222_162 Depth=2
	v_perm_b32 v10, v10, s63, 0x5040100
	ds_write_b32 v3, v10 offset:3072
	s_branch .LBB222_160
.LBB222_165:                            ;   in Loop: Header=BB222_162 Depth=2
	v_add_co_u32 v6, vcc_lo, v6, s35
	v_add_co_ci_u32_e64 v7, null, 0, v7, vcc_lo
	s_mov_b32 s6, 0
	v_cmp_le_u64_e32 vcc_lo, s[20:21], v[6:7]
	s_orn2_b32 s25, vcc_lo, exec_lo
	s_branch .LBB222_161
.LBB222_166:                            ;   in Loop: Header=BB222_18 Depth=1
	s_or_b32 exec_lo, exec_lo, s23
	v_lshrrev_b32_e32 v10, 16, v10
	s_andn2_b32 s1, s8, exec_lo
	s_and_b32 s6, s24, exec_lo
	s_or_b32 s8, s1, s6
.LBB222_167:                            ;   in Loop: Header=BB222_18 Depth=1
	s_or_b32 exec_lo, exec_lo, s22
	s_mov_b32 s76, 0
	s_mov_b32 s81, -1
.LBB222_168:                            ;   in Loop: Header=BB222_18 Depth=1
	s_orn2_b32 s6, s8, exec_lo
.LBB222_169:                            ;   in Loop: Header=BB222_18 Depth=1
	s_or_b32 exec_lo, exec_lo, s82
	s_mov_b32 s8, 0
	s_and_saveexec_b32 s82, s6
	s_cbranch_execz .LBB222_278
; %bb.170:                              ;   in Loop: Header=BB222_18 Depth=1
	v_mov_b32_e32 v6, 1
	v_mov_b32_e32 v7, 0
	;; [unrolled: 1-line block ×3, first 2 shown]
	s_xor_b32 s20, s83, -1
	s_and_saveexec_b32 s6, s20
	s_cbranch_execz .LBB222_179
; %bb.171:                              ;   in Loop: Header=BB222_18 Depth=1
	s_mov_b32 s8, exec_lo
	v_cmpx_ge_u64_e64 s[14:15], v[4:5]
	s_xor_b32 s8, exec_lo, s8
	s_cbranch_execz .LBB222_176
; %bb.172:                              ;   in Loop: Header=BB222_18 Depth=1
	ds_read_b64 v[6:7], v3 offset:5120
	s_lshl_b32 s20, 1, s69
	v_or_b32_e32 v9, s11, v9
	v_and_or_b32 v8, v8, s26, s20
	s_waitcnt lgkmcnt(0)
	v_cmp_ne_u64_e32 vcc_lo, 0, v[6:7]
	s_cbranch_vccnz .LBB222_176
; %bb.173:                              ;   in Loop: Header=BB222_18 Depth=1
	s_and_saveexec_b32 s20, s3
; %bb.174:                              ;   in Loop: Header=BB222_18 Depth=1
	v_mov_b32_e32 v6, s14
	v_mov_b32_e32 v7, s15
	ds_write_b64 v3, v[6:7] offset:5128
; %bb.175:                              ;   in Loop: Header=BB222_18 Depth=1
	s_or_b32 exec_lo, exec_lo, s20
	s_waitcnt lgkmcnt(0)
	s_barrier
	buffer_gl0_inv
.LBB222_176:                            ;   in Loop: Header=BB222_18 Depth=1
	s_or_saveexec_b32 s8, s8
	v_mov_b32_e32 v2, 8
	s_mov_b32 s20, 0
	s_xor_b32 exec_lo, exec_lo, s8
; %bb.177:                              ;   in Loop: Header=BB222_18 Depth=1
	v_sub_co_u32 v4, vcc_lo, v4, s14
	v_subrev_co_ci_u32_e64 v5, null, s15, v5, vcc_lo
	v_mov_b32_e32 v2, 0
	s_mov_b32 s20, exec_lo
; %bb.178:                              ;   in Loop: Header=BB222_18 Depth=1
	s_or_b32 exec_lo, exec_lo, s8
	v_mov_b32_e32 v7, v5
	v_mov_b32_e32 v6, v4
	s_and_b32 s8, s20, exec_lo
.LBB222_179:                            ;   in Loop: Header=BB222_18 Depth=1
	s_or_b32 exec_lo, exec_lo, s6
	s_mov_b32 s6, -1
                                        ; implicit-def: $sgpr84
                                        ; implicit-def: $sgpr85
	s_and_saveexec_b32 s83, s8
	s_cbranch_execz .LBB222_277
; %bb.180:                              ;   in Loop: Header=BB222_18 Depth=1
	v_cmp_eq_u64_e32 vcc_lo, 1, v[6:7]
	s_cmp_eq_u64 s[16:17], 1
                                        ; implicit-def: $sgpr85
                                        ; implicit-def: $sgpr84
	s_cselect_b32 s6, -1, 0
	s_and_b32 s87, s6, vcc_lo
	s_mov_b32 s6, -1
	s_and_saveexec_b32 s86, s87
	s_cbranch_execz .LBB222_214
; %bb.181:                              ;   in Loop: Header=BB222_18 Depth=1
	ds_read_b64 v[4:5], v3 offset:5120
	s_waitcnt lgkmcnt(0)
	s_barrier
	buffer_gl0_inv
	v_readfirstlane_b32 s20, v4
	v_readfirstlane_b32 s21, v5
	s_and_saveexec_b32 s6, s10
; %bb.182:                              ;   in Loop: Header=BB222_18 Depth=1
	ds_write_b16 v26, v3
; %bb.183:                              ;   in Loop: Header=BB222_18 Depth=1
	s_or_b32 exec_lo, exec_lo, s6
	s_lshl_b32 s6, 2, s69
	v_or_b32_e32 v9, s11, v9
	v_and_or_b32 v8, v8, s26, s6
	s_mov_b32 s84, -1
	s_mov_b32 s85, 0
	s_cmp_eq_u64 s[20:21], 0
	s_mov_b32 s8, 0
	s_mov_b32 s24, -1
	s_waitcnt lgkmcnt(0)
	s_barrier
	buffer_gl0_inv
                                        ; implicit-def: $vgpr10
	s_cbranch_scc1 .LBB222_199
; %bb.184:                              ;   in Loop: Header=BB222_18 Depth=1
	s_add_u32 s6, s20, s94
	s_addc_u32 s23, s21, s95
	s_mov_b32 s22, s71
	s_cmp_lg_u64 s[22:23], 0
	s_cbranch_scc0 .LBB222_231
; %bb.185:                              ;   in Loop: Header=BB222_18 Depth=1
	v_cvt_f32_u32_e32 v4, s35
	s_sub_u32 s24, 0, s35
	s_subb_u32 s25, 0, 0
	v_fmac_f32_e64 v4, 0x4f800000, 0
	v_rcp_f32_e32 v4, v4
	v_mul_f32_e32 v4, 0x5f7ffffc, v4
	v_mul_f32_e32 v5, 0x2f800000, v4
	v_trunc_f32_e32 v5, v5
	v_fmac_f32_e32 v4, 0xcf800000, v5
	v_cvt_u32_f32_e32 v5, v5
	v_cvt_u32_f32_e32 v4, v4
	v_readfirstlane_b32 s8, v5
	v_readfirstlane_b32 s22, v4
	s_mul_i32 s28, s24, s8
	s_mul_hi_u32 s70, s24, s22
	s_mul_i32 s58, s25, s22
	s_add_i32 s28, s70, s28
	s_mul_i32 s72, s24, s22
	s_add_i32 s28, s28, s58
	s_mul_hi_u32 s70, s22, s72
	s_mul_i32 s89, s22, s28
	s_mul_hi_u32 s88, s8, s72
	s_mul_i32 s58, s8, s72
	s_mul_hi_u32 s72, s22, s28
	s_add_u32 s70, s70, s89
	s_addc_u32 s72, 0, s72
	s_mul_hi_u32 vcc_lo, s8, s28
	s_add_u32 s58, s70, s58
	s_mul_i32 s28, s8, s28
	s_addc_u32 s58, s72, s88
	s_addc_u32 s70, vcc_lo, 0
	s_add_u32 s28, s58, s28
	s_addc_u32 s58, 0, s70
	s_add_u32 s22, s22, s28
	s_cselect_b32 s28, -1, 0
	s_mul_hi_u32 s70, s24, s22
	s_cmp_lg_u32 s28, 0
	s_mul_i32 s28, s24, s22
	s_addc_u32 s8, s8, s58
	s_mul_i32 s25, s25, s22
	s_mul_i32 s24, s24, s8
	s_mul_hi_u32 s58, s22, s28
	s_add_i32 s24, s70, s24
	s_mul_hi_u32 s70, s8, s28
	s_add_i32 s24, s24, s25
	s_mul_i32 s25, s8, s28
	s_mul_i32 s88, s22, s24
	s_mul_hi_u32 s72, s22, s24
	s_add_u32 s58, s58, s88
	s_addc_u32 s72, 0, s72
	s_mul_hi_u32 s28, s8, s24
	s_add_u32 s25, s58, s25
	s_mul_i32 s24, s8, s24
	s_addc_u32 s25, s72, s70
	s_addc_u32 s28, s28, 0
	s_add_u32 s24, s25, s24
	s_addc_u32 s25, 0, s28
	s_add_u32 s22, s22, s24
	s_cselect_b32 s24, -1, 0
	s_mul_hi_u32 s28, s6, s22
	s_cmp_lg_u32 s24, 0
	s_mul_hi_u32 s24, s23, s22
	s_addc_u32 s8, s8, s25
	s_mul_i32 s22, s23, s22
	s_mul_i32 s58, s6, s8
	s_mul_hi_u32 s25, s6, s8
	s_add_u32 s28, s28, s58
	s_addc_u32 s25, 0, s25
	s_mul_hi_u32 s70, s23, s8
	s_add_u32 s22, s28, s22
	s_mul_i32 s8, s23, s8
	s_addc_u32 s22, s25, s24
	s_addc_u32 s24, s70, 0
	s_add_u32 s8, s22, s8
	s_addc_u32 s22, 0, s24
	s_mul_hi_u32 s24, s35, s8
	s_mul_i32 s22, s35, s22
	s_mul_i32 s8, s35, s8
	s_add_i32 s24, s24, s22
	s_sub_u32 s8, s6, s8
	s_cselect_b32 s22, -1, 0
	s_cmp_lg_u32 s22, 0
	s_subb_u32 s22, s23, s24
	s_sub_u32 s24, s8, s35
	s_cselect_b32 s25, -1, 0
	s_cmp_lg_u32 s25, 0
	s_subb_u32 s25, s22, 0
	;; [unrolled: 4-line block ×3, first 2 shown]
	s_cmp_ge_u32 s24, s35
	s_cselect_b32 s70, -1, 0
	s_cmp_eq_u32 s25, 0
	s_cselect_b32 s70, s70, -1
	s_cmp_lg_u32 s70, 0
	s_cselect_b32 s25, s58, s25
	s_cselect_b32 s24, s28, s24
	s_cmp_ge_u32 s8, s35
	s_cselect_b32 s28, -1, 0
	s_cmp_eq_u32 s22, 0
	s_cselect_b32 s28, s28, -1
	s_cmp_lg_u32 s28, 0
	s_cselect_b32 s25, s25, s22
	s_cselect_b32 s24, s24, s8
	s_cbranch_execnz .LBB222_187
.LBB222_186:                            ;   in Loop: Header=BB222_18 Depth=1
	v_cvt_f32_u32_e32 v4, s35
	s_sub_i32 s22, 0, s35
	v_rcp_iflag_f32_e32 v4, v4
	v_mul_f32_e32 v4, 0x4f7ffffe, v4
	v_cvt_u32_f32_e32 v4, v4
	v_readfirstlane_b32 s8, v4
	s_mul_i32 s22, s22, s8
	s_mul_hi_u32 s22, s8, s22
	s_add_i32 s8, s8, s22
	s_mul_hi_u32 s8, s6, s8
	s_mul_i32 s8, s8, s35
	s_sub_i32 s8, s6, s8
	s_sub_i32 s22, s8, s35
	s_cmp_ge_u32 s8, s35
	s_cselect_b32 s8, s22, s8
	s_sub_i32 s22, s8, s35
	s_cmp_ge_u32 s8, s35
	s_cselect_b32 s70, s22, s8
	s_mov_b64 s[24:25], s[70:71]
.LBB222_187:                            ;   in Loop: Header=BB222_18 Depth=1
	s_sub_u32 s22, s6, s24
	s_subb_u32 s23, s23, s25
	s_mov_b32 s24, 0
	s_mov_b32 s8, 0
	s_mov_b32 s25, exec_lo
                                        ; implicit-def: $vgpr10
	v_cmpx_gt_u64_e64 s[22:23], v[0:1]
	s_cbranch_execz .LBB222_198
; %bb.188:                              ;   in Loop: Header=BB222_18 Depth=1
	v_mov_b32_e32 v5, v1
	v_mov_b32_e32 v10, v25
	;; [unrolled: 1-line block ×3, first 2 shown]
                                        ; implicit-def: $sgpr70
	s_branch .LBB222_191
.LBB222_189:                            ;   in Loop: Header=BB222_191 Depth=2
	s_or_b32 exec_lo, exec_lo, s28
	s_waitcnt lgkmcnt(0)
	s_barrier
	buffer_gl0_inv
	ds_read_b32 v11, v3 offset:3072
	s_mov_b32 s6, -1
	s_mov_b32 s28, -1
	s_waitcnt lgkmcnt(0)
	s_barrier
	buffer_gl0_inv
	v_and_b32_e32 v21, 0x7fff, v11
	v_cmp_ne_u32_e32 vcc_lo, 0, v21
	s_cbranch_vccz .LBB222_194
.LBB222_190:                            ;   in Loop: Header=BB222_191 Depth=2
	s_and_b32 s1, exec_lo, s6
	s_or_b32 s8, s1, s8
	s_andn2_b32 s1, s70, exec_lo
	s_and_b32 s6, s28, exec_lo
	s_or_b32 s70, s1, s6
	s_andn2_b32 exec_lo, exec_lo, s8
	s_cbranch_execz .LBB222_197
.LBB222_191:                            ;   Parent Loop BB222_18 Depth=1
                                        ; =>  This Inner Loop Header: Depth=2
	s_mov_b32 s28, exec_lo
	v_cmpx_gt_u64_e64 s[20:21], v[4:5]
	s_cbranch_execz .LBB222_189
; %bb.192:                              ;   in Loop: Header=BB222_191 Depth=2
	ds_read_u16 v11, v10
	s_waitcnt lgkmcnt(0)
	v_lshlrev_b32_e32 v21, 16, v11
	v_cmp_lt_i16_e64 s6, -1, v11
	v_cmp_o_f32_e32 vcc_lo, v21, v21
	v_cndmask_b32_e64 v21, 0xffff, v31, s6
	v_xor_b32_sdwa v21, v21, v11 dst_sel:DWORD dst_unused:UNUSED_PAD src0_sel:DWORD src1_sel:WORD_0
	v_cndmask_b32_e32 v21, 0xffff, v21, vcc_lo
	v_and_b32_e32 v21, v21, v9
	v_cmp_eq_u32_e32 vcc_lo, v21, v8
	s_and_b32 exec_lo, exec_lo, vcc_lo
	s_cbranch_execz .LBB222_189
; %bb.193:                              ;   in Loop: Header=BB222_191 Depth=2
	v_perm_b32 v11, v11, s63, 0x5040100
	ds_write_b32 v3, v11 offset:3072
	s_branch .LBB222_189
.LBB222_194:                            ;   in Loop: Header=BB222_191 Depth=2
	v_add_co_u32 v4, vcc_lo, v4, s35
	v_add_co_ci_u32_e64 v5, null, 0, v5, vcc_lo
	v_add_nc_u32_e32 v10, s68, v10
	s_mov_b32 s28, 0
	v_cmp_le_u64_e32 vcc_lo, s[22:23], v[4:5]
	s_orn2_b32 s6, vcc_lo, exec_lo
	s_branch .LBB222_190
.LBB222_195:                            ;   in Loop: Header=BB222_18 Depth=1
                                        ; implicit-def: $sgpr24_sgpr25
	s_branch .LBB222_141
.LBB222_196:                            ;   in Loop: Header=BB222_18 Depth=1
                                        ; implicit-def: $sgpr20_sgpr21
	s_branch .LBB222_157
.LBB222_197:                            ;   in Loop: Header=BB222_18 Depth=1
	s_or_b32 exec_lo, exec_lo, s8
	v_lshrrev_b32_e32 v10, 16, v11
	s_and_b32 s8, s70, exec_lo
.LBB222_198:                            ;   in Loop: Header=BB222_18 Depth=1
	s_or_b32 exec_lo, exec_lo, s25
.LBB222_199:                            ;   in Loop: Header=BB222_18 Depth=1
	s_and_b32 vcc_lo, exec_lo, s24
	s_cbranch_vccz .LBB222_213
; %bb.200:                              ;   in Loop: Header=BB222_18 Depth=1
	s_mov_b32 s72, s71
	s_cmp_lg_u64 s[72:73], 0
	s_cbranch_scc0 .LBB222_232
; %bb.201:                              ;   in Loop: Header=BB222_18 Depth=1
	v_cvt_f32_u32_e32 v4, s35
	s_sub_u32 s21, 0, s35
	s_subb_u32 s22, 0, 0
	v_fmac_f32_e64 v4, 0x4f800000, 0
	v_rcp_f32_e32 v4, v4
	v_mul_f32_e32 v4, 0x5f7ffffc, v4
	v_mul_f32_e32 v5, 0x2f800000, v4
	v_trunc_f32_e32 v5, v5
	v_fmac_f32_e32 v4, 0xcf800000, v5
	v_cvt_u32_f32_e32 v5, v5
	v_cvt_u32_f32_e32 v4, v4
	v_readfirstlane_b32 s6, v5
	v_readfirstlane_b32 s20, v4
	s_mul_i32 s23, s21, s6
	s_mul_hi_u32 s25, s21, s20
	s_mul_i32 s24, s22, s20
	s_add_i32 s23, s25, s23
	s_mul_i32 s28, s21, s20
	s_add_i32 s23, s23, s24
	s_mul_hi_u32 s25, s20, s28
	s_mul_i32 s70, s20, s23
	s_mul_hi_u32 s58, s6, s28
	s_mul_i32 s24, s6, s28
	s_mul_hi_u32 s28, s20, s23
	s_add_u32 s25, s25, s70
	s_addc_u32 s28, 0, s28
	s_mul_hi_u32 s72, s6, s23
	s_add_u32 s24, s25, s24
	s_mul_i32 s23, s6, s23
	s_addc_u32 s24, s28, s58
	s_addc_u32 s25, s72, 0
	s_add_u32 s23, s24, s23
	s_addc_u32 s24, 0, s25
	s_add_u32 s20, s20, s23
	s_cselect_b32 s23, -1, 0
	s_mul_hi_u32 s25, s21, s20
	s_cmp_lg_u32 s23, 0
	s_mul_i32 s23, s21, s20
	s_addc_u32 s6, s6, s24
	s_mul_i32 s22, s22, s20
	s_mul_i32 s21, s21, s6
	s_mul_hi_u32 s24, s20, s23
	s_add_i32 s21, s25, s21
	s_mul_hi_u32 s25, s6, s23
	s_add_i32 s21, s21, s22
	s_mul_i32 s22, s6, s23
	s_mul_i32 s58, s20, s21
	s_mul_hi_u32 s28, s20, s21
	s_add_u32 s24, s24, s58
	s_addc_u32 s28, 0, s28
	s_mul_hi_u32 s23, s6, s21
	s_add_u32 s22, s24, s22
	s_mul_i32 s21, s6, s21
	s_addc_u32 s22, s28, s25
	s_addc_u32 s23, s23, 0
	s_add_u32 s21, s22, s21
	s_addc_u32 s22, 0, s23
	s_add_u32 s20, s20, s21
	s_cselect_b32 s21, -1, 0
	s_mul_hi_u32 s23, s96, s20
	s_cmp_lg_u32 s21, 0
	s_mul_hi_u32 s21, s73, s20
	s_addc_u32 s6, s6, s22
	s_mul_i32 s20, s73, s20
	s_mul_i32 s24, s96, s6
	s_mul_hi_u32 s22, s96, s6
	s_add_u32 s23, s23, s24
	s_addc_u32 s22, 0, s22
	s_mul_hi_u32 s25, s73, s6
	s_add_u32 s20, s23, s20
	s_mul_i32 s6, s73, s6
	s_addc_u32 s20, s22, s21
	s_addc_u32 s21, s25, 0
	s_add_u32 s6, s20, s6
	s_addc_u32 s20, 0, s21
	s_mul_hi_u32 s21, s35, s6
	s_mul_i32 s20, s35, s20
	s_mul_i32 s6, s35, s6
	s_add_i32 s21, s21, s20
	s_sub_u32 s6, s96, s6
	s_cselect_b32 s20, -1, 0
	s_cmp_lg_u32 s20, 0
	s_subb_u32 s20, s73, s21
	s_sub_u32 s21, s6, s35
	s_cselect_b32 s22, -1, 0
	s_cmp_lg_u32 s22, 0
	s_subb_u32 s22, s20, 0
	;; [unrolled: 4-line block ×3, first 2 shown]
	s_cmp_ge_u32 s21, s35
	s_cselect_b32 s25, -1, 0
	s_cmp_eq_u32 s22, 0
	s_cselect_b32 s25, s25, -1
	s_cmp_lg_u32 s25, 0
	s_cselect_b32 s22, s24, s22
	s_cselect_b32 s23, s23, s21
	s_cmp_ge_u32 s6, s35
	s_cselect_b32 s21, -1, 0
	s_cmp_eq_u32 s20, 0
	s_cselect_b32 s21, s21, -1
	s_cmp_lg_u32 s21, 0
	s_cselect_b32 s21, s22, s20
	s_cselect_b32 s20, s23, s6
	s_cbranch_execnz .LBB222_203
.LBB222_202:                            ;   in Loop: Header=BB222_18 Depth=1
	v_cvt_f32_u32_e32 v4, s35
	s_sub_i32 s20, 0, s35
	v_rcp_iflag_f32_e32 v4, v4
	v_mul_f32_e32 v4, 0x4f7ffffe, v4
	v_cvt_u32_f32_e32 v4, v4
	v_readfirstlane_b32 s6, v4
	s_mul_i32 s20, s20, s6
	s_mul_hi_u32 s20, s6, s20
	s_add_i32 s6, s6, s20
	s_mul_hi_u32 s6, s96, s6
	s_mul_i32 s6, s6, s35
	s_sub_i32 s6, s96, s6
	s_sub_i32 s20, s6, s35
	s_cmp_ge_u32 s6, s35
	s_cselect_b32 s6, s20, s6
	s_sub_i32 s20, s6, s35
	s_cmp_ge_u32 s6, s35
	s_cselect_b32 s70, s20, s6
	s_mov_b64 s[20:21], s[70:71]
.LBB222_203:                            ;   in Loop: Header=BB222_18 Depth=1
	s_sub_u32 s20, s96, s20
	s_subb_u32 s21, s73, s21
	s_mov_b32 s22, exec_lo
                                        ; implicit-def: $vgpr10
	v_cmpx_gt_u64_e64 s[20:21], v[0:1]
	s_cbranch_execz .LBB222_212
; %bb.204:                              ;   in Loop: Header=BB222_18 Depth=1
	v_mov_b32_e32 v5, v1
	v_mov_b32_e32 v4, v0
	s_mov_b32 s23, 0
                                        ; implicit-def: $sgpr24
	s_branch .LBB222_207
.LBB222_205:                            ;   in Loop: Header=BB222_207 Depth=2
	s_or_b32 exec_lo, exec_lo, s25
	s_waitcnt lgkmcnt(0)
	s_barrier
	buffer_gl0_inv
	ds_read_b32 v10, v3 offset:3072
	s_mov_b32 s25, -1
	s_mov_b32 s6, -1
	s_waitcnt lgkmcnt(0)
	s_barrier
	buffer_gl0_inv
	v_and_b32_e32 v11, 0x7fff, v10
	v_cmp_eq_u32_e32 vcc_lo, 0, v11
	s_cbranch_vccnz .LBB222_210
.LBB222_206:                            ;   in Loop: Header=BB222_207 Depth=2
	s_and_b32 s1, exec_lo, s25
	s_or_b32 s23, s1, s23
	s_andn2_b32 s1, s24, exec_lo
	s_and_b32 s6, s6, exec_lo
	s_or_b32 s24, s1, s6
	s_andn2_b32 exec_lo, exec_lo, s23
	s_cbranch_execz .LBB222_211
.LBB222_207:                            ;   Parent Loop BB222_18 Depth=1
                                        ; =>  This Inner Loop Header: Depth=2
	s_mov_b32 s25, exec_lo
	v_cmpx_gt_u64_e64 s[36:37], v[4:5]
	s_cbranch_execz .LBB222_205
; %bb.208:                              ;   in Loop: Header=BB222_207 Depth=2
	v_mul_lo_u32 v21, v5, s30
	v_mul_lo_u32 v22, v4, s31
	v_mad_u64_u32 v[10:11], null, v4, s30, 0
	v_add3_u32 v11, v11, v22, v21
	v_lshlrev_b64 v[10:11], 1, v[10:11]
	v_add_co_u32 v10, vcc_lo, s29, v10
	v_add_co_ci_u32_e64 v11, null, s33, v11, vcc_lo
	global_load_ushort v10, v[10:11], off
	s_waitcnt vmcnt(0)
	v_lshlrev_b32_e32 v11, 16, v10
	v_cmp_lt_i16_e64 s6, -1, v10
	v_cmp_o_f32_e32 vcc_lo, v11, v11
	v_cndmask_b32_e64 v11, 0xffff, v31, s6
	v_xor_b32_sdwa v11, v11, v10 dst_sel:DWORD dst_unused:UNUSED_PAD src0_sel:DWORD src1_sel:WORD_0
	v_cndmask_b32_e32 v11, 0xffff, v11, vcc_lo
	v_and_b32_e32 v11, v11, v9
	v_cmp_eq_u32_e32 vcc_lo, v11, v8
	s_and_b32 exec_lo, exec_lo, vcc_lo
	s_cbranch_execz .LBB222_205
; %bb.209:                              ;   in Loop: Header=BB222_207 Depth=2
	v_perm_b32 v10, v10, s63, 0x5040100
	ds_write_b32 v3, v10 offset:3072
	s_branch .LBB222_205
.LBB222_210:                            ;   in Loop: Header=BB222_207 Depth=2
	v_add_co_u32 v4, vcc_lo, v4, s35
	v_add_co_ci_u32_e64 v5, null, 0, v5, vcc_lo
	s_mov_b32 s6, 0
	v_cmp_le_u64_e32 vcc_lo, s[20:21], v[4:5]
	s_orn2_b32 s25, vcc_lo, exec_lo
	s_branch .LBB222_206
.LBB222_211:                            ;   in Loop: Header=BB222_18 Depth=1
	s_or_b32 exec_lo, exec_lo, s23
	v_lshrrev_b32_e32 v10, 16, v10
	s_andn2_b32 s1, s8, exec_lo
	s_and_b32 s6, s24, exec_lo
	s_or_b32 s8, s1, s6
.LBB222_212:                            ;   in Loop: Header=BB222_18 Depth=1
	s_or_b32 exec_lo, exec_lo, s22
	s_mov_b32 s84, 0
	s_mov_b32 s85, -1
.LBB222_213:                            ;   in Loop: Header=BB222_18 Depth=1
	s_orn2_b32 s6, s8, exec_lo
.LBB222_214:                            ;   in Loop: Header=BB222_18 Depth=1
	s_or_b32 exec_lo, exec_lo, s86
	s_mov_b32 s8, 0
	s_and_saveexec_b32 s86, s6
	s_cbranch_execz .LBB222_276
; %bb.215:                              ;   in Loop: Header=BB222_18 Depth=1
	v_mov_b32_e32 v4, 1
	v_mov_b32_e32 v5, 0
	;; [unrolled: 1-line block ×3, first 2 shown]
	s_xor_b32 s8, s87, -1
	s_mov_b32 s20, 0
	s_and_saveexec_b32 s6, s8
	s_cbranch_execz .LBB222_224
; %bb.216:                              ;   in Loop: Header=BB222_18 Depth=1
	s_mov_b32 s8, exec_lo
	v_cmpx_ge_u64_e64 s[16:17], v[6:7]
	s_xor_b32 s8, exec_lo, s8
	s_cbranch_execz .LBB222_221
; %bb.217:                              ;   in Loop: Header=BB222_18 Depth=1
	ds_read_b64 v[4:5], v3 offset:5120
	s_lshl_b32 s20, 2, s69
	v_or_b32_e32 v9, s11, v9
	v_and_or_b32 v8, v8, s26, s20
	s_waitcnt lgkmcnt(0)
	v_cmp_ne_u64_e32 vcc_lo, 0, v[4:5]
	s_cbranch_vccnz .LBB222_221
; %bb.218:                              ;   in Loop: Header=BB222_18 Depth=1
	s_and_saveexec_b32 s20, s3
; %bb.219:                              ;   in Loop: Header=BB222_18 Depth=1
	v_mov_b32_e32 v4, s16
	v_mov_b32_e32 v5, s17
	ds_write_b64 v3, v[4:5] offset:5128
; %bb.220:                              ;   in Loop: Header=BB222_18 Depth=1
	s_or_b32 exec_lo, exec_lo, s20
	s_waitcnt lgkmcnt(0)
	s_barrier
	buffer_gl0_inv
.LBB222_221:                            ;   in Loop: Header=BB222_18 Depth=1
	s_or_saveexec_b32 s8, s8
	v_mov_b32_e32 v2, 8
	s_mov_b32 s20, 0
	s_xor_b32 exec_lo, exec_lo, s8
; %bb.222:                              ;   in Loop: Header=BB222_18 Depth=1
	v_sub_co_u32 v6, vcc_lo, v6, s16
	v_subrev_co_ci_u32_e64 v7, null, s17, v7, vcc_lo
	v_mov_b32_e32 v2, 0
	s_mov_b32 s20, exec_lo
; %bb.223:                              ;   in Loop: Header=BB222_18 Depth=1
	s_or_b32 exec_lo, exec_lo, s8
	v_mov_b32_e32 v4, v6
	v_mov_b32_e32 v5, v7
	s_and_b32 s20, s20, exec_lo
.LBB222_224:                            ;   in Loop: Header=BB222_18 Depth=1
	s_or_b32 exec_lo, exec_lo, s6
	s_mov_b32 s6, -1
                                        ; implicit-def: $sgpr8
                                        ; implicit-def: $sgpr72
	s_and_saveexec_b32 s87, s20
	s_cbranch_execz .LBB222_275
; %bb.225:                              ;   in Loop: Header=BB222_18 Depth=1
	v_cmp_eq_u64_e32 vcc_lo, 1, v[4:5]
	s_cmp_eq_u64 s[18:19], 1
	s_mov_b32 s20, -1
	s_cselect_b32 s6, -1, 0
                                        ; implicit-def: $sgpr8
                                        ; implicit-def: $sgpr72
	s_and_b32 s88, s6, vcc_lo
	s_and_saveexec_b32 s89, s88
	s_cbranch_execz .LBB222_263
; %bb.226:                              ;   in Loop: Header=BB222_18 Depth=1
	ds_read_b64 v[6:7], v3 offset:5120
	s_waitcnt lgkmcnt(0)
	s_barrier
	buffer_gl0_inv
	v_readfirstlane_b32 s20, v6
	v_readfirstlane_b32 s21, v7
	s_and_saveexec_b32 s6, s10
; %bb.227:                              ;   in Loop: Header=BB222_18 Depth=1
	ds_write_b16 v26, v3
; %bb.228:                              ;   in Loop: Header=BB222_18 Depth=1
	s_or_b32 exec_lo, exec_lo, s6
	v_or_b32_e32 v8, s11, v8
	v_or_b32_e32 v9, s11, v9
	s_mov_b32 s72, -1
	s_mov_b32 s8, 0
	s_cmp_eq_u64 s[20:21], 0
	s_mov_b32 s24, 0
	s_mov_b32 s25, -1
	s_waitcnt lgkmcnt(0)
	s_barrier
	buffer_gl0_inv
                                        ; implicit-def: $vgpr10
	s_cbranch_scc1 .LBB222_246
; %bb.229:                              ;   in Loop: Header=BB222_18 Depth=1
	s_add_u32 s6, s20, s94
	s_addc_u32 s23, s21, s95
	s_mov_b32 s22, s71
	s_cmp_lg_u64 s[22:23], 0
	s_cbranch_scc0 .LBB222_233
; %bb.230:                              ;   in Loop: Header=BB222_18 Depth=1
	v_cvt_f32_u32_e32 v6, s35
	s_sub_u32 s25, 0, s35
	s_subb_u32 s28, 0, 0
	v_fmac_f32_e64 v6, 0x4f800000, 0
	v_rcp_f32_e32 v6, v6
	v_mul_f32_e32 v6, 0x5f7ffffc, v6
	v_mul_f32_e32 v7, 0x2f800000, v6
	v_trunc_f32_e32 v7, v7
	v_fmac_f32_e32 v6, 0xcf800000, v7
	v_cvt_u32_f32_e32 v7, v7
	v_cvt_u32_f32_e32 v6, v6
	v_readfirstlane_b32 s22, v7
	v_readfirstlane_b32 s24, v6
	s_mul_i32 s58, s25, s22
	s_mul_hi_u32 vcc_lo, s25, s24
	s_mul_i32 s70, s28, s24
	s_add_i32 s58, vcc_lo, s58
	s_mul_i32 s1, s25, s24
	s_add_i32 s58, s58, s70
	s_mul_hi_u32 vcc_lo, s24, s1
	s_mul_i32 s40, s24, s58
	s_mul_hi_u32 s70, s24, s58
	s_mul_hi_u32 s7, s22, s1
	s_mul_i32 s1, s22, s1
	s_add_u32 s40, vcc_lo, s40
	s_addc_u32 s43, 0, s70
	s_mul_hi_u32 s41, s22, s58
	s_add_u32 s1, s40, s1
	s_mul_i32 s42, s22, s58
	s_addc_u32 s1, s43, s7
	s_addc_u32 s7, s41, 0
	s_add_u32 s1, s1, s42
	s_addc_u32 s7, 0, s7
	s_add_u32 s1, s24, s1
	s_cselect_b32 s24, -1, 0
	s_mul_hi_u32 s40, s25, s1
	s_cmp_lg_u32 s24, 0
	s_mul_i32 s28, s28, s1
	s_addc_u32 s7, s22, s7
	s_mul_i32 s22, s25, s1
	s_mul_i32 s25, s25, s7
	s_mul_hi_u32 s24, s1, s22
	s_add_i32 s25, s40, s25
	s_mul_hi_u32 s40, s7, s22
	s_add_i32 s25, s25, s28
	s_mul_i32 s22, s7, s22
	s_mul_i32 s42, s1, s25
	s_mul_hi_u32 s41, s1, s25
	s_add_u32 s24, s24, s42
	s_addc_u32 s41, 0, s41
	s_mul_hi_u32 s28, s7, s25
	s_add_u32 s22, s24, s22
	s_mul_i32 s25, s7, s25
	s_addc_u32 s22, s41, s40
	s_addc_u32 s24, s28, 0
	s_add_u32 s22, s22, s25
	s_addc_u32 s24, 0, s24
	s_add_u32 s1, s1, s22
	s_cselect_b32 s22, -1, 0
	s_mul_hi_u32 s25, s6, s1
	s_cmp_lg_u32 s22, 0
	s_mul_hi_u32 s22, s23, s1
	s_addc_u32 s7, s7, s24
	s_mul_i32 s1, s23, s1
	s_mul_i32 s28, s6, s7
	s_mul_hi_u32 s24, s6, s7
	s_add_u32 s25, s25, s28
	s_addc_u32 s24, 0, s24
	s_mul_hi_u32 s40, s23, s7
	s_add_u32 s1, s25, s1
	s_mul_i32 s7, s23, s7
	s_addc_u32 s1, s24, s22
	s_addc_u32 s22, s40, 0
	s_add_u32 s1, s1, s7
	s_addc_u32 s7, 0, s22
	s_mul_hi_u32 s22, s35, s1
	s_mul_i32 s7, s35, s7
	s_mul_i32 s1, s35, s1
	s_add_i32 s22, s22, s7
	s_sub_u32 s1, s6, s1
	s_cselect_b32 s7, -1, 0
	s_cmp_lg_u32 s7, 0
	s_subb_u32 s7, s23, s22
	s_sub_u32 s22, s1, s35
	s_cselect_b32 s24, -1, 0
	s_cmp_lg_u32 s24, 0
	s_subb_u32 s24, s7, 0
	;; [unrolled: 4-line block ×3, first 2 shown]
	s_cmp_ge_u32 s22, s35
	s_cselect_b32 s40, -1, 0
	s_cmp_eq_u32 s24, 0
	s_cselect_b32 s40, s40, -1
	s_cmp_lg_u32 s40, 0
	s_cselect_b32 s24, s28, s24
	s_cselect_b32 s22, s25, s22
	s_cmp_ge_u32 s1, s35
	s_cselect_b32 s25, -1, 0
	s_cmp_eq_u32 s7, 0
	s_cselect_b32 s25, s25, -1
	s_cmp_lg_u32 s25, 0
	s_cselect_b32 s25, s24, s7
	s_cselect_b32 s24, s22, s1
	s_mov_b32 s22, 0
	s_branch .LBB222_234
.LBB222_231:                            ;   in Loop: Header=BB222_18 Depth=1
                                        ; implicit-def: $sgpr24_sgpr25
	s_branch .LBB222_186
.LBB222_232:                            ;   in Loop: Header=BB222_18 Depth=1
                                        ; implicit-def: $sgpr20_sgpr21
	s_branch .LBB222_202
.LBB222_233:                            ;   in Loop: Header=BB222_18 Depth=1
	s_mov_b32 s22, -1
                                        ; implicit-def: $sgpr24_sgpr25
.LBB222_234:                            ;   in Loop: Header=BB222_18 Depth=1
	s_andn2_b32 vcc_lo, exec_lo, s22
	s_cbranch_vccnz .LBB222_236
; %bb.235:                              ;   in Loop: Header=BB222_18 Depth=1
	v_cvt_f32_u32_e32 v6, s35
	s_sub_i32 s24, 0, s35
	v_rcp_iflag_f32_e32 v6, v6
	v_mul_f32_e32 v6, 0x4f7ffffe, v6
	v_cvt_u32_f32_e32 v6, v6
	v_readfirstlane_b32 s22, v6
	s_mul_i32 s24, s24, s22
	s_mul_hi_u32 s24, s22, s24
	s_add_i32 s22, s22, s24
	s_mul_hi_u32 s22, s6, s22
	s_mul_i32 s22, s22, s35
	s_sub_i32 s22, s6, s22
	s_sub_i32 s24, s22, s35
	s_cmp_ge_u32 s22, s35
	s_cselect_b32 s22, s24, s22
	s_sub_i32 s24, s22, s35
	s_cmp_ge_u32 s22, s35
	s_cselect_b32 s70, s24, s22
	s_mov_b64 s[24:25], s[70:71]
.LBB222_236:                            ;   in Loop: Header=BB222_18 Depth=1
	s_sub_u32 s22, s6, s24
	s_subb_u32 s23, s23, s25
	s_mov_b32 s25, 0
	s_mov_b32 s24, 0
	s_mov_b32 s70, exec_lo
                                        ; implicit-def: $vgpr10
	v_cmpx_gt_u64_e64 s[22:23], v[0:1]
	s_cbranch_execz .LBB222_245
; %bb.237:                              ;   in Loop: Header=BB222_18 Depth=1
	v_mov_b32_e32 v7, v1
	v_mov_b32_e32 v10, v25
	v_mov_b32_e32 v6, v0
                                        ; implicit-def: $sgpr28
	s_branch .LBB222_240
.LBB222_238:                            ;   in Loop: Header=BB222_240 Depth=2
	s_or_b32 exec_lo, exec_lo, s58
	s_waitcnt lgkmcnt(0)
	s_barrier
	buffer_gl0_inv
	ds_read_b32 v11, v3 offset:3072
	s_mov_b32 s6, -1
	s_mov_b32 s58, -1
	s_waitcnt lgkmcnt(0)
	s_barrier
	buffer_gl0_inv
	v_and_b32_e32 v21, 0x7fff, v11
	v_cmp_ne_u32_e32 vcc_lo, 0, v21
	s_cbranch_vccz .LBB222_243
.LBB222_239:                            ;   in Loop: Header=BB222_240 Depth=2
	s_and_b32 s1, exec_lo, s6
	s_or_b32 s24, s1, s24
	s_andn2_b32 s1, s28, exec_lo
	s_and_b32 s6, s58, exec_lo
	s_or_b32 s28, s1, s6
	s_andn2_b32 exec_lo, exec_lo, s24
	s_cbranch_execz .LBB222_244
.LBB222_240:                            ;   Parent Loop BB222_18 Depth=1
                                        ; =>  This Inner Loop Header: Depth=2
	s_mov_b32 s58, exec_lo
	v_cmpx_gt_u64_e64 s[20:21], v[6:7]
	s_cbranch_execz .LBB222_238
; %bb.241:                              ;   in Loop: Header=BB222_240 Depth=2
	ds_read_u16 v11, v10
	s_waitcnt lgkmcnt(0)
	v_lshlrev_b32_e32 v21, 16, v11
	v_cmp_lt_i16_e64 s6, -1, v11
	v_cmp_o_f32_e32 vcc_lo, v21, v21
	v_cndmask_b32_e64 v21, 0xffff, v31, s6
	v_xor_b32_sdwa v21, v21, v11 dst_sel:DWORD dst_unused:UNUSED_PAD src0_sel:DWORD src1_sel:WORD_0
	v_cndmask_b32_e32 v21, 0xffff, v21, vcc_lo
	v_and_b32_e32 v21, v21, v9
	v_cmp_eq_u32_e32 vcc_lo, v21, v8
	s_and_b32 exec_lo, exec_lo, vcc_lo
	s_cbranch_execz .LBB222_238
; %bb.242:                              ;   in Loop: Header=BB222_240 Depth=2
	v_perm_b32 v11, v11, s63, 0x5040100
	ds_write_b32 v3, v11 offset:3072
	s_branch .LBB222_238
.LBB222_243:                            ;   in Loop: Header=BB222_240 Depth=2
	v_add_co_u32 v6, vcc_lo, v6, s35
	v_add_co_ci_u32_e64 v7, null, 0, v7, vcc_lo
	v_add_nc_u32_e32 v10, s68, v10
	s_mov_b32 s58, 0
	v_cmp_le_u64_e32 vcc_lo, s[22:23], v[6:7]
	s_orn2_b32 s6, vcc_lo, exec_lo
	s_branch .LBB222_239
.LBB222_244:                            ;   in Loop: Header=BB222_18 Depth=1
	s_or_b32 exec_lo, exec_lo, s24
	v_lshrrev_b32_e32 v10, 16, v11
	s_and_b32 s24, s28, exec_lo
.LBB222_245:                            ;   in Loop: Header=BB222_18 Depth=1
	s_or_b32 exec_lo, exec_lo, s70
.LBB222_246:                            ;   in Loop: Header=BB222_18 Depth=1
	s_and_b32 vcc_lo, exec_lo, s25
	s_cbranch_vccz .LBB222_262
; %bb.247:                              ;   in Loop: Header=BB222_18 Depth=1
	s_mov_b32 s72, s71
	s_cmp_lg_u64 s[72:73], 0
	s_cbranch_scc0 .LBB222_249
; %bb.248:                              ;   in Loop: Header=BB222_18 Depth=1
	v_cvt_f32_u32_e32 v6, s35
	s_sub_u32 s7, 0, s35
	s_subb_u32 s8, 0, 0
	v_fmac_f32_e64 v6, 0x4f800000, 0
	v_rcp_f32_e32 v6, v6
	v_mul_f32_e32 v6, 0x5f7ffffc, v6
	v_mul_f32_e32 v7, 0x2f800000, v6
	v_trunc_f32_e32 v7, v7
	v_fmac_f32_e32 v6, 0xcf800000, v7
	v_cvt_u32_f32_e32 v7, v7
	v_cvt_u32_f32_e32 v6, v6
	v_readfirstlane_b32 s1, v7
	v_readfirstlane_b32 s6, v6
	s_mul_i32 s20, s7, s1
	s_mul_hi_u32 s22, s7, s6
	s_mul_i32 s21, s8, s6
	s_add_i32 s20, s22, s20
	s_mul_i32 s23, s7, s6
	s_add_i32 s20, s20, s21
	s_mul_hi_u32 s22, s6, s23
	s_mul_i32 s28, s6, s20
	s_mul_hi_u32 s25, s1, s23
	s_mul_i32 s21, s1, s23
	s_mul_hi_u32 s23, s6, s20
	s_add_u32 s22, s22, s28
	s_addc_u32 s23, 0, s23
	s_mul_hi_u32 s40, s1, s20
	s_add_u32 s21, s22, s21
	s_mul_i32 s20, s1, s20
	s_addc_u32 s21, s23, s25
	s_addc_u32 s22, s40, 0
	s_add_u32 s20, s21, s20
	s_addc_u32 s21, 0, s22
	s_add_u32 s6, s6, s20
	s_cselect_b32 s20, -1, 0
	s_mul_hi_u32 s22, s7, s6
	s_cmp_lg_u32 s20, 0
	s_mul_i32 s20, s7, s6
	s_addc_u32 s1, s1, s21
	s_mul_i32 s8, s8, s6
	s_mul_i32 s7, s7, s1
	s_mul_hi_u32 s21, s6, s20
	s_add_i32 s7, s22, s7
	s_mul_hi_u32 s22, s1, s20
	s_add_i32 s7, s7, s8
	s_mul_i32 s8, s1, s20
	s_mul_i32 s25, s6, s7
	s_mul_hi_u32 s23, s6, s7
	s_add_u32 s21, s21, s25
	s_addc_u32 s23, 0, s23
	s_mul_hi_u32 s20, s1, s7
	s_add_u32 s8, s21, s8
	s_mul_i32 s7, s1, s7
	s_addc_u32 s8, s23, s22
	s_addc_u32 s20, s20, 0
	s_add_u32 s7, s8, s7
	s_addc_u32 s8, 0, s20
	s_add_u32 s6, s6, s7
	s_cselect_b32 s7, -1, 0
	s_mul_hi_u32 s20, s96, s6
	s_cmp_lg_u32 s7, 0
	s_mul_hi_u32 s7, s73, s6
	s_addc_u32 s1, s1, s8
	s_mul_i32 s6, s73, s6
	s_mul_i32 s21, s96, s1
	s_mul_hi_u32 s8, s96, s1
	s_add_u32 s20, s20, s21
	s_addc_u32 s8, 0, s8
	s_mul_hi_u32 s22, s73, s1
	s_add_u32 s6, s20, s6
	s_mul_i32 s1, s73, s1
	s_addc_u32 s6, s8, s7
	s_addc_u32 s7, s22, 0
	s_add_u32 s1, s6, s1
	s_addc_u32 s6, 0, s7
	s_mul_hi_u32 s7, s35, s1
	s_mul_i32 s6, s35, s6
	s_mul_i32 s1, s35, s1
	s_add_i32 s7, s7, s6
	s_sub_u32 s1, s96, s1
	s_cselect_b32 s6, -1, 0
	s_cmp_lg_u32 s6, 0
	s_subb_u32 s6, s73, s7
	s_sub_u32 s7, s1, s35
	s_cselect_b32 s8, -1, 0
	s_cmp_lg_u32 s8, 0
	s_subb_u32 s8, s6, 0
	;; [unrolled: 4-line block ×3, first 2 shown]
	s_cmp_ge_u32 s7, s35
	s_cselect_b32 s22, -1, 0
	s_cmp_eq_u32 s8, 0
	s_cselect_b32 s22, s22, -1
	s_cmp_lg_u32 s22, 0
	s_cselect_b32 s8, s21, s8
	s_cselect_b32 s7, s20, s7
	s_cmp_ge_u32 s1, s35
	s_cselect_b32 s20, -1, 0
	s_cmp_eq_u32 s6, 0
	s_cselect_b32 s20, s20, -1
	s_cmp_lg_u32 s20, 0
	s_cselect_b32 s21, s8, s6
	s_cselect_b32 s20, s7, s1
	s_mov_b32 s6, 0
	s_branch .LBB222_250
.LBB222_249:                            ;   in Loop: Header=BB222_18 Depth=1
	s_mov_b32 s6, -1
                                        ; implicit-def: $sgpr20_sgpr21
.LBB222_250:                            ;   in Loop: Header=BB222_18 Depth=1
	s_andn2_b32 vcc_lo, exec_lo, s6
	s_cbranch_vccnz .LBB222_252
; %bb.251:                              ;   in Loop: Header=BB222_18 Depth=1
	v_cvt_f32_u32_e32 v6, s35
	s_sub_i32 s6, 0, s35
	v_rcp_iflag_f32_e32 v6, v6
	v_mul_f32_e32 v6, 0x4f7ffffe, v6
	v_cvt_u32_f32_e32 v6, v6
	v_readfirstlane_b32 s1, v6
	s_mul_i32 s6, s6, s1
	s_mul_hi_u32 s6, s1, s6
	s_add_i32 s1, s1, s6
	s_mul_hi_u32 s1, s96, s1
	s_mul_i32 s1, s1, s35
	s_sub_i32 s1, s96, s1
	s_sub_i32 s6, s1, s35
	s_cmp_ge_u32 s1, s35
	s_cselect_b32 s1, s6, s1
	s_sub_i32 s6, s1, s35
	s_cmp_ge_u32 s1, s35
	s_cselect_b32 s70, s6, s1
	s_mov_b64 s[20:21], s[70:71]
.LBB222_252:                            ;   in Loop: Header=BB222_18 Depth=1
	s_sub_u32 s20, s96, s20
	s_subb_u32 s21, s73, s21
	s_mov_b32 s8, exec_lo
                                        ; implicit-def: $vgpr10
	v_cmpx_gt_u64_e64 s[20:21], v[0:1]
	s_cbranch_execz .LBB222_261
; %bb.253:                              ;   in Loop: Header=BB222_18 Depth=1
	v_mov_b32_e32 v7, v1
	v_mov_b32_e32 v6, v0
	s_mov_b32 s22, 0
                                        ; implicit-def: $sgpr23
	s_branch .LBB222_256
.LBB222_254:                            ;   in Loop: Header=BB222_256 Depth=2
	s_or_b32 exec_lo, exec_lo, s25
	s_waitcnt lgkmcnt(0)
	s_barrier
	buffer_gl0_inv
	ds_read_b32 v10, v3 offset:3072
	s_mov_b32 s25, -1
	s_mov_b32 s6, -1
	s_waitcnt lgkmcnt(0)
	s_barrier
	buffer_gl0_inv
	v_and_b32_e32 v11, 0x7fff, v10
	v_cmp_eq_u32_e32 vcc_lo, 0, v11
	s_cbranch_vccnz .LBB222_259
.LBB222_255:                            ;   in Loop: Header=BB222_256 Depth=2
	s_and_b32 s1, exec_lo, s25
	s_or_b32 s22, s1, s22
	s_andn2_b32 s1, s23, exec_lo
	s_and_b32 s6, s6, exec_lo
	s_or_b32 s23, s1, s6
	s_andn2_b32 exec_lo, exec_lo, s22
	s_cbranch_execz .LBB222_260
.LBB222_256:                            ;   Parent Loop BB222_18 Depth=1
                                        ; =>  This Inner Loop Header: Depth=2
	s_mov_b32 s25, exec_lo
	v_cmpx_gt_u64_e64 s[36:37], v[6:7]
	s_cbranch_execz .LBB222_254
; %bb.257:                              ;   in Loop: Header=BB222_256 Depth=2
	v_mul_lo_u32 v21, v7, s30
	v_mul_lo_u32 v22, v6, s31
	v_mad_u64_u32 v[10:11], null, v6, s30, 0
	v_add3_u32 v11, v11, v22, v21
	v_lshlrev_b64 v[10:11], 1, v[10:11]
	v_add_co_u32 v10, vcc_lo, s29, v10
	v_add_co_ci_u32_e64 v11, null, s33, v11, vcc_lo
	global_load_ushort v10, v[10:11], off
	s_waitcnt vmcnt(0)
	v_lshlrev_b32_e32 v11, 16, v10
	v_cmp_lt_i16_e64 s6, -1, v10
	v_cmp_o_f32_e32 vcc_lo, v11, v11
	v_cndmask_b32_e64 v11, 0xffff, v31, s6
	v_xor_b32_sdwa v11, v11, v10 dst_sel:DWORD dst_unused:UNUSED_PAD src0_sel:DWORD src1_sel:WORD_0
	v_cndmask_b32_e32 v11, 0xffff, v11, vcc_lo
	v_and_b32_e32 v11, v11, v9
	v_cmp_eq_u32_e32 vcc_lo, v11, v8
	s_and_b32 exec_lo, exec_lo, vcc_lo
	s_cbranch_execz .LBB222_254
; %bb.258:                              ;   in Loop: Header=BB222_256 Depth=2
	v_perm_b32 v10, v10, s63, 0x5040100
	ds_write_b32 v3, v10 offset:3072
	s_branch .LBB222_254
.LBB222_259:                            ;   in Loop: Header=BB222_256 Depth=2
	v_add_co_u32 v6, vcc_lo, v6, s35
	v_add_co_ci_u32_e64 v7, null, 0, v7, vcc_lo
	s_mov_b32 s6, 0
	v_cmp_le_u64_e32 vcc_lo, s[20:21], v[6:7]
	s_orn2_b32 s25, vcc_lo, exec_lo
	s_branch .LBB222_255
.LBB222_260:                            ;   in Loop: Header=BB222_18 Depth=1
	s_or_b32 exec_lo, exec_lo, s22
	v_lshrrev_b32_e32 v10, 16, v10
	s_andn2_b32 s1, s24, exec_lo
	s_and_b32 s6, s23, exec_lo
	s_or_b32 s24, s1, s6
.LBB222_261:                            ;   in Loop: Header=BB222_18 Depth=1
	s_or_b32 exec_lo, exec_lo, s8
	s_mov_b32 s72, 0
	s_mov_b32 s8, -1
.LBB222_262:                            ;   in Loop: Header=BB222_18 Depth=1
	s_orn2_b32 s20, s24, exec_lo
.LBB222_263:                            ;   in Loop: Header=BB222_18 Depth=1
	s_or_b32 exec_lo, exec_lo, s89
	s_mov_b32 s21, 0
	s_and_saveexec_b32 s6, s20
	s_cbranch_execz .LBB222_274
; %bb.264:                              ;   in Loop: Header=BB222_18 Depth=1
	v_mov_b32_e32 v6, 1
	v_mov_b32_e32 v7, 0
	;; [unrolled: 1-line block ×3, first 2 shown]
	s_xor_b32 s1, s88, -1
	s_and_saveexec_b32 s20, s1
	s_cbranch_execz .LBB222_273
; %bb.265:                              ;   in Loop: Header=BB222_18 Depth=1
	s_mov_b32 s1, exec_lo
	v_cmpx_ge_u64_e64 s[18:19], v[4:5]
	s_xor_b32 s21, exec_lo, s1
	s_cbranch_execz .LBB222_270
; %bb.266:                              ;   in Loop: Header=BB222_18 Depth=1
	ds_read_b64 v[6:7], v3 offset:5120
	v_or_b32_e32 v8, s11, v8
	v_or_b32_e32 v9, s11, v9
	s_waitcnt lgkmcnt(0)
	v_cmp_ne_u64_e32 vcc_lo, 0, v[6:7]
	s_cbranch_vccnz .LBB222_270
; %bb.267:                              ;   in Loop: Header=BB222_18 Depth=1
	s_and_saveexec_b32 s22, s3
; %bb.268:                              ;   in Loop: Header=BB222_18 Depth=1
	v_mov_b32_e32 v6, s18
	v_mov_b32_e32 v7, s19
	ds_write_b64 v3, v[6:7] offset:5128
; %bb.269:                              ;   in Loop: Header=BB222_18 Depth=1
	s_or_b32 exec_lo, exec_lo, s22
	s_waitcnt lgkmcnt(0)
	s_barrier
	buffer_gl0_inv
.LBB222_270:                            ;   in Loop: Header=BB222_18 Depth=1
	s_andn2_saveexec_b32 s21, s21
; %bb.271:                              ;   in Loop: Header=BB222_18 Depth=1
	v_sub_co_u32 v4, vcc_lo, v4, s18
	v_subrev_co_ci_u32_e64 v5, null, s19, v5, vcc_lo
; %bb.272:                              ;   in Loop: Header=BB222_18 Depth=1
	s_or_b32 exec_lo, exec_lo, s21
	v_mov_b32_e32 v7, v5
	v_mov_b32_e32 v2, 8
	;; [unrolled: 1-line block ×3, first 2 shown]
.LBB222_273:                            ;   in Loop: Header=BB222_18 Depth=1
	s_or_b32 exec_lo, exec_lo, s20
	v_mov_b32_e32 v4, v6
	v_mov_b32_e32 v5, v7
	s_mov_b32 s21, exec_lo
.LBB222_274:                            ;   in Loop: Header=BB222_18 Depth=1
	s_or_b32 exec_lo, exec_lo, s6
	s_orn2_b32 s6, s21, exec_lo
.LBB222_275:                            ;   in Loop: Header=BB222_18 Depth=1
	s_or_b32 exec_lo, exec_lo, s87
	v_mov_b32_e32 v7, v5
	v_mov_b32_e32 v6, v4
	s_andn2_b32 s20, s85, exec_lo
	s_and_b32 s8, s8, exec_lo
	s_andn2_b32 s21, s84, exec_lo
	s_and_b32 s22, s72, exec_lo
	s_or_b32 s85, s20, s8
	s_or_b32 s84, s21, s22
	s_and_b32 s8, s6, exec_lo
.LBB222_276:                            ;   in Loop: Header=BB222_18 Depth=1
	s_or_b32 exec_lo, exec_lo, s86
	s_orn2_b32 s6, s8, exec_lo
.LBB222_277:                            ;   in Loop: Header=BB222_18 Depth=1
	s_or_b32 exec_lo, exec_lo, s83
	v_mov_b32_e32 v4, v6
	v_mov_b32_e32 v5, v7
	s_andn2_b32 s8, s81, exec_lo
	s_and_b32 s20, s85, exec_lo
	s_andn2_b32 s21, s76, exec_lo
	s_and_b32 s22, s84, exec_lo
	s_or_b32 s81, s8, s20
	s_or_b32 s76, s21, s22
	s_and_b32 s8, s6, exec_lo
.LBB222_278:                            ;   in Loop: Header=BB222_18 Depth=1
	s_or_b32 exec_lo, exec_lo, s82
	s_orn2_b32 s6, s8, exec_lo
.LBB222_279:                            ;   in Loop: Header=BB222_18 Depth=1
	s_or_b32 exec_lo, exec_lo, s51
	s_mov_b32 s8, 0
	s_mov_b32 s20, 0
	s_and_saveexec_b32 s21, s6
	s_xor_b32 s21, exec_lo, s21
; %bb.280:                              ;   in Loop: Header=BB222_18 Depth=1
	v_cmp_ne_u32_e32 vcc_lo, 8, v2
	v_cmp_eq_u32_e64 s6, 8, v2
	s_and_b32 s20, vcc_lo, exec_lo
	s_and_b32 s8, s6, exec_lo
; %bb.281:                              ;   in Loop: Header=BB222_18 Depth=1
	s_or_b32 exec_lo, exec_lo, s21
	s_andn2_b32 s6, s78, exec_lo
	s_and_b32 s21, s81, exec_lo
	s_andn2_b32 s22, s77, exec_lo
	s_and_b32 s23, s76, exec_lo
	s_or_b32 s78, s6, s21
	s_or_b32 s77, s22, s23
	s_and_b32 s51, s20, exec_lo
	s_and_b32 s76, s8, exec_lo
.LBB222_282:                            ;   in Loop: Header=BB222_18 Depth=1
	s_or_b32 exec_lo, exec_lo, s80
.LBB222_283:                            ;   in Loop: Header=BB222_18 Depth=1
	s_and_b32 vcc_lo, exec_lo, s79
	s_cbranch_vccz .LBB222_299
; %bb.284:                              ;   in Loop: Header=BB222_18 Depth=1
	s_cmp_eq_u64 s[18:19], 1
                                        ; implicit-def: $sgpr27
	s_cselect_b32 s6, -1, 0
	s_and_b32 s77, s6, s9
	s_mov_b32 s6, -1
                                        ; implicit-def: $sgpr9
	s_and_saveexec_b32 s78, s77
	s_cbranch_execz .LBB222_317
; %bb.285:                              ;   in Loop: Header=BB222_18 Depth=1
	ds_read_b64 v[4:5], v3 offset:5120
	s_waitcnt lgkmcnt(0)
	s_barrier
	buffer_gl0_inv
	v_readfirstlane_b32 s20, v4
	v_readfirstlane_b32 s21, v5
	s_and_saveexec_b32 s6, s10
; %bb.286:                              ;   in Loop: Header=BB222_18 Depth=1
	ds_write_b16 v26, v3
; %bb.287:                              ;   in Loop: Header=BB222_18 Depth=1
	s_or_b32 exec_lo, exec_lo, s6
	v_or_b32_e32 v28, s11, v28
	v_or_b32_e32 v33, s11, v33
	s_mov_b32 s27, -1
	s_mov_b32 s9, 0
	s_cmp_eq_u64 s[20:21], 0
	s_mov_b32 s6, 0
	s_mov_b32 s8, -1
	s_waitcnt lgkmcnt(0)
	s_barrier
	buffer_gl0_inv
                                        ; implicit-def: $vgpr34
	s_cbranch_scc1 .LBB222_302
; %bb.288:                              ;   in Loop: Header=BB222_18 Depth=1
	s_add_u32 s6, s20, s94
	s_addc_u32 s23, s21, s95
	s_mov_b32 s22, s71
	s_cmp_lg_u64 s[22:23], 0
	s_cbranch_scc0 .LBB222_343
; %bb.289:                              ;   in Loop: Header=BB222_18 Depth=1
	v_cvt_f32_u32_e32 v2, s35
	s_sub_u32 s24, 0, s35
	s_subb_u32 s25, 0, 0
	v_fmac_f32_e64 v2, 0x4f800000, 0
	v_rcp_f32_e32 v2, v2
	v_mul_f32_e32 v2, 0x5f7ffffc, v2
	v_mul_f32_e32 v4, 0x2f800000, v2
	v_trunc_f32_e32 v4, v4
	v_fmac_f32_e32 v2, 0xcf800000, v4
	v_cvt_u32_f32_e32 v4, v4
	v_cvt_u32_f32_e32 v2, v2
	v_readfirstlane_b32 s8, v4
	v_readfirstlane_b32 s22, v2
	s_mul_i32 s28, s24, s8
	s_mul_hi_u32 s70, s24, s22
	s_mul_i32 s58, s25, s22
	s_add_i32 s28, s70, s28
	s_mul_i32 s72, s24, s22
	s_add_i32 s28, s28, s58
	s_mul_hi_u32 s70, s22, s72
	s_mul_i32 s80, s22, s28
	s_mul_hi_u32 s79, s8, s72
	s_mul_i32 s58, s8, s72
	s_mul_hi_u32 s72, s22, s28
	s_add_u32 s70, s70, s80
	s_addc_u32 s72, 0, s72
	s_mul_hi_u32 s81, s8, s28
	s_add_u32 s58, s70, s58
	s_mul_i32 s28, s8, s28
	s_addc_u32 s58, s72, s79
	s_addc_u32 s70, s81, 0
	s_add_u32 s28, s58, s28
	s_addc_u32 s58, 0, s70
	s_add_u32 s22, s22, s28
	s_cselect_b32 s28, -1, 0
	s_mul_hi_u32 s70, s24, s22
	s_cmp_lg_u32 s28, 0
	s_mul_i32 s28, s24, s22
	s_addc_u32 s8, s8, s58
	s_mul_i32 s25, s25, s22
	s_mul_i32 s24, s24, s8
	s_mul_hi_u32 s58, s22, s28
	s_add_i32 s24, s70, s24
	s_mul_hi_u32 s70, s8, s28
	s_add_i32 s24, s24, s25
	s_mul_i32 s25, s8, s28
	s_mul_i32 s79, s22, s24
	s_mul_hi_u32 s72, s22, s24
	s_add_u32 s58, s58, s79
	s_addc_u32 s72, 0, s72
	s_mul_hi_u32 s28, s8, s24
	s_add_u32 s25, s58, s25
	s_mul_i32 s24, s8, s24
	s_addc_u32 s25, s72, s70
	s_addc_u32 s28, s28, 0
	s_add_u32 s24, s25, s24
	s_addc_u32 s25, 0, s28
	s_add_u32 s22, s22, s24
	s_cselect_b32 s24, -1, 0
	s_mul_hi_u32 s28, s6, s22
	s_cmp_lg_u32 s24, 0
	s_mul_hi_u32 s24, s23, s22
	s_addc_u32 s8, s8, s25
	s_mul_i32 s22, s23, s22
	s_mul_i32 s58, s6, s8
	s_mul_hi_u32 s25, s6, s8
	s_add_u32 s28, s28, s58
	s_addc_u32 s25, 0, s25
	s_mul_hi_u32 s70, s23, s8
	s_add_u32 s22, s28, s22
	s_mul_i32 s8, s23, s8
	s_addc_u32 s22, s25, s24
	s_addc_u32 s24, s70, 0
	s_add_u32 s8, s22, s8
	s_addc_u32 s22, 0, s24
	s_mul_hi_u32 s24, s35, s8
	s_mul_i32 s22, s35, s22
	s_mul_i32 s8, s35, s8
	s_add_i32 s24, s24, s22
	s_sub_u32 s8, s6, s8
	s_cselect_b32 s22, -1, 0
	s_cmp_lg_u32 s22, 0
	s_subb_u32 s22, s23, s24
	s_sub_u32 s24, s8, s35
	s_cselect_b32 s25, -1, 0
	s_cmp_lg_u32 s25, 0
	s_subb_u32 s25, s22, 0
	;; [unrolled: 4-line block ×3, first 2 shown]
	s_cmp_ge_u32 s24, s35
	s_cselect_b32 s70, -1, 0
	s_cmp_eq_u32 s25, 0
	s_cselect_b32 s70, s70, -1
	s_cmp_lg_u32 s70, 0
	s_cselect_b32 s25, s58, s25
	s_cselect_b32 s24, s28, s24
	s_cmp_ge_u32 s8, s35
	s_cselect_b32 s28, -1, 0
	s_cmp_eq_u32 s22, 0
	s_cselect_b32 s28, s28, -1
	s_cmp_lg_u32 s28, 0
	s_cselect_b32 s25, s25, s22
	s_cselect_b32 s24, s24, s8
	s_cbranch_execnz .LBB222_291
.LBB222_290:                            ;   in Loop: Header=BB222_18 Depth=1
	v_cvt_f32_u32_e32 v2, s35
	s_sub_i32 s22, 0, s35
	v_rcp_iflag_f32_e32 v2, v2
	v_mul_f32_e32 v2, 0x4f7ffffe, v2
	v_cvt_u32_f32_e32 v2, v2
	v_readfirstlane_b32 s8, v2
	s_mul_i32 s22, s22, s8
	s_mul_hi_u32 s22, s8, s22
	s_add_i32 s8, s8, s22
	s_mul_hi_u32 s8, s6, s8
	s_mul_i32 s8, s8, s35
	s_sub_i32 s8, s6, s8
	s_sub_i32 s22, s8, s35
	s_cmp_ge_u32 s8, s35
	s_cselect_b32 s8, s22, s8
	s_sub_i32 s22, s8, s35
	s_cmp_ge_u32 s8, s35
	s_cselect_b32 s70, s22, s8
	s_mov_b64 s[24:25], s[70:71]
.LBB222_291:                            ;   in Loop: Header=BB222_18 Depth=1
	s_sub_u32 s22, s6, s24
	s_subb_u32 s23, s23, s25
	s_mov_b32 s8, 0
	s_mov_b32 s6, 0
	s_mov_b32 s24, exec_lo
                                        ; implicit-def: $vgpr34
	v_cmpx_gt_u64_e64 s[22:23], v[0:1]
	s_cbranch_execz .LBB222_301
; %bb.292:                              ;   in Loop: Header=BB222_18 Depth=1
	v_mov_b32_e32 v5, v1
	v_mov_b32_e32 v2, v25
	v_mov_b32_e32 v4, v0
	s_mov_b32 s25, 0
                                        ; implicit-def: $sgpr28
	s_branch .LBB222_295
.LBB222_293:                            ;   in Loop: Header=BB222_295 Depth=2
	s_or_b32 exec_lo, exec_lo, s70
	s_waitcnt lgkmcnt(0)
	s_barrier
	buffer_gl0_inv
	ds_read_b32 v6, v3 offset:3072
	s_mov_b32 s6, -1
	s_mov_b32 s58, -1
	s_waitcnt lgkmcnt(0)
	s_barrier
	buffer_gl0_inv
	v_and_b32_e32 v7, 0x7fff, v6
	v_cmp_ne_u32_e32 vcc_lo, 0, v7
	s_cbranch_vccz .LBB222_298
.LBB222_294:                            ;   in Loop: Header=BB222_295 Depth=2
	s_and_b32 s1, exec_lo, s6
	s_or_b32 s25, s1, s25
	s_andn2_b32 s1, s28, exec_lo
	s_and_b32 s6, s58, exec_lo
	s_or_b32 s28, s1, s6
	s_andn2_b32 exec_lo, exec_lo, s25
	s_cbranch_execz .LBB222_300
.LBB222_295:                            ;   Parent Loop BB222_18 Depth=1
                                        ; =>  This Inner Loop Header: Depth=2
	s_mov_b32 s70, exec_lo
	v_cmpx_gt_u64_e64 s[20:21], v[4:5]
	s_cbranch_execz .LBB222_293
; %bb.296:                              ;   in Loop: Header=BB222_295 Depth=2
	ds_read_u16 v6, v2
	s_waitcnt lgkmcnt(0)
	v_lshlrev_b32_e32 v7, 16, v6
	v_cmp_lt_i16_e64 s6, -1, v6
	v_cmp_o_f32_e32 vcc_lo, v7, v7
	v_cndmask_b32_e64 v7, 0xffff, v31, s6
	v_xor_b32_sdwa v7, v7, v6 dst_sel:DWORD dst_unused:UNUSED_PAD src0_sel:DWORD src1_sel:WORD_0
	v_cndmask_b32_e32 v7, 0xffff, v7, vcc_lo
	v_and_b32_e32 v7, v7, v33
	v_cmp_eq_u32_e32 vcc_lo, v7, v28
	s_and_b32 exec_lo, exec_lo, vcc_lo
	s_cbranch_execz .LBB222_293
; %bb.297:                              ;   in Loop: Header=BB222_295 Depth=2
	v_perm_b32 v6, v6, s63, 0x5040100
	ds_write_b32 v3, v6 offset:3072
	s_branch .LBB222_293
.LBB222_298:                            ;   in Loop: Header=BB222_295 Depth=2
	v_add_co_u32 v4, vcc_lo, v4, s35
	v_add_co_ci_u32_e64 v5, null, 0, v5, vcc_lo
	v_add_nc_u32_e32 v2, s68, v2
	s_mov_b32 s58, 0
	v_cmp_le_u64_e32 vcc_lo, s[22:23], v[4:5]
	s_orn2_b32 s6, vcc_lo, exec_lo
	s_branch .LBB222_294
.LBB222_299:                            ;   in Loop: Header=BB222_18 Depth=1
	v_mov_b32_e32 v28, v8
	v_mov_b32_e32 v33, v9
	;; [unrolled: 1-line block ×3, first 2 shown]
	s_mov_b32 s9, 0
	s_and_saveexec_b32 s6, s76
	s_cbranch_execnz .LBB222_476
	s_branch .LBB222_477
.LBB222_300:                            ;   in Loop: Header=BB222_18 Depth=1
	s_or_b32 exec_lo, exec_lo, s25
	v_lshrrev_b32_e32 v34, 16, v6
	s_and_b32 s6, s28, exec_lo
.LBB222_301:                            ;   in Loop: Header=BB222_18 Depth=1
	s_or_b32 exec_lo, exec_lo, s24
.LBB222_302:                            ;   in Loop: Header=BB222_18 Depth=1
	s_and_b32 vcc_lo, exec_lo, s8
	s_cbranch_vccz .LBB222_316
; %bb.303:                              ;   in Loop: Header=BB222_18 Depth=1
	s_mov_b32 s72, s71
	s_cmp_lg_u64 s[72:73], 0
	s_cbranch_scc0 .LBB222_344
; %bb.304:                              ;   in Loop: Header=BB222_18 Depth=1
	v_cvt_f32_u32_e32 v2, s35
	s_sub_u32 s20, 0, s35
	s_subb_u32 s21, 0, 0
	v_fmac_f32_e64 v2, 0x4f800000, 0
	v_rcp_f32_e32 v2, v2
	v_mul_f32_e32 v2, 0x5f7ffffc, v2
	v_mul_f32_e32 v4, 0x2f800000, v2
	v_trunc_f32_e32 v4, v4
	v_fmac_f32_e32 v2, 0xcf800000, v4
	v_cvt_u32_f32_e32 v4, v4
	v_cvt_u32_f32_e32 v2, v2
	v_readfirstlane_b32 s8, v4
	v_readfirstlane_b32 s9, v2
	s_mul_i32 s22, s20, s8
	s_mul_hi_u32 s24, s20, s9
	s_mul_i32 s23, s21, s9
	s_add_i32 s22, s24, s22
	s_mul_i32 s25, s20, s9
	s_add_i32 s22, s22, s23
	s_mul_hi_u32 s24, s9, s25
	s_mul_i32 s28, s9, s22
	s_mul_hi_u32 s27, s8, s25
	s_mul_i32 s23, s8, s25
	s_mul_hi_u32 s25, s9, s22
	s_add_u32 s24, s24, s28
	s_addc_u32 s25, 0, s25
	s_mul_hi_u32 s58, s8, s22
	s_add_u32 s23, s24, s23
	s_mul_i32 s22, s8, s22
	s_addc_u32 s23, s25, s27
	s_addc_u32 s24, s58, 0
	s_add_u32 s22, s23, s22
	s_addc_u32 s23, 0, s24
	s_add_u32 s9, s9, s22
	s_cselect_b32 s22, -1, 0
	s_mul_hi_u32 s24, s20, s9
	s_cmp_lg_u32 s22, 0
	s_mul_i32 s22, s20, s9
	s_addc_u32 s8, s8, s23
	s_mul_i32 s21, s21, s9
	s_mul_i32 s20, s20, s8
	s_mul_hi_u32 s23, s9, s22
	s_add_i32 s20, s24, s20
	s_mul_hi_u32 s24, s8, s22
	s_add_i32 s20, s20, s21
	s_mul_i32 s21, s8, s22
	s_mul_i32 s27, s9, s20
	s_mul_hi_u32 s25, s9, s20
	s_add_u32 s23, s23, s27
	s_addc_u32 s25, 0, s25
	s_mul_hi_u32 s22, s8, s20
	s_add_u32 s21, s23, s21
	s_mul_i32 s20, s8, s20
	s_addc_u32 s21, s25, s24
	s_addc_u32 s22, s22, 0
	s_add_u32 s20, s21, s20
	s_addc_u32 s21, 0, s22
	s_add_u32 s9, s9, s20
	s_cselect_b32 s20, -1, 0
	s_mul_hi_u32 s22, s96, s9
	s_cmp_lg_u32 s20, 0
	s_mul_hi_u32 s20, s73, s9
	s_addc_u32 s8, s8, s21
	s_mul_i32 s9, s73, s9
	s_mul_i32 s23, s96, s8
	s_mul_hi_u32 s21, s96, s8
	s_add_u32 s22, s22, s23
	s_addc_u32 s21, 0, s21
	s_mul_hi_u32 s24, s73, s8
	s_add_u32 s9, s22, s9
	s_mul_i32 s8, s73, s8
	s_addc_u32 s9, s21, s20
	s_addc_u32 s20, s24, 0
	s_add_u32 s8, s9, s8
	s_addc_u32 s9, 0, s20
	s_mul_hi_u32 s20, s35, s8
	s_mul_i32 s9, s35, s9
	s_mul_i32 s8, s35, s8
	s_add_i32 s20, s20, s9
	s_sub_u32 s8, s96, s8
	s_cselect_b32 s9, -1, 0
	s_cmp_lg_u32 s9, 0
	s_subb_u32 s9, s73, s20
	s_sub_u32 s20, s8, s35
	s_cselect_b32 s21, -1, 0
	s_cmp_lg_u32 s21, 0
	s_subb_u32 s21, s9, 0
	;; [unrolled: 4-line block ×3, first 2 shown]
	s_cmp_ge_u32 s20, s35
	s_cselect_b32 s24, -1, 0
	s_cmp_eq_u32 s21, 0
	s_cselect_b32 s24, s24, -1
	s_cmp_lg_u32 s24, 0
	s_cselect_b32 s21, s23, s21
	s_cselect_b32 s20, s22, s20
	s_cmp_ge_u32 s8, s35
	s_cselect_b32 s22, -1, 0
	s_cmp_eq_u32 s9, 0
	s_cselect_b32 s22, s22, -1
	s_cmp_lg_u32 s22, 0
	s_cselect_b32 s21, s21, s9
	s_cselect_b32 s20, s20, s8
	s_cbranch_execnz .LBB222_306
.LBB222_305:                            ;   in Loop: Header=BB222_18 Depth=1
	v_cvt_f32_u32_e32 v2, s35
	s_sub_i32 s9, 0, s35
	v_rcp_iflag_f32_e32 v2, v2
	v_mul_f32_e32 v2, 0x4f7ffffe, v2
	v_cvt_u32_f32_e32 v2, v2
	v_readfirstlane_b32 s8, v2
	s_mul_i32 s9, s9, s8
	s_mul_hi_u32 s9, s8, s9
	s_add_i32 s8, s8, s9
	s_mul_hi_u32 s8, s96, s8
	s_mul_i32 s8, s8, s35
	s_sub_i32 s8, s96, s8
	s_sub_i32 s9, s8, s35
	s_cmp_ge_u32 s8, s35
	s_cselect_b32 s8, s9, s8
	s_sub_i32 s9, s8, s35
	s_cmp_ge_u32 s8, s35
	s_cselect_b32 s70, s9, s8
	s_mov_b64 s[20:21], s[70:71]
.LBB222_306:                            ;   in Loop: Header=BB222_18 Depth=1
	s_sub_u32 s20, s96, s20
	s_subb_u32 s21, s73, s21
	s_mov_b32 s8, exec_lo
                                        ; implicit-def: $vgpr34
	v_cmpx_gt_u64_e64 s[20:21], v[0:1]
	s_cbranch_execz .LBB222_315
; %bb.307:                              ;   in Loop: Header=BB222_18 Depth=1
	v_mov_b32_e32 v5, v1
	v_mov_b32_e32 v4, v0
	s_mov_b32 s9, 0
                                        ; implicit-def: $sgpr22
	s_branch .LBB222_310
.LBB222_308:                            ;   in Loop: Header=BB222_310 Depth=2
	s_or_b32 exec_lo, exec_lo, s23
	s_waitcnt lgkmcnt(0)
	s_barrier
	buffer_gl0_inv
	ds_read_b32 v2, v3 offset:3072
	s_mov_b32 s24, -1
	s_mov_b32 s23, -1
	s_waitcnt lgkmcnt(0)
	s_barrier
	buffer_gl0_inv
	v_and_b32_e32 v6, 0x7fff, v2
	v_cmp_ne_u32_e32 vcc_lo, 0, v6
	s_cbranch_vccz .LBB222_313
.LBB222_309:                            ;   in Loop: Header=BB222_310 Depth=2
	s_and_b32 s1, exec_lo, s24
	s_or_b32 s9, s1, s9
	s_andn2_b32 s1, s22, exec_lo
	s_and_b32 s7, s23, exec_lo
	s_or_b32 s22, s1, s7
	s_andn2_b32 exec_lo, exec_lo, s9
	s_cbranch_execz .LBB222_314
.LBB222_310:                            ;   Parent Loop BB222_18 Depth=1
                                        ; =>  This Inner Loop Header: Depth=2
	s_mov_b32 s23, exec_lo
	v_cmpx_gt_u64_e64 s[36:37], v[4:5]
	s_cbranch_execz .LBB222_308
; %bb.311:                              ;   in Loop: Header=BB222_310 Depth=2
	v_mul_lo_u32 v2, v5, s30
	v_mul_lo_u32 v8, v4, s31
	v_mad_u64_u32 v[6:7], null, v4, s30, 0
	v_add3_u32 v7, v7, v8, v2
	v_lshlrev_b64 v[6:7], 1, v[6:7]
	v_add_co_u32 v6, vcc_lo, s29, v6
	v_add_co_ci_u32_e64 v7, null, s33, v7, vcc_lo
	global_load_ushort v2, v[6:7], off
	s_waitcnt vmcnt(0)
	v_cmp_lt_i16_e32 vcc_lo, -1, v2
	v_lshlrev_b32_e32 v7, 16, v2
	v_cndmask_b32_e32 v6, 0xffff, v31, vcc_lo
	v_cmp_o_f32_e32 vcc_lo, v7, v7
	v_xor_b32_sdwa v6, v6, v2 dst_sel:DWORD dst_unused:UNUSED_PAD src0_sel:DWORD src1_sel:WORD_0
	v_cndmask_b32_e32 v6, 0xffff, v6, vcc_lo
	v_and_b32_e32 v6, v6, v33
	v_cmp_eq_u32_e32 vcc_lo, v6, v28
	s_and_b32 exec_lo, exec_lo, vcc_lo
	s_cbranch_execz .LBB222_308
; %bb.312:                              ;   in Loop: Header=BB222_310 Depth=2
	v_perm_b32 v2, v2, s63, 0x5040100
	ds_write_b32 v3, v2 offset:3072
	s_branch .LBB222_308
.LBB222_313:                            ;   in Loop: Header=BB222_310 Depth=2
	v_add_co_u32 v4, vcc_lo, v4, s35
	v_add_co_ci_u32_e64 v5, null, 0, v5, vcc_lo
	s_mov_b32 s23, 0
	v_cmp_le_u64_e32 vcc_lo, s[20:21], v[4:5]
	s_orn2_b32 s24, vcc_lo, exec_lo
	s_branch .LBB222_309
.LBB222_314:                            ;   in Loop: Header=BB222_18 Depth=1
	s_or_b32 exec_lo, exec_lo, s9
	v_lshrrev_b32_e32 v34, 16, v2
	s_andn2_b32 s1, s6, exec_lo
	s_and_b32 s6, s22, exec_lo
	s_or_b32 s6, s1, s6
.LBB222_315:                            ;   in Loop: Header=BB222_18 Depth=1
	s_or_b32 exec_lo, exec_lo, s8
	s_mov_b32 s27, 0
	s_mov_b32 s9, -1
.LBB222_316:                            ;   in Loop: Header=BB222_18 Depth=1
	s_orn2_b32 s6, s6, exec_lo
.LBB222_317:                            ;   in Loop: Header=BB222_18 Depth=1
	s_or_b32 exec_lo, exec_lo, s78
                                        ; implicit-def: $vgpr4_vgpr5
                                        ; implicit-def: $vgpr2
	s_and_saveexec_b32 s24, s6
	s_cbranch_execz .LBB222_475
; %bb.318:                              ;   in Loop: Header=BB222_18 Depth=1
	v_mov_b32_e32 v4, 1
	v_mov_b32_e32 v5, 0
	;; [unrolled: 1-line block ×3, first 2 shown]
	s_xor_b32 s20, s77, -1
	s_mov_b32 s8, 0
	s_and_saveexec_b32 s6, s20
	s_cbranch_execz .LBB222_327
; %bb.319:                              ;   in Loop: Header=BB222_18 Depth=1
	s_mov_b32 s8, exec_lo
	v_cmpx_ge_u64_e64 s[18:19], v[19:20]
	s_xor_b32 s8, exec_lo, s8
	s_cbranch_execz .LBB222_324
; %bb.320:                              ;   in Loop: Header=BB222_18 Depth=1
	ds_read_b64 v[4:5], v3 offset:5120
	v_or_b32_e32 v28, s11, v28
	v_or_b32_e32 v33, s11, v33
	s_waitcnt lgkmcnt(0)
	v_cmp_ne_u64_e32 vcc_lo, 0, v[4:5]
	s_cbranch_vccnz .LBB222_324
; %bb.321:                              ;   in Loop: Header=BB222_18 Depth=1
	s_and_saveexec_b32 s20, s3
; %bb.322:                              ;   in Loop: Header=BB222_18 Depth=1
	v_mov_b32_e32 v4, s18
	v_mov_b32_e32 v5, s19
	ds_write_b64 v3, v[4:5] offset:5128
; %bb.323:                              ;   in Loop: Header=BB222_18 Depth=1
	s_or_b32 exec_lo, exec_lo, s20
	s_waitcnt lgkmcnt(0)
	s_barrier
	buffer_gl0_inv
.LBB222_324:                            ;   in Loop: Header=BB222_18 Depth=1
	s_or_saveexec_b32 s8, s8
	v_mov_b32_e32 v2, 5
	s_mov_b32 s20, 0
	s_xor_b32 exec_lo, exec_lo, s8
; %bb.325:                              ;   in Loop: Header=BB222_18 Depth=1
	v_sub_co_u32 v19, vcc_lo, v19, s18
	v_subrev_co_ci_u32_e64 v20, null, s19, v20, vcc_lo
	v_mov_b32_e32 v2, 0
	s_mov_b32 s20, exec_lo
; %bb.326:                              ;   in Loop: Header=BB222_18 Depth=1
	s_or_b32 exec_lo, exec_lo, s8
	v_mov_b32_e32 v4, v19
	v_mov_b32_e32 v5, v20
	s_and_b32 s8, s20, exec_lo
.LBB222_327:                            ;   in Loop: Header=BB222_18 Depth=1
	s_or_b32 exec_lo, exec_lo, s6
	s_mov_b32 s6, -1
                                        ; implicit-def: $sgpr77
                                        ; implicit-def: $sgpr78
	s_and_saveexec_b32 s18, s8
	s_xor_b32 s25, exec_lo, s18
	s_cbranch_execz .LBB222_472
; %bb.328:                              ;   in Loop: Header=BB222_18 Depth=1
	v_cmp_eq_u64_e32 vcc_lo, 1, v[4:5]
	s_cmp_eq_u64 s[16:17], 1
                                        ; implicit-def: $sgpr78
                                        ; implicit-def: $sgpr77
	s_cselect_b32 s6, -1, 0
	s_and_b32 s79, s6, vcc_lo
	s_mov_b32 s6, -1
	s_and_saveexec_b32 s80, s79
	s_cbranch_execz .LBB222_362
; %bb.329:                              ;   in Loop: Header=BB222_18 Depth=1
	ds_read_b64 v[6:7], v3 offset:5120
	s_waitcnt lgkmcnt(0)
	s_barrier
	buffer_gl0_inv
	v_readfirstlane_b32 s18, v6
	v_readfirstlane_b32 s19, v7
	s_and_saveexec_b32 s6, s10
; %bb.330:                              ;   in Loop: Header=BB222_18 Depth=1
	ds_write_b16 v26, v3
; %bb.331:                              ;   in Loop: Header=BB222_18 Depth=1
	s_or_b32 exec_lo, exec_lo, s6
	s_lshl_b32 s6, 2, s69
	v_or_b32_e32 v33, s11, v33
	v_and_or_b32 v28, v28, s26, s6
	s_mov_b32 s77, -1
	s_mov_b32 s78, 0
	s_cmp_eq_u64 s[18:19], 0
	s_mov_b32 s6, 0
	s_mov_b32 s8, -1
	s_waitcnt lgkmcnt(0)
	s_barrier
	buffer_gl0_inv
                                        ; implicit-def: $vgpr34
	s_cbranch_scc1 .LBB222_347
; %bb.332:                              ;   in Loop: Header=BB222_18 Depth=1
	s_add_u32 s6, s18, s94
	s_addc_u32 s21, s19, s95
	s_mov_b32 s20, s71
	s_cmp_lg_u64 s[20:21], 0
	s_cbranch_scc0 .LBB222_388
; %bb.333:                              ;   in Loop: Header=BB222_18 Depth=1
	v_cvt_f32_u32_e32 v6, s35
	s_sub_u32 s22, 0, s35
	s_subb_u32 s23, 0, 0
	v_fmac_f32_e64 v6, 0x4f800000, 0
	v_rcp_f32_e32 v6, v6
	v_mul_f32_e32 v6, 0x5f7ffffc, v6
	v_mul_f32_e32 v7, 0x2f800000, v6
	v_trunc_f32_e32 v7, v7
	v_fmac_f32_e32 v6, 0xcf800000, v7
	v_cvt_u32_f32_e32 v7, v7
	v_cvt_u32_f32_e32 v6, v6
	v_readfirstlane_b32 s8, v7
	v_readfirstlane_b32 s20, v6
	s_mul_i32 s28, s22, s8
	s_mul_hi_u32 s70, s22, s20
	s_mul_i32 s58, s23, s20
	s_add_i32 s28, s70, s28
	s_mul_i32 s72, s22, s20
	s_add_i32 s28, s28, s58
	s_mul_hi_u32 s70, s20, s72
	s_mul_i32 s82, s20, s28
	s_mul_hi_u32 s81, s8, s72
	s_mul_i32 s58, s8, s72
	s_mul_hi_u32 s72, s20, s28
	s_add_u32 s70, s70, s82
	s_addc_u32 s72, 0, s72
	s_mul_hi_u32 s83, s8, s28
	s_add_u32 s58, s70, s58
	s_mul_i32 s28, s8, s28
	s_addc_u32 s58, s72, s81
	s_addc_u32 s70, s83, 0
	s_add_u32 s28, s58, s28
	s_addc_u32 s58, 0, s70
	s_add_u32 s20, s20, s28
	s_cselect_b32 s28, -1, 0
	s_mul_hi_u32 s70, s22, s20
	s_cmp_lg_u32 s28, 0
	s_mul_i32 s28, s22, s20
	s_addc_u32 s8, s8, s58
	s_mul_i32 s23, s23, s20
	s_mul_i32 s22, s22, s8
	s_mul_hi_u32 s58, s20, s28
	s_add_i32 s22, s70, s22
	s_mul_hi_u32 s70, s8, s28
	s_add_i32 s22, s22, s23
	s_mul_i32 s23, s8, s28
	s_mul_i32 s81, s20, s22
	s_mul_hi_u32 s72, s20, s22
	s_add_u32 s58, s58, s81
	s_addc_u32 s72, 0, s72
	s_mul_hi_u32 s28, s8, s22
	s_add_u32 s23, s58, s23
	s_mul_i32 s22, s8, s22
	s_addc_u32 s23, s72, s70
	s_addc_u32 s28, s28, 0
	s_add_u32 s22, s23, s22
	s_addc_u32 s23, 0, s28
	s_add_u32 s20, s20, s22
	s_cselect_b32 s22, -1, 0
	s_mul_hi_u32 s28, s6, s20
	s_cmp_lg_u32 s22, 0
	s_mul_hi_u32 s22, s21, s20
	s_addc_u32 s8, s8, s23
	s_mul_i32 s20, s21, s20
	s_mul_i32 s58, s6, s8
	s_mul_hi_u32 s23, s6, s8
	s_add_u32 s28, s28, s58
	s_addc_u32 s23, 0, s23
	s_mul_hi_u32 s70, s21, s8
	s_add_u32 s20, s28, s20
	s_mul_i32 s8, s21, s8
	s_addc_u32 s20, s23, s22
	s_addc_u32 s22, s70, 0
	s_add_u32 s8, s20, s8
	s_addc_u32 s20, 0, s22
	s_mul_hi_u32 s22, s35, s8
	s_mul_i32 s20, s35, s20
	s_mul_i32 s8, s35, s8
	s_add_i32 s22, s22, s20
	s_sub_u32 s8, s6, s8
	s_cselect_b32 s20, -1, 0
	s_cmp_lg_u32 s20, 0
	s_subb_u32 s20, s21, s22
	s_sub_u32 s22, s8, s35
	s_cselect_b32 s23, -1, 0
	s_cmp_lg_u32 s23, 0
	s_subb_u32 s23, s20, 0
	;; [unrolled: 4-line block ×3, first 2 shown]
	s_cmp_ge_u32 s22, s35
	s_cselect_b32 s70, -1, 0
	s_cmp_eq_u32 s23, 0
	s_cselect_b32 s70, s70, -1
	s_cmp_lg_u32 s70, 0
	s_cselect_b32 s23, s58, s23
	s_cselect_b32 s22, s28, s22
	s_cmp_ge_u32 s8, s35
	s_cselect_b32 s28, -1, 0
	s_cmp_eq_u32 s20, 0
	s_cselect_b32 s28, s28, -1
	s_cmp_lg_u32 s28, 0
	s_cselect_b32 s23, s23, s20
	s_cselect_b32 s22, s22, s8
	s_cbranch_execnz .LBB222_335
.LBB222_334:                            ;   in Loop: Header=BB222_18 Depth=1
	v_cvt_f32_u32_e32 v6, s35
	s_sub_i32 s20, 0, s35
	v_rcp_iflag_f32_e32 v6, v6
	v_mul_f32_e32 v6, 0x4f7ffffe, v6
	v_cvt_u32_f32_e32 v6, v6
	v_readfirstlane_b32 s8, v6
	s_mul_i32 s20, s20, s8
	s_mul_hi_u32 s20, s8, s20
	s_add_i32 s8, s8, s20
	s_mul_hi_u32 s8, s6, s8
	s_mul_i32 s8, s8, s35
	s_sub_i32 s8, s6, s8
	s_sub_i32 s20, s8, s35
	s_cmp_ge_u32 s8, s35
	s_cselect_b32 s8, s20, s8
	s_sub_i32 s20, s8, s35
	s_cmp_ge_u32 s8, s35
	s_cselect_b32 s70, s20, s8
	s_mov_b64 s[22:23], s[70:71]
.LBB222_335:                            ;   in Loop: Header=BB222_18 Depth=1
	s_sub_u32 s20, s6, s22
	s_subb_u32 s21, s21, s23
	s_mov_b32 s8, 0
	s_mov_b32 s6, 0
	s_mov_b32 s22, exec_lo
                                        ; implicit-def: $vgpr34
	v_cmpx_gt_u64_e64 s[20:21], v[0:1]
	s_cbranch_execz .LBB222_346
; %bb.336:                              ;   in Loop: Header=BB222_18 Depth=1
	v_mov_b32_e32 v7, v1
	v_mov_b32_e32 v8, v25
	;; [unrolled: 1-line block ×3, first 2 shown]
	s_mov_b32 s23, 0
                                        ; implicit-def: $sgpr70
	s_branch .LBB222_339
.LBB222_337:                            ;   in Loop: Header=BB222_339 Depth=2
	s_or_b32 exec_lo, exec_lo, s28
	s_waitcnt lgkmcnt(0)
	s_barrier
	buffer_gl0_inv
	ds_read_b32 v9, v3 offset:3072
	s_mov_b32 s6, -1
	s_mov_b32 s28, -1
	s_waitcnt lgkmcnt(0)
	s_barrier
	buffer_gl0_inv
	v_and_b32_e32 v10, 0x7fff, v9
	v_cmp_ne_u32_e32 vcc_lo, 0, v10
	s_cbranch_vccz .LBB222_342
.LBB222_338:                            ;   in Loop: Header=BB222_339 Depth=2
	s_and_b32 s1, exec_lo, s6
	s_or_b32 s23, s1, s23
	s_andn2_b32 s1, s70, exec_lo
	s_and_b32 s6, s28, exec_lo
	s_or_b32 s70, s1, s6
	s_andn2_b32 exec_lo, exec_lo, s23
	s_cbranch_execz .LBB222_345
.LBB222_339:                            ;   Parent Loop BB222_18 Depth=1
                                        ; =>  This Inner Loop Header: Depth=2
	s_mov_b32 s28, exec_lo
	v_cmpx_gt_u64_e64 s[18:19], v[6:7]
	s_cbranch_execz .LBB222_337
; %bb.340:                              ;   in Loop: Header=BB222_339 Depth=2
	ds_read_u16 v9, v8
	s_waitcnt lgkmcnt(0)
	v_lshlrev_b32_e32 v10, 16, v9
	v_cmp_lt_i16_e64 s6, -1, v9
	v_cmp_o_f32_e32 vcc_lo, v10, v10
	v_cndmask_b32_e64 v10, 0xffff, v31, s6
	v_xor_b32_sdwa v10, v10, v9 dst_sel:DWORD dst_unused:UNUSED_PAD src0_sel:DWORD src1_sel:WORD_0
	v_cndmask_b32_e32 v10, 0xffff, v10, vcc_lo
	v_and_b32_e32 v10, v10, v33
	v_cmp_eq_u32_e32 vcc_lo, v10, v28
	s_and_b32 exec_lo, exec_lo, vcc_lo
	s_cbranch_execz .LBB222_337
; %bb.341:                              ;   in Loop: Header=BB222_339 Depth=2
	v_perm_b32 v9, v9, s63, 0x5040100
	ds_write_b32 v3, v9 offset:3072
	s_branch .LBB222_337
.LBB222_342:                            ;   in Loop: Header=BB222_339 Depth=2
	v_add_co_u32 v6, vcc_lo, v6, s35
	v_add_co_ci_u32_e64 v7, null, 0, v7, vcc_lo
	v_add_nc_u32_e32 v8, s68, v8
	s_mov_b32 s28, 0
	v_cmp_le_u64_e32 vcc_lo, s[20:21], v[6:7]
	s_orn2_b32 s6, vcc_lo, exec_lo
	s_branch .LBB222_338
.LBB222_343:                            ;   in Loop: Header=BB222_18 Depth=1
                                        ; implicit-def: $sgpr24_sgpr25
	s_andn2_b32 vcc_lo, exec_lo, s8
	s_cbranch_vccz .LBB222_290
	s_branch .LBB222_291
.LBB222_344:                            ;   in Loop: Header=BB222_18 Depth=1
                                        ; implicit-def: $sgpr20_sgpr21
	s_branch .LBB222_305
.LBB222_345:                            ;   in Loop: Header=BB222_18 Depth=1
	s_or_b32 exec_lo, exec_lo, s23
	v_lshrrev_b32_e32 v34, 16, v9
	s_and_b32 s6, s70, exec_lo
.LBB222_346:                            ;   in Loop: Header=BB222_18 Depth=1
	s_or_b32 exec_lo, exec_lo, s22
.LBB222_347:                            ;   in Loop: Header=BB222_18 Depth=1
	s_and_b32 vcc_lo, exec_lo, s8
	s_cbranch_vccz .LBB222_361
; %bb.348:                              ;   in Loop: Header=BB222_18 Depth=1
	s_mov_b32 s72, s71
	s_cmp_lg_u64 s[72:73], 0
	s_cbranch_scc0 .LBB222_389
; %bb.349:                              ;   in Loop: Header=BB222_18 Depth=1
	v_cvt_f32_u32_e32 v6, s35
	s_sub_u32 s19, 0, s35
	s_subb_u32 s20, 0, 0
	v_fmac_f32_e64 v6, 0x4f800000, 0
	v_rcp_f32_e32 v6, v6
	v_mul_f32_e32 v6, 0x5f7ffffc, v6
	v_mul_f32_e32 v7, 0x2f800000, v6
	v_trunc_f32_e32 v7, v7
	v_fmac_f32_e32 v6, 0xcf800000, v7
	v_cvt_u32_f32_e32 v7, v7
	v_cvt_u32_f32_e32 v6, v6
	v_readfirstlane_b32 s8, v7
	v_readfirstlane_b32 s18, v6
	s_mul_i32 s21, s19, s8
	s_mul_hi_u32 s23, s19, s18
	s_mul_i32 s22, s20, s18
	s_add_i32 s21, s23, s21
	s_mul_i32 s28, s19, s18
	s_add_i32 s21, s21, s22
	s_mul_hi_u32 s23, s18, s28
	s_mul_i32 s70, s18, s21
	s_mul_hi_u32 s58, s8, s28
	s_mul_i32 s22, s8, s28
	s_mul_hi_u32 s28, s18, s21
	s_add_u32 s23, s23, s70
	s_addc_u32 s28, 0, s28
	s_mul_hi_u32 s72, s8, s21
	s_add_u32 s22, s23, s22
	s_mul_i32 s21, s8, s21
	s_addc_u32 s22, s28, s58
	s_addc_u32 s23, s72, 0
	s_add_u32 s21, s22, s21
	s_addc_u32 s22, 0, s23
	s_add_u32 s18, s18, s21
	s_cselect_b32 s21, -1, 0
	s_mul_hi_u32 s23, s19, s18
	s_cmp_lg_u32 s21, 0
	s_mul_i32 s21, s19, s18
	s_addc_u32 s8, s8, s22
	s_mul_i32 s20, s20, s18
	s_mul_i32 s19, s19, s8
	s_mul_hi_u32 s22, s18, s21
	s_add_i32 s19, s23, s19
	s_mul_hi_u32 s23, s8, s21
	s_add_i32 s19, s19, s20
	s_mul_i32 s20, s8, s21
	s_mul_i32 s58, s18, s19
	s_mul_hi_u32 s28, s18, s19
	s_add_u32 s22, s22, s58
	s_addc_u32 s28, 0, s28
	s_mul_hi_u32 s21, s8, s19
	s_add_u32 s20, s22, s20
	s_mul_i32 s19, s8, s19
	s_addc_u32 s20, s28, s23
	s_addc_u32 s21, s21, 0
	s_add_u32 s19, s20, s19
	s_addc_u32 s20, 0, s21
	s_add_u32 s18, s18, s19
	s_cselect_b32 s19, -1, 0
	s_mul_hi_u32 s21, s96, s18
	s_cmp_lg_u32 s19, 0
	s_mul_hi_u32 s19, s73, s18
	s_addc_u32 s8, s8, s20
	s_mul_i32 s18, s73, s18
	s_mul_i32 s22, s96, s8
	s_mul_hi_u32 s20, s96, s8
	s_add_u32 s21, s21, s22
	s_addc_u32 s20, 0, s20
	s_mul_hi_u32 s23, s73, s8
	s_add_u32 s18, s21, s18
	s_mul_i32 s8, s73, s8
	s_addc_u32 s18, s20, s19
	s_addc_u32 s19, s23, 0
	s_add_u32 s8, s18, s8
	s_addc_u32 s18, 0, s19
	s_mul_hi_u32 s19, s35, s8
	s_mul_i32 s18, s35, s18
	s_mul_i32 s8, s35, s8
	s_add_i32 s19, s19, s18
	s_sub_u32 s8, s96, s8
	s_cselect_b32 s18, -1, 0
	s_cmp_lg_u32 s18, 0
	s_subb_u32 s18, s73, s19
	s_sub_u32 s19, s8, s35
	s_cselect_b32 s20, -1, 0
	s_cmp_lg_u32 s20, 0
	s_subb_u32 s20, s18, 0
	;; [unrolled: 4-line block ×3, first 2 shown]
	s_cmp_ge_u32 s19, s35
	s_cselect_b32 s23, -1, 0
	s_cmp_eq_u32 s20, 0
	s_cselect_b32 s23, s23, -1
	s_cmp_lg_u32 s23, 0
	s_cselect_b32 s20, s22, s20
	s_cselect_b32 s21, s21, s19
	s_cmp_ge_u32 s8, s35
	s_cselect_b32 s19, -1, 0
	s_cmp_eq_u32 s18, 0
	s_cselect_b32 s19, s19, -1
	s_cmp_lg_u32 s19, 0
	s_cselect_b32 s19, s20, s18
	s_cselect_b32 s18, s21, s8
	s_cbranch_execnz .LBB222_351
.LBB222_350:                            ;   in Loop: Header=BB222_18 Depth=1
	v_cvt_f32_u32_e32 v6, s35
	s_sub_i32 s18, 0, s35
	v_rcp_iflag_f32_e32 v6, v6
	v_mul_f32_e32 v6, 0x4f7ffffe, v6
	v_cvt_u32_f32_e32 v6, v6
	v_readfirstlane_b32 s8, v6
	s_mul_i32 s18, s18, s8
	s_mul_hi_u32 s18, s8, s18
	s_add_i32 s8, s8, s18
	s_mul_hi_u32 s8, s96, s8
	s_mul_i32 s8, s8, s35
	s_sub_i32 s8, s96, s8
	s_sub_i32 s18, s8, s35
	s_cmp_ge_u32 s8, s35
	s_cselect_b32 s8, s18, s8
	s_sub_i32 s18, s8, s35
	s_cmp_ge_u32 s8, s35
	s_cselect_b32 s70, s18, s8
	s_mov_b64 s[18:19], s[70:71]
.LBB222_351:                            ;   in Loop: Header=BB222_18 Depth=1
	s_sub_u32 s18, s96, s18
	s_subb_u32 s19, s73, s19
	s_mov_b32 s8, exec_lo
                                        ; implicit-def: $vgpr34
	v_cmpx_gt_u64_e64 s[18:19], v[0:1]
	s_cbranch_execz .LBB222_360
; %bb.352:                              ;   in Loop: Header=BB222_18 Depth=1
	v_mov_b32_e32 v7, v1
	v_mov_b32_e32 v6, v0
	s_mov_b32 s20, 0
                                        ; implicit-def: $sgpr21
	s_branch .LBB222_355
.LBB222_353:                            ;   in Loop: Header=BB222_355 Depth=2
	s_or_b32 exec_lo, exec_lo, s22
	s_waitcnt lgkmcnt(0)
	s_barrier
	buffer_gl0_inv
	ds_read_b32 v8, v3 offset:3072
	s_mov_b32 s23, -1
	s_mov_b32 s22, -1
	s_waitcnt lgkmcnt(0)
	s_barrier
	buffer_gl0_inv
	v_and_b32_e32 v9, 0x7fff, v8
	v_cmp_eq_u32_e32 vcc_lo, 0, v9
	s_cbranch_vccnz .LBB222_358
.LBB222_354:                            ;   in Loop: Header=BB222_355 Depth=2
	s_and_b32 s1, exec_lo, s23
	s_or_b32 s20, s1, s20
	s_andn2_b32 s1, s21, exec_lo
	s_and_b32 s7, s22, exec_lo
	s_or_b32 s21, s1, s7
	s_andn2_b32 exec_lo, exec_lo, s20
	s_cbranch_execz .LBB222_359
.LBB222_355:                            ;   Parent Loop BB222_18 Depth=1
                                        ; =>  This Inner Loop Header: Depth=2
	s_mov_b32 s22, exec_lo
	v_cmpx_gt_u64_e64 s[36:37], v[6:7]
	s_cbranch_execz .LBB222_353
; %bb.356:                              ;   in Loop: Header=BB222_355 Depth=2
	v_mul_lo_u32 v10, v7, s30
	v_mul_lo_u32 v11, v6, s31
	v_mad_u64_u32 v[8:9], null, v6, s30, 0
	v_add3_u32 v9, v9, v11, v10
	v_lshlrev_b64 v[8:9], 1, v[8:9]
	v_add_co_u32 v8, vcc_lo, s29, v8
	v_add_co_ci_u32_e64 v9, null, s33, v9, vcc_lo
	global_load_ushort v8, v[8:9], off
	s_waitcnt vmcnt(0)
	v_cmp_lt_i16_e32 vcc_lo, -1, v8
	v_lshlrev_b32_e32 v10, 16, v8
	v_cndmask_b32_e32 v9, 0xffff, v31, vcc_lo
	v_cmp_o_f32_e32 vcc_lo, v10, v10
	v_xor_b32_sdwa v9, v9, v8 dst_sel:DWORD dst_unused:UNUSED_PAD src0_sel:DWORD src1_sel:WORD_0
	v_cndmask_b32_e32 v9, 0xffff, v9, vcc_lo
	v_and_b32_e32 v9, v9, v33
	v_cmp_eq_u32_e32 vcc_lo, v9, v28
	s_and_b32 exec_lo, exec_lo, vcc_lo
	s_cbranch_execz .LBB222_353
; %bb.357:                              ;   in Loop: Header=BB222_355 Depth=2
	v_perm_b32 v8, v8, s63, 0x5040100
	ds_write_b32 v3, v8 offset:3072
	s_branch .LBB222_353
.LBB222_358:                            ;   in Loop: Header=BB222_355 Depth=2
	v_add_co_u32 v6, vcc_lo, v6, s35
	v_add_co_ci_u32_e64 v7, null, 0, v7, vcc_lo
	s_mov_b32 s22, 0
	v_cmp_le_u64_e32 vcc_lo, s[18:19], v[6:7]
	s_orn2_b32 s23, vcc_lo, exec_lo
	s_branch .LBB222_354
.LBB222_359:                            ;   in Loop: Header=BB222_18 Depth=1
	s_or_b32 exec_lo, exec_lo, s20
	v_lshrrev_b32_e32 v34, 16, v8
	s_andn2_b32 s1, s6, exec_lo
	s_and_b32 s6, s21, exec_lo
	s_or_b32 s6, s1, s6
.LBB222_360:                            ;   in Loop: Header=BB222_18 Depth=1
	s_or_b32 exec_lo, exec_lo, s8
	s_mov_b32 s77, 0
	s_mov_b32 s78, -1
.LBB222_361:                            ;   in Loop: Header=BB222_18 Depth=1
	s_orn2_b32 s6, s6, exec_lo
.LBB222_362:                            ;   in Loop: Header=BB222_18 Depth=1
	s_or_b32 exec_lo, exec_lo, s80
	s_mov_b32 s8, 0
	s_and_saveexec_b32 s22, s6
	s_cbranch_execz .LBB222_471
; %bb.363:                              ;   in Loop: Header=BB222_18 Depth=1
	v_mov_b32_e32 v6, 1
	v_mov_b32_e32 v7, 0
	;; [unrolled: 1-line block ×3, first 2 shown]
	s_xor_b32 s18, s79, -1
	s_and_saveexec_b32 s6, s18
	s_cbranch_execz .LBB222_372
; %bb.364:                              ;   in Loop: Header=BB222_18 Depth=1
	s_mov_b32 s8, exec_lo
	v_cmpx_ge_u64_e64 s[16:17], v[4:5]
	s_xor_b32 s8, exec_lo, s8
	s_cbranch_execz .LBB222_369
; %bb.365:                              ;   in Loop: Header=BB222_18 Depth=1
	ds_read_b64 v[6:7], v3 offset:5120
	s_lshl_b32 s18, 2, s69
	v_or_b32_e32 v33, s11, v33
	v_and_or_b32 v28, v28, s26, s18
	s_waitcnt lgkmcnt(0)
	v_cmp_ne_u64_e32 vcc_lo, 0, v[6:7]
	s_cbranch_vccnz .LBB222_369
; %bb.366:                              ;   in Loop: Header=BB222_18 Depth=1
	s_and_saveexec_b32 s18, s3
; %bb.367:                              ;   in Loop: Header=BB222_18 Depth=1
	v_mov_b32_e32 v6, s16
	v_mov_b32_e32 v7, s17
	ds_write_b64 v3, v[6:7] offset:5128
; %bb.368:                              ;   in Loop: Header=BB222_18 Depth=1
	s_or_b32 exec_lo, exec_lo, s18
	s_waitcnt lgkmcnt(0)
	s_barrier
	buffer_gl0_inv
.LBB222_369:                            ;   in Loop: Header=BB222_18 Depth=1
	s_or_saveexec_b32 s8, s8
	v_mov_b32_e32 v2, 5
	s_mov_b32 s18, 0
	s_xor_b32 exec_lo, exec_lo, s8
; %bb.370:                              ;   in Loop: Header=BB222_18 Depth=1
	v_sub_co_u32 v4, vcc_lo, v4, s16
	v_subrev_co_ci_u32_e64 v5, null, s17, v5, vcc_lo
	v_mov_b32_e32 v2, 0
	s_mov_b32 s18, exec_lo
; %bb.371:                              ;   in Loop: Header=BB222_18 Depth=1
	s_or_b32 exec_lo, exec_lo, s8
	v_mov_b32_e32 v7, v5
	v_mov_b32_e32 v6, v4
	s_and_b32 s8, s18, exec_lo
.LBB222_372:                            ;   in Loop: Header=BB222_18 Depth=1
	s_or_b32 exec_lo, exec_lo, s6
	s_mov_b32 s6, -1
                                        ; implicit-def: $sgpr79
                                        ; implicit-def: $sgpr80
	s_and_saveexec_b32 s23, s8
	s_cbranch_execz .LBB222_470
; %bb.373:                              ;   in Loop: Header=BB222_18 Depth=1
	v_cmp_eq_u64_e32 vcc_lo, 1, v[6:7]
	s_cmp_eq_u64 s[14:15], 1
                                        ; implicit-def: $sgpr80
                                        ; implicit-def: $sgpr79
	s_cselect_b32 s6, -1, 0
	s_and_b32 s81, s6, vcc_lo
	s_mov_b32 s6, -1
	s_and_saveexec_b32 s82, s81
	s_cbranch_execz .LBB222_407
; %bb.374:                              ;   in Loop: Header=BB222_18 Depth=1
	ds_read_b64 v[4:5], v3 offset:5120
	s_waitcnt lgkmcnt(0)
	s_barrier
	buffer_gl0_inv
	v_readfirstlane_b32 s16, v4
	v_readfirstlane_b32 s17, v5
	s_and_saveexec_b32 s6, s10
; %bb.375:                              ;   in Loop: Header=BB222_18 Depth=1
	ds_write_b16 v26, v3
; %bb.376:                              ;   in Loop: Header=BB222_18 Depth=1
	s_or_b32 exec_lo, exec_lo, s6
	s_lshl_b32 s6, 1, s69
	v_or_b32_e32 v33, s11, v33
	v_and_or_b32 v28, v28, s26, s6
	s_mov_b32 s79, -1
	s_mov_b32 s80, 0
	s_cmp_eq_u64 s[16:17], 0
	s_mov_b32 s8, 0
	s_mov_b32 s20, -1
	s_waitcnt lgkmcnt(0)
	s_barrier
	buffer_gl0_inv
                                        ; implicit-def: $vgpr34
	s_cbranch_scc1 .LBB222_392
; %bb.377:                              ;   in Loop: Header=BB222_18 Depth=1
	s_add_u32 s6, s16, s94
	s_addc_u32 s19, s17, s95
	s_mov_b32 s18, s71
	s_cmp_lg_u64 s[18:19], 0
	s_cbranch_scc0 .LBB222_424
; %bb.378:                              ;   in Loop: Header=BB222_18 Depth=1
	v_cvt_f32_u32_e32 v4, s35
	s_sub_u32 s20, 0, s35
	s_subb_u32 s21, 0, 0
	v_fmac_f32_e64 v4, 0x4f800000, 0
	v_rcp_f32_e32 v4, v4
	v_mul_f32_e32 v4, 0x5f7ffffc, v4
	v_mul_f32_e32 v5, 0x2f800000, v4
	v_trunc_f32_e32 v5, v5
	v_fmac_f32_e32 v4, 0xcf800000, v5
	v_cvt_u32_f32_e32 v5, v5
	v_cvt_u32_f32_e32 v4, v4
	v_readfirstlane_b32 s8, v5
	v_readfirstlane_b32 s18, v4
	s_mul_i32 s28, s20, s8
	s_mul_hi_u32 s70, s20, s18
	s_mul_i32 s58, s21, s18
	s_add_i32 s28, s70, s28
	s_mul_i32 s72, s20, s18
	s_add_i32 s28, s28, s58
	s_mul_hi_u32 s70, s18, s72
	s_mul_i32 s84, s18, s28
	s_mul_hi_u32 s83, s8, s72
	s_mul_i32 s58, s8, s72
	s_mul_hi_u32 s72, s18, s28
	s_add_u32 s70, s70, s84
	s_addc_u32 s72, 0, s72
	s_mul_hi_u32 s85, s8, s28
	s_add_u32 s58, s70, s58
	s_mul_i32 s28, s8, s28
	s_addc_u32 s58, s72, s83
	s_addc_u32 s70, s85, 0
	s_add_u32 s28, s58, s28
	s_addc_u32 s58, 0, s70
	s_add_u32 s18, s18, s28
	s_cselect_b32 s28, -1, 0
	s_mul_hi_u32 s70, s20, s18
	s_cmp_lg_u32 s28, 0
	s_mul_i32 s28, s20, s18
	s_addc_u32 s8, s8, s58
	s_mul_i32 s21, s21, s18
	s_mul_i32 s20, s20, s8
	s_mul_hi_u32 s58, s18, s28
	s_add_i32 s20, s70, s20
	s_mul_hi_u32 s70, s8, s28
	s_add_i32 s20, s20, s21
	s_mul_i32 s21, s8, s28
	s_mul_i32 s83, s18, s20
	s_mul_hi_u32 s72, s18, s20
	s_add_u32 s58, s58, s83
	s_addc_u32 s72, 0, s72
	s_mul_hi_u32 s28, s8, s20
	s_add_u32 s21, s58, s21
	s_mul_i32 s20, s8, s20
	s_addc_u32 s21, s72, s70
	s_addc_u32 s28, s28, 0
	s_add_u32 s20, s21, s20
	s_addc_u32 s21, 0, s28
	s_add_u32 s18, s18, s20
	s_cselect_b32 s20, -1, 0
	s_mul_hi_u32 s28, s6, s18
	s_cmp_lg_u32 s20, 0
	s_mul_hi_u32 s20, s19, s18
	s_addc_u32 s8, s8, s21
	s_mul_i32 s18, s19, s18
	s_mul_i32 s58, s6, s8
	s_mul_hi_u32 s21, s6, s8
	s_add_u32 s28, s28, s58
	s_addc_u32 s21, 0, s21
	s_mul_hi_u32 s70, s19, s8
	s_add_u32 s18, s28, s18
	s_mul_i32 s8, s19, s8
	s_addc_u32 s18, s21, s20
	s_addc_u32 s20, s70, 0
	s_add_u32 s8, s18, s8
	s_addc_u32 s18, 0, s20
	s_mul_hi_u32 s20, s35, s8
	s_mul_i32 s18, s35, s18
	s_mul_i32 s8, s35, s8
	s_add_i32 s20, s20, s18
	s_sub_u32 s8, s6, s8
	s_cselect_b32 s18, -1, 0
	s_cmp_lg_u32 s18, 0
	s_subb_u32 s18, s19, s20
	s_sub_u32 s20, s8, s35
	s_cselect_b32 s21, -1, 0
	s_cmp_lg_u32 s21, 0
	s_subb_u32 s21, s18, 0
	;; [unrolled: 4-line block ×3, first 2 shown]
	s_cmp_ge_u32 s20, s35
	s_cselect_b32 s70, -1, 0
	s_cmp_eq_u32 s21, 0
	s_cselect_b32 s70, s70, -1
	s_cmp_lg_u32 s70, 0
	s_cselect_b32 s21, s58, s21
	s_cselect_b32 s20, s28, s20
	s_cmp_ge_u32 s8, s35
	s_cselect_b32 s28, -1, 0
	s_cmp_eq_u32 s18, 0
	s_cselect_b32 s28, s28, -1
	s_cmp_lg_u32 s28, 0
	s_cselect_b32 s21, s21, s18
	s_cselect_b32 s20, s20, s8
	s_cbranch_execnz .LBB222_380
.LBB222_379:                            ;   in Loop: Header=BB222_18 Depth=1
	v_cvt_f32_u32_e32 v4, s35
	s_sub_i32 s18, 0, s35
	v_rcp_iflag_f32_e32 v4, v4
	v_mul_f32_e32 v4, 0x4f7ffffe, v4
	v_cvt_u32_f32_e32 v4, v4
	v_readfirstlane_b32 s8, v4
	s_mul_i32 s18, s18, s8
	s_mul_hi_u32 s18, s8, s18
	s_add_i32 s8, s8, s18
	s_mul_hi_u32 s8, s6, s8
	s_mul_i32 s8, s8, s35
	s_sub_i32 s8, s6, s8
	s_sub_i32 s18, s8, s35
	s_cmp_ge_u32 s8, s35
	s_cselect_b32 s8, s18, s8
	s_sub_i32 s18, s8, s35
	s_cmp_ge_u32 s8, s35
	s_cselect_b32 s70, s18, s8
	s_mov_b64 s[20:21], s[70:71]
.LBB222_380:                            ;   in Loop: Header=BB222_18 Depth=1
	s_sub_u32 s18, s6, s20
	s_subb_u32 s19, s19, s21
	s_mov_b32 s20, 0
	s_mov_b32 s8, 0
	s_mov_b32 s21, exec_lo
                                        ; implicit-def: $vgpr34
	v_cmpx_gt_u64_e64 s[18:19], v[0:1]
	s_cbranch_execz .LBB222_391
; %bb.381:                              ;   in Loop: Header=BB222_18 Depth=1
	v_mov_b32_e32 v5, v1
	v_mov_b32_e32 v8, v25
	;; [unrolled: 1-line block ×3, first 2 shown]
                                        ; implicit-def: $sgpr70
	s_branch .LBB222_384
.LBB222_382:                            ;   in Loop: Header=BB222_384 Depth=2
	s_or_b32 exec_lo, exec_lo, s28
	s_waitcnt lgkmcnt(0)
	s_barrier
	buffer_gl0_inv
	ds_read_b32 v9, v3 offset:3072
	s_mov_b32 s6, -1
	s_mov_b32 s28, -1
	s_waitcnt lgkmcnt(0)
	s_barrier
	buffer_gl0_inv
	v_and_b32_e32 v10, 0x7fff, v9
	v_cmp_ne_u32_e32 vcc_lo, 0, v10
	s_cbranch_vccz .LBB222_387
.LBB222_383:                            ;   in Loop: Header=BB222_384 Depth=2
	s_and_b32 s1, exec_lo, s6
	s_or_b32 s8, s1, s8
	s_andn2_b32 s1, s70, exec_lo
	s_and_b32 s6, s28, exec_lo
	s_or_b32 s70, s1, s6
	s_andn2_b32 exec_lo, exec_lo, s8
	s_cbranch_execz .LBB222_390
.LBB222_384:                            ;   Parent Loop BB222_18 Depth=1
                                        ; =>  This Inner Loop Header: Depth=2
	s_mov_b32 s28, exec_lo
	v_cmpx_gt_u64_e64 s[16:17], v[4:5]
	s_cbranch_execz .LBB222_382
; %bb.385:                              ;   in Loop: Header=BB222_384 Depth=2
	ds_read_u16 v9, v8
	s_waitcnt lgkmcnt(0)
	v_lshlrev_b32_e32 v10, 16, v9
	v_cmp_lt_i16_e64 s6, -1, v9
	v_cmp_o_f32_e32 vcc_lo, v10, v10
	v_cndmask_b32_e64 v10, 0xffff, v31, s6
	v_xor_b32_sdwa v10, v10, v9 dst_sel:DWORD dst_unused:UNUSED_PAD src0_sel:DWORD src1_sel:WORD_0
	v_cndmask_b32_e32 v10, 0xffff, v10, vcc_lo
	v_and_b32_e32 v10, v10, v33
	v_cmp_eq_u32_e32 vcc_lo, v10, v28
	s_and_b32 exec_lo, exec_lo, vcc_lo
	s_cbranch_execz .LBB222_382
; %bb.386:                              ;   in Loop: Header=BB222_384 Depth=2
	v_perm_b32 v9, v9, s63, 0x5040100
	ds_write_b32 v3, v9 offset:3072
	s_branch .LBB222_382
.LBB222_387:                            ;   in Loop: Header=BB222_384 Depth=2
	v_add_co_u32 v4, vcc_lo, v4, s35
	v_add_co_ci_u32_e64 v5, null, 0, v5, vcc_lo
	v_add_nc_u32_e32 v8, s68, v8
	s_mov_b32 s28, 0
	v_cmp_le_u64_e32 vcc_lo, s[18:19], v[4:5]
	s_orn2_b32 s6, vcc_lo, exec_lo
	s_branch .LBB222_383
.LBB222_388:                            ;   in Loop: Header=BB222_18 Depth=1
                                        ; implicit-def: $sgpr22_sgpr23
	s_andn2_b32 vcc_lo, exec_lo, s8
	s_cbranch_vccz .LBB222_334
	s_branch .LBB222_335
.LBB222_389:                            ;   in Loop: Header=BB222_18 Depth=1
                                        ; implicit-def: $sgpr18_sgpr19
	s_branch .LBB222_350
.LBB222_390:                            ;   in Loop: Header=BB222_18 Depth=1
	s_or_b32 exec_lo, exec_lo, s8
	v_lshrrev_b32_e32 v34, 16, v9
	s_and_b32 s8, s70, exec_lo
.LBB222_391:                            ;   in Loop: Header=BB222_18 Depth=1
	s_or_b32 exec_lo, exec_lo, s21
.LBB222_392:                            ;   in Loop: Header=BB222_18 Depth=1
	s_and_b32 vcc_lo, exec_lo, s20
	s_cbranch_vccz .LBB222_406
; %bb.393:                              ;   in Loop: Header=BB222_18 Depth=1
	s_mov_b32 s72, s71
	s_cmp_lg_u64 s[72:73], 0
	s_cbranch_scc0 .LBB222_425
; %bb.394:                              ;   in Loop: Header=BB222_18 Depth=1
	v_cvt_f32_u32_e32 v4, s35
	s_sub_u32 s17, 0, s35
	s_subb_u32 s18, 0, 0
	v_fmac_f32_e64 v4, 0x4f800000, 0
	v_rcp_f32_e32 v4, v4
	v_mul_f32_e32 v4, 0x5f7ffffc, v4
	v_mul_f32_e32 v5, 0x2f800000, v4
	v_trunc_f32_e32 v5, v5
	v_fmac_f32_e32 v4, 0xcf800000, v5
	v_cvt_u32_f32_e32 v5, v5
	v_cvt_u32_f32_e32 v4, v4
	v_readfirstlane_b32 s6, v5
	v_readfirstlane_b32 s16, v4
	s_mul_i32 s19, s17, s6
	s_mul_hi_u32 s21, s17, s16
	s_mul_i32 s20, s18, s16
	s_add_i32 s19, s21, s19
	s_mul_i32 s28, s17, s16
	s_add_i32 s19, s19, s20
	s_mul_hi_u32 s21, s16, s28
	s_mul_i32 s70, s16, s19
	s_mul_hi_u32 s58, s6, s28
	s_mul_i32 s20, s6, s28
	s_mul_hi_u32 s28, s16, s19
	s_add_u32 s21, s21, s70
	s_addc_u32 s28, 0, s28
	s_mul_hi_u32 s72, s6, s19
	s_add_u32 s20, s21, s20
	s_mul_i32 s19, s6, s19
	s_addc_u32 s20, s28, s58
	s_addc_u32 s21, s72, 0
	s_add_u32 s19, s20, s19
	s_addc_u32 s20, 0, s21
	s_add_u32 s16, s16, s19
	s_cselect_b32 s19, -1, 0
	s_mul_hi_u32 s21, s17, s16
	s_cmp_lg_u32 s19, 0
	s_mul_i32 s19, s17, s16
	s_addc_u32 s6, s6, s20
	s_mul_i32 s18, s18, s16
	s_mul_i32 s17, s17, s6
	s_mul_hi_u32 s20, s16, s19
	s_add_i32 s17, s21, s17
	s_mul_hi_u32 s21, s6, s19
	s_add_i32 s17, s17, s18
	s_mul_i32 s18, s6, s19
	s_mul_i32 s58, s16, s17
	s_mul_hi_u32 s28, s16, s17
	s_add_u32 s20, s20, s58
	s_addc_u32 s28, 0, s28
	s_mul_hi_u32 s19, s6, s17
	s_add_u32 s18, s20, s18
	s_mul_i32 s17, s6, s17
	s_addc_u32 s18, s28, s21
	s_addc_u32 s19, s19, 0
	s_add_u32 s17, s18, s17
	s_addc_u32 s18, 0, s19
	s_add_u32 s16, s16, s17
	s_cselect_b32 s17, -1, 0
	s_mul_hi_u32 s19, s96, s16
	s_cmp_lg_u32 s17, 0
	s_mul_hi_u32 s17, s73, s16
	s_addc_u32 s6, s6, s18
	s_mul_i32 s16, s73, s16
	s_mul_i32 s20, s96, s6
	s_mul_hi_u32 s18, s96, s6
	s_add_u32 s19, s19, s20
	s_addc_u32 s18, 0, s18
	s_mul_hi_u32 s21, s73, s6
	s_add_u32 s16, s19, s16
	s_mul_i32 s6, s73, s6
	s_addc_u32 s16, s18, s17
	s_addc_u32 s17, s21, 0
	s_add_u32 s6, s16, s6
	s_addc_u32 s16, 0, s17
	s_mul_hi_u32 s17, s35, s6
	s_mul_i32 s16, s35, s16
	s_mul_i32 s6, s35, s6
	s_add_i32 s17, s17, s16
	s_sub_u32 s6, s96, s6
	s_cselect_b32 s16, -1, 0
	s_cmp_lg_u32 s16, 0
	s_subb_u32 s16, s73, s17
	s_sub_u32 s17, s6, s35
	s_cselect_b32 s18, -1, 0
	s_cmp_lg_u32 s18, 0
	s_subb_u32 s18, s16, 0
	s_sub_u32 s19, s17, s35
	s_cselect_b32 s20, -1, 0
	s_cmp_lg_u32 s20, 0
	s_subb_u32 s20, s18, 0
	s_cmp_ge_u32 s17, s35
	s_cselect_b32 s21, -1, 0
	s_cmp_eq_u32 s18, 0
	s_cselect_b32 s21, s21, -1
	s_cmp_lg_u32 s21, 0
	s_cselect_b32 s18, s20, s18
	s_cselect_b32 s19, s19, s17
	s_cmp_ge_u32 s6, s35
	s_cselect_b32 s17, -1, 0
	s_cmp_eq_u32 s16, 0
	s_cselect_b32 s17, s17, -1
	s_cmp_lg_u32 s17, 0
	s_cselect_b32 s17, s18, s16
	s_cselect_b32 s16, s19, s6
	s_cbranch_execnz .LBB222_396
.LBB222_395:                            ;   in Loop: Header=BB222_18 Depth=1
	v_cvt_f32_u32_e32 v4, s35
	s_sub_i32 s16, 0, s35
	v_rcp_iflag_f32_e32 v4, v4
	v_mul_f32_e32 v4, 0x4f7ffffe, v4
	v_cvt_u32_f32_e32 v4, v4
	v_readfirstlane_b32 s6, v4
	s_mul_i32 s16, s16, s6
	s_mul_hi_u32 s16, s6, s16
	s_add_i32 s6, s6, s16
	s_mul_hi_u32 s6, s96, s6
	s_mul_i32 s6, s6, s35
	s_sub_i32 s6, s96, s6
	s_sub_i32 s16, s6, s35
	s_cmp_ge_u32 s6, s35
	s_cselect_b32 s6, s16, s6
	s_sub_i32 s16, s6, s35
	s_cmp_ge_u32 s6, s35
	s_cselect_b32 s70, s16, s6
	s_mov_b64 s[16:17], s[70:71]
.LBB222_396:                            ;   in Loop: Header=BB222_18 Depth=1
	s_sub_u32 s16, s96, s16
	s_subb_u32 s17, s73, s17
	s_mov_b32 s18, exec_lo
                                        ; implicit-def: $vgpr34
	v_cmpx_gt_u64_e64 s[16:17], v[0:1]
	s_cbranch_execz .LBB222_405
; %bb.397:                              ;   in Loop: Header=BB222_18 Depth=1
	v_mov_b32_e32 v5, v1
	v_mov_b32_e32 v4, v0
	s_mov_b32 s19, 0
                                        ; implicit-def: $sgpr20
	s_branch .LBB222_400
.LBB222_398:                            ;   in Loop: Header=BB222_400 Depth=2
	s_or_b32 exec_lo, exec_lo, s21
	s_waitcnt lgkmcnt(0)
	s_barrier
	buffer_gl0_inv
	ds_read_b32 v8, v3 offset:3072
	s_mov_b32 s21, -1
	s_mov_b32 s6, -1
	s_waitcnt lgkmcnt(0)
	s_barrier
	buffer_gl0_inv
	v_and_b32_e32 v9, 0x7fff, v8
	v_cmp_eq_u32_e32 vcc_lo, 0, v9
	s_cbranch_vccnz .LBB222_403
.LBB222_399:                            ;   in Loop: Header=BB222_400 Depth=2
	s_and_b32 s1, exec_lo, s21
	s_or_b32 s19, s1, s19
	s_andn2_b32 s1, s20, exec_lo
	s_and_b32 s6, s6, exec_lo
	s_or_b32 s20, s1, s6
	s_andn2_b32 exec_lo, exec_lo, s19
	s_cbranch_execz .LBB222_404
.LBB222_400:                            ;   Parent Loop BB222_18 Depth=1
                                        ; =>  This Inner Loop Header: Depth=2
	s_mov_b32 s21, exec_lo
	v_cmpx_gt_u64_e64 s[36:37], v[4:5]
	s_cbranch_execz .LBB222_398
; %bb.401:                              ;   in Loop: Header=BB222_400 Depth=2
	v_mul_lo_u32 v10, v5, s30
	v_mul_lo_u32 v11, v4, s31
	v_mad_u64_u32 v[8:9], null, v4, s30, 0
	v_add3_u32 v9, v9, v11, v10
	v_lshlrev_b64 v[8:9], 1, v[8:9]
	v_add_co_u32 v8, vcc_lo, s29, v8
	v_add_co_ci_u32_e64 v9, null, s33, v9, vcc_lo
	global_load_ushort v8, v[8:9], off
	s_waitcnt vmcnt(0)
	v_lshlrev_b32_e32 v9, 16, v8
	v_cmp_lt_i16_e64 s6, -1, v8
	v_cmp_o_f32_e32 vcc_lo, v9, v9
	v_cndmask_b32_e64 v9, 0xffff, v31, s6
	v_xor_b32_sdwa v9, v9, v8 dst_sel:DWORD dst_unused:UNUSED_PAD src0_sel:DWORD src1_sel:WORD_0
	v_cndmask_b32_e32 v9, 0xffff, v9, vcc_lo
	v_and_b32_e32 v9, v9, v33
	v_cmp_eq_u32_e32 vcc_lo, v9, v28
	s_and_b32 exec_lo, exec_lo, vcc_lo
	s_cbranch_execz .LBB222_398
; %bb.402:                              ;   in Loop: Header=BB222_400 Depth=2
	v_perm_b32 v8, v8, s63, 0x5040100
	ds_write_b32 v3, v8 offset:3072
	s_branch .LBB222_398
.LBB222_403:                            ;   in Loop: Header=BB222_400 Depth=2
	v_add_co_u32 v4, vcc_lo, v4, s35
	v_add_co_ci_u32_e64 v5, null, 0, v5, vcc_lo
	s_mov_b32 s6, 0
	v_cmp_le_u64_e32 vcc_lo, s[16:17], v[4:5]
	s_orn2_b32 s21, vcc_lo, exec_lo
	s_branch .LBB222_399
.LBB222_404:                            ;   in Loop: Header=BB222_18 Depth=1
	s_or_b32 exec_lo, exec_lo, s19
	v_lshrrev_b32_e32 v34, 16, v8
	s_andn2_b32 s1, s8, exec_lo
	s_and_b32 s6, s20, exec_lo
	s_or_b32 s8, s1, s6
.LBB222_405:                            ;   in Loop: Header=BB222_18 Depth=1
	s_or_b32 exec_lo, exec_lo, s18
	s_mov_b32 s79, 0
	s_mov_b32 s80, -1
.LBB222_406:                            ;   in Loop: Header=BB222_18 Depth=1
	s_orn2_b32 s6, s8, exec_lo
.LBB222_407:                            ;   in Loop: Header=BB222_18 Depth=1
	s_or_b32 exec_lo, exec_lo, s82
	s_mov_b32 s8, 0
	s_and_saveexec_b32 s20, s6
	s_cbranch_execz .LBB222_469
; %bb.408:                              ;   in Loop: Header=BB222_18 Depth=1
	v_mov_b32_e32 v4, 1
	v_mov_b32_e32 v5, 0
	;; [unrolled: 1-line block ×3, first 2 shown]
	s_xor_b32 s16, s81, -1
	s_and_saveexec_b32 s6, s16
	s_cbranch_execz .LBB222_417
; %bb.409:                              ;   in Loop: Header=BB222_18 Depth=1
	s_mov_b32 s8, exec_lo
	v_cmpx_ge_u64_e64 s[14:15], v[6:7]
	s_xor_b32 s8, exec_lo, s8
	s_cbranch_execz .LBB222_414
; %bb.410:                              ;   in Loop: Header=BB222_18 Depth=1
	ds_read_b64 v[4:5], v3 offset:5120
	s_lshl_b32 s16, 1, s69
	v_or_b32_e32 v33, s11, v33
	v_and_or_b32 v28, v28, s26, s16
	s_waitcnt lgkmcnt(0)
	v_cmp_ne_u64_e32 vcc_lo, 0, v[4:5]
	s_cbranch_vccnz .LBB222_414
; %bb.411:                              ;   in Loop: Header=BB222_18 Depth=1
	s_and_saveexec_b32 s16, s3
; %bb.412:                              ;   in Loop: Header=BB222_18 Depth=1
	v_mov_b32_e32 v4, s14
	v_mov_b32_e32 v5, s15
	ds_write_b64 v3, v[4:5] offset:5128
; %bb.413:                              ;   in Loop: Header=BB222_18 Depth=1
	s_or_b32 exec_lo, exec_lo, s16
	s_waitcnt lgkmcnt(0)
	s_barrier
	buffer_gl0_inv
.LBB222_414:                            ;   in Loop: Header=BB222_18 Depth=1
	s_or_saveexec_b32 s8, s8
	v_mov_b32_e32 v2, 5
	s_mov_b32 s16, 0
	s_xor_b32 exec_lo, exec_lo, s8
; %bb.415:                              ;   in Loop: Header=BB222_18 Depth=1
	v_sub_co_u32 v6, vcc_lo, v6, s14
	v_subrev_co_ci_u32_e64 v7, null, s15, v7, vcc_lo
	v_mov_b32_e32 v2, 0
	s_mov_b32 s16, exec_lo
; %bb.416:                              ;   in Loop: Header=BB222_18 Depth=1
	s_or_b32 exec_lo, exec_lo, s8
	v_mov_b32_e32 v4, v6
	v_mov_b32_e32 v5, v7
	s_and_b32 s8, s16, exec_lo
.LBB222_417:                            ;   in Loop: Header=BB222_18 Depth=1
	s_or_b32 exec_lo, exec_lo, s6
	s_mov_b32 s6, -1
                                        ; implicit-def: $sgpr83
                                        ; implicit-def: $sgpr72
	s_and_saveexec_b32 s21, s8
	s_cbranch_execz .LBB222_468
; %bb.418:                              ;   in Loop: Header=BB222_18 Depth=1
	v_cmp_eq_u64_e32 vcc_lo, 1, v[4:5]
	s_cmp_eq_u64 s[12:13], 1
	s_mov_b32 s8, -1
	s_cselect_b32 s6, -1, 0
                                        ; implicit-def: $sgpr83
                                        ; implicit-def: $sgpr72
	s_and_b32 s81, s6, vcc_lo
	s_and_saveexec_b32 s82, s81
	s_cbranch_execz .LBB222_456
; %bb.419:                              ;   in Loop: Header=BB222_18 Depth=1
	ds_read_b64 v[6:7], v3 offset:5120
	s_waitcnt lgkmcnt(0)
	s_barrier
	buffer_gl0_inv
	v_readfirstlane_b32 s14, v6
	v_readfirstlane_b32 s15, v7
	s_and_saveexec_b32 s6, s10
; %bb.420:                              ;   in Loop: Header=BB222_18 Depth=1
	ds_write_b16 v26, v3
; %bb.421:                              ;   in Loop: Header=BB222_18 Depth=1
	s_or_b32 exec_lo, exec_lo, s6
	v_and_b32_e32 v28, s26, v28
	v_or_b32_e32 v33, s11, v33
	s_mov_b32 s72, -1
	s_mov_b32 s83, 0
	s_cmp_eq_u64 s[14:15], 0
	s_mov_b32 s8, 0
	s_mov_b32 s18, -1
	s_waitcnt lgkmcnt(0)
	s_barrier
	buffer_gl0_inv
                                        ; implicit-def: $vgpr34
	s_cbranch_scc1 .LBB222_439
; %bb.422:                              ;   in Loop: Header=BB222_18 Depth=1
	s_add_u32 s6, s14, s94
	s_addc_u32 s17, s15, s95
	s_mov_b32 s16, s71
	s_cmp_lg_u64 s[16:17], 0
	s_cbranch_scc0 .LBB222_426
; %bb.423:                              ;   in Loop: Header=BB222_18 Depth=1
	v_cvt_f32_u32_e32 v6, s35
	s_sub_u32 s18, 0, s35
	s_subb_u32 s19, 0, 0
	v_fmac_f32_e64 v6, 0x4f800000, 0
	v_rcp_f32_e32 v6, v6
	v_mul_f32_e32 v6, 0x5f7ffffc, v6
	v_mul_f32_e32 v7, 0x2f800000, v6
	v_trunc_f32_e32 v7, v7
	v_fmac_f32_e32 v6, 0xcf800000, v7
	v_cvt_u32_f32_e32 v7, v7
	v_cvt_u32_f32_e32 v6, v6
	v_readfirstlane_b32 s8, v7
	v_readfirstlane_b32 s16, v6
	s_mul_i32 s28, s18, s8
	s_mul_hi_u32 s70, s18, s16
	s_mul_i32 s58, s19, s16
	s_add_i32 s28, s70, s28
	s_mul_i32 s84, s18, s16
	s_add_i32 s28, s28, s58
	s_mul_hi_u32 s70, s16, s84
	s_mul_i32 s86, s16, s28
	s_mul_hi_u32 s85, s8, s84
	s_mul_i32 s58, s8, s84
	s_mul_hi_u32 s84, s16, s28
	s_add_u32 s70, s70, s86
	s_addc_u32 s84, 0, s84
	s_mul_hi_u32 s87, s8, s28
	s_add_u32 s58, s70, s58
	s_mul_i32 s28, s8, s28
	s_addc_u32 s58, s84, s85
	s_addc_u32 s70, s87, 0
	s_add_u32 s28, s58, s28
	s_addc_u32 s58, 0, s70
	s_add_u32 s16, s16, s28
	s_cselect_b32 s28, -1, 0
	s_mul_hi_u32 s70, s18, s16
	s_cmp_lg_u32 s28, 0
	s_mul_i32 s28, s18, s16
	s_addc_u32 s8, s8, s58
	s_mul_i32 s19, s19, s16
	s_mul_i32 s18, s18, s8
	s_mul_hi_u32 s58, s16, s28
	s_add_i32 s18, s70, s18
	s_mul_hi_u32 s70, s8, s28
	s_add_i32 s18, s18, s19
	s_mul_i32 s19, s8, s28
	s_mul_i32 s85, s16, s18
	s_mul_hi_u32 s84, s16, s18
	s_add_u32 s58, s58, s85
	s_addc_u32 s84, 0, s84
	s_mul_hi_u32 s28, s8, s18
	s_add_u32 s19, s58, s19
	s_mul_i32 s18, s8, s18
	s_addc_u32 s19, s84, s70
	s_addc_u32 s28, s28, 0
	s_add_u32 s18, s19, s18
	s_addc_u32 s19, 0, s28
	s_add_u32 s16, s16, s18
	s_cselect_b32 s18, -1, 0
	s_mul_hi_u32 s28, s6, s16
	s_cmp_lg_u32 s18, 0
	s_mul_hi_u32 s18, s17, s16
	s_addc_u32 s8, s8, s19
	s_mul_i32 s16, s17, s16
	s_mul_i32 s58, s6, s8
	s_mul_hi_u32 s19, s6, s8
	s_add_u32 s28, s28, s58
	s_addc_u32 s19, 0, s19
	s_mul_hi_u32 s70, s17, s8
	s_add_u32 s16, s28, s16
	s_mul_i32 s8, s17, s8
	s_addc_u32 s16, s19, s18
	s_addc_u32 s18, s70, 0
	s_add_u32 s8, s16, s8
	s_addc_u32 s16, 0, s18
	s_mul_hi_u32 s18, s35, s8
	s_mul_i32 s16, s35, s16
	s_mul_i32 s8, s35, s8
	s_add_i32 s18, s18, s16
	s_sub_u32 s8, s6, s8
	s_cselect_b32 s16, -1, 0
	s_cmp_lg_u32 s16, 0
	s_subb_u32 s16, s17, s18
	s_sub_u32 s18, s8, s35
	s_cselect_b32 s19, -1, 0
	s_cmp_lg_u32 s19, 0
	s_subb_u32 s19, s16, 0
	;; [unrolled: 4-line block ×3, first 2 shown]
	s_cmp_ge_u32 s18, s35
	s_cselect_b32 s70, -1, 0
	s_cmp_eq_u32 s19, 0
	s_cselect_b32 s70, s70, -1
	s_cmp_lg_u32 s70, 0
	s_cselect_b32 s19, s58, s19
	s_cselect_b32 s18, s28, s18
	s_cmp_ge_u32 s8, s35
	s_cselect_b32 s28, -1, 0
	s_cmp_eq_u32 s16, 0
	s_cselect_b32 s28, s28, -1
	s_cmp_lg_u32 s28, 0
	s_cselect_b32 s19, s19, s16
	s_cselect_b32 s18, s18, s8
	s_mov_b32 s8, 0
	s_branch .LBB222_427
.LBB222_424:                            ;   in Loop: Header=BB222_18 Depth=1
                                        ; implicit-def: $sgpr20_sgpr21
	s_branch .LBB222_379
.LBB222_425:                            ;   in Loop: Header=BB222_18 Depth=1
                                        ; implicit-def: $sgpr16_sgpr17
	s_branch .LBB222_395
.LBB222_426:                            ;   in Loop: Header=BB222_18 Depth=1
	s_mov_b32 s8, -1
                                        ; implicit-def: $sgpr18_sgpr19
.LBB222_427:                            ;   in Loop: Header=BB222_18 Depth=1
	s_andn2_b32 vcc_lo, exec_lo, s8
	s_cbranch_vccnz .LBB222_429
; %bb.428:                              ;   in Loop: Header=BB222_18 Depth=1
	v_cvt_f32_u32_e32 v6, s35
	s_sub_i32 s16, 0, s35
	v_rcp_iflag_f32_e32 v6, v6
	v_mul_f32_e32 v6, 0x4f7ffffe, v6
	v_cvt_u32_f32_e32 v6, v6
	v_readfirstlane_b32 s8, v6
	s_mul_i32 s16, s16, s8
	s_mul_hi_u32 s16, s8, s16
	s_add_i32 s8, s8, s16
	s_mul_hi_u32 s8, s6, s8
	s_mul_i32 s8, s8, s35
	s_sub_i32 s8, s6, s8
	s_sub_i32 s16, s8, s35
	s_cmp_ge_u32 s8, s35
	s_cselect_b32 s8, s16, s8
	s_sub_i32 s16, s8, s35
	s_cmp_ge_u32 s8, s35
	s_cselect_b32 s70, s16, s8
	s_mov_b64 s[18:19], s[70:71]
.LBB222_429:                            ;   in Loop: Header=BB222_18 Depth=1
	s_sub_u32 s16, s6, s18
	s_subb_u32 s17, s17, s19
	s_mov_b32 s18, 0
	s_mov_b32 s8, 0
	s_mov_b32 s19, exec_lo
                                        ; implicit-def: $vgpr34
	v_cmpx_gt_u64_e64 s[16:17], v[0:1]
	s_cbranch_execz .LBB222_438
; %bb.430:                              ;   in Loop: Header=BB222_18 Depth=1
	v_mov_b32_e32 v7, v1
	v_mov_b32_e32 v8, v25
	;; [unrolled: 1-line block ×3, first 2 shown]
                                        ; implicit-def: $sgpr70
	s_branch .LBB222_433
.LBB222_431:                            ;   in Loop: Header=BB222_433 Depth=2
	s_or_b32 exec_lo, exec_lo, s28
	s_waitcnt lgkmcnt(0)
	s_barrier
	buffer_gl0_inv
	ds_read_b32 v9, v3 offset:3072
	s_mov_b32 s6, -1
	s_mov_b32 s28, -1
	s_waitcnt lgkmcnt(0)
	s_barrier
	buffer_gl0_inv
	v_and_b32_e32 v10, 0x7fff, v9
	v_cmp_ne_u32_e32 vcc_lo, 0, v10
	s_cbranch_vccz .LBB222_436
.LBB222_432:                            ;   in Loop: Header=BB222_433 Depth=2
	s_and_b32 s1, exec_lo, s6
	s_or_b32 s8, s1, s8
	s_andn2_b32 s1, s70, exec_lo
	s_and_b32 s6, s28, exec_lo
	s_or_b32 s70, s1, s6
	s_andn2_b32 exec_lo, exec_lo, s8
	s_cbranch_execz .LBB222_437
.LBB222_433:                            ;   Parent Loop BB222_18 Depth=1
                                        ; =>  This Inner Loop Header: Depth=2
	s_mov_b32 s28, exec_lo
	v_cmpx_gt_u64_e64 s[14:15], v[6:7]
	s_cbranch_execz .LBB222_431
; %bb.434:                              ;   in Loop: Header=BB222_433 Depth=2
	ds_read_u16 v9, v8
	s_waitcnt lgkmcnt(0)
	v_lshlrev_b32_e32 v10, 16, v9
	v_cmp_lt_i16_e64 s6, -1, v9
	v_cmp_o_f32_e32 vcc_lo, v10, v10
	v_cndmask_b32_e64 v10, 0xffff, v31, s6
	v_xor_b32_sdwa v10, v10, v9 dst_sel:DWORD dst_unused:UNUSED_PAD src0_sel:DWORD src1_sel:WORD_0
	v_cndmask_b32_e32 v10, 0xffff, v10, vcc_lo
	v_and_b32_e32 v10, v10, v33
	v_cmp_eq_u32_e32 vcc_lo, v10, v28
	s_and_b32 exec_lo, exec_lo, vcc_lo
	s_cbranch_execz .LBB222_431
; %bb.435:                              ;   in Loop: Header=BB222_433 Depth=2
	v_perm_b32 v9, v9, s63, 0x5040100
	ds_write_b32 v3, v9 offset:3072
	s_branch .LBB222_431
.LBB222_436:                            ;   in Loop: Header=BB222_433 Depth=2
	v_add_co_u32 v6, vcc_lo, v6, s35
	v_add_co_ci_u32_e64 v7, null, 0, v7, vcc_lo
	v_add_nc_u32_e32 v8, s68, v8
	s_mov_b32 s28, 0
	v_cmp_le_u64_e32 vcc_lo, s[16:17], v[6:7]
	s_orn2_b32 s6, vcc_lo, exec_lo
	s_branch .LBB222_432
.LBB222_437:                            ;   in Loop: Header=BB222_18 Depth=1
	s_or_b32 exec_lo, exec_lo, s8
	v_lshrrev_b32_e32 v34, 16, v9
	s_and_b32 s8, s70, exec_lo
.LBB222_438:                            ;   in Loop: Header=BB222_18 Depth=1
	s_or_b32 exec_lo, exec_lo, s19
.LBB222_439:                            ;   in Loop: Header=BB222_18 Depth=1
	s_and_b32 vcc_lo, exec_lo, s18
	s_cbranch_vccz .LBB222_455
; %bb.440:                              ;   in Loop: Header=BB222_18 Depth=1
	s_mov_b32 s72, s71
	s_cmp_lg_u64 s[72:73], 0
	s_cbranch_scc0 .LBB222_442
; %bb.441:                              ;   in Loop: Header=BB222_18 Depth=1
	v_cvt_f32_u32_e32 v6, s35
	s_sub_u32 s15, 0, s35
	s_subb_u32 s16, 0, 0
	v_fmac_f32_e64 v6, 0x4f800000, 0
	v_rcp_f32_e32 v6, v6
	v_mul_f32_e32 v6, 0x5f7ffffc, v6
	v_mul_f32_e32 v7, 0x2f800000, v6
	v_trunc_f32_e32 v7, v7
	v_fmac_f32_e32 v6, 0xcf800000, v7
	v_cvt_u32_f32_e32 v7, v7
	v_cvt_u32_f32_e32 v6, v6
	v_readfirstlane_b32 s6, v7
	v_readfirstlane_b32 s14, v6
	s_mul_i32 s17, s15, s6
	s_mul_hi_u32 s19, s15, s14
	s_mul_i32 s18, s16, s14
	s_add_i32 s17, s19, s17
	s_mul_i32 s28, s15, s14
	s_add_i32 s17, s17, s18
	s_mul_hi_u32 s19, s14, s28
	s_mul_i32 s70, s14, s17
	s_mul_hi_u32 s58, s6, s28
	s_mul_i32 s18, s6, s28
	s_mul_hi_u32 s28, s14, s17
	s_add_u32 s19, s19, s70
	s_addc_u32 s28, 0, s28
	s_mul_hi_u32 s72, s6, s17
	s_add_u32 s18, s19, s18
	s_mul_i32 s17, s6, s17
	s_addc_u32 s18, s28, s58
	s_addc_u32 s19, s72, 0
	s_add_u32 s17, s18, s17
	s_addc_u32 s18, 0, s19
	s_add_u32 s14, s14, s17
	s_cselect_b32 s17, -1, 0
	s_mul_hi_u32 s19, s15, s14
	s_cmp_lg_u32 s17, 0
	s_mul_i32 s17, s15, s14
	s_addc_u32 s6, s6, s18
	s_mul_i32 s16, s16, s14
	s_mul_i32 s15, s15, s6
	s_mul_hi_u32 s18, s14, s17
	s_add_i32 s15, s19, s15
	s_mul_hi_u32 s19, s6, s17
	s_add_i32 s15, s15, s16
	s_mul_i32 s16, s6, s17
	s_mul_i32 s58, s14, s15
	s_mul_hi_u32 s28, s14, s15
	s_add_u32 s18, s18, s58
	s_addc_u32 s28, 0, s28
	s_mul_hi_u32 s17, s6, s15
	s_add_u32 s16, s18, s16
	s_mul_i32 s15, s6, s15
	s_addc_u32 s16, s28, s19
	s_addc_u32 s17, s17, 0
	s_add_u32 s15, s16, s15
	s_addc_u32 s16, 0, s17
	s_add_u32 s14, s14, s15
	s_cselect_b32 s15, -1, 0
	s_mul_hi_u32 s17, s96, s14
	s_cmp_lg_u32 s15, 0
	s_mul_hi_u32 s15, s73, s14
	s_addc_u32 s6, s6, s16
	s_mul_i32 s14, s73, s14
	s_mul_i32 s18, s96, s6
	s_mul_hi_u32 s16, s96, s6
	s_add_u32 s17, s17, s18
	s_addc_u32 s16, 0, s16
	s_mul_hi_u32 s19, s73, s6
	s_add_u32 s14, s17, s14
	s_mul_i32 s6, s73, s6
	s_addc_u32 s14, s16, s15
	s_addc_u32 s15, s19, 0
	s_add_u32 s6, s14, s6
	s_addc_u32 s14, 0, s15
	s_mul_hi_u32 s15, s35, s6
	s_mul_i32 s14, s35, s14
	s_mul_i32 s6, s35, s6
	s_add_i32 s15, s15, s14
	s_sub_u32 s6, s96, s6
	s_cselect_b32 s14, -1, 0
	s_cmp_lg_u32 s14, 0
	s_subb_u32 s14, s73, s15
	s_sub_u32 s15, s6, s35
	s_cselect_b32 s16, -1, 0
	s_cmp_lg_u32 s16, 0
	s_subb_u32 s16, s14, 0
	;; [unrolled: 4-line block ×3, first 2 shown]
	s_cmp_ge_u32 s15, s35
	s_cselect_b32 s19, -1, 0
	s_cmp_eq_u32 s16, 0
	s_cselect_b32 s19, s19, -1
	s_cmp_lg_u32 s19, 0
	s_cselect_b32 s16, s18, s16
	s_cselect_b32 s17, s17, s15
	s_cmp_ge_u32 s6, s35
	s_cselect_b32 s15, -1, 0
	s_cmp_eq_u32 s14, 0
	s_cselect_b32 s15, s15, -1
	s_cmp_lg_u32 s15, 0
	s_cselect_b32 s15, s16, s14
	s_cselect_b32 s14, s17, s6
	s_mov_b32 s6, 0
	s_branch .LBB222_443
.LBB222_442:                            ;   in Loop: Header=BB222_18 Depth=1
	s_mov_b32 s6, -1
                                        ; implicit-def: $sgpr14_sgpr15
.LBB222_443:                            ;   in Loop: Header=BB222_18 Depth=1
	s_andn2_b32 vcc_lo, exec_lo, s6
	s_cbranch_vccnz .LBB222_445
; %bb.444:                              ;   in Loop: Header=BB222_18 Depth=1
	v_cvt_f32_u32_e32 v6, s35
	s_sub_i32 s14, 0, s35
	v_rcp_iflag_f32_e32 v6, v6
	v_mul_f32_e32 v6, 0x4f7ffffe, v6
	v_cvt_u32_f32_e32 v6, v6
	v_readfirstlane_b32 s6, v6
	s_mul_i32 s14, s14, s6
	s_mul_hi_u32 s14, s6, s14
	s_add_i32 s6, s6, s14
	s_mul_hi_u32 s6, s96, s6
	s_mul_i32 s6, s6, s35
	s_sub_i32 s6, s96, s6
	s_sub_i32 s14, s6, s35
	s_cmp_ge_u32 s6, s35
	s_cselect_b32 s6, s14, s6
	s_sub_i32 s14, s6, s35
	s_cmp_ge_u32 s6, s35
	s_cselect_b32 s70, s14, s6
	s_mov_b64 s[14:15], s[70:71]
.LBB222_445:                            ;   in Loop: Header=BB222_18 Depth=1
	s_sub_u32 s14, s96, s14
	s_subb_u32 s15, s73, s15
	s_mov_b32 s16, exec_lo
                                        ; implicit-def: $vgpr34
	v_cmpx_gt_u64_e64 s[14:15], v[0:1]
	s_cbranch_execz .LBB222_454
; %bb.446:                              ;   in Loop: Header=BB222_18 Depth=1
	v_mov_b32_e32 v7, v1
	v_mov_b32_e32 v6, v0
	s_mov_b32 s17, 0
                                        ; implicit-def: $sgpr18
	s_branch .LBB222_449
.LBB222_447:                            ;   in Loop: Header=BB222_449 Depth=2
	s_or_b32 exec_lo, exec_lo, s19
	s_waitcnt lgkmcnt(0)
	s_barrier
	buffer_gl0_inv
	ds_read_b32 v8, v3 offset:3072
	s_mov_b32 s19, -1
	s_mov_b32 s6, -1
	s_waitcnt lgkmcnt(0)
	s_barrier
	buffer_gl0_inv
	v_and_b32_e32 v9, 0x7fff, v8
	v_cmp_eq_u32_e32 vcc_lo, 0, v9
	s_cbranch_vccnz .LBB222_452
.LBB222_448:                            ;   in Loop: Header=BB222_449 Depth=2
	s_and_b32 s1, exec_lo, s19
	s_or_b32 s17, s1, s17
	s_andn2_b32 s1, s18, exec_lo
	s_and_b32 s6, s6, exec_lo
	s_or_b32 s18, s1, s6
	s_andn2_b32 exec_lo, exec_lo, s17
	s_cbranch_execz .LBB222_453
.LBB222_449:                            ;   Parent Loop BB222_18 Depth=1
                                        ; =>  This Inner Loop Header: Depth=2
	s_mov_b32 s19, exec_lo
	v_cmpx_gt_u64_e64 s[36:37], v[6:7]
	s_cbranch_execz .LBB222_447
; %bb.450:                              ;   in Loop: Header=BB222_449 Depth=2
	v_mul_lo_u32 v10, v7, s30
	v_mul_lo_u32 v11, v6, s31
	v_mad_u64_u32 v[8:9], null, v6, s30, 0
	v_add3_u32 v9, v9, v11, v10
	v_lshlrev_b64 v[8:9], 1, v[8:9]
	v_add_co_u32 v8, vcc_lo, s29, v8
	v_add_co_ci_u32_e64 v9, null, s33, v9, vcc_lo
	global_load_ushort v8, v[8:9], off
	s_waitcnt vmcnt(0)
	v_lshlrev_b32_e32 v9, 16, v8
	v_cmp_lt_i16_e64 s6, -1, v8
	v_cmp_o_f32_e32 vcc_lo, v9, v9
	v_cndmask_b32_e64 v9, 0xffff, v31, s6
	v_xor_b32_sdwa v9, v9, v8 dst_sel:DWORD dst_unused:UNUSED_PAD src0_sel:DWORD src1_sel:WORD_0
	v_cndmask_b32_e32 v9, 0xffff, v9, vcc_lo
	v_and_b32_e32 v9, v9, v33
	v_cmp_eq_u32_e32 vcc_lo, v9, v28
	s_and_b32 exec_lo, exec_lo, vcc_lo
	s_cbranch_execz .LBB222_447
; %bb.451:                              ;   in Loop: Header=BB222_449 Depth=2
	v_perm_b32 v8, v8, s63, 0x5040100
	ds_write_b32 v3, v8 offset:3072
	s_branch .LBB222_447
.LBB222_452:                            ;   in Loop: Header=BB222_449 Depth=2
	v_add_co_u32 v6, vcc_lo, v6, s35
	v_add_co_ci_u32_e64 v7, null, 0, v7, vcc_lo
	s_mov_b32 s6, 0
	v_cmp_le_u64_e32 vcc_lo, s[14:15], v[6:7]
	s_orn2_b32 s19, vcc_lo, exec_lo
	s_branch .LBB222_448
.LBB222_453:                            ;   in Loop: Header=BB222_18 Depth=1
	s_or_b32 exec_lo, exec_lo, s17
	v_lshrrev_b32_e32 v34, 16, v8
	s_andn2_b32 s1, s8, exec_lo
	s_and_b32 s6, s18, exec_lo
	s_or_b32 s8, s1, s6
.LBB222_454:                            ;   in Loop: Header=BB222_18 Depth=1
	s_or_b32 exec_lo, exec_lo, s16
	s_mov_b32 s72, 0
	s_mov_b32 s83, -1
.LBB222_455:                            ;   in Loop: Header=BB222_18 Depth=1
	s_orn2_b32 s8, s8, exec_lo
.LBB222_456:                            ;   in Loop: Header=BB222_18 Depth=1
	s_or_b32 exec_lo, exec_lo, s82
	s_mov_b32 s14, 0
	s_and_saveexec_b32 s6, s8
	s_cbranch_execz .LBB222_467
; %bb.457:                              ;   in Loop: Header=BB222_18 Depth=1
	v_mov_b32_e32 v6, 1
	v_mov_b32_e32 v7, 0
	;; [unrolled: 1-line block ×3, first 2 shown]
	s_xor_b32 s14, s81, -1
	s_and_saveexec_b32 s8, s14
	s_cbranch_execz .LBB222_466
; %bb.458:                              ;   in Loop: Header=BB222_18 Depth=1
	s_mov_b32 s14, exec_lo
	v_cmpx_ge_u64_e64 s[12:13], v[4:5]
	s_xor_b32 s14, exec_lo, s14
	s_cbranch_execz .LBB222_463
; %bb.459:                              ;   in Loop: Header=BB222_18 Depth=1
	ds_read_b64 v[6:7], v3 offset:5120
	v_and_b32_e32 v28, s26, v28
	v_or_b32_e32 v33, s11, v33
	s_waitcnt lgkmcnt(0)
	v_cmp_ne_u64_e32 vcc_lo, 0, v[6:7]
	s_cbranch_vccnz .LBB222_463
; %bb.460:                              ;   in Loop: Header=BB222_18 Depth=1
	s_and_saveexec_b32 s11, s3
; %bb.461:                              ;   in Loop: Header=BB222_18 Depth=1
	v_mov_b32_e32 v6, s12
	v_mov_b32_e32 v7, s13
	ds_write_b64 v3, v[6:7] offset:5128
; %bb.462:                              ;   in Loop: Header=BB222_18 Depth=1
	s_or_b32 exec_lo, exec_lo, s11
	s_waitcnt lgkmcnt(0)
	s_barrier
	buffer_gl0_inv
.LBB222_463:                            ;   in Loop: Header=BB222_18 Depth=1
	s_andn2_saveexec_b32 s11, s14
; %bb.464:                              ;   in Loop: Header=BB222_18 Depth=1
	v_sub_co_u32 v4, vcc_lo, v4, s12
	v_subrev_co_ci_u32_e64 v5, null, s13, v5, vcc_lo
; %bb.465:                              ;   in Loop: Header=BB222_18 Depth=1
	s_or_b32 exec_lo, exec_lo, s11
	v_mov_b32_e32 v7, v5
	v_mov_b32_e32 v2, 5
	;; [unrolled: 1-line block ×3, first 2 shown]
.LBB222_466:                            ;   in Loop: Header=BB222_18 Depth=1
	s_or_b32 exec_lo, exec_lo, s8
	v_mov_b32_e32 v4, v6
	v_mov_b32_e32 v5, v7
	s_mov_b32 s14, exec_lo
.LBB222_467:                            ;   in Loop: Header=BB222_18 Depth=1
	s_or_b32 exec_lo, exec_lo, s6
	s_orn2_b32 s6, s14, exec_lo
.LBB222_468:                            ;   in Loop: Header=BB222_18 Depth=1
	s_or_b32 exec_lo, exec_lo, s21
	v_mov_b32_e32 v7, v5
	v_mov_b32_e32 v6, v4
	s_andn2_b32 s8, s80, exec_lo
	s_and_b32 s11, s83, exec_lo
	s_andn2_b32 s12, s79, exec_lo
	s_and_b32 s13, s72, exec_lo
	s_or_b32 s80, s8, s11
	s_or_b32 s79, s12, s13
	s_and_b32 s8, s6, exec_lo
.LBB222_469:                            ;   in Loop: Header=BB222_18 Depth=1
	s_or_b32 exec_lo, exec_lo, s20
	s_orn2_b32 s6, s8, exec_lo
.LBB222_470:                            ;   in Loop: Header=BB222_18 Depth=1
	s_or_b32 exec_lo, exec_lo, s23
	v_mov_b32_e32 v4, v6
	v_mov_b32_e32 v5, v7
	s_andn2_b32 s8, s78, exec_lo
	s_and_b32 s11, s80, exec_lo
	s_andn2_b32 s12, s77, exec_lo
	s_and_b32 s13, s79, exec_lo
	s_or_b32 s78, s8, s11
	s_or_b32 s77, s12, s13
	s_and_b32 s8, s6, exec_lo
.LBB222_471:                            ;   in Loop: Header=BB222_18 Depth=1
	s_or_b32 exec_lo, exec_lo, s22
	s_orn2_b32 s6, s8, exec_lo
.LBB222_472:                            ;   in Loop: Header=BB222_18 Depth=1
	s_or_b32 exec_lo, exec_lo, s25
	s_mov_b32 s8, s76
	s_mov_b32 s11, s51
	s_and_saveexec_b32 s12, s6
; %bb.473:                              ;   in Loop: Header=BB222_18 Depth=1
	v_cmp_ne_u32_e32 vcc_lo, 5, v2
	v_cmp_eq_u32_e64 s6, 5, v2
	s_andn2_b32 s8, s51, exec_lo
	s_andn2_b32 s13, s76, exec_lo
	s_and_b32 s11, vcc_lo, exec_lo
	s_and_b32 s6, s6, exec_lo
	s_or_b32 s11, s8, s11
	s_or_b32 s8, s13, s6
; %bb.474:                              ;   in Loop: Header=BB222_18 Depth=1
	s_or_b32 exec_lo, exec_lo, s12
	s_andn2_b32 s1, s9, exec_lo
	s_and_b32 s6, s78, exec_lo
	s_andn2_b32 s7, s27, exec_lo
	s_and_b32 s12, s77, exec_lo
	s_or_b32 s9, s1, s6
	s_or_b32 s27, s7, s12
	s_andn2_b32 s1, s51, exec_lo
	s_and_b32 s6, s11, exec_lo
	s_andn2_b32 s7, s76, exec_lo
	s_and_b32 s8, s8, exec_lo
	s_or_b32 s51, s1, s6
	s_or_b32 s76, s7, s8
.LBB222_475:                            ;   in Loop: Header=BB222_18 Depth=1
	s_or_b32 exec_lo, exec_lo, s24
	s_mov_b32 s77, 0
	s_mov_b32 s78, 0
	s_and_saveexec_b32 s6, s76
.LBB222_476:                            ;   in Loop: Header=BB222_18 Depth=1
	v_mov_b32_e32 v2, 0
	s_or_b32 s51, s51, exec_lo
.LBB222_477:                            ;   in Loop: Header=BB222_18 Depth=1
	s_or_b32 exec_lo, exec_lo, s6
	s_andn2_b32 s1, s48, exec_lo
	s_and_b32 s6, s9, exec_lo
	s_andn2_b32 s7, s60, exec_lo
	s_and_b32 s9, s27, exec_lo
	v_mov_b32_e32 v20, v5
	v_mov_b32_e32 v19, v4
	s_or_b32 s48, s1, s6
	s_or_b32 s60, s7, s9
	s_andn2_b32 s1, s50, exec_lo
	s_and_b32 s6, s78, exec_lo
	s_andn2_b32 s7, s49, exec_lo
	s_and_b32 s9, s77, exec_lo
	s_mov_b32 s8, -1
	s_andn2_b32 s61, s61, exec_lo
	s_or_b32 s50, s1, s6
	s_or_b32 s49, s7, s9
	s_and_saveexec_b32 s1, s51
	s_xor_b32 s6, exec_lo, s1
	s_cbranch_execz .LBB222_17
; %bb.478:                              ;   in Loop: Header=BB222_18 Depth=1
	s_mov_b32 s9, -1
	s_mov_b32 s11, exec_lo
	v_cmpx_eq_u32_e32 0, v2
	s_cbranch_execz .LBB222_16
; %bb.479:                              ;   in Loop: Header=BB222_18 Depth=1
	s_xor_b32 s53, s53, 1
	s_add_i32 s12, s69, -2
	s_cmp_eq_u32 s69, 0
	s_mov_b32 s69, s12
	s_cselect_b32 s8, -1, 0
	s_xor_b32 s9, exec_lo, -1
	s_orn2_b32 s8, s8, exec_lo
	s_branch .LBB222_16
.LBB222_480:
	s_or_b32 exec_lo, exec_lo, s62
	s_xor_b32 s7, s67, -1
	s_xor_b32 s9, s55, -1
	s_xor_b32 s10, s66, -1
	s_xor_b32 s1, s52, -1
	s_xor_b32 s6, s54, -1
	s_mov_b32 s8, 0
	s_and_saveexec_b32 s11, s1
	s_xor_b32 s14, exec_lo, s11
	s_cbranch_execnz .LBB222_485
; %bb.481:
	s_andn2_saveexec_b32 s0, s14
	s_cbranch_execnz .LBB222_504
.LBB222_482:
	s_or_b32 exec_lo, exec_lo, s0
	s_and_saveexec_b32 s0, s8
.LBB222_483:
	; divergent unreachable
.LBB222_484:
	s_endpgm
.LBB222_485:
	s_and_saveexec_b32 s1, s10
	s_xor_b32 s15, exec_lo, s1
	s_cbranch_execz .LBB222_502
; %bb.486:
	s_and_saveexec_b32 s1, s9
	s_xor_b32 s16, exec_lo, s1
	s_cbranch_execz .LBB222_500
; %bb.487:
	;; [unrolled: 4-line block ×3, first 2 shown]
	s_and_saveexec_b32 s1, s6
	s_xor_b32 s6, exec_lo, s1
; %bb.489:
	v_and_b32_e32 v2, 0x8000, v28
	v_mov_b32_e32 v3, 0xffff
	v_cmp_eq_u32_e32 vcc_lo, 0, v2
	v_cndmask_b32_e32 v2, 0x8000, v3, vcc_lo
	v_xor_b32_e32 v34, v2, v28
; %bb.490:
	s_or_b32 exec_lo, exec_lo, s6
	s_and_saveexec_b32 s6, s3
	v_readlane_b32 s28, v43, 6
; %bb.491:
	v_mov_b32_e32 v2, 0
	v_mov_b32_e32 v3, v2
	ds_write_b64 v2, v[2:3] offset:5136
; %bb.492:
	s_or_b32 exec_lo, exec_lo, s6
	v_mov_b32_e32 v16, 0
	s_waitcnt lgkmcnt(0)
	s_barrier
	buffer_gl0_inv
	s_and_saveexec_b32 s3, s2
	s_cbranch_execz .LBB222_494
; %bb.493:
	global_load_ushort v16, v[12:13], off
.LBB222_494:
	s_or_b32 exec_lo, exec_lo, s3
	s_clause 0x3
	s_load_dwordx2 s[40:41], s[4:5], 0x450
	s_load_dwordx4 s[48:51], s[4:5], 0x298
	s_load_dwordx4 s[24:27], s[4:5], 0x1d8
	s_load_dwordx2 s[42:43], s[4:5], 0x1c8
	s_add_u32 s1, s36, 31
	s_addc_u32 s7, s37, 0
	s_and_b32 s6, s1, 0xffffffe0
	s_mul_i32 s1, s64, s47
	s_mul_hi_u32 s3, s64, s46
	s_mul_i32 s8, s64, s46
	s_add_i32 s3, s3, s1
	s_sub_u32 s1, s34, s8
	s_subb_u32 s3, 0, s3
	v_mov_b32_e32 v15, 0x8000
	v_cmp_lt_i16_e32 vcc_lo, -1, v34
	v_lshlrev_b32_e32 v3, 16, v34
	s_mov_b32 s21, -1
	v_cndmask_b32_e32 v2, 0xffff, v15, vcc_lo
	s_waitcnt lgkmcnt(0)
	s_mul_i32 s8, s1, s41
	s_mul_hi_u32 s9, s1, s40
	s_mul_i32 s3, s3, s40
	s_add_i32 s8, s9, s8
	s_mul_i32 s12, s56, s26
	s_add_i32 s13, s8, s3
	v_readlane_b32 s8, v43, 0
	v_readlane_b32 s9, v43, 1
	v_xor_b32_sdwa v2, v2, v34 dst_sel:DWORD dst_unused:UNUSED_PAD src0_sel:DWORD src1_sel:WORD_0
	v_cmp_o_f32_e32 vcc_lo, v3, v3
	s_mov_b32 s22, s8
	s_mul_i32 s3, s8, s25
	s_mul_hi_u32 s8, s8, s24
	s_mul_i32 s9, s22, s24
	s_add_i32 s8, s8, s3
	s_sub_u32 s3, s56, s9
	s_subb_u32 s8, s57, s8
	s_mul_i32 s9, s3, s51
	s_mul_hi_u32 s10, s3, s50
	s_mul_i32 s8, s8, s50
	s_add_i32 s9, s10, s9
	s_mul_i32 s10, s22, s49
	s_mul_hi_u32 s11, s22, s48
	s_add_i32 s9, s9, s8
	s_add_i32 s11, s11, s10
	s_mul_i32 s8, s56, s27
	s_mul_hi_u32 s10, s56, s26
	s_load_dwordx2 s[26:27], s[4:5], 0x2a8
	s_add_i32 s10, s10, s8
	s_sub_u32 s12, s34, s12
	v_readlane_b32 s24, v43, 2
	s_subb_u32 s10, 0, s10
	v_readlane_b32 s25, v43, 3
	v_cndmask_b32_e32 v14, 0xffff, v2, vcc_lo
	v_cmp_gt_u64_e32 vcc_lo, s[6:7], v[0:1]
	s_waitcnt lgkmcnt(0)
	s_mul_i32 s8, s12, s27
	s_mul_hi_u32 s18, s12, s26
	s_mul_i32 s10, s10, s26
	s_add_i32 s8, s18, s8
	s_mul_i32 s18, s24, s44
	s_add_i32 s19, s8, s10
	s_mul_i32 s8, s24, s45
	s_mul_hi_u32 s10, s24, s44
	s_load_dwordx4 s[44:47], s[4:5], 0x440
	s_add_i32 s10, s10, s8
	s_sub_u32 s20, s64, s18
	s_mul_i32 s8, s3, s50
	s_subb_u32 s10, s65, s10
	s_waitcnt lgkmcnt(0)
	s_mul_i32 s3, s20, s47
	s_mul_hi_u32 s18, s20, s46
	s_add_i32 s3, s18, s3
	s_mul_i32 s18, s10, s46
	s_mul_i32 s10, s22, s48
	s_add_i32 s23, s3, s18
	s_mul_i32 s3, s24, s45
	s_mul_hi_u32 s18, s24, s44
	s_lshl_b64 s[10:11], s[10:11], 1
	s_add_i32 s25, s18, s3
	s_add_u32 s3, s42, s10
	s_addc_u32 s10, s43, s11
	s_lshl_b64 s[8:9], s[8:9], 1
	s_mul_i32 s18, s12, s26
	s_add_u32 s3, s3, s8
	s_addc_u32 s12, s10, s9
	s_clause 0x1
	s_load_dwordx2 s[8:9], s[4:5], 0x368
	s_load_dwordx2 s[10:11], s[4:5], 0x510
	s_lshl_b64 s[18:19], s[18:19], 1
	v_readlane_b32 s26, v43, 4
	s_mul_i32 s24, s24, s44
	v_readlane_b32 s27, v43, 5
	s_add_u32 s5, s3, s18
	s_addc_u32 s18, s12, s19
	s_lshl_b64 s[24:25], s[24:25], 3
	s_mul_i32 s22, s20, s46
	s_add_u32 s3, s26, s24
	s_addc_u32 s4, s27, s25
	s_lshl_b64 s[22:23], s[22:23], 3
	s_mul_i32 s12, s1, s40
	s_add_u32 s1, s3, s22
	s_addc_u32 s3, s4, s23
	s_lshl_b64 s[12:13], s[12:13], 3
	s_mov_b32 s19, 0
	s_add_u32 s12, s1, s12
	s_addc_u32 s13, s3, s13
	s_mov_b32 s3, 0
	s_and_saveexec_b32 s20, vcc_lo
	s_cbranch_execnz .LBB222_505
; %bb.495:
	s_or_b32 exec_lo, exec_lo, s20
	s_and_saveexec_b32 s4, s21
	s_cbranch_execnz .LBB222_522
.LBB222_496:
	s_or_b32 exec_lo, exec_lo, s4
	s_and_saveexec_b32 s0, s3
	s_xor_b32 s0, exec_lo, s0
	s_cbranch_execnz .LBB222_547
.LBB222_497:
	s_or_b32 exec_lo, exec_lo, s0
	s_waitcnt lgkmcnt(0)
	s_and_b32 s8, s19, exec_lo
.LBB222_498:
	s_andn2_saveexec_b32 s0, s17
	s_cbranch_execnz .LBB222_549
.LBB222_499:
	s_or_b32 exec_lo, exec_lo, s0
	s_and_b32 s8, s8, exec_lo
.LBB222_500:
	s_andn2_saveexec_b32 s0, s16
	s_cbranch_execnz .LBB222_548
.LBB222_501:
	s_or_b32 exec_lo, exec_lo, s0
	s_and_b32 s8, s8, exec_lo
.LBB222_502:
	s_andn2_saveexec_b32 s0, s15
	s_cbranch_execnz .LBB222_543
.LBB222_503:
	s_or_b32 exec_lo, exec_lo, s0
	s_and_b32 s8, s8, exec_lo
	s_andn2_saveexec_b32 s0, s14
	s_cbranch_execz .LBB222_482
.LBB222_504:
	s_or_b32 s8, s8, exec_lo
	s_trap 2
	s_or_b32 exec_lo, exec_lo, s0
	s_and_saveexec_b32 s0, s8
	s_cbranch_execnz .LBB222_483
	s_branch .LBB222_484
.LBB222_505:
	v_mov_b32_e32 v9, v1
	v_mov_b32_e32 v3, 0
	;; [unrolled: 1-line block ×3, first 2 shown]
	s_mov_b32 s21, 0
                                        ; implicit-def: $sgpr22
                                        ; implicit-def: $vgpr6_vgpr7
	s_branch .LBB222_507
.LBB222_506:                            ;   in Loop: Header=BB222_507 Depth=1
	s_or_b32 exec_lo, exec_lo, s24
	s_xor_b32 s1, s23, -1
	s_and_b32 s3, exec_lo, s4
	v_mov_b32_e32 v9, v5
	v_mov_b32_e32 v8, v4
	s_or_b32 s21, s3, s21
	s_waitcnt vmcnt(0)
	v_mov_b32_e32 v16, v17
	s_andn2_b32 s3, s22, exec_lo
	s_and_b32 s1, s1, exec_lo
	s_or_b32 s22, s3, s1
	s_andn2_b32 exec_lo, exec_lo, s21
	s_cbranch_execz .LBB222_521
.LBB222_507:                            ; =>This Inner Loop Header: Depth=1
	v_add_co_u32 v4, s3, v8, s35
	v_add_co_ci_u32_e64 v5, null, 0, v9, s3
	v_mov_b32_e32 v17, 0
	s_mov_b32 s4, exec_lo
	v_cmpx_gt_u64_e64 s[36:37], v[4:5]
	s_cbranch_execz .LBB222_509
; %bb.508:                              ;   in Loop: Header=BB222_507 Depth=1
	v_mul_lo_u32 v2, v5, s30
	v_mul_lo_u32 v17, v4, s31
	v_mad_u64_u32 v[10:11], null, v4, s30, 0
	v_add3_u32 v11, v11, v17, v2
	v_lshlrev_b64 v[10:11], 1, v[10:11]
	v_add_co_u32 v10, s3, s29, v10
	v_add_co_ci_u32_e64 v11, null, s33, v11, s3
	global_load_ushort v17, v[10:11], off
.LBB222_509:                            ;   in Loop: Header=BB222_507 Depth=1
	s_or_b32 exec_lo, exec_lo, s4
	s_mov_b32 s23, 0
	s_mov_b32 s4, exec_lo
	v_cmpx_gt_u64_e64 s[36:37], v[8:9]
	s_cbranch_execz .LBB222_511
; %bb.510:                              ;   in Loop: Header=BB222_507 Depth=1
	s_waitcnt vmcnt(0)
	v_cmp_lt_i16_e64 s3, -1, v16
	v_lshlrev_b32_e32 v10, 16, v16
	v_cndmask_b32_e64 v2, 0xffff, v15, s3
	v_cmp_o_f32_e64 s3, v10, v10
	v_xor_b32_sdwa v2, v2, v16 dst_sel:DWORD dst_unused:UNUSED_PAD src0_sel:DWORD src1_sel:WORD_0
	v_cndmask_b32_e64 v2, 0xffff, v2, s3
	v_cmp_gt_u32_e64 s3, v2, v14
	v_cndmask_b32_e64 v10, 0, 1, s3
	v_cmp_lt_u32_e64 s3, v2, v14
	v_cndmask_b32_e64 v2, 0, 1, s3
	v_cndmask_b32_e64 v2, v2, v10, s28
	v_and_b32_e32 v2, 1, v2
	v_cmp_eq_u32_e64 s3, 1, v2
	s_and_b32 s23, s3, exec_lo
.LBB222_511:                            ;   in Loop: Header=BB222_507 Depth=1
	s_or_b32 exec_lo, exec_lo, s4
	v_cndmask_b32_e64 v2, 0, 1, s23
	v_cmp_ne_u32_e64 s3, 0, v2
	s_cmp_lg_u32 s3, 0
	s_cselect_b32 s1, -1, 0
	s_and_b32 s1, s0, s1
	s_and_saveexec_b32 s24, s1
	s_cbranch_execz .LBB222_515
; %bb.512:                              ;   in Loop: Header=BB222_507 Depth=1
	s_mov_b32 s27, exec_lo
	s_bcnt1_i32_b32 s25, s3
	v_mbcnt_lo_u32_b32 v10, s27, 0
	s_mov_b32 s26, exec_lo
                                        ; implicit-def: $vgpr6_vgpr7
	v_cmpx_eq_u32_e32 0, v10
	s_cbranch_execz .LBB222_514
; %bb.513:                              ;   in Loop: Header=BB222_507 Depth=1
	s_bcnt1_i32_b32 s1, s27
	s_mul_i32 s1, s25, s1
	v_mov_b32_e32 v2, s1
	s_waitcnt lgkmcnt(0)
	ds_add_rtn_u64 v[6:7], v3, v[2:3] offset:5136
.LBB222_514:                            ;   in Loop: Header=BB222_507 Depth=1
	s_or_b32 exec_lo, exec_lo, s26
	s_waitcnt lgkmcnt(0)
	v_readfirstlane_b32 s27, v7
	v_readfirstlane_b32 s26, v6
	v_mad_u64_u32 v[6:7], null, s25, v10, s[26:27]
.LBB222_515:                            ;   in Loop: Header=BB222_507 Depth=1
	s_or_b32 exec_lo, exec_lo, s24
	s_waitcnt lgkmcnt(0)
	ds_bpermute_b32 v6, v3, v6
	ds_bpermute_b32 v7, v3, v7
	s_mov_b32 s4, -1
	s_mov_b32 s25, -1
	s_and_saveexec_b32 s24, s23
	s_cbranch_execz .LBB222_519
; %bb.516:                              ;   in Loop: Header=BB222_507 Depth=1
	v_and_b32_e32 v2, s3, v23
	s_mov_b32 s23, 0
	s_mov_b32 s25, exec_lo
	v_bcnt_u32_b32 v2, v2, 0
	s_waitcnt lgkmcnt(0)
	v_add_co_u32 v10, s3, v6, v2
	v_add_co_ci_u32_e64 v11, null, 0, v7, s3
	v_cmpx_gt_u64_e64 s[38:39], v[10:11]
	s_cbranch_execz .LBB222_518
; %bb.517:                              ;   in Loop: Header=BB222_507 Depth=1
	v_mul_lo_u32 v2, v11, s8
	v_mul_lo_u32 v20, v10, s9
	v_mad_u64_u32 v[18:19], null, v10, s8, 0
	v_mul_lo_u32 v21, v11, s10
	v_mul_lo_u32 v22, v10, s11
	v_mad_u64_u32 v[10:11], null, v10, s10, 0
	s_mov_b32 s23, exec_lo
	v_add3_u32 v19, v19, v20, v2
	v_add3_u32 v11, v11, v22, v21
	v_lshlrev_b64 v[18:19], 1, v[18:19]
	v_lshlrev_b64 v[10:11], 3, v[10:11]
	v_add_co_u32 v18, s3, s5, v18
	v_add_co_ci_u32_e64 v19, null, s18, v19, s3
	v_add_co_u32 v10, s3, s12, v10
	v_add_co_ci_u32_e64 v11, null, s13, v11, s3
	s_waitcnt vmcnt(0)
	global_store_short v[18:19], v16, off
	global_store_dwordx2 v[10:11], v[8:9], off
.LBB222_518:                            ;   in Loop: Header=BB222_507 Depth=1
	s_or_b32 exec_lo, exec_lo, s25
	s_orn2_b32 s25, s23, exec_lo
.LBB222_519:                            ;   in Loop: Header=BB222_507 Depth=1
	s_or_b32 exec_lo, exec_lo, s24
	s_mov_b32 s23, -1
	s_and_saveexec_b32 s24, s25
	s_cbranch_execz .LBB222_506
; %bb.520:                              ;   in Loop: Header=BB222_507 Depth=1
	v_cmp_le_u64_e64 s3, s[6:7], v[4:5]
	s_xor_b32 s23, exec_lo, -1
	s_orn2_b32 s4, s3, exec_lo
	s_branch .LBB222_506
.LBB222_521:
	s_or_b32 exec_lo, exec_lo, s21
	s_mov_b32 s3, exec_lo
	s_orn2_b32 s21, s22, exec_lo
	s_or_b32 exec_lo, exec_lo, s20
	s_and_saveexec_b32 s4, s21
	s_cbranch_execz .LBB222_496
.LBB222_522:
	v_mov_b32_e32 v11, 0
	s_waitcnt vmcnt(0) lgkmcnt(0)
	s_waitcnt_vscnt null, 0x0
	s_barrier
	buffer_gl0_inv
	s_and_saveexec_b32 s1, s2
	s_cbranch_execz .LBB222_524
; %bb.523:
	global_load_ushort v11, v[12:13], off
.LBB222_524:
	s_or_b32 exec_lo, exec_lo, s1
	s_mov_b32 s1, 0
	s_and_saveexec_b32 s2, vcc_lo
	s_cbranch_execz .LBB222_546
; %bb.525:
	v_mov_b32_e32 v3, 0
	v_mov_b32_e32 v10, 0x8000
	s_mov_b32 s19, 0
                                        ; implicit-def: $sgpr20
                                        ; implicit-def: $vgpr6_vgpr7
	s_branch .LBB222_528
.LBB222_526:                            ;   in Loop: Header=BB222_528 Depth=1
	s_or_b32 exec_lo, exec_lo, s21
	s_orn2_b32 s23, s24, exec_lo
	s_orn2_b32 s22, s22, exec_lo
.LBB222_527:                            ;   in Loop: Header=BB222_528 Depth=1
	s_or_b32 exec_lo, exec_lo, s1
	s_xor_b32 s1, s23, -1
	s_and_b32 s21, exec_lo, s22
	v_mov_b32_e32 v0, v4
	v_mov_b32_e32 v1, v5
	s_or_b32 s19, s21, s19
	s_waitcnt vmcnt(0)
	v_mov_b32_e32 v11, v12
	s_andn2_b32 s20, s20, exec_lo
	s_and_b32 s1, s1, exec_lo
	s_or_b32 s20, s20, s1
	s_andn2_b32 exec_lo, exec_lo, s19
	s_cbranch_execz .LBB222_544
.LBB222_528:                            ; =>This Inner Loop Header: Depth=1
	v_add_co_u32 v4, vcc_lo, v0, s35
	v_add_co_ci_u32_e64 v5, null, 0, v1, vcc_lo
	v_mov_b32_e32 v12, 0
	s_mov_b32 s1, exec_lo
	v_cmpx_gt_u64_e64 s[36:37], v[4:5]
	s_cbranch_execz .LBB222_530
; %bb.529:                              ;   in Loop: Header=BB222_528 Depth=1
	v_mul_lo_u32 v2, v5, s30
	v_mul_lo_u32 v12, v4, s31
	v_mad_u64_u32 v[8:9], null, v4, s30, 0
	v_add3_u32 v9, v9, v12, v2
	v_lshlrev_b64 v[8:9], 1, v[8:9]
	v_add_co_u32 v8, vcc_lo, s29, v8
	v_add_co_ci_u32_e64 v9, null, s33, v9, vcc_lo
	global_load_ushort v12, v[8:9], off
.LBB222_530:                            ;   in Loop: Header=BB222_528 Depth=1
	s_or_b32 exec_lo, exec_lo, s1
	s_mov_b32 s21, 0
	s_mov_b32 s1, exec_lo
	v_cmpx_gt_u64_e64 s[36:37], v[0:1]
	s_cbranch_execz .LBB222_532
; %bb.531:                              ;   in Loop: Header=BB222_528 Depth=1
	s_waitcnt vmcnt(0)
	v_cmp_lt_i16_e32 vcc_lo, -1, v11
	v_lshlrev_b32_e32 v8, 16, v11
	v_cndmask_b32_e32 v2, 0xffff, v10, vcc_lo
	v_cmp_o_f32_e32 vcc_lo, v8, v8
	v_xor_b32_sdwa v2, v2, v11 dst_sel:DWORD dst_unused:UNUSED_PAD src0_sel:DWORD src1_sel:WORD_0
	v_cndmask_b32_e32 v2, 0xffff, v2, vcc_lo
	v_cmp_eq_u32_e32 vcc_lo, v2, v14
	s_and_b32 s21, vcc_lo, exec_lo
.LBB222_532:                            ;   in Loop: Header=BB222_528 Depth=1
	s_or_b32 exec_lo, exec_lo, s1
	v_cndmask_b32_e64 v2, 0, 1, s21
	v_cmp_ne_u32_e32 vcc_lo, 0, v2
	s_cmp_lg_u32 vcc_lo, 0
	s_cselect_b32 s1, -1, 0
	s_and_b32 s1, s0, s1
	s_and_saveexec_b32 s22, s1
	s_cbranch_execz .LBB222_536
; %bb.533:                              ;   in Loop: Header=BB222_528 Depth=1
	s_mov_b32 s25, exec_lo
	s_bcnt1_i32_b32 s23, vcc_lo
	v_mbcnt_lo_u32_b32 v8, s25, 0
	s_mov_b32 s24, exec_lo
                                        ; implicit-def: $vgpr6_vgpr7
	v_cmpx_eq_u32_e32 0, v8
; %bb.534:                              ;   in Loop: Header=BB222_528 Depth=1
	s_bcnt1_i32_b32 s1, s25
	s_mul_i32 s1, s23, s1
	v_mov_b32_e32 v2, s1
	ds_add_rtn_u64 v[6:7], v3, v[2:3] offset:5136
; %bb.535:                              ;   in Loop: Header=BB222_528 Depth=1
	s_or_b32 exec_lo, exec_lo, s24
	s_waitcnt lgkmcnt(0)
	v_readfirstlane_b32 s25, v7
	v_readfirstlane_b32 s24, v6
	v_mad_u64_u32 v[6:7], null, s23, v8, s[24:25]
.LBB222_536:                            ;   in Loop: Header=BB222_528 Depth=1
	s_or_b32 exec_lo, exec_lo, s22
	ds_bpermute_b32 v6, v3, v6
	ds_bpermute_b32 v7, v3, v7
	s_cmp_eq_u32 vcc_lo, 0
	s_mov_b32 s22, -1
	s_cselect_b32 s23, -1, 0
	s_waitcnt lgkmcnt(0)
	v_cmp_gt_u64_e64 s1, s[38:39], v[6:7]
	s_or_b32 s24, s23, s1
	s_mov_b32 s23, -1
	s_and_saveexec_b32 s1, s24
	s_cbranch_execz .LBB222_527
; %bb.537:                              ;   in Loop: Header=BB222_528 Depth=1
	v_and_b32_e32 v2, vcc_lo, v23
	v_sub_co_u32 v8, vcc_lo, s38, v6
	v_sub_co_ci_u32_e64 v9, null, s39, v7, vcc_lo
	v_bcnt_u32_b32 v2, v2, 0
	s_mov_b32 s24, -1
	v_bcnt_u32_b32 v2, 0, v2
	v_cmp_gt_u64_e32 vcc_lo, v[8:9], v[2:3]
	s_and_b32 s25, s21, vcc_lo
	s_and_saveexec_b32 s21, s25
	s_cbranch_execz .LBB222_541
; %bb.538:                              ;   in Loop: Header=BB222_528 Depth=1
	v_add_co_u32 v8, vcc_lo, v6, v2
	v_add_co_ci_u32_e64 v9, null, 0, v7, vcc_lo
	s_mov_b32 s23, 0
	s_mov_b32 s24, exec_lo
	v_cmpx_gt_u64_e64 s[38:39], v[8:9]
	s_cbranch_execz .LBB222_540
; %bb.539:                              ;   in Loop: Header=BB222_528 Depth=1
	v_mul_lo_u32 v2, v9, s8
	v_mul_lo_u32 v13, v8, s9
	v_mad_u64_u32 v[15:16], null, v8, s8, 0
	v_mul_lo_u32 v17, v9, s10
	v_mul_lo_u32 v18, v8, s11
	v_mad_u64_u32 v[8:9], null, v8, s10, 0
	s_mov_b32 s23, exec_lo
	v_add3_u32 v16, v16, v13, v2
	v_add3_u32 v9, v9, v18, v17
	v_lshlrev_b64 v[15:16], 1, v[15:16]
	v_lshlrev_b64 v[8:9], 3, v[8:9]
	v_add_co_u32 v15, vcc_lo, s5, v15
	v_add_co_ci_u32_e64 v16, null, s18, v16, vcc_lo
	v_add_co_u32 v8, vcc_lo, s12, v8
	v_add_co_ci_u32_e64 v9, null, s13, v9, vcc_lo
	s_waitcnt vmcnt(0)
	global_store_short v[15:16], v11, off
	global_store_dwordx2 v[8:9], v[0:1], off
.LBB222_540:                            ;   in Loop: Header=BB222_528 Depth=1
	s_or_b32 exec_lo, exec_lo, s24
	s_xor_b32 s24, exec_lo, -1
	s_orn2_b32 s23, s23, exec_lo
.LBB222_541:                            ;   in Loop: Header=BB222_528 Depth=1
	s_or_b32 exec_lo, exec_lo, s21
	s_and_saveexec_b32 s21, s23
	s_cbranch_execz .LBB222_526
; %bb.542:                              ;   in Loop: Header=BB222_528 Depth=1
	v_cmp_le_u64_e32 vcc_lo, s[6:7], v[4:5]
	s_or_b32 s24, s24, exec_lo
	s_orn2_b32 s22, vcc_lo, exec_lo
	s_branch .LBB222_526
.LBB222_543:
	s_or_b32 s8, s8, exec_lo
	s_trap 2
	s_branch .LBB222_503
.LBB222_544:
	s_or_b32 exec_lo, exec_lo, s19
	s_mov_b32 s0, 0
	s_and_saveexec_b32 s1, s20
	s_xor_b32 s1, exec_lo, s1
	s_cbranch_execnz .LBB222_550
.LBB222_545:
	s_or_b32 exec_lo, exec_lo, s1
	s_and_b32 s1, s0, exec_lo
.LBB222_546:
	s_or_b32 exec_lo, exec_lo, s2
	s_and_b32 s19, s1, exec_lo
	s_andn2_b32 s3, s3, exec_lo
	s_or_b32 exec_lo, exec_lo, s4
	s_and_saveexec_b32 s0, s3
	s_xor_b32 s0, exec_lo, s0
	s_cbranch_execz .LBB222_497
.LBB222_547:
	s_or_b32 s19, s19, exec_lo
	s_trap 2
	s_branch .LBB222_497
.LBB222_548:
	s_or_b32 s8, s8, exec_lo
	s_trap 2
	s_branch .LBB222_501
.LBB222_549:
	s_or_b32 s8, s8, exec_lo
	s_trap 2
	s_branch .LBB222_499
.LBB222_550:
	s_mov_b32 s0, exec_lo
	s_trap 2
	s_branch .LBB222_545
	.section	.rodata,"a",@progbits
	.p2align	6, 0x0
	.amdhsa_kernel _ZN2at6native6sbtopk10gatherTopKIN3c108BFloat16EmLi3ELb0EEEvNS_4cuda6detail10TensorInfoIKT_T0_EESA_SA_bSA_SA_NS7_IS8_SA_EESA_NS7_IlSA_EESA_PS8_
		.amdhsa_group_segment_fixed_size 5152
		.amdhsa_private_segment_fixed_size 0
		.amdhsa_kernarg_size 1568
		.amdhsa_user_sgpr_count 6
		.amdhsa_user_sgpr_private_segment_buffer 1
		.amdhsa_user_sgpr_dispatch_ptr 0
		.amdhsa_user_sgpr_queue_ptr 0
		.amdhsa_user_sgpr_kernarg_segment_ptr 1
		.amdhsa_user_sgpr_dispatch_id 0
		.amdhsa_user_sgpr_flat_scratch_init 0
		.amdhsa_user_sgpr_private_segment_size 0
		.amdhsa_wavefront_size32 1
		.amdhsa_uses_dynamic_stack 0
		.amdhsa_system_sgpr_private_segment_wavefront_offset 0
		.amdhsa_system_sgpr_workgroup_id_x 1
		.amdhsa_system_sgpr_workgroup_id_y 1
		.amdhsa_system_sgpr_workgroup_id_z 1
		.amdhsa_system_sgpr_workgroup_info 0
		.amdhsa_system_vgpr_workitem_id 0
		.amdhsa_next_free_vgpr 44
		.amdhsa_next_free_sgpr 105
		.amdhsa_reserve_vcc 1
		.amdhsa_reserve_flat_scratch 0
		.amdhsa_float_round_mode_32 0
		.amdhsa_float_round_mode_16_64 0
		.amdhsa_float_denorm_mode_32 3
		.amdhsa_float_denorm_mode_16_64 3
		.amdhsa_dx10_clamp 1
		.amdhsa_ieee_mode 1
		.amdhsa_fp16_overflow 0
		.amdhsa_workgroup_processor_mode 1
		.amdhsa_memory_ordered 1
		.amdhsa_forward_progress 1
		.amdhsa_shared_vgpr_count 0
		.amdhsa_exception_fp_ieee_invalid_op 0
		.amdhsa_exception_fp_denorm_src 0
		.amdhsa_exception_fp_ieee_div_zero 0
		.amdhsa_exception_fp_ieee_overflow 0
		.amdhsa_exception_fp_ieee_underflow 0
		.amdhsa_exception_fp_ieee_inexact 0
		.amdhsa_exception_int_div_zero 0
	.end_amdhsa_kernel
	.section	.text._ZN2at6native6sbtopk10gatherTopKIN3c108BFloat16EmLi3ELb0EEEvNS_4cuda6detail10TensorInfoIKT_T0_EESA_SA_bSA_SA_NS7_IS8_SA_EESA_NS7_IlSA_EESA_PS8_,"axG",@progbits,_ZN2at6native6sbtopk10gatherTopKIN3c108BFloat16EmLi3ELb0EEEvNS_4cuda6detail10TensorInfoIKT_T0_EESA_SA_bSA_SA_NS7_IS8_SA_EESA_NS7_IlSA_EESA_PS8_,comdat
.Lfunc_end222:
	.size	_ZN2at6native6sbtopk10gatherTopKIN3c108BFloat16EmLi3ELb0EEEvNS_4cuda6detail10TensorInfoIKT_T0_EESA_SA_bSA_SA_NS7_IS8_SA_EESA_NS7_IlSA_EESA_PS8_, .Lfunc_end222-_ZN2at6native6sbtopk10gatherTopKIN3c108BFloat16EmLi3ELb0EEEvNS_4cuda6detail10TensorInfoIKT_T0_EESA_SA_bSA_SA_NS7_IS8_SA_EESA_NS7_IlSA_EESA_PS8_
                                        ; -- End function
	.set _ZN2at6native6sbtopk10gatherTopKIN3c108BFloat16EmLi3ELb0EEEvNS_4cuda6detail10TensorInfoIKT_T0_EESA_SA_bSA_SA_NS7_IS8_SA_EESA_NS7_IlSA_EESA_PS8_.num_vgpr, 44
	.set _ZN2at6native6sbtopk10gatherTopKIN3c108BFloat16EmLi3ELb0EEEvNS_4cuda6detail10TensorInfoIKT_T0_EESA_SA_bSA_SA_NS7_IS8_SA_EESA_NS7_IlSA_EESA_PS8_.num_agpr, 0
	.set _ZN2at6native6sbtopk10gatherTopKIN3c108BFloat16EmLi3ELb0EEEvNS_4cuda6detail10TensorInfoIKT_T0_EESA_SA_bSA_SA_NS7_IS8_SA_EESA_NS7_IlSA_EESA_PS8_.numbered_sgpr, 105
	.set _ZN2at6native6sbtopk10gatherTopKIN3c108BFloat16EmLi3ELb0EEEvNS_4cuda6detail10TensorInfoIKT_T0_EESA_SA_bSA_SA_NS7_IS8_SA_EESA_NS7_IlSA_EESA_PS8_.num_named_barrier, 0
	.set _ZN2at6native6sbtopk10gatherTopKIN3c108BFloat16EmLi3ELb0EEEvNS_4cuda6detail10TensorInfoIKT_T0_EESA_SA_bSA_SA_NS7_IS8_SA_EESA_NS7_IlSA_EESA_PS8_.private_seg_size, 0
	.set _ZN2at6native6sbtopk10gatherTopKIN3c108BFloat16EmLi3ELb0EEEvNS_4cuda6detail10TensorInfoIKT_T0_EESA_SA_bSA_SA_NS7_IS8_SA_EESA_NS7_IlSA_EESA_PS8_.uses_vcc, 1
	.set _ZN2at6native6sbtopk10gatherTopKIN3c108BFloat16EmLi3ELb0EEEvNS_4cuda6detail10TensorInfoIKT_T0_EESA_SA_bSA_SA_NS7_IS8_SA_EESA_NS7_IlSA_EESA_PS8_.uses_flat_scratch, 0
	.set _ZN2at6native6sbtopk10gatherTopKIN3c108BFloat16EmLi3ELb0EEEvNS_4cuda6detail10TensorInfoIKT_T0_EESA_SA_bSA_SA_NS7_IS8_SA_EESA_NS7_IlSA_EESA_PS8_.has_dyn_sized_stack, 0
	.set _ZN2at6native6sbtopk10gatherTopKIN3c108BFloat16EmLi3ELb0EEEvNS_4cuda6detail10TensorInfoIKT_T0_EESA_SA_bSA_SA_NS7_IS8_SA_EESA_NS7_IlSA_EESA_PS8_.has_recursion, 0
	.set _ZN2at6native6sbtopk10gatherTopKIN3c108BFloat16EmLi3ELb0EEEvNS_4cuda6detail10TensorInfoIKT_T0_EESA_SA_bSA_SA_NS7_IS8_SA_EESA_NS7_IlSA_EESA_PS8_.has_indirect_call, 0
	.section	.AMDGPU.csdata,"",@progbits
; Kernel info:
; codeLenInByte = 27408
; TotalNumSgprs: 107
; NumVgprs: 44
; ScratchSize: 0
; MemoryBound: 0
; FloatMode: 240
; IeeeMode: 1
; LDSByteSize: 5152 bytes/workgroup (compile time only)
; SGPRBlocks: 0
; VGPRBlocks: 5
; NumSGPRsForWavesPerEU: 107
; NumVGPRsForWavesPerEU: 44
; Occupancy: 16
; WaveLimiterHint : 1
; COMPUTE_PGM_RSRC2:SCRATCH_EN: 0
; COMPUTE_PGM_RSRC2:USER_SGPR: 6
; COMPUTE_PGM_RSRC2:TRAP_HANDLER: 0
; COMPUTE_PGM_RSRC2:TGID_X_EN: 1
; COMPUTE_PGM_RSRC2:TGID_Y_EN: 1
; COMPUTE_PGM_RSRC2:TGID_Z_EN: 1
; COMPUTE_PGM_RSRC2:TIDIG_COMP_CNT: 0
	.section	.text._ZN2at6native6mbtopk23computeBlockDigitCountsIN3c108BFloat16EmjLin1EEEvNS_4cuda6detail10TensorInfoIKT_T0_EEjPjjSA_iijT1_PSD_Ps,"axG",@progbits,_ZN2at6native6mbtopk23computeBlockDigitCountsIN3c108BFloat16EmjLin1EEEvNS_4cuda6detail10TensorInfoIKT_T0_EEjPjjSA_iijT1_PSD_Ps,comdat
	.protected	_ZN2at6native6mbtopk23computeBlockDigitCountsIN3c108BFloat16EmjLin1EEEvNS_4cuda6detail10TensorInfoIKT_T0_EEjPjjSA_iijT1_PSD_Ps ; -- Begin function _ZN2at6native6mbtopk23computeBlockDigitCountsIN3c108BFloat16EmjLin1EEEvNS_4cuda6detail10TensorInfoIKT_T0_EEjPjjSA_iijT1_PSD_Ps
	.globl	_ZN2at6native6mbtopk23computeBlockDigitCountsIN3c108BFloat16EmjLin1EEEvNS_4cuda6detail10TensorInfoIKT_T0_EEjPjjSA_iijT1_PSD_Ps
	.p2align	8
	.type	_ZN2at6native6mbtopk23computeBlockDigitCountsIN3c108BFloat16EmjLin1EEEvNS_4cuda6detail10TensorInfoIKT_T0_EEjPjjSA_iijT1_PSD_Ps,@function
_ZN2at6native6mbtopk23computeBlockDigitCountsIN3c108BFloat16EmjLin1EEEvNS_4cuda6detail10TensorInfoIKT_T0_EEjPjjSA_iijT1_PSD_Ps: ; @_ZN2at6native6mbtopk23computeBlockDigitCountsIN3c108BFloat16EmjLin1EEEvNS_4cuda6detail10TensorInfoIKT_T0_EEjPjjSA_iijT1_PSD_Ps
; %bb.0:
	s_clause 0x2
	s_load_dwordx4 s[0:3], s[4:5], 0x1c0
	s_load_dword s13, s[4:5], 0x1b0
	s_load_dwordx2 s[10:11], s[4:5], 0x1e0
	s_waitcnt lgkmcnt(0)
	v_cvt_f32_u32_e32 v1, s2
	s_mul_i32 s8, s11, s8
	s_sub_i32 s11, 0, s2
	s_add_i32 s7, s8, s7
	v_rcp_iflag_f32_e32 v1, v1
	s_mul_i32 s24, s7, s10
	s_add_i32 s24, s24, s6
	v_mul_f32_e32 v1, 0x4f7ffffe, v1
	v_cvt_u32_f32_e32 v1, v1
	v_readfirstlane_b32 s9, v1
	s_mul_i32 s11, s11, s9
	s_mul_hi_u32 s7, s9, s11
	s_add_i32 s9, s9, s7
	s_mul_hi_u32 s6, s24, s9
	s_mul_i32 s7, s6, s2
	s_add_i32 s8, s6, 1
	s_sub_i32 s7, s24, s7
	s_sub_i32 s9, s7, s2
	s_cmp_ge_u32 s7, s2
	s_cselect_b32 s6, s8, s6
	s_cselect_b32 s7, s9, s7
	s_add_i32 s8, s6, 1
	s_cmp_ge_u32 s7, s2
	s_cselect_b32 s12, s8, s6
	s_cmp_ge_u32 s12, s13
	s_mov_b32 s13, 0
	s_cbranch_scc1 .LBB223_28
; %bb.1:
	s_clause 0x1
	s_load_dwordx4 s[8:11], s[4:5], 0x1d0
	s_load_dword s14, s[4:5], 0x198
	s_lshl_b64 s[6:7], s[12:13], 2
	s_mov_b64 s[20:21], s[12:13]
	s_waitcnt lgkmcnt(0)
	s_add_u32 s8, s8, s6
	s_addc_u32 s9, s9, s7
	s_cmp_lt_i32 s14, 2
	s_mov_b64 s[6:7], 0
	s_cbranch_scc1 .LBB223_7
; %bb.2:
	s_add_i32 s16, s14, -1
	s_mov_b32 s17, 0
	s_add_i32 s13, s14, 1
	s_lshl_b64 s[6:7], s[16:17], 3
	s_add_u32 s6, s4, s6
	s_addc_u32 s7, s5, s7
	s_add_u32 s18, s6, 8
	s_addc_u32 s19, s7, 0
	s_mov_b64 s[6:7], 0
.LBB223_3:                              ; =>This Inner Loop Header: Depth=1
	s_load_dwordx2 s[22:23], s[18:19], 0x0
	s_waitcnt lgkmcnt(0)
	v_cmp_lt_u64_e64 s14, s[20:21], s[22:23]
	s_and_b32 vcc_lo, exec_lo, s14
	s_mov_b64 s[14:15], 0
	s_cbranch_vccnz .LBB223_5
; %bb.4:                                ;   in Loop: Header=BB223_3 Depth=1
	v_cvt_f32_u32_e32 v1, s22
	s_sub_i32 s15, 0, s22
	v_rcp_iflag_f32_e32 v1, v1
	v_mul_f32_e32 v1, 0x4f7ffffe, v1
	v_cvt_u32_f32_e32 v1, v1
	v_readfirstlane_b32 s14, v1
	s_mul_i32 s15, s15, s14
	s_mul_hi_u32 s15, s14, s15
	s_add_i32 s14, s14, s15
	s_mul_hi_u32 s14, s20, s14
	s_mul_i32 s15, s14, s22
	s_add_i32 s16, s14, 1
	s_sub_i32 s15, s20, s15
	s_sub_i32 s25, s15, s22
	s_cmp_ge_u32 s15, s22
	s_cselect_b32 s14, s16, s14
	s_cselect_b32 s15, s25, s15
	s_add_i32 s16, s14, 1
	s_cmp_ge_u32 s15, s22
	s_cselect_b32 s16, s16, s14
	s_mov_b64 s[14:15], s[16:17]
.LBB223_5:                              ;   in Loop: Header=BB223_3 Depth=1
	s_load_dwordx2 s[26:27], s[18:19], 0xc8
	s_mul_i32 s16, s14, s23
	s_mul_hi_u32 s23, s14, s22
	s_mul_i32 s22, s14, s22
	s_add_i32 s23, s23, s16
	s_sub_u32 s16, s20, s22
	s_subb_u32 s20, s21, s23
	s_waitcnt lgkmcnt(0)
	s_mul_i32 s20, s26, s20
	s_mul_hi_u32 s21, s26, s16
	s_mul_i32 s22, s27, s16
	s_add_i32 s20, s21, s20
	s_mul_i32 s16, s26, s16
	s_add_i32 s20, s20, s22
	s_add_u32 s6, s16, s6
	s_addc_u32 s7, s20, s7
	s_add_i32 s13, s13, -1
	s_add_u32 s18, s18, -8
	s_addc_u32 s19, s19, -1
	s_cmp_gt_u32 s13, 2
	s_cbranch_scc0 .LBB223_8
; %bb.6:                                ;   in Loop: Header=BB223_3 Depth=1
	s_mov_b64 s[20:21], s[14:15]
	s_branch .LBB223_3
.LBB223_7:
	s_mov_b64 s[14:15], s[20:21]
.LBB223_8:
	s_load_dword s13, s[8:9], 0x0
	v_cmp_gt_u32_e32 vcc_lo, 0x100, v0
	v_lshlrev_b32_e32 v1, 2, v0
	s_and_saveexec_b32 s8, vcc_lo
; %bb.9:
	v_mov_b32_e32 v2, 0
	ds_write_b32 v1, v2
; %bb.10:
	s_or_b32 exec_lo, exec_lo, s8
	s_load_dword s15, s[4:5], 0x1a0
	s_mul_i32 s8, s12, s2
	s_waitcnt lgkmcnt(0)
	s_sub_i32 s8, s24, s8
	s_barrier
	s_mul_i32 s9, s1, s8
	s_add_i32 s12, s8, 1
	s_lshl_b32 s16, s9, 8
	buffer_gl0_inv
	s_sub_i32 s9, s15, s16
	s_add_u32 s8, s9, 0xff
	s_addc_u32 s9, 0, 0
	s_lshr_b64 s[8:9], s[8:9], 8
	s_cmp_lt_u32 s12, s2
	s_mov_b32 s12, 0
	s_cselect_b32 s2, s1, s8
	s_cmp_lt_i32 s2, 1
	s_cbranch_scc1 .LBB223_26
; %bb.11:
	s_clause 0x2
	s_load_dwordx2 s[18:19], s[4:5], 0xd0
	s_load_dwordx2 s[8:9], s[4:5], 0x1b8
	;; [unrolled: 1-line block ×3, first 2 shown]
	v_add_nc_u32_e32 v2, s16, v0
	s_waitcnt lgkmcnt(0)
	s_mul_i32 s1, s19, s14
	s_mul_hi_u32 s17, s18, s14
	s_mul_i32 s18, s18, s14
	s_add_i32 s19, s17, s1
	s_lshl_b64 s[18:19], s[18:19], 1
	s_add_u32 s1, s4, s18
	s_addc_u32 s14, s5, s19
	s_lshl_b64 s[4:5], s[6:7], 1
	s_add_u32 s4, s1, s4
	s_addc_u32 s5, s14, s5
	s_and_b32 s1, s0, 0xff
	s_cmp_eq_u32 s2, 1
	s_cbranch_scc1 .LBB223_21
; %bb.12:
	v_mov_b32_e32 v3, 1
	v_mov_b32_e32 v4, 0x8000
	;; [unrolled: 1-line block ×3, first 2 shown]
	s_and_b32 s6, s2, 0x7ffffffe
	s_mov_b32 s7, 0
	s_branch .LBB223_14
.LBB223_13:                             ;   in Loop: Header=BB223_14 Depth=1
	s_or_b32 exec_lo, exec_lo, s12
	v_add_nc_u32_e32 v5, 0x200, v5
	s_add_i32 s7, s7, 2
	s_cmp_eq_u32 s6, s7
	s_cbranch_scc1 .LBB223_20
.LBB223_14:                             ; =>This Inner Loop Header: Depth=1
	s_mov_b32 s12, exec_lo
	v_cmpx_gt_u32_e64 s15, v5
	s_cbranch_execz .LBB223_17
; %bb.15:                               ;   in Loop: Header=BB223_14 Depth=1
	v_mad_u64_u32 v[6:7], null, s8, v5, 0
	v_mad_u64_u32 v[7:8], null, s9, v5, v[7:8]
	v_lshlrev_b64 v[6:7], 1, v[6:7]
	v_add_co_u32 v6, s0, s4, v6
	v_add_co_ci_u32_e64 v7, null, s5, v7, s0
	global_load_ushort v6, v[6:7], off
	s_waitcnt vmcnt(0)
	v_cmp_lt_i16_e64 s0, -1, v6
	v_lshlrev_b32_e32 v8, 16, v6
	v_cndmask_b32_e64 v7, 0xffff, v4, s0
	v_cmp_o_f32_e64 s0, v8, v8
	v_xor_b32_sdwa v6, v7, v6 dst_sel:DWORD dst_unused:UNUSED_PAD src0_sel:DWORD src1_sel:WORD_0
	v_cndmask_b32_e64 v6, 0xffff, v6, s0
	v_xor_b32_e32 v7, s13, v6
	v_and_b32_e32 v7, s3, v7
	v_cmp_eq_u32_e64 s0, 0, v7
	s_and_b32 exec_lo, exec_lo, s0
; %bb.16:                               ;   in Loop: Header=BB223_14 Depth=1
	v_bfe_u32 v6, v6, s1, 8
	v_lshlrev_b32_e32 v6, 2, v6
	ds_add_u32 v6, v3
.LBB223_17:                             ;   in Loop: Header=BB223_14 Depth=1
	s_or_b32 exec_lo, exec_lo, s12
	v_add_nc_u32_e32 v6, 0x100, v5
	s_mov_b32 s12, exec_lo
	v_cmpx_gt_u32_e64 s15, v6
	s_cbranch_execz .LBB223_13
; %bb.18:                               ;   in Loop: Header=BB223_14 Depth=1
	v_mad_u64_u32 v[7:8], null, s8, v6, 0
	v_mad_u64_u32 v[8:9], null, s9, v6, v[8:9]
	v_lshlrev_b64 v[6:7], 1, v[7:8]
	v_add_co_u32 v6, s0, s4, v6
	v_add_co_ci_u32_e64 v7, null, s5, v7, s0
	global_load_ushort v6, v[6:7], off
	s_waitcnt vmcnt(0)
	v_cmp_lt_i16_e64 s0, -1, v6
	v_lshlrev_b32_e32 v8, 16, v6
	v_cndmask_b32_e64 v7, 0xffff, v4, s0
	v_cmp_o_f32_e64 s0, v8, v8
	v_xor_b32_sdwa v6, v7, v6 dst_sel:DWORD dst_unused:UNUSED_PAD src0_sel:DWORD src1_sel:WORD_0
	v_cndmask_b32_e64 v6, 0xffff, v6, s0
	v_xor_b32_e32 v7, s13, v6
	v_and_b32_e32 v7, s3, v7
	v_cmp_eq_u32_e64 s0, 0, v7
	s_and_b32 exec_lo, exec_lo, s0
	s_cbranch_execz .LBB223_13
; %bb.19:                               ;   in Loop: Header=BB223_14 Depth=1
	v_bfe_u32 v6, v6, s1, 8
	v_lshlrev_b32_e32 v6, 2, v6
	ds_add_u32 v6, v3
	s_branch .LBB223_13
.LBB223_20:
	s_lshl_b32 s12, s6, 8
.LBB223_21:
	s_bitcmp0_b32 s2, 0
	s_cbranch_scc1 .LBB223_26
; %bb.22:
	v_add_nc_u32_e32 v2, s12, v2
	s_mov_b32 s2, exec_lo
	v_cmpx_gt_u32_e64 s15, v2
	s_cbranch_execz .LBB223_25
; %bb.23:
	v_mad_u64_u32 v[3:4], null, s8, v2, 0
	v_mad_u64_u32 v[4:5], null, s9, v2, v[4:5]
	v_lshlrev_b64 v[2:3], 1, v[3:4]
	v_add_co_u32 v2, s0, s4, v2
	v_add_co_ci_u32_e64 v3, null, s5, v3, s0
	global_load_ushort v2, v[2:3], off
	v_mov_b32_e32 v3, 0x8000
	s_waitcnt vmcnt(0)
	v_cmp_lt_i16_e64 s0, -1, v2
	v_lshlrev_b32_e32 v4, 16, v2
	v_cndmask_b32_e64 v3, 0xffff, v3, s0
	v_cmp_o_f32_e64 s0, v4, v4
	v_xor_b32_sdwa v2, v3, v2 dst_sel:DWORD dst_unused:UNUSED_PAD src0_sel:DWORD src1_sel:WORD_0
	v_cndmask_b32_e64 v2, 0xffff, v2, s0
	v_xor_b32_e32 v3, s13, v2
	v_and_b32_e32 v3, s3, v3
	v_cmp_eq_u32_e64 s0, 0, v3
	s_and_b32 exec_lo, exec_lo, s0
	s_cbranch_execz .LBB223_25
; %bb.24:
	v_bfe_u32 v2, v2, s1, 8
	v_mov_b32_e32 v3, 1
	v_lshlrev_b32_e32 v2, 2, v2
	ds_add_u32 v2, v3
.LBB223_25:
	s_or_b32 exec_lo, exec_lo, s2
.LBB223_26:
	s_waitcnt lgkmcnt(0)
	s_barrier
	buffer_gl0_inv
	s_and_saveexec_b32 s0, vcc_lo
	s_cbranch_execz .LBB223_28
; %bb.27:
	ds_read_b32 v2, v1
	v_lshl_or_b32 v0, s24, 8, v0
	v_mov_b32_e32 v1, 0
	v_lshlrev_b64 v[0:1], 1, v[0:1]
	v_add_co_u32 v0, vcc_lo, s10, v0
	v_add_co_ci_u32_e64 v1, null, s11, v1, vcc_lo
	s_waitcnt lgkmcnt(0)
	global_store_short v[0:1], v2, off
.LBB223_28:
	s_endpgm
	.section	.rodata,"a",@progbits
	.p2align	6, 0x0
	.amdhsa_kernel _ZN2at6native6mbtopk23computeBlockDigitCountsIN3c108BFloat16EmjLin1EEEvNS_4cuda6detail10TensorInfoIKT_T0_EEjPjjSA_iijT1_PSD_Ps
		.amdhsa_group_segment_fixed_size 1024
		.amdhsa_private_segment_fixed_size 0
		.amdhsa_kernarg_size 736
		.amdhsa_user_sgpr_count 6
		.amdhsa_user_sgpr_private_segment_buffer 1
		.amdhsa_user_sgpr_dispatch_ptr 0
		.amdhsa_user_sgpr_queue_ptr 0
		.amdhsa_user_sgpr_kernarg_segment_ptr 1
		.amdhsa_user_sgpr_dispatch_id 0
		.amdhsa_user_sgpr_flat_scratch_init 0
		.amdhsa_user_sgpr_private_segment_size 0
		.amdhsa_wavefront_size32 1
		.amdhsa_uses_dynamic_stack 0
		.amdhsa_system_sgpr_private_segment_wavefront_offset 0
		.amdhsa_system_sgpr_workgroup_id_x 1
		.amdhsa_system_sgpr_workgroup_id_y 1
		.amdhsa_system_sgpr_workgroup_id_z 1
		.amdhsa_system_sgpr_workgroup_info 0
		.amdhsa_system_vgpr_workitem_id 0
		.amdhsa_next_free_vgpr 10
		.amdhsa_next_free_sgpr 28
		.amdhsa_reserve_vcc 1
		.amdhsa_reserve_flat_scratch 0
		.amdhsa_float_round_mode_32 0
		.amdhsa_float_round_mode_16_64 0
		.amdhsa_float_denorm_mode_32 3
		.amdhsa_float_denorm_mode_16_64 3
		.amdhsa_dx10_clamp 1
		.amdhsa_ieee_mode 1
		.amdhsa_fp16_overflow 0
		.amdhsa_workgroup_processor_mode 1
		.amdhsa_memory_ordered 1
		.amdhsa_forward_progress 1
		.amdhsa_shared_vgpr_count 0
		.amdhsa_exception_fp_ieee_invalid_op 0
		.amdhsa_exception_fp_denorm_src 0
		.amdhsa_exception_fp_ieee_div_zero 0
		.amdhsa_exception_fp_ieee_overflow 0
		.amdhsa_exception_fp_ieee_underflow 0
		.amdhsa_exception_fp_ieee_inexact 0
		.amdhsa_exception_int_div_zero 0
	.end_amdhsa_kernel
	.section	.text._ZN2at6native6mbtopk23computeBlockDigitCountsIN3c108BFloat16EmjLin1EEEvNS_4cuda6detail10TensorInfoIKT_T0_EEjPjjSA_iijT1_PSD_Ps,"axG",@progbits,_ZN2at6native6mbtopk23computeBlockDigitCountsIN3c108BFloat16EmjLin1EEEvNS_4cuda6detail10TensorInfoIKT_T0_EEjPjjSA_iijT1_PSD_Ps,comdat
.Lfunc_end223:
	.size	_ZN2at6native6mbtopk23computeBlockDigitCountsIN3c108BFloat16EmjLin1EEEvNS_4cuda6detail10TensorInfoIKT_T0_EEjPjjSA_iijT1_PSD_Ps, .Lfunc_end223-_ZN2at6native6mbtopk23computeBlockDigitCountsIN3c108BFloat16EmjLin1EEEvNS_4cuda6detail10TensorInfoIKT_T0_EEjPjjSA_iijT1_PSD_Ps
                                        ; -- End function
	.set _ZN2at6native6mbtopk23computeBlockDigitCountsIN3c108BFloat16EmjLin1EEEvNS_4cuda6detail10TensorInfoIKT_T0_EEjPjjSA_iijT1_PSD_Ps.num_vgpr, 10
	.set _ZN2at6native6mbtopk23computeBlockDigitCountsIN3c108BFloat16EmjLin1EEEvNS_4cuda6detail10TensorInfoIKT_T0_EEjPjjSA_iijT1_PSD_Ps.num_agpr, 0
	.set _ZN2at6native6mbtopk23computeBlockDigitCountsIN3c108BFloat16EmjLin1EEEvNS_4cuda6detail10TensorInfoIKT_T0_EEjPjjSA_iijT1_PSD_Ps.numbered_sgpr, 28
	.set _ZN2at6native6mbtopk23computeBlockDigitCountsIN3c108BFloat16EmjLin1EEEvNS_4cuda6detail10TensorInfoIKT_T0_EEjPjjSA_iijT1_PSD_Ps.num_named_barrier, 0
	.set _ZN2at6native6mbtopk23computeBlockDigitCountsIN3c108BFloat16EmjLin1EEEvNS_4cuda6detail10TensorInfoIKT_T0_EEjPjjSA_iijT1_PSD_Ps.private_seg_size, 0
	.set _ZN2at6native6mbtopk23computeBlockDigitCountsIN3c108BFloat16EmjLin1EEEvNS_4cuda6detail10TensorInfoIKT_T0_EEjPjjSA_iijT1_PSD_Ps.uses_vcc, 1
	.set _ZN2at6native6mbtopk23computeBlockDigitCountsIN3c108BFloat16EmjLin1EEEvNS_4cuda6detail10TensorInfoIKT_T0_EEjPjjSA_iijT1_PSD_Ps.uses_flat_scratch, 0
	.set _ZN2at6native6mbtopk23computeBlockDigitCountsIN3c108BFloat16EmjLin1EEEvNS_4cuda6detail10TensorInfoIKT_T0_EEjPjjSA_iijT1_PSD_Ps.has_dyn_sized_stack, 0
	.set _ZN2at6native6mbtopk23computeBlockDigitCountsIN3c108BFloat16EmjLin1EEEvNS_4cuda6detail10TensorInfoIKT_T0_EEjPjjSA_iijT1_PSD_Ps.has_recursion, 0
	.set _ZN2at6native6mbtopk23computeBlockDigitCountsIN3c108BFloat16EmjLin1EEEvNS_4cuda6detail10TensorInfoIKT_T0_EEjPjjSA_iijT1_PSD_Ps.has_indirect_call, 0
	.section	.AMDGPU.csdata,"",@progbits
; Kernel info:
; codeLenInByte = 1344
; TotalNumSgprs: 30
; NumVgprs: 10
; ScratchSize: 0
; MemoryBound: 0
; FloatMode: 240
; IeeeMode: 1
; LDSByteSize: 1024 bytes/workgroup (compile time only)
; SGPRBlocks: 0
; VGPRBlocks: 1
; NumSGPRsForWavesPerEU: 30
; NumVGPRsForWavesPerEU: 10
; Occupancy: 16
; WaveLimiterHint : 0
; COMPUTE_PGM_RSRC2:SCRATCH_EN: 0
; COMPUTE_PGM_RSRC2:USER_SGPR: 6
; COMPUTE_PGM_RSRC2:TRAP_HANDLER: 0
; COMPUTE_PGM_RSRC2:TGID_X_EN: 1
; COMPUTE_PGM_RSRC2:TGID_Y_EN: 1
; COMPUTE_PGM_RSRC2:TGID_Z_EN: 1
; COMPUTE_PGM_RSRC2:TIDIG_COMP_CNT: 0
	.section	.text._ZN2at6native6mbtopk10gatherTopKIN3c108BFloat16EmLin1EEEvNS_4cuda6detail10TensorInfoIKT_T0_EESA_SA_bjSA_NS7_IS8_SA_EESA_NS7_IlSA_EESA_jjPS8_PjSF_j,"axG",@progbits,_ZN2at6native6mbtopk10gatherTopKIN3c108BFloat16EmLin1EEEvNS_4cuda6detail10TensorInfoIKT_T0_EESA_SA_bjSA_NS7_IS8_SA_EESA_NS7_IlSA_EESA_jjPS8_PjSF_j,comdat
	.protected	_ZN2at6native6mbtopk10gatherTopKIN3c108BFloat16EmLin1EEEvNS_4cuda6detail10TensorInfoIKT_T0_EESA_SA_bjSA_NS7_IS8_SA_EESA_NS7_IlSA_EESA_jjPS8_PjSF_j ; -- Begin function _ZN2at6native6mbtopk10gatherTopKIN3c108BFloat16EmLin1EEEvNS_4cuda6detail10TensorInfoIKT_T0_EESA_SA_bjSA_NS7_IS8_SA_EESA_NS7_IlSA_EESA_jjPS8_PjSF_j
	.globl	_ZN2at6native6mbtopk10gatherTopKIN3c108BFloat16EmLin1EEEvNS_4cuda6detail10TensorInfoIKT_T0_EESA_SA_bjSA_NS7_IS8_SA_EESA_NS7_IlSA_EESA_jjPS8_PjSF_j
	.p2align	8
	.type	_ZN2at6native6mbtopk10gatherTopKIN3c108BFloat16EmLin1EEEvNS_4cuda6detail10TensorInfoIKT_T0_EESA_SA_bjSA_NS7_IS8_SA_EESA_NS7_IlSA_EESA_jjPS8_PjSF_j,@function
_ZN2at6native6mbtopk10gatherTopKIN3c108BFloat16EmLin1EEEvNS_4cuda6detail10TensorInfoIKT_T0_EESA_SA_bjSA_NS7_IS8_SA_EESA_NS7_IlSA_EESA_jjPS8_PjSF_j: ; @_ZN2at6native6mbtopk10gatherTopKIN3c108BFloat16EmLin1EEEvNS_4cuda6detail10TensorInfoIKT_T0_EESA_SA_bjSA_NS7_IS8_SA_EESA_NS7_IlSA_EESA_jjPS8_PjSF_j
; %bb.0:
	s_clause 0x1
	s_load_dwordx2 s[0:1], s[4:5], 0x538
	s_load_dword s2, s[4:5], 0x530
	s_waitcnt lgkmcnt(0)
	s_mul_i32 s1, s1, s8
	s_add_i32 s1, s1, s7
	s_mul_i32 s0, s1, s0
	s_add_i32 s0, s0, s6
	s_cmp_ge_u32 s0, s2
	s_cbranch_scc1 .LBB224_61
; %bb.1:
	s_clause 0x1
	s_load_dwordx2 s[6:7], s[4:5], 0x510
	s_load_dwordx4 s[8:11], s[4:5], 0x1a0
	s_mov_b32 s13, 0
	s_waitcnt lgkmcnt(0)
	v_cvt_f32_u32_e32 v1, s7
	s_sub_i32 s2, 0, s7
	s_lshl_b32 s33, s6, 8
	v_rcp_iflag_f32_e32 v1, v1
	v_mul_f32_e32 v1, 0x4f7ffffe, v1
	v_cvt_u32_f32_e32 v1, v1
	v_readfirstlane_b32 s1, v1
	s_mul_i32 s2, s2, s1
	s_mul_hi_u32 s2, s1, s2
	s_add_i32 s1, s1, s2
	s_mul_hi_u32 s1, s0, s1
	s_mul_i32 s2, s1, s7
	s_add_i32 s3, s1, 1
	s_sub_i32 s2, s0, s2
	s_sub_i32 s12, s2, s7
	s_cmp_ge_u32 s2, s7
	s_cselect_b32 s1, s3, s1
	s_cselect_b32 s2, s12, s2
	s_add_i32 s3, s1, 1
	s_cmp_ge_u32 s2, s7
	s_cselect_b32 s12, s3, s1
	s_mul_i32 s18, s12, s7
	s_sub_i32 s50, s0, s18
	s_add_i32 s0, s50, 1
	s_cmp_lt_u32 s0, s7
	s_cbranch_scc1 .LBB224_3
; %bb.2:
	s_mul_i32 s0, s50, s33
	s_sub_u32 s0, s8, s0
	s_subb_u32 s1, s9, 0
	s_add_u32 s0, s0, 0xff
	s_addc_u32 s1, s1, 0
	s_ashr_i32 s2, s1, 31
	s_lshr_b32 s2, s2, 24
	s_add_u32 s0, s0, s2
	s_addc_u32 s1, s1, 0
	s_lshr_b64 s[0:1], s[0:1], 8
	s_mov_b32 s6, s0
.LBB224_3:
	s_load_dword s2, s[4:5], 0x198
	s_mov_b64 s[16:17], 0
	s_mov_b64 s[20:21], s[12:13]
	s_waitcnt lgkmcnt(0)
	s_cmp_lt_i32 s2, 2
	s_cbranch_scc1 .LBB224_9
; %bb.4:
	s_add_i32 s0, s2, -1
	s_mov_b32 s1, 0
	s_add_i32 s19, s2, 1
	s_lshl_b64 s[14:15], s[0:1], 3
	s_add_u32 s0, s4, s14
	s_addc_u32 s3, s5, s15
	s_add_u32 s2, s0, 8
	s_addc_u32 s3, s3, 0
	s_mov_b64 s[14:15], s[12:13]
.LBB224_5:                              ; =>This Inner Loop Header: Depth=1
	s_load_dwordx2 s[22:23], s[2:3], 0x0
	s_mov_b64 s[20:21], 0
	s_waitcnt lgkmcnt(0)
	v_cmp_lt_u64_e64 s0, s[14:15], s[22:23]
	s_and_b32 vcc_lo, exec_lo, s0
	s_cbranch_vccnz .LBB224_7
; %bb.6:                                ;   in Loop: Header=BB224_5 Depth=1
	v_cvt_f32_u32_e32 v1, s22
	s_sub_i32 s20, 0, s22
	v_rcp_iflag_f32_e32 v1, v1
	v_mul_f32_e32 v1, 0x4f7ffffe, v1
	v_cvt_u32_f32_e32 v1, v1
	v_readfirstlane_b32 s0, v1
	s_mul_i32 s20, s20, s0
	s_mul_hi_u32 s20, s0, s20
	s_add_i32 s0, s0, s20
	s_mul_hi_u32 s0, s14, s0
	s_mul_i32 s20, s0, s22
	s_add_i32 s21, s0, 1
	s_sub_i32 s20, s14, s20
	s_sub_i32 s24, s20, s22
	s_cmp_ge_u32 s20, s22
	s_cselect_b32 s0, s21, s0
	s_cselect_b32 s20, s24, s20
	s_add_i32 s21, s0, 1
	s_cmp_ge_u32 s20, s22
	s_cselect_b32 s0, s21, s0
	s_mov_b64 s[20:21], s[0:1]
.LBB224_7:                              ;   in Loop: Header=BB224_5 Depth=1
	s_load_dwordx2 s[24:25], s[2:3], 0xc8
	s_mul_i32 s0, s20, s23
	s_mul_hi_u32 s23, s20, s22
	s_mul_i32 s22, s20, s22
	s_add_i32 s23, s23, s0
	s_sub_u32 s0, s14, s22
	s_subb_u32 s14, s15, s23
	s_waitcnt lgkmcnt(0)
	s_mul_i32 s14, s24, s14
	s_mul_hi_u32 s15, s24, s0
	s_mul_i32 s22, s25, s0
	s_add_i32 s14, s15, s14
	s_mul_i32 s0, s24, s0
	s_add_i32 s14, s14, s22
	s_add_u32 s16, s0, s16
	s_addc_u32 s17, s14, s17
	s_add_i32 s19, s19, -1
	s_add_u32 s2, s2, -8
	s_addc_u32 s3, s3, -1
	s_cmp_gt_u32 s19, 2
	s_cbranch_scc0 .LBB224_9
; %bb.8:                                ;   in Loop: Header=BB224_5 Depth=1
	s_mov_b64 s[14:15], s[20:21]
	s_branch .LBB224_5
.LBB224_9:
	s_clause 0x1
	s_load_dword s14, s[4:5], 0x358
	s_load_dwordx2 s[24:25], s[4:5], 0xd0
	s_add_u32 s0, s4, 0x1c0
	s_addc_u32 s1, s5, 0
	s_mov_b64 s[22:23], 0
	s_mov_b64 s[26:27], s[12:13]
	s_waitcnt lgkmcnt(0)
	s_cmp_lt_i32 s14, 2
	s_cbranch_scc1 .LBB224_15
; %bb.10:
	s_add_i32 s2, s14, -1
	s_mov_b32 s3, 0
	s_add_i32 s19, s14, 1
	s_lshl_b64 s[22:23], s[2:3], 3
	s_mov_b64 s[28:29], s[12:13]
	s_add_u32 s2, s0, s22
	s_addc_u32 s15, s1, s23
	s_add_u32 s14, s2, 8
	s_addc_u32 s15, s15, 0
	s_mov_b64 s[22:23], 0
.LBB224_11:                             ; =>This Inner Loop Header: Depth=1
	s_load_dwordx2 s[30:31], s[14:15], 0x0
	s_mov_b64 s[26:27], 0
	s_waitcnt lgkmcnt(0)
	v_cmp_lt_u64_e64 s2, s[28:29], s[30:31]
	s_and_b32 vcc_lo, exec_lo, s2
	s_cbranch_vccnz .LBB224_13
; %bb.12:                               ;   in Loop: Header=BB224_11 Depth=1
	v_cvt_f32_u32_e32 v1, s30
	s_sub_i32 s21, 0, s30
	v_rcp_iflag_f32_e32 v1, v1
	v_mul_f32_e32 v1, 0x4f7ffffe, v1
	v_cvt_u32_f32_e32 v1, v1
	v_readfirstlane_b32 s2, v1
	s_mul_i32 s21, s21, s2
	s_mul_hi_u32 s21, s2, s21
	s_add_i32 s2, s2, s21
	s_mul_hi_u32 s2, s28, s2
	s_mul_i32 s21, s2, s30
	s_add_i32 s26, s2, 1
	s_sub_i32 s21, s28, s21
	s_sub_i32 s27, s21, s30
	s_cmp_ge_u32 s21, s30
	s_cselect_b32 s2, s26, s2
	s_cselect_b32 s21, s27, s21
	s_add_i32 s26, s2, 1
	s_cmp_ge_u32 s21, s30
	s_cselect_b32 s2, s26, s2
	s_mov_b64 s[26:27], s[2:3]
.LBB224_13:                             ;   in Loop: Header=BB224_11 Depth=1
	s_load_dwordx2 s[34:35], s[14:15], 0xc8
	s_mul_i32 s2, s26, s31
	s_mul_hi_u32 s21, s26, s30
	s_mul_i32 s30, s26, s30
	s_add_i32 s21, s21, s2
	s_sub_u32 s2, s28, s30
	s_subb_u32 s21, s29, s21
	s_waitcnt lgkmcnt(0)
	s_mul_i32 s21, s34, s21
	s_mul_hi_u32 s28, s34, s2
	s_mul_i32 s29, s35, s2
	s_add_i32 s21, s28, s21
	s_mul_i32 s2, s34, s2
	s_add_i32 s21, s21, s29
	s_add_u32 s22, s2, s22
	s_addc_u32 s23, s21, s23
	s_add_i32 s19, s19, -1
	s_add_u32 s14, s14, -8
	s_addc_u32 s15, s15, -1
	s_cmp_gt_u32 s19, 2
	s_cbranch_scc0 .LBB224_15
; %bb.14:                               ;   in Loop: Header=BB224_11 Depth=1
	s_mov_b64 s[28:29], s[26:27]
	s_branch .LBB224_11
.LBB224_15:
	s_clause 0x1
	s_load_dword s2, s[4:5], 0x500
	s_load_dwordx2 s[28:29], s[0:1], 0xd0
	s_add_u32 s3, s4, 0x368
	s_addc_u32 s14, s5, 0
	s_mov_b64 s[30:31], 0
	s_waitcnt lgkmcnt(0)
	s_cmp_lt_i32 s2, 2
	s_cbranch_scc1 .LBB224_21
; %bb.16:
	s_add_i32 s0, s2, -1
	s_mov_b32 s1, 0
	s_add_i32 s19, s2, 1
	s_lshl_b64 s[30:31], s[0:1], 3
	s_add_u32 s0, s3, s30
	s_addc_u32 s3, s14, s31
	s_add_u32 s2, s0, 8
	s_addc_u32 s3, s3, 0
	s_mov_b64 s[30:31], 0
	s_mov_b64 s[14:15], s[12:13]
.LBB224_17:                             ; =>This Inner Loop Header: Depth=1
	s_load_dwordx2 s[36:37], s[2:3], 0x0
	s_mov_b64 s[34:35], 0
	s_waitcnt lgkmcnt(0)
	v_cmp_lt_u64_e64 s0, s[14:15], s[36:37]
	s_and_b32 vcc_lo, exec_lo, s0
	s_cbranch_vccnz .LBB224_19
; %bb.18:                               ;   in Loop: Header=BB224_17 Depth=1
	v_cvt_f32_u32_e32 v1, s36
	s_sub_i32 s21, 0, s36
	v_rcp_iflag_f32_e32 v1, v1
	v_mul_f32_e32 v1, 0x4f7ffffe, v1
	v_cvt_u32_f32_e32 v1, v1
	v_readfirstlane_b32 s0, v1
	s_mul_i32 s21, s21, s0
	s_mul_hi_u32 s21, s0, s21
	s_add_i32 s0, s0, s21
	s_mul_hi_u32 s0, s14, s0
	s_mul_i32 s21, s0, s36
	s_add_i32 s27, s0, 1
	s_sub_i32 s21, s14, s21
	s_sub_i32 s34, s21, s36
	s_cmp_ge_u32 s21, s36
	s_cselect_b32 s0, s27, s0
	s_cselect_b32 s21, s34, s21
	s_add_i32 s27, s0, 1
	s_cmp_ge_u32 s21, s36
	s_cselect_b32 s0, s27, s0
	s_mov_b64 s[34:35], s[0:1]
.LBB224_19:                             ;   in Loop: Header=BB224_17 Depth=1
	s_load_dwordx2 s[38:39], s[2:3], 0xc8
	s_mul_i32 s0, s34, s37
	s_mul_hi_u32 s21, s34, s36
	s_mul_i32 s27, s34, s36
	s_add_i32 s21, s21, s0
	s_sub_u32 s0, s14, s27
	s_subb_u32 s14, s15, s21
	s_waitcnt lgkmcnt(0)
	s_mul_i32 s14, s38, s14
	s_mul_hi_u32 s15, s38, s0
	s_mul_i32 s21, s39, s0
	s_add_i32 s14, s15, s14
	s_mul_i32 s0, s38, s0
	s_add_i32 s14, s14, s21
	s_add_u32 s30, s0, s30
	s_addc_u32 s31, s14, s31
	s_add_i32 s19, s19, -1
	s_add_u32 s2, s2, -8
	s_addc_u32 s3, s3, -1
	s_cmp_gt_u32 s19, 2
	s_cbranch_scc0 .LBB224_22
; %bb.20:                               ;   in Loop: Header=BB224_17 Depth=1
	s_mov_b64 s[14:15], s[34:35]
	s_branch .LBB224_17
.LBB224_21:
	s_mov_b64 s[34:35], s[12:13]
.LBB224_22:
	s_load_dwordx4 s[0:3], s[4:5], 0x518
	s_lshl_b64 s[12:13], s[12:13], 1
	v_mov_b32_e32 v1, 0
	s_mov_b32 s19, 0
	s_waitcnt lgkmcnt(0)
	s_add_u32 s0, s0, s12
	s_addc_u32 s1, s1, s13
	global_load_ushort v1, v1, s[0:1]
	s_clause 0x3
	s_load_dwordx2 s[38:39], s[4:5], 0x438
	s_load_dwordx2 s[42:43], s[4:5], 0x0
	;; [unrolled: 1-line block ×4, first 2 shown]
	v_cmp_ne_u32_e64 s0, 0, v0
	v_cmp_eq_u32_e64 s1, 0, v0
	s_waitcnt vmcnt(0)
	v_readfirstlane_b32 s21, v1
	s_and_saveexec_b32 s27, s1
	s_cbranch_execz .LBB224_38
; %bb.23:
	s_load_dwordx2 s[44:45], s[4:5], 0x528
	s_lshl_b64 s[46:47], s[18:19], 2
	s_mov_b32 s18, 0
	s_add_u32 s12, s2, s46
	s_addc_u32 s13, s3, s47
	s_mov_b32 s35, 0
	s_waitcnt lgkmcnt(0)
	s_add_u32 s14, s44, s46
	s_addc_u32 s15, s45, s47
	s_cmp_lt_u32 s7, 4
	s_cbranch_scc1 .LBB224_35
; %bb.24:
	s_mov_b32 s51, 0
.LBB224_25:                             ; =>This Inner Loop Header: Depth=1
	s_add_u32 s12, s2, s46
	s_addc_u32 s13, s3, s47
	s_add_u32 s48, s44, s46
	s_load_dwordx4 s[12:15], s[12:13], 0x0
	s_addc_u32 s49, s45, s47
	s_cmp_ge_u32 s51, s50
	s_cbranch_scc0 .LBB224_32
; %bb.26:                               ;   in Loop: Header=BB224_25 Depth=1
	s_add_i32 s52, s51, 1
	s_cmp_ge_u32 s52, s50
	s_cbranch_scc0 .LBB224_33
.LBB224_27:                             ;   in Loop: Header=BB224_25 Depth=1
	s_add_i32 s52, s52, 1
	s_cmp_ge_u32 s52, s50
	s_cbranch_scc0 .LBB224_34
.LBB224_28:                             ;   in Loop: Header=BB224_25 Depth=1
	s_add_i32 s52, s52, 1
	s_cmp_ge_u32 s52, s50
	s_cbranch_scc1 .LBB224_30
.LBB224_29:                             ;   in Loop: Header=BB224_25 Depth=1
	s_load_dword s48, s[48:49], 0xc
	s_waitcnt lgkmcnt(0)
	s_add_i32 s19, s19, s15
	s_add_i32 s18, s48, s18
.LBB224_30:                             ;   in Loop: Header=BB224_25 Depth=1
	s_waitcnt lgkmcnt(0)
	s_add_i32 s12, s12, s35
	s_add_i32 s12, s12, s13
	;; [unrolled: 1-line block ×4, first 2 shown]
	s_add_u32 s2, s2, 16
	s_addc_u32 s3, s3, 0
	s_add_u32 s44, s44, 16
	s_addc_u32 s45, s45, 0
	s_add_i32 s49, s52, 4
	s_add_u32 s14, s44, s46
	s_addc_u32 s15, s45, s47
	s_add_u32 s12, s2, s46
	s_addc_u32 s13, s3, s47
	s_add_i32 s48, s52, 1
	s_cmp_ge_u32 s49, s7
	s_cbranch_scc1 .LBB224_36
; %bb.31:                               ;   in Loop: Header=BB224_25 Depth=1
	s_mov_b32 s51, s48
	s_branch .LBB224_25
.LBB224_32:                             ;   in Loop: Header=BB224_25 Depth=1
	s_load_dword s52, s[48:49], 0x0
	s_waitcnt lgkmcnt(0)
	s_add_i32 s19, s12, s19
	s_add_i32 s18, s52, s18
	;; [unrolled: 1-line block ×3, first 2 shown]
	s_cmp_ge_u32 s52, s50
	s_cbranch_scc1 .LBB224_27
.LBB224_33:                             ;   in Loop: Header=BB224_25 Depth=1
	s_load_dword s53, s[48:49], 0x4
	s_waitcnt lgkmcnt(0)
	s_add_i32 s19, s19, s13
	s_add_i32 s18, s53, s18
	;; [unrolled: 1-line block ×3, first 2 shown]
	s_cmp_ge_u32 s52, s50
	s_cbranch_scc1 .LBB224_28
.LBB224_34:                             ;   in Loop: Header=BB224_25 Depth=1
	s_load_dword s53, s[48:49], 0x8
	s_waitcnt lgkmcnt(0)
	s_add_i32 s19, s19, s14
	s_add_i32 s18, s53, s18
	;; [unrolled: 1-line block ×3, first 2 shown]
	s_cmp_ge_u32 s52, s50
	s_cbranch_scc0 .LBB224_29
	s_branch .LBB224_30
.LBB224_35:
	s_mov_b32 s2, 0
	s_cmp_ge_u32 s2, s7
	s_cbranch_scc0 .LBB224_59
	s_branch .LBB224_37
.LBB224_36:
	s_add_i32 s2, s51, 4
	s_cmp_ge_u32 s2, s7
	s_cbranch_scc0 .LBB224_59
.LBB224_37:
	v_mov_b32_e32 v1, s18
	v_mov_b32_e32 v2, s35
	;; [unrolled: 1-line block ×4, first 2 shown]
	ds_write_b96 v4, v[1:3] offset:1056
.LBB224_38:
	s_or_b32 exec_lo, exec_lo, s27
	s_cmp_eq_u32 s6, 0
	s_waitcnt lgkmcnt(0)
	s_barrier
	buffer_gl0_inv
	s_cbranch_scc1 .LBB224_61
; %bb.39:
	s_mul_i32 s7, s25, s20
	s_mul_hi_u32 s12, s24, s20
	s_mul_i32 s2, s29, s26
	s_mul_hi_u32 s3, s28, s26
	s_add_i32 s13, s12, s7
	s_mul_i32 s12, s24, s20
	s_add_i32 s3, s3, s2
	s_mul_i32 s2, s39, s34
	s_mul_hi_u32 s7, s38, s34
	s_lshl_b64 s[12:13], s[12:13], 1
	s_add_i32 s15, s7, s2
	s_add_u32 s7, s42, s12
	s_addc_u32 s14, s43, s13
	s_lshl_b64 s[12:13], s[16:17], 1
	s_mul_i32 s2, s28, s26
	s_add_u32 s7, s7, s12
	s_addc_u32 s16, s14, s13
	s_lshl_b64 s[2:3], s[2:3], 1
	v_mov_b32_e32 v5, 0
	s_add_u32 s12, s40, s2
	s_addc_u32 s13, s41, s3
	s_lshl_b64 s[2:3], s[22:23], 1
	s_mul_i32 s14, s38, s34
	s_add_u32 s17, s12, s2
	s_addc_u32 s18, s13, s3
	s_lshl_b64 s[2:3], s[14:15], 3
	ds_read_b96 v[1:3], v5 offset:1056
	s_add_u32 s12, s36, s2
	s_addc_u32 s13, s37, s3
	s_lshl_b64 s[2:3], s[30:31], 3
	v_add_nc_u32_e32 v10, -1, v0
	s_add_u32 s19, s12, s2
	s_sext_i32_i16 s2, s21
	s_addc_u32 s20, s13, s3
	s_and_b32 s3, 0xffff, s21
	s_cmp_gt_i32 s2, -1
	s_mov_b32 s2, 0x8000
	v_lshrrev_b32_e32 v4, 3, v0
	s_cselect_b32 s2, s2, 0xffff
	s_lshl_b32 s12, s21, 16
	s_xor_b32 s2, s2, s3
	v_cmp_o_f32_e64 s12, s12, s12
	v_lshrrev_b32_e32 v6, 3, v10
	v_and_b32_e32 v4, 28, v4
	v_mbcnt_lo_u32_b32 v9, -1, 0
	v_mov_b32_e32 v14, 0x8000
	s_and_b32 s3, s12, exec_lo
	s_clause 0x3
	s_load_dword s3, s[4:5], 0x1b0
	s_load_dwordx2 s[12:13], s[4:5], 0x1b8
	s_load_dwordx2 s[14:15], s[4:5], 0x360
	;; [unrolled: 1-line block ×3, first 2 shown]
	s_waitcnt lgkmcnt(0)
	v_add_nc_u32_e32 v1, v1, v2
	v_and_b32_e32 v11, 0x1ffffffc, v6
	v_lshl_add_u32 v8, v0, 2, v4
	v_and_b32_e32 v2, 0xfc, v0
	v_lshlrev_b32_e32 v4, 5, v0
	v_mad_u64_u32 v[6:7], null, s50, s33, v[0:1]
	s_cselect_b32 s21, s2, 0xffff
	v_cmp_gt_u32_e64 s2, 32, v0
	v_lshl_add_u32 v0, v10, 2, v11
	v_add_nc_u32_e32 v10, v2, v4
	v_and_b32_e32 v11, 15, v9
	v_bfe_i32 v12, v9, 4, 1
	v_add_nc_u32_e32 v13, -1, v9
	v_mov_b32_e32 v4, v6
                                        ; implicit-def: $vgpr15
	s_bitcmp1_b32 s3, 0
	s_cselect_b32 s3, -1, 0
	s_branch .LBB224_42
.LBB224_40:                             ;   in Loop: Header=BB224_42 Depth=1
	s_or_b32 exec_lo, exec_lo, s22
	v_add_nc_u32_e32 v1, v2, v1
.LBB224_41:                             ;   in Loop: Header=BB224_42 Depth=1
	v_add_nc_u32_e32 v3, v16, v3
	v_add_nc_u32_e32 v4, 0x100, v4
	s_add_i32 s6, s6, -1
	s_cmp_lg_u32 s6, 0
	s_cbranch_scc0 .LBB224_61
.LBB224_42:                             ; =>This Inner Loop Header: Depth=1
	v_mov_b32_e32 v2, v5
	v_mov_b32_e32 v6, v5
	s_mov_b32 s22, exec_lo
	v_cmpx_gt_u64_e64 s[8:9], v[4:5]
	s_cbranch_execz .LBB224_44
; %bb.43:                               ;   in Loop: Header=BB224_42 Depth=1
	v_mad_u64_u32 v[6:7], null, s12, v4, 0
	v_mov_b32_e32 v2, v7
	v_mad_u64_u32 v[15:16], null, s13, v4, v[2:3]
	v_mov_b32_e32 v7, v15
	v_lshlrev_b64 v[6:7], 1, v[6:7]
	v_add_co_u32 v6, vcc_lo, s7, v6
	v_add_co_ci_u32_e64 v7, null, s16, v7, vcc_lo
	global_load_ushort v15, v[6:7], off
	s_waitcnt vmcnt(0)
	v_cmp_lt_i16_e32 vcc_lo, -1, v15
	v_lshlrev_b32_e32 v6, 16, v15
	v_cndmask_b32_e32 v2, 0xffff, v14, vcc_lo
	v_cmp_o_f32_e32 vcc_lo, v6, v6
	v_xor_b32_sdwa v2, v2, v15 dst_sel:DWORD dst_unused:UNUSED_PAD src0_sel:DWORD src1_sel:WORD_0
	v_cndmask_b32_e32 v6, 0xffff, v2, vcc_lo
	v_cmp_lt_u32_e32 vcc_lo, s21, v6
	v_cndmask_b32_e64 v2, 0, 1, vcc_lo
	v_cmp_gt_u32_e32 vcc_lo, s21, v6
	v_cndmask_b32_e64 v7, 0, 1, vcc_lo
	v_cmp_eq_u32_e32 vcc_lo, s21, v6
	v_cndmask_b32_e64 v2, v7, v2, s3
	v_cndmask_b32_e64 v6, 0, 1, vcc_lo
	v_and_b32_e32 v2, 1, v2
.LBB224_44:                             ;   in Loop: Header=BB224_42 Depth=1
	s_or_b32 exec_lo, exec_lo, s22
	ds_write_b32 v8, v2
	s_waitcnt lgkmcnt(0)
	s_barrier
	buffer_gl0_inv
	s_and_saveexec_b32 s22, s2
	s_cbranch_execz .LBB224_46
; %bb.45:                               ;   in Loop: Header=BB224_42 Depth=1
	ds_read2_b32 v[16:17], v10 offset1:1
	ds_read2_b32 v[18:19], v10 offset0:2 offset1:3
	ds_read2_b32 v[20:21], v10 offset0:4 offset1:5
	;; [unrolled: 1-line block ×3, first 2 shown]
	v_cmp_ne_u32_e32 vcc_lo, 0, v11
	; wave barrier
	s_waitcnt lgkmcnt(3)
	v_add_nc_u32_e32 v7, v17, v16
	s_waitcnt lgkmcnt(2)
	v_add3_u32 v7, v7, v18, v19
	s_waitcnt lgkmcnt(1)
	v_add3_u32 v7, v7, v20, v21
	;; [unrolled: 2-line block ×3, first 2 shown]
	v_mov_b32_dpp v17, v7 row_shr:1 row_mask:0xf bank_mask:0xf
	v_cndmask_b32_e32 v17, 0, v17, vcc_lo
	v_cmp_lt_u32_e32 vcc_lo, 1, v11
	v_add_nc_u32_e32 v7, v17, v7
	v_mov_b32_dpp v17, v7 row_shr:2 row_mask:0xf bank_mask:0xf
	v_cndmask_b32_e32 v17, 0, v17, vcc_lo
	v_cmp_lt_u32_e32 vcc_lo, 3, v11
	v_add_nc_u32_e32 v7, v7, v17
	;; [unrolled: 4-line block ×3, first 2 shown]
	v_mov_b32_dpp v17, v7 row_shr:8 row_mask:0xf bank_mask:0xf
	v_cndmask_b32_e32 v17, 0, v17, vcc_lo
	v_cmp_gt_i32_e32 vcc_lo, 0, v13
	v_add_nc_u32_e32 v7, v7, v17
	v_cndmask_b32_e32 v18, v13, v9, vcc_lo
	ds_swizzle_b32 v17, v7 offset:swizzle(BROADCAST,32,15)
	v_lshlrev_b32_e32 v18, 2, v18
	s_waitcnt lgkmcnt(0)
	v_and_b32_e32 v17, v12, v17
	v_add_nc_u32_e32 v7, v7, v17
	ds_bpermute_b32 v7, v18, v7
	s_waitcnt lgkmcnt(0)
	v_add_nc_u32_e32 v7, v7, v16
	v_cndmask_b32_e64 v7, v7, v2, s1
	ds_write_b32 v10, v7
	; wave barrier
	ds_read2_b32 v[16:17], v10 offset0:1 offset1:2
	ds_read2_b32 v[18:19], v10 offset0:3 offset1:4
	;; [unrolled: 1-line block ×3, first 2 shown]
	ds_read_b32 v22, v10 offset:28
	s_waitcnt lgkmcnt(3)
	v_add_nc_u32_e32 v7, v16, v7
	v_add_nc_u32_e32 v16, v17, v7
	s_waitcnt lgkmcnt(2)
	v_add_nc_u32_e32 v17, v18, v16
	v_add_nc_u32_e32 v18, v19, v17
	;; [unrolled: 3-line block ×3, first 2 shown]
	s_waitcnt lgkmcnt(0)
	v_add_nc_u32_e32 v21, v22, v20
	ds_write2_b32 v10, v7, v16 offset0:1 offset1:2
	ds_write2_b32 v10, v17, v18 offset0:3 offset1:4
	;; [unrolled: 1-line block ×3, first 2 shown]
	ds_write_b32 v10, v21 offset:28
.LBB224_46:                             ;   in Loop: Header=BB224_42 Depth=1
	s_or_b32 exec_lo, exec_lo, s22
	v_mov_b32_e32 v7, 0
	s_waitcnt lgkmcnt(0)
	s_barrier
	buffer_gl0_inv
	s_and_saveexec_b32 s22, s0
; %bb.47:                               ;   in Loop: Header=BB224_42 Depth=1
	ds_read_b32 v7, v0
; %bb.48:                               ;   in Loop: Header=BB224_42 Depth=1
	s_or_b32 exec_lo, exec_lo, s22
	ds_read_b32 v16, v5 offset:1048
	s_mov_b32 s22, exec_lo
	s_waitcnt lgkmcnt(0)
	s_barrier
	buffer_gl0_inv
	v_cmpx_ne_u32_e32 0, v2
	s_cbranch_execz .LBB224_50
; %bb.49:                               ;   in Loop: Header=BB224_42 Depth=1
	v_add_nc_u32_e32 v22, v7, v3
	v_mad_u64_u32 v[17:18], null, s14, v22, 0
	v_mad_u64_u32 v[19:20], null, s4, v22, 0
	v_mov_b32_e32 v2, v18
	v_mov_b32_e32 v7, v20
	v_mad_u64_u32 v[20:21], null, s15, v22, v[2:3]
	v_mad_u64_u32 v[21:22], null, s5, v22, v[7:8]
	v_mov_b32_e32 v18, v20
	v_mov_b32_e32 v20, v21
	v_lshlrev_b64 v[17:18], 1, v[17:18]
	v_lshlrev_b64 v[19:20], 3, v[19:20]
	v_add_co_u32 v17, vcc_lo, s17, v17
	v_add_co_ci_u32_e64 v18, null, s18, v18, vcc_lo
	v_add_co_u32 v19, vcc_lo, s19, v19
	v_add_co_ci_u32_e64 v20, null, s20, v20, vcc_lo
	global_store_short v[17:18], v15, off
	global_store_dwordx2 v[19:20], v[4:5], off
.LBB224_50:                             ;   in Loop: Header=BB224_42 Depth=1
	s_or_b32 exec_lo, exec_lo, s22
	v_mov_b32_e32 v2, v5
	v_cmp_le_u64_e32 vcc_lo, s[10:11], v[1:2]
	s_cbranch_vccnz .LBB224_41
; %bb.51:                               ;   in Loop: Header=BB224_42 Depth=1
	ds_write_b32 v8, v6
	s_waitcnt lgkmcnt(0)
	s_waitcnt_vscnt null, 0x0
	s_barrier
	buffer_gl0_inv
	s_and_saveexec_b32 s22, s2
	s_cbranch_execz .LBB224_53
; %bb.52:                               ;   in Loop: Header=BB224_42 Depth=1
	ds_read2_b32 v[17:18], v10 offset1:1
	ds_read2_b32 v[19:20], v10 offset0:2 offset1:3
	ds_read2_b32 v[21:22], v10 offset0:4 offset1:5
	;; [unrolled: 1-line block ×3, first 2 shown]
	v_cmp_ne_u32_e32 vcc_lo, 0, v11
	; wave barrier
	s_waitcnt lgkmcnt(3)
	v_add_nc_u32_e32 v2, v18, v17
	s_waitcnt lgkmcnt(2)
	v_add3_u32 v2, v2, v19, v20
	s_waitcnt lgkmcnt(1)
	v_add3_u32 v2, v2, v21, v22
	s_waitcnt lgkmcnt(0)
	v_add3_u32 v2, v2, v23, v24
	v_mov_b32_dpp v7, v2 row_shr:1 row_mask:0xf bank_mask:0xf
	v_cndmask_b32_e32 v7, 0, v7, vcc_lo
	v_cmp_lt_u32_e32 vcc_lo, 1, v11
	v_add_nc_u32_e32 v2, v7, v2
	v_mov_b32_dpp v7, v2 row_shr:2 row_mask:0xf bank_mask:0xf
	v_cndmask_b32_e32 v7, 0, v7, vcc_lo
	v_cmp_lt_u32_e32 vcc_lo, 3, v11
	v_add_nc_u32_e32 v2, v2, v7
	v_mov_b32_dpp v7, v2 row_shr:4 row_mask:0xf bank_mask:0xf
	v_cndmask_b32_e32 v7, 0, v7, vcc_lo
	v_cmp_lt_u32_e32 vcc_lo, 7, v11
	v_add_nc_u32_e32 v2, v2, v7
	v_mov_b32_dpp v7, v2 row_shr:8 row_mask:0xf bank_mask:0xf
	v_cndmask_b32_e32 v7, 0, v7, vcc_lo
	v_cmp_gt_i32_e32 vcc_lo, 0, v13
	v_add_nc_u32_e32 v2, v2, v7
	v_cndmask_b32_e32 v18, v13, v9, vcc_lo
	ds_swizzle_b32 v7, v2 offset:swizzle(BROADCAST,32,15)
	v_lshlrev_b32_e32 v18, 2, v18
	s_waitcnt lgkmcnt(0)
	v_and_b32_e32 v7, v12, v7
	v_add_nc_u32_e32 v2, v2, v7
	ds_bpermute_b32 v2, v18, v2
	s_waitcnt lgkmcnt(0)
	v_add_nc_u32_e32 v2, v2, v17
	v_cndmask_b32_e64 v2, v2, v6, s1
	ds_write_b32 v10, v2
	; wave barrier
	ds_read2_b32 v[17:18], v10 offset0:1 offset1:2
	ds_read2_b32 v[19:20], v10 offset0:3 offset1:4
	;; [unrolled: 1-line block ×3, first 2 shown]
	ds_read_b32 v7, v10 offset:28
	s_waitcnt lgkmcnt(3)
	v_add_nc_u32_e32 v2, v17, v2
	v_add_nc_u32_e32 v17, v18, v2
	s_waitcnt lgkmcnt(2)
	v_add_nc_u32_e32 v18, v19, v17
	v_add_nc_u32_e32 v19, v20, v18
	;; [unrolled: 3-line block ×3, first 2 shown]
	s_waitcnt lgkmcnt(0)
	v_add_nc_u32_e32 v7, v7, v21
	ds_write2_b32 v10, v2, v17 offset0:1 offset1:2
	ds_write2_b32 v10, v18, v19 offset0:3 offset1:4
	;; [unrolled: 1-line block ×3, first 2 shown]
	ds_write_b32 v10, v7 offset:28
.LBB224_53:                             ;   in Loop: Header=BB224_42 Depth=1
	s_or_b32 exec_lo, exec_lo, s22
	v_mov_b32_e32 v7, 0
	s_waitcnt lgkmcnt(0)
	s_barrier
	buffer_gl0_inv
	s_and_saveexec_b32 s22, s0
; %bb.54:                               ;   in Loop: Header=BB224_42 Depth=1
	ds_read_b32 v7, v0
; %bb.55:                               ;   in Loop: Header=BB224_42 Depth=1
	s_or_b32 exec_lo, exec_lo, s22
	ds_read_b32 v2, v5 offset:1048
	s_mov_b32 s22, exec_lo
	s_waitcnt lgkmcnt(0)
	s_barrier
	buffer_gl0_inv
	v_cmpx_ne_u32_e32 0, v6
	s_cbranch_execz .LBB224_40
; %bb.56:                               ;   in Loop: Header=BB224_42 Depth=1
	v_add_nc_u32_e32 v6, v7, v1
	v_mov_b32_e32 v7, v5
	v_cmp_gt_u64_e32 vcc_lo, s[10:11], v[6:7]
	s_and_b32 exec_lo, exec_lo, vcc_lo
	s_cbranch_execz .LBB224_40
; %bb.57:                               ;   in Loop: Header=BB224_42 Depth=1
	v_mad_u64_u32 v[17:18], null, s14, v6, 0
	v_mad_u64_u32 v[19:20], null, s4, v6, 0
	v_mov_b32_e32 v7, v18
	v_mov_b32_e32 v18, v20
	v_mad_u64_u32 v[20:21], null, s15, v6, v[7:8]
	v_mad_u64_u32 v[6:7], null, s5, v6, v[18:19]
	v_mov_b32_e32 v18, v20
	v_mov_b32_e32 v20, v6
	v_lshlrev_b64 v[6:7], 1, v[17:18]
	v_lshlrev_b64 v[17:18], 3, v[19:20]
	v_add_co_u32 v6, vcc_lo, s17, v6
	v_add_co_ci_u32_e64 v7, null, s18, v7, vcc_lo
	v_add_co_u32 v17, vcc_lo, s19, v17
	v_add_co_ci_u32_e64 v18, null, s20, v18, vcc_lo
	global_store_short v[6:7], v15, off
	global_store_dwordx2 v[17:18], v[4:5], off
	s_branch .LBB224_40
	.p2align	6
.LBB224_58:                             ;   in Loop: Header=BB224_59 Depth=1
	s_add_u32 s12, s12, 4
	s_addc_u32 s13, s13, 0
	s_waitcnt lgkmcnt(0)
	s_add_i32 s35, s3, s35
	s_add_u32 s14, s14, 4
	s_addc_u32 s15, s15, 0
	s_add_i32 s2, s2, 1
	s_cmp_lt_u32 s2, s7
	s_cbranch_scc0 .LBB224_37
.LBB224_59:                             ; =>This Inner Loop Header: Depth=1
	s_load_dword s3, s[12:13], 0x0
	s_cmp_ge_u32 s2, s50
	s_cbranch_scc1 .LBB224_58
; %bb.60:                               ;   in Loop: Header=BB224_59 Depth=1
	s_load_dword s44, s[14:15], 0x0
	s_waitcnt lgkmcnt(0)
	s_add_i32 s19, s3, s19
	s_add_i32 s18, s44, s18
	s_branch .LBB224_58
.LBB224_61:
	s_endpgm
	.section	.rodata,"a",@progbits
	.p2align	6, 0x0
	.amdhsa_kernel _ZN2at6native6mbtopk10gatherTopKIN3c108BFloat16EmLin1EEEvNS_4cuda6detail10TensorInfoIKT_T0_EESA_SA_bjSA_NS7_IS8_SA_EESA_NS7_IlSA_EESA_jjPS8_PjSF_j
		.amdhsa_group_segment_fixed_size 1068
		.amdhsa_private_segment_fixed_size 0
		.amdhsa_kernarg_size 1592
		.amdhsa_user_sgpr_count 6
		.amdhsa_user_sgpr_private_segment_buffer 1
		.amdhsa_user_sgpr_dispatch_ptr 0
		.amdhsa_user_sgpr_queue_ptr 0
		.amdhsa_user_sgpr_kernarg_segment_ptr 1
		.amdhsa_user_sgpr_dispatch_id 0
		.amdhsa_user_sgpr_flat_scratch_init 0
		.amdhsa_user_sgpr_private_segment_size 0
		.amdhsa_wavefront_size32 1
		.amdhsa_uses_dynamic_stack 0
		.amdhsa_system_sgpr_private_segment_wavefront_offset 0
		.amdhsa_system_sgpr_workgroup_id_x 1
		.amdhsa_system_sgpr_workgroup_id_y 1
		.amdhsa_system_sgpr_workgroup_id_z 1
		.amdhsa_system_sgpr_workgroup_info 0
		.amdhsa_system_vgpr_workitem_id 0
		.amdhsa_next_free_vgpr 25
		.amdhsa_next_free_sgpr 54
		.amdhsa_reserve_vcc 1
		.amdhsa_reserve_flat_scratch 0
		.amdhsa_float_round_mode_32 0
		.amdhsa_float_round_mode_16_64 0
		.amdhsa_float_denorm_mode_32 3
		.amdhsa_float_denorm_mode_16_64 3
		.amdhsa_dx10_clamp 1
		.amdhsa_ieee_mode 1
		.amdhsa_fp16_overflow 0
		.amdhsa_workgroup_processor_mode 1
		.amdhsa_memory_ordered 1
		.amdhsa_forward_progress 1
		.amdhsa_shared_vgpr_count 0
		.amdhsa_exception_fp_ieee_invalid_op 0
		.amdhsa_exception_fp_denorm_src 0
		.amdhsa_exception_fp_ieee_div_zero 0
		.amdhsa_exception_fp_ieee_overflow 0
		.amdhsa_exception_fp_ieee_underflow 0
		.amdhsa_exception_fp_ieee_inexact 0
		.amdhsa_exception_int_div_zero 0
	.end_amdhsa_kernel
	.section	.text._ZN2at6native6mbtopk10gatherTopKIN3c108BFloat16EmLin1EEEvNS_4cuda6detail10TensorInfoIKT_T0_EESA_SA_bjSA_NS7_IS8_SA_EESA_NS7_IlSA_EESA_jjPS8_PjSF_j,"axG",@progbits,_ZN2at6native6mbtopk10gatherTopKIN3c108BFloat16EmLin1EEEvNS_4cuda6detail10TensorInfoIKT_T0_EESA_SA_bjSA_NS7_IS8_SA_EESA_NS7_IlSA_EESA_jjPS8_PjSF_j,comdat
.Lfunc_end224:
	.size	_ZN2at6native6mbtopk10gatherTopKIN3c108BFloat16EmLin1EEEvNS_4cuda6detail10TensorInfoIKT_T0_EESA_SA_bjSA_NS7_IS8_SA_EESA_NS7_IlSA_EESA_jjPS8_PjSF_j, .Lfunc_end224-_ZN2at6native6mbtopk10gatherTopKIN3c108BFloat16EmLin1EEEvNS_4cuda6detail10TensorInfoIKT_T0_EESA_SA_bjSA_NS7_IS8_SA_EESA_NS7_IlSA_EESA_jjPS8_PjSF_j
                                        ; -- End function
	.set _ZN2at6native6mbtopk10gatherTopKIN3c108BFloat16EmLin1EEEvNS_4cuda6detail10TensorInfoIKT_T0_EESA_SA_bjSA_NS7_IS8_SA_EESA_NS7_IlSA_EESA_jjPS8_PjSF_j.num_vgpr, 25
	.set _ZN2at6native6mbtopk10gatherTopKIN3c108BFloat16EmLin1EEEvNS_4cuda6detail10TensorInfoIKT_T0_EESA_SA_bjSA_NS7_IS8_SA_EESA_NS7_IlSA_EESA_jjPS8_PjSF_j.num_agpr, 0
	.set _ZN2at6native6mbtopk10gatherTopKIN3c108BFloat16EmLin1EEEvNS_4cuda6detail10TensorInfoIKT_T0_EESA_SA_bjSA_NS7_IS8_SA_EESA_NS7_IlSA_EESA_jjPS8_PjSF_j.numbered_sgpr, 54
	.set _ZN2at6native6mbtopk10gatherTopKIN3c108BFloat16EmLin1EEEvNS_4cuda6detail10TensorInfoIKT_T0_EESA_SA_bjSA_NS7_IS8_SA_EESA_NS7_IlSA_EESA_jjPS8_PjSF_j.num_named_barrier, 0
	.set _ZN2at6native6mbtopk10gatherTopKIN3c108BFloat16EmLin1EEEvNS_4cuda6detail10TensorInfoIKT_T0_EESA_SA_bjSA_NS7_IS8_SA_EESA_NS7_IlSA_EESA_jjPS8_PjSF_j.private_seg_size, 0
	.set _ZN2at6native6mbtopk10gatherTopKIN3c108BFloat16EmLin1EEEvNS_4cuda6detail10TensorInfoIKT_T0_EESA_SA_bjSA_NS7_IS8_SA_EESA_NS7_IlSA_EESA_jjPS8_PjSF_j.uses_vcc, 1
	.set _ZN2at6native6mbtopk10gatherTopKIN3c108BFloat16EmLin1EEEvNS_4cuda6detail10TensorInfoIKT_T0_EESA_SA_bjSA_NS7_IS8_SA_EESA_NS7_IlSA_EESA_jjPS8_PjSF_j.uses_flat_scratch, 0
	.set _ZN2at6native6mbtopk10gatherTopKIN3c108BFloat16EmLin1EEEvNS_4cuda6detail10TensorInfoIKT_T0_EESA_SA_bjSA_NS7_IS8_SA_EESA_NS7_IlSA_EESA_jjPS8_PjSF_j.has_dyn_sized_stack, 0
	.set _ZN2at6native6mbtopk10gatherTopKIN3c108BFloat16EmLin1EEEvNS_4cuda6detail10TensorInfoIKT_T0_EESA_SA_bjSA_NS7_IS8_SA_EESA_NS7_IlSA_EESA_jjPS8_PjSF_j.has_recursion, 0
	.set _ZN2at6native6mbtopk10gatherTopKIN3c108BFloat16EmLin1EEEvNS_4cuda6detail10TensorInfoIKT_T0_EESA_SA_bjSA_NS7_IS8_SA_EESA_NS7_IlSA_EESA_jjPS8_PjSF_j.has_indirect_call, 0
	.section	.AMDGPU.csdata,"",@progbits
; Kernel info:
; codeLenInByte = 3472
; TotalNumSgprs: 56
; NumVgprs: 25
; ScratchSize: 0
; MemoryBound: 0
; FloatMode: 240
; IeeeMode: 1
; LDSByteSize: 1068 bytes/workgroup (compile time only)
; SGPRBlocks: 0
; VGPRBlocks: 3
; NumSGPRsForWavesPerEU: 56
; NumVGPRsForWavesPerEU: 25
; Occupancy: 16
; WaveLimiterHint : 1
; COMPUTE_PGM_RSRC2:SCRATCH_EN: 0
; COMPUTE_PGM_RSRC2:USER_SGPR: 6
; COMPUTE_PGM_RSRC2:TRAP_HANDLER: 0
; COMPUTE_PGM_RSRC2:TGID_X_EN: 1
; COMPUTE_PGM_RSRC2:TGID_Y_EN: 1
; COMPUTE_PGM_RSRC2:TGID_Z_EN: 1
; COMPUTE_PGM_RSRC2:TIDIG_COMP_CNT: 0
	.section	.text._ZN2at6native6sbtopk10gatherTopKIN3c108BFloat16EmLin1ELb0EEEvNS_4cuda6detail10TensorInfoIKT_T0_EESA_SA_bSA_SA_NS7_IS8_SA_EESA_NS7_IlSA_EESA_PS8_,"axG",@progbits,_ZN2at6native6sbtopk10gatherTopKIN3c108BFloat16EmLin1ELb0EEEvNS_4cuda6detail10TensorInfoIKT_T0_EESA_SA_bSA_SA_NS7_IS8_SA_EESA_NS7_IlSA_EESA_PS8_,comdat
	.protected	_ZN2at6native6sbtopk10gatherTopKIN3c108BFloat16EmLin1ELb0EEEvNS_4cuda6detail10TensorInfoIKT_T0_EESA_SA_bSA_SA_NS7_IS8_SA_EESA_NS7_IlSA_EESA_PS8_ ; -- Begin function _ZN2at6native6sbtopk10gatherTopKIN3c108BFloat16EmLin1ELb0EEEvNS_4cuda6detail10TensorInfoIKT_T0_EESA_SA_bSA_SA_NS7_IS8_SA_EESA_NS7_IlSA_EESA_PS8_
	.globl	_ZN2at6native6sbtopk10gatherTopKIN3c108BFloat16EmLin1ELb0EEEvNS_4cuda6detail10TensorInfoIKT_T0_EESA_SA_bSA_SA_NS7_IS8_SA_EESA_NS7_IlSA_EESA_PS8_
	.p2align	8
	.type	_ZN2at6native6sbtopk10gatherTopKIN3c108BFloat16EmLin1ELb0EEEvNS_4cuda6detail10TensorInfoIKT_T0_EESA_SA_bSA_SA_NS7_IS8_SA_EESA_NS7_IlSA_EESA_PS8_,@function
_ZN2at6native6sbtopk10gatherTopKIN3c108BFloat16EmLin1ELb0EEEvNS_4cuda6detail10TensorInfoIKT_T0_EESA_SA_bSA_SA_NS7_IS8_SA_EESA_NS7_IlSA_EESA_PS8_: ; @_ZN2at6native6sbtopk10gatherTopKIN3c108BFloat16EmLin1ELb0EEEvNS_4cuda6detail10TensorInfoIKT_T0_EESA_SA_bSA_SA_NS7_IS8_SA_EESA_NS7_IlSA_EESA_PS8_
; %bb.0:
	s_clause 0x1
	s_load_dwordx2 s[14:15], s[4:5], 0x520
	s_load_dwordx4 s[28:31], s[4:5], 0x1b8
	s_add_u32 s12, s4, 0x520
	s_addc_u32 s13, s5, 0
	s_mov_b32 s3, 0
	s_waitcnt lgkmcnt(0)
	s_mul_i32 s0, s15, s8
	s_add_i32 s0, s0, s7
	s_mul_i32 s0, s0, s14
	s_add_i32 s2, s0, s6
	v_cmp_le_u64_e64 s0, s[28:29], s[2:3]
	s_and_b32 vcc_lo, exec_lo, s0
	s_cbranch_vccnz .LBB225_498
; %bb.1:
	s_load_dword s7, s[4:5], 0x198
	s_mov_b64 s[0:1], 0
	s_mov_b64 s[8:9], s[2:3]
	s_waitcnt lgkmcnt(0)
	s_cmp_lt_i32 s7, 2
	s_cbranch_scc1 .LBB225_9
; %bb.2:
	s_mov_b32 s10, 0
	s_add_i32 s0, s7, -1
	s_mov_b32 s1, s10
	s_add_i32 s7, s7, 1
	s_lshl_b64 s[8:9], s[0:1], 3
	s_mov_b64 s[0:1], 0
	s_add_u32 s8, s4, s8
	s_addc_u32 s9, s5, s9
	s_add_u32 s16, s8, 8
	s_addc_u32 s17, s9, 0
	s_mov_b64 s[18:19], s[2:3]
.LBB225_3:                              ; =>This Inner Loop Header: Depth=1
	s_load_dwordx2 s[20:21], s[16:17], 0x0
	s_waitcnt lgkmcnt(0)
	s_or_b64 s[8:9], s[18:19], s[20:21]
	s_mov_b32 s11, s9
                                        ; implicit-def: $sgpr8_sgpr9
	s_cmp_lg_u64 s[10:11], 0
	s_mov_b32 s11, -1
	s_cbranch_scc0 .LBB225_5
; %bb.4:                                ;   in Loop: Header=BB225_3 Depth=1
	v_cvt_f32_u32_e32 v1, s20
	v_cvt_f32_u32_e32 v2, s21
	s_sub_u32 s11, 0, s20
	s_subb_u32 s15, 0, s21
	v_fmac_f32_e32 v1, 0x4f800000, v2
	v_rcp_f32_e32 v1, v1
	v_mul_f32_e32 v1, 0x5f7ffffc, v1
	v_mul_f32_e32 v2, 0x2f800000, v1
	v_trunc_f32_e32 v2, v2
	v_fmac_f32_e32 v1, 0xcf800000, v2
	v_cvt_u32_f32_e32 v2, v2
	v_cvt_u32_f32_e32 v1, v1
	v_readfirstlane_b32 s8, v2
	v_readfirstlane_b32 s9, v1
	s_mul_i32 s22, s11, s8
	s_mul_hi_u32 s24, s11, s9
	s_mul_i32 s23, s15, s9
	s_add_i32 s22, s24, s22
	s_mul_i32 s25, s11, s9
	s_add_i32 s22, s22, s23
	s_mul_hi_u32 s24, s9, s25
	s_mul_i32 s27, s9, s22
	s_mul_hi_u32 s26, s8, s25
	s_mul_i32 s23, s8, s25
	s_mul_hi_u32 s25, s9, s22
	s_add_u32 s24, s24, s27
	s_addc_u32 s25, 0, s25
	s_mul_hi_u32 s28, s8, s22
	s_add_u32 s23, s24, s23
	s_mul_i32 s22, s8, s22
	s_addc_u32 s23, s25, s26
	s_addc_u32 s24, s28, 0
	s_add_u32 s22, s23, s22
	s_addc_u32 s23, 0, s24
	s_add_u32 s9, s9, s22
	s_cselect_b32 s22, -1, 0
	s_mul_hi_u32 s24, s11, s9
	s_cmp_lg_u32 s22, 0
	s_mul_i32 s22, s11, s9
	s_addc_u32 s8, s8, s23
	s_mul_i32 s15, s15, s9
	s_mul_i32 s11, s11, s8
	s_mul_hi_u32 s23, s9, s22
	s_add_i32 s11, s24, s11
	s_mul_hi_u32 s24, s8, s22
	s_add_i32 s11, s11, s15
	s_mul_i32 s15, s8, s22
	s_mul_i32 s26, s9, s11
	s_mul_hi_u32 s25, s9, s11
	s_add_u32 s23, s23, s26
	s_addc_u32 s25, 0, s25
	s_mul_hi_u32 s22, s8, s11
	s_add_u32 s15, s23, s15
	s_mul_i32 s11, s8, s11
	s_addc_u32 s15, s25, s24
	s_addc_u32 s22, s22, 0
	s_add_u32 s11, s15, s11
	s_addc_u32 s15, 0, s22
	s_add_u32 s9, s9, s11
	s_cselect_b32 s11, -1, 0
	s_mul_hi_u32 s22, s18, s9
	s_cmp_lg_u32 s11, 0
	s_mul_hi_u32 s11, s19, s9
	s_addc_u32 s8, s8, s15
	s_mul_i32 s9, s19, s9
	s_mul_i32 s23, s18, s8
	s_mul_hi_u32 s15, s18, s8
	s_add_u32 s22, s22, s23
	s_addc_u32 s15, 0, s15
	s_mul_hi_u32 s24, s19, s8
	s_add_u32 s9, s22, s9
	s_mul_i32 s8, s19, s8
	s_addc_u32 s9, s15, s11
	s_addc_u32 s11, s24, 0
	s_add_u32 s8, s9, s8
	s_addc_u32 s9, 0, s11
	s_mul_hi_u32 s11, s20, s8
	s_mul_i32 s15, s20, s9
	s_mul_i32 s22, s21, s8
	s_add_i32 s11, s11, s15
	s_mul_i32 s15, s20, s8
	s_add_i32 s11, s11, s22
	s_sub_i32 s22, s19, s11
	s_sub_u32 s15, s18, s15
	s_cselect_b32 s23, -1, 0
	s_cmp_lg_u32 s23, 0
	s_subb_u32 s22, s22, s21
	s_sub_u32 s24, s15, s20
	s_cselect_b32 s25, -1, 0
	s_cmp_lg_u32 s25, 0
	s_subb_u32 s22, s22, 0
	s_cmp_ge_u32 s22, s21
	s_cselect_b32 s25, -1, 0
	s_cmp_ge_u32 s24, s20
	s_cselect_b32 s24, -1, 0
	s_cmp_eq_u32 s22, s21
	s_cselect_b32 s22, s24, s25
	s_add_u32 s24, s8, 1
	s_addc_u32 s25, s9, 0
	s_add_u32 s26, s8, 2
	s_addc_u32 s27, s9, 0
	s_cmp_lg_u32 s22, 0
	s_cselect_b32 s22, s26, s24
	s_cselect_b32 s24, s27, s25
	s_cmp_lg_u32 s23, 0
	s_subb_u32 s11, s19, s11
	s_cmp_ge_u32 s11, s21
	s_cselect_b32 s23, -1, 0
	s_cmp_ge_u32 s15, s20
	s_cselect_b32 s15, -1, 0
	s_cmp_eq_u32 s11, s21
	s_cselect_b32 s11, s15, s23
	s_cmp_lg_u32 s11, 0
	s_mov_b32 s11, 0
	s_cselect_b32 s9, s24, s9
	s_cselect_b32 s8, s22, s8
.LBB225_5:                              ;   in Loop: Header=BB225_3 Depth=1
	s_andn2_b32 vcc_lo, exec_lo, s11
	s_cbranch_vccnz .LBB225_7
; %bb.6:                                ;   in Loop: Header=BB225_3 Depth=1
	v_cvt_f32_u32_e32 v1, s20
	s_sub_i32 s9, 0, s20
	v_rcp_iflag_f32_e32 v1, v1
	v_mul_f32_e32 v1, 0x4f7ffffe, v1
	v_cvt_u32_f32_e32 v1, v1
	v_readfirstlane_b32 s8, v1
	s_mul_i32 s9, s9, s8
	s_mul_hi_u32 s9, s8, s9
	s_add_i32 s8, s8, s9
	s_mul_hi_u32 s8, s18, s8
	s_mul_i32 s9, s8, s20
	s_add_i32 s11, s8, 1
	s_sub_i32 s9, s18, s9
	s_sub_i32 s15, s9, s20
	s_cmp_ge_u32 s9, s20
	s_cselect_b32 s8, s11, s8
	s_cselect_b32 s9, s15, s9
	s_add_i32 s11, s8, 1
	s_cmp_ge_u32 s9, s20
	s_mov_b32 s9, s10
	s_cselect_b32 s8, s11, s8
.LBB225_7:                              ;   in Loop: Header=BB225_3 Depth=1
	s_load_dwordx2 s[22:23], s[16:17], 0xc8
	s_mul_i32 s11, s8, s21
	s_mul_hi_u32 s15, s8, s20
	s_mul_i32 s21, s9, s20
	s_add_i32 s11, s15, s11
	s_mul_i32 s15, s8, s20
	s_add_i32 s11, s11, s21
	s_sub_u32 s15, s18, s15
	s_subb_u32 s11, s19, s11
	s_waitcnt lgkmcnt(0)
	s_mul_i32 s11, s22, s11
	s_mul_hi_u32 s18, s22, s15
	s_mul_i32 s19, s23, s15
	s_add_i32 s11, s18, s11
	s_mul_i32 s15, s22, s15
	s_add_i32 s11, s11, s19
	s_add_u32 s0, s15, s0
	s_addc_u32 s1, s11, s1
	s_add_i32 s7, s7, -1
	s_add_u32 s16, s16, -8
	s_addc_u32 s17, s17, -1
	s_cmp_gt_u32 s7, 2
	s_cbranch_scc0 .LBB225_9
; %bb.8:                                ;   in Loop: Header=BB225_3 Depth=1
	s_mov_b64 s[18:19], s[8:9]
	s_branch .LBB225_3
.LBB225_9:
	s_clause 0x1
	s_load_dword s7, s[4:5], 0x360
	s_load_dwordx2 s[10:11], s[4:5], 0xd0
	s_add_u32 s16, s4, 0x1c8
	s_addc_u32 s17, s5, 0
	s_mov_b64 s[28:29], 0
	s_mov_b64 s[34:35], s[2:3]
	s_waitcnt lgkmcnt(0)
	s_cmp_lt_i32 s7, 2
	s_cbranch_scc1 .LBB225_17
; %bb.10:
	s_mov_b32 s18, 0
	s_add_i32 s20, s7, -1
	s_mov_b32 s21, s18
	s_add_i32 s7, s7, 1
	s_lshl_b64 s[20:21], s[20:21], 3
	s_mov_b64 s[22:23], s[2:3]
	s_add_u32 s15, s16, s20
	s_addc_u32 s19, s17, s21
	s_add_u32 s20, s15, 8
	s_addc_u32 s21, s19, 0
.LBB225_11:                             ; =>This Inner Loop Header: Depth=1
	s_load_dwordx2 s[24:25], s[20:21], 0x0
	s_mov_b32 s15, -1
                                        ; implicit-def: $sgpr34_sgpr35
	s_waitcnt lgkmcnt(0)
	s_or_b64 s[26:27], s[22:23], s[24:25]
	s_mov_b32 s19, s27
	s_cmp_lg_u64 s[18:19], 0
	s_cbranch_scc0 .LBB225_13
; %bb.12:                               ;   in Loop: Header=BB225_11 Depth=1
	v_cvt_f32_u32_e32 v1, s24
	v_cvt_f32_u32_e32 v2, s25
	s_sub_u32 s26, 0, s24
	s_subb_u32 s27, 0, s25
	v_fmac_f32_e32 v1, 0x4f800000, v2
	v_rcp_f32_e32 v1, v1
	v_mul_f32_e32 v1, 0x5f7ffffc, v1
	v_mul_f32_e32 v2, 0x2f800000, v1
	v_trunc_f32_e32 v2, v2
	v_fmac_f32_e32 v1, 0xcf800000, v2
	v_cvt_u32_f32_e32 v2, v2
	v_cvt_u32_f32_e32 v1, v1
	v_readfirstlane_b32 s15, v2
	v_readfirstlane_b32 s19, v1
	s_mul_i32 s33, s26, s15
	s_mul_hi_u32 s35, s26, s19
	s_mul_i32 s34, s27, s19
	s_add_i32 s33, s35, s33
	s_mul_i32 s36, s26, s19
	s_add_i32 s33, s33, s34
	s_mul_hi_u32 s35, s19, s36
	s_mul_i32 s38, s19, s33
	s_mul_hi_u32 s37, s15, s36
	s_mul_i32 s34, s15, s36
	s_mul_hi_u32 s36, s19, s33
	s_add_u32 s35, s35, s38
	s_addc_u32 s36, 0, s36
	s_mul_hi_u32 s39, s15, s33
	s_add_u32 s34, s35, s34
	s_mul_i32 s33, s15, s33
	s_addc_u32 s34, s36, s37
	s_addc_u32 s35, s39, 0
	s_add_u32 s33, s34, s33
	s_addc_u32 s34, 0, s35
	s_add_u32 s19, s19, s33
	s_cselect_b32 s33, -1, 0
	s_mul_hi_u32 s35, s26, s19
	s_cmp_lg_u32 s33, 0
	s_mul_i32 s33, s26, s19
	s_addc_u32 s15, s15, s34
	s_mul_i32 s27, s27, s19
	s_mul_i32 s26, s26, s15
	s_mul_hi_u32 s34, s19, s33
	s_add_i32 s26, s35, s26
	s_mul_hi_u32 s35, s15, s33
	s_add_i32 s26, s26, s27
	s_mul_i32 s27, s15, s33
	s_mul_i32 s37, s19, s26
	s_mul_hi_u32 s36, s19, s26
	s_add_u32 s34, s34, s37
	s_addc_u32 s36, 0, s36
	s_mul_hi_u32 s33, s15, s26
	s_add_u32 s27, s34, s27
	s_mul_i32 s26, s15, s26
	s_addc_u32 s27, s36, s35
	s_addc_u32 s33, s33, 0
	s_add_u32 s26, s27, s26
	s_addc_u32 s27, 0, s33
	s_add_u32 s19, s19, s26
	s_cselect_b32 s26, -1, 0
	s_mul_hi_u32 s33, s22, s19
	s_cmp_lg_u32 s26, 0
	s_mul_hi_u32 s26, s23, s19
	s_addc_u32 s15, s15, s27
	s_mul_i32 s19, s23, s19
	s_mul_i32 s34, s22, s15
	s_mul_hi_u32 s27, s22, s15
	s_add_u32 s33, s33, s34
	s_addc_u32 s27, 0, s27
	s_mul_hi_u32 s35, s23, s15
	s_add_u32 s19, s33, s19
	s_mul_i32 s15, s23, s15
	s_addc_u32 s19, s27, s26
	s_addc_u32 s26, s35, 0
	s_add_u32 s15, s19, s15
	s_addc_u32 s19, 0, s26
	s_mul_hi_u32 s26, s24, s15
	s_mul_i32 s27, s24, s19
	s_mul_i32 s33, s25, s15
	s_add_i32 s26, s26, s27
	s_mul_i32 s27, s24, s15
	s_add_i32 s26, s26, s33
	s_sub_i32 s33, s23, s26
	s_sub_u32 s27, s22, s27
	s_cselect_b32 s34, -1, 0
	s_cmp_lg_u32 s34, 0
	s_subb_u32 s33, s33, s25
	s_sub_u32 s35, s27, s24
	s_cselect_b32 s36, -1, 0
	s_cmp_lg_u32 s36, 0
	s_subb_u32 s33, s33, 0
	s_cmp_ge_u32 s33, s25
	s_cselect_b32 s36, -1, 0
	s_cmp_ge_u32 s35, s24
	s_cselect_b32 s35, -1, 0
	s_cmp_eq_u32 s33, s25
	s_cselect_b32 s33, s35, s36
	s_add_u32 s35, s15, 1
	s_addc_u32 s36, s19, 0
	s_add_u32 s37, s15, 2
	s_addc_u32 s38, s19, 0
	s_cmp_lg_u32 s33, 0
	s_cselect_b32 s33, s37, s35
	s_cselect_b32 s35, s38, s36
	s_cmp_lg_u32 s34, 0
	s_subb_u32 s26, s23, s26
	s_cmp_ge_u32 s26, s25
	s_cselect_b32 s34, -1, 0
	s_cmp_ge_u32 s27, s24
	s_cselect_b32 s27, -1, 0
	s_cmp_eq_u32 s26, s25
	s_cselect_b32 s26, s27, s34
	s_cmp_lg_u32 s26, 0
	s_cselect_b32 s35, s35, s19
	s_cselect_b32 s34, s33, s15
	s_mov_b32 s15, 0
.LBB225_13:                             ;   in Loop: Header=BB225_11 Depth=1
	s_andn2_b32 vcc_lo, exec_lo, s15
	s_cbranch_vccnz .LBB225_15
; %bb.14:                               ;   in Loop: Header=BB225_11 Depth=1
	v_cvt_f32_u32_e32 v1, s24
	s_sub_i32 s19, 0, s24
	s_mov_b32 s35, s18
	v_rcp_iflag_f32_e32 v1, v1
	v_mul_f32_e32 v1, 0x4f7ffffe, v1
	v_cvt_u32_f32_e32 v1, v1
	v_readfirstlane_b32 s15, v1
	s_mul_i32 s19, s19, s15
	s_mul_hi_u32 s19, s15, s19
	s_add_i32 s15, s15, s19
	s_mul_hi_u32 s15, s22, s15
	s_mul_i32 s19, s15, s24
	s_add_i32 s26, s15, 1
	s_sub_i32 s19, s22, s19
	s_sub_i32 s27, s19, s24
	s_cmp_ge_u32 s19, s24
	s_cselect_b32 s15, s26, s15
	s_cselect_b32 s19, s27, s19
	s_add_i32 s26, s15, 1
	s_cmp_ge_u32 s19, s24
	s_cselect_b32 s34, s26, s15
.LBB225_15:                             ;   in Loop: Header=BB225_11 Depth=1
	s_load_dwordx2 s[26:27], s[20:21], 0xc8
	s_mul_i32 s15, s34, s25
	s_mul_hi_u32 s19, s34, s24
	s_mul_i32 s25, s35, s24
	s_add_i32 s15, s19, s15
	s_mul_i32 s19, s34, s24
	s_add_i32 s15, s15, s25
	s_sub_u32 s19, s22, s19
	s_subb_u32 s15, s23, s15
	s_waitcnt lgkmcnt(0)
	s_mul_i32 s15, s26, s15
	s_mul_hi_u32 s22, s26, s19
	s_mul_i32 s23, s27, s19
	s_add_i32 s15, s22, s15
	s_mul_i32 s19, s26, s19
	s_add_i32 s15, s15, s23
	s_add_u32 s28, s19, s28
	s_addc_u32 s29, s15, s29
	s_add_i32 s7, s7, -1
	s_add_u32 s20, s20, -8
	s_addc_u32 s21, s21, -1
	s_cmp_gt_u32 s7, 2
	s_cbranch_scc0 .LBB225_17
; %bb.16:                               ;   in Loop: Header=BB225_11 Depth=1
	s_mov_b64 s[22:23], s[34:35]
	s_branch .LBB225_11
.LBB225_17:
	s_clause 0x1
	s_load_dword s7, s[4:5], 0x508
	s_load_dwordx2 s[16:17], s[16:17], 0xd0
                                        ; implicit-def: $vgpr53 : SGPR spill to VGPR lane
	s_add_u32 s15, s4, 0x370
	s_mov_b64 s[44:45], 0
	s_waitcnt lgkmcnt(0)
	v_writelane_b32 v53, s16, 0
	v_writelane_b32 v53, s17, 1
	s_addc_u32 s17, s5, 0
	s_cmp_lt_i32 s7, 2
	s_cbranch_scc1 .LBB225_25
; %bb.18:
	s_mov_b32 s16, 0
	s_add_i32 s18, s7, -1
	s_mov_b32 s19, s16
	s_add_i32 s7, s7, 1
	s_lshl_b64 s[18:19], s[18:19], 3
	s_add_u32 s15, s15, s18
	s_addc_u32 s17, s17, s19
	s_add_u32 s18, s15, 8
	s_addc_u32 s19, s17, 0
.LBB225_19:                             ; =>This Inner Loop Header: Depth=1
	s_load_dwordx2 s[20:21], s[18:19], 0x0
	s_mov_b32 s15, -1
                                        ; implicit-def: $sgpr52_sgpr53
	s_waitcnt lgkmcnt(0)
	s_or_b64 s[22:23], s[2:3], s[20:21]
	s_mov_b32 s17, s23
	s_cmp_lg_u64 s[16:17], 0
	s_cbranch_scc0 .LBB225_21
; %bb.20:                               ;   in Loop: Header=BB225_19 Depth=1
	v_cvt_f32_u32_e32 v1, s20
	v_cvt_f32_u32_e32 v2, s21
	s_sub_u32 s22, 0, s20
	s_subb_u32 s23, 0, s21
	v_fmac_f32_e32 v1, 0x4f800000, v2
	v_rcp_f32_e32 v1, v1
	v_mul_f32_e32 v1, 0x5f7ffffc, v1
	v_mul_f32_e32 v2, 0x2f800000, v1
	v_trunc_f32_e32 v2, v2
	v_fmac_f32_e32 v1, 0xcf800000, v2
	v_cvt_u32_f32_e32 v2, v2
	v_cvt_u32_f32_e32 v1, v1
	v_readfirstlane_b32 s15, v2
	v_readfirstlane_b32 s17, v1
	s_mul_i32 s24, s22, s15
	s_mul_hi_u32 s26, s22, s17
	s_mul_i32 s25, s23, s17
	s_add_i32 s24, s26, s24
	s_mul_i32 s27, s22, s17
	s_add_i32 s24, s24, s25
	s_mul_hi_u32 s26, s17, s27
	s_mul_i32 s36, s17, s24
	s_mul_hi_u32 s33, s15, s27
	s_mul_i32 s25, s15, s27
	s_mul_hi_u32 s27, s17, s24
	s_add_u32 s26, s26, s36
	s_addc_u32 s27, 0, s27
	s_mul_hi_u32 s37, s15, s24
	s_add_u32 s25, s26, s25
	s_mul_i32 s24, s15, s24
	s_addc_u32 s25, s27, s33
	s_addc_u32 s26, s37, 0
	s_add_u32 s24, s25, s24
	s_addc_u32 s25, 0, s26
	s_add_u32 s17, s17, s24
	s_cselect_b32 s24, -1, 0
	s_mul_hi_u32 s26, s22, s17
	s_cmp_lg_u32 s24, 0
	s_mul_i32 s24, s22, s17
	s_addc_u32 s15, s15, s25
	s_mul_i32 s23, s23, s17
	s_mul_i32 s22, s22, s15
	s_mul_hi_u32 s25, s17, s24
	s_add_i32 s22, s26, s22
	s_mul_hi_u32 s26, s15, s24
	s_add_i32 s22, s22, s23
	s_mul_i32 s23, s15, s24
	s_mul_i32 s33, s17, s22
	s_mul_hi_u32 s27, s17, s22
	s_add_u32 s25, s25, s33
	s_addc_u32 s27, 0, s27
	s_mul_hi_u32 s24, s15, s22
	s_add_u32 s23, s25, s23
	s_mul_i32 s22, s15, s22
	s_addc_u32 s23, s27, s26
	s_addc_u32 s24, s24, 0
	s_add_u32 s22, s23, s22
	s_addc_u32 s23, 0, s24
	s_add_u32 s17, s17, s22
	s_cselect_b32 s22, -1, 0
	s_mul_hi_u32 s24, s2, s17
	s_cmp_lg_u32 s22, 0
	s_mul_hi_u32 s22, s3, s17
	s_addc_u32 s15, s15, s23
	s_mul_i32 s17, s3, s17
	s_mul_i32 s25, s2, s15
	s_mul_hi_u32 s23, s2, s15
	s_add_u32 s24, s24, s25
	s_addc_u32 s23, 0, s23
	s_mul_hi_u32 s26, s3, s15
	s_add_u32 s17, s24, s17
	s_mul_i32 s15, s3, s15
	s_addc_u32 s17, s23, s22
	s_addc_u32 s22, s26, 0
	s_add_u32 s15, s17, s15
	s_addc_u32 s17, 0, s22
	s_mul_hi_u32 s22, s20, s15
	s_mul_i32 s23, s20, s17
	s_mul_i32 s24, s21, s15
	s_add_i32 s22, s22, s23
	s_mul_i32 s23, s20, s15
	s_add_i32 s22, s22, s24
	s_sub_i32 s24, s3, s22
	s_sub_u32 s23, s2, s23
	s_cselect_b32 s25, -1, 0
	s_cmp_lg_u32 s25, 0
	s_subb_u32 s24, s24, s21
	s_sub_u32 s26, s23, s20
	s_cselect_b32 s27, -1, 0
	s_cmp_lg_u32 s27, 0
	s_subb_u32 s24, s24, 0
	s_cmp_ge_u32 s24, s21
	s_cselect_b32 s27, -1, 0
	s_cmp_ge_u32 s26, s20
	s_cselect_b32 s26, -1, 0
	s_cmp_eq_u32 s24, s21
	s_cselect_b32 s24, s26, s27
	s_add_u32 s26, s15, 1
	s_addc_u32 s27, s17, 0
	s_add_u32 s33, s15, 2
	s_addc_u32 s36, s17, 0
	s_cmp_lg_u32 s24, 0
	s_cselect_b32 s24, s33, s26
	s_cselect_b32 s26, s36, s27
	s_cmp_lg_u32 s25, 0
	s_subb_u32 s22, s3, s22
	s_cmp_ge_u32 s22, s21
	s_cselect_b32 s25, -1, 0
	s_cmp_ge_u32 s23, s20
	s_cselect_b32 s23, -1, 0
	s_cmp_eq_u32 s22, s21
	s_cselect_b32 s22, s23, s25
	s_cmp_lg_u32 s22, 0
	s_cselect_b32 s53, s26, s17
	s_cselect_b32 s52, s24, s15
	s_mov_b32 s15, 0
.LBB225_21:                             ;   in Loop: Header=BB225_19 Depth=1
	s_andn2_b32 vcc_lo, exec_lo, s15
	s_cbranch_vccnz .LBB225_23
; %bb.22:                               ;   in Loop: Header=BB225_19 Depth=1
	v_cvt_f32_u32_e32 v1, s20
	s_sub_i32 s17, 0, s20
	s_mov_b32 s53, s16
	v_rcp_iflag_f32_e32 v1, v1
	v_mul_f32_e32 v1, 0x4f7ffffe, v1
	v_cvt_u32_f32_e32 v1, v1
	v_readfirstlane_b32 s15, v1
	s_mul_i32 s17, s17, s15
	s_mul_hi_u32 s17, s15, s17
	s_add_i32 s15, s15, s17
	s_mul_hi_u32 s15, s2, s15
	s_mul_i32 s17, s15, s20
	s_add_i32 s22, s15, 1
	s_sub_i32 s17, s2, s17
	s_sub_i32 s23, s17, s20
	s_cmp_ge_u32 s17, s20
	s_cselect_b32 s15, s22, s15
	s_cselect_b32 s17, s23, s17
	s_add_i32 s22, s15, 1
	s_cmp_ge_u32 s17, s20
	s_cselect_b32 s52, s22, s15
.LBB225_23:                             ;   in Loop: Header=BB225_19 Depth=1
	s_load_dwordx2 s[22:23], s[18:19], 0xc8
	s_mul_i32 s15, s52, s21
	s_mul_hi_u32 s17, s52, s20
	s_mul_i32 s21, s53, s20
	s_add_i32 s15, s17, s15
	s_mul_i32 s17, s52, s20
	s_add_i32 s15, s15, s21
	s_sub_u32 s2, s2, s17
	s_subb_u32 s3, s3, s15
	s_waitcnt lgkmcnt(0)
	s_mul_i32 s3, s22, s3
	s_mul_hi_u32 s15, s22, s2
	s_mul_i32 s17, s23, s2
	s_add_i32 s3, s15, s3
	s_mul_i32 s2, s22, s2
	s_add_i32 s3, s3, s17
	s_add_u32 s44, s2, s44
	s_addc_u32 s45, s3, s45
	s_add_i32 s7, s7, -1
	s_add_u32 s18, s18, -8
	s_addc_u32 s19, s19, -1
	s_cmp_gt_u32 s7, 2
	s_cbranch_scc0 .LBB225_26
; %bb.24:                               ;   in Loop: Header=BB225_19 Depth=1
	s_mov_b64 s[2:3], s[52:53]
	s_branch .LBB225_19
.LBB225_25:
	s_mov_b64 s[52:53], s[2:3]
.LBB225_26:
	s_clause 0x2
	s_load_dwordx4 s[36:39], s[4:5], 0x1a0
	s_load_dwordx2 s[98:99], s[4:5], 0x0
	s_load_dwordx2 s[2:3], s[4:5], 0x1c8
	s_mov_b32 s61, 0
	s_waitcnt lgkmcnt(0)
	v_writelane_b32 v53, s2, 2
	v_writelane_b32 v53, s3, 3
	s_load_dwordx2 s[2:3], s[4:5], 0x370
	s_waitcnt lgkmcnt(0)
	v_writelane_b32 v53, s2, 4
	v_writelane_b32 v53, s3, 5
	v_cmp_eq_u32_e64 s3, 0, v0
	s_and_saveexec_b32 s2, s3
	s_cbranch_execz .LBB225_28
; %bb.27:
	v_mov_b32_e32 v1, 0
	v_mov_b32_e32 v3, s36
	;; [unrolled: 1-line block ×4, first 2 shown]
	ds_write_b32 v1, v1 offset:5144
	ds_write_b128 v1, v[1:4] offset:5120
.LBB225_28:
	s_or_b32 exec_lo, exec_lo, s2
	v_mad_u64_u32 v[4:5], null, s30, v0, 0
	s_load_dword s2, s[4:5], 0x1b0
	s_mul_i32 s7, s10, s9
	s_mul_hi_u32 s9, s10, s8
	s_mul_i32 s11, s11, s8
	s_add_i32 s7, s9, s7
	s_mul_i32 s8, s10, s8
	v_mov_b32_e32 v1, v5
	s_add_i32 s9, s7, s11
	s_waitcnt lgkmcnt(0)
	s_lshl_b64 s[8:9], s[8:9], 1
	s_barrier
	v_mad_u64_u32 v[1:2], null, s31, v0, v[1:2]
	s_add_u32 s16, s98, s8
	s_addc_u32 s17, s99, s9
	s_lshl_b64 s[50:51], s[0:1], 1
	buffer_gl0_inv
	s_load_dword s1, s[12:13], 0xc
	v_mbcnt_lo_u32_b32 v42, -1, 0
	v_mov_b32_e32 v5, v1
	s_add_u32 s86, s16, s50
	v_mov_b32_e32 v3, 0
	s_addc_u32 s87, s17, s51
	s_bitcmp1_b32 s2, 0
	v_lshlrev_b64 v[6:7], 1, v[4:5]
	v_cmp_gt_u32_e32 vcc_lo, 32, v0
	v_cmp_gt_i32_e64 s2, 4, v42
	v_add_nc_u32_e32 v2, 2, v0
	v_mov_b32_e32 v1, v3
	s_cselect_b32 s104, -1, 0
	v_lshlrev_b64 v[8:9], v42, -1
	s_and_b32 s89, vcc_lo, s2
	v_add_co_u32 v12, vcc_lo, s86, v6
	v_add_co_ci_u32_e64 v13, null, s87, v7, vcc_lo
	v_cmp_gt_u64_e32 vcc_lo, s[36:37], v[2:3]
	v_cmp_gt_u64_e64 s2, s[36:37], v[0:1]
	s_waitcnt lgkmcnt(0)
	s_and_b32 s33, s1, 0xffff
	v_not_b32_e32 v41, v8
	v_not_b32_e32 v8, v0
	s_xor_b32 s88, s104, -1
	v_cndmask_b32_e64 v2, v2, s36, vcc_lo
	v_writelane_b32 v53, s2, 6
	s_bfe_u32 s2, s33, 0x80008
	v_cndmask_b32_e64 v9, 0, s37, vcc_lo
	s_lshl_b32 s91, s2, 3
	s_bfe_u32 s1, s1, 0xb0005
	s_cmp_gt_u32 s33, 31
	v_add_co_u32 v8, vcc_lo, v2, v8
	s_cselect_b32 s92, -1, 0
	s_add_u32 s93, s33, -1
	s_addc_u32 s94, 0, -1
	v_add_co_ci_u32_e64 v9, null, -1, v9, vcc_lo
	s_add_u32 s95, s93, s36
	s_addc_u32 s63, s94, s37
	s_cmp_lt_u32 s6, s14
	s_movk_i32 s2, 0x3e0
	s_cselect_b32 s6, 12, 18
	v_and_or_b32 v45, v0, s2, 0xc00
	v_cmp_lt_u64_e64 s2, 1, v[8:9]
	s_add_u32 s64, s12, s6
	s_addc_u32 s65, s13, 0
	s_add_i32 s1, s1, -1
	v_lshlrev_b32_e32 v46, 3, v0
	s_and_b32 s1, s1, 0xffff
	v_writelane_b32 v53, s2, 7
	s_bfe_u32 s2, s33, 0x30005
	s_cmp_gt_u32 s1, 6
	v_or_b32_e32 v10, 6, v46
	s_cselect_b32 s1, -1, 0
	v_and_b32_e32 v16, -2, v8
	v_mov_b32_e32 v17, v9
	v_writelane_b32 v53, s1, 8
	v_mad_u64_u32 v[19:20], null, s30, v10, s[16:17]
	v_or_b32_e32 v25, 4, v46
	v_cmp_ne_u64_e64 s1, v[8:9], v[16:17]
	v_writelane_b32 v53, s2, 9
	v_or_b32_e32 v26, 2, v46
	v_add_co_u32 v18, vcc_lo, v16, v0
	v_add_co_ci_u32_e64 v2, null, 0, v9, vcc_lo
	v_writelane_b32 v53, s1, 10
	v_mad_u64_u32 v[21:22], null, s30, v25, s[16:17]
	v_mad_u64_u32 v[23:24], null, s30, v26, s[16:17]
	s_cmp_lg_u32 s2, 0
	v_mov_b32_e32 v2, v20
	s_cselect_b32 s1, -1, 0
	v_lshlrev_b64 v[4:5], 3, v[4:5]
	v_writelane_b32 v53, s1, 11
	s_add_u32 s1, s8, s50
	v_mad_u64_u32 v[10:11], null, s31, v10, v[2:3]
	s_addc_u32 s2, s9, s51
	s_add_u32 s6, s98, s1
	v_mov_b32_e32 v8, v22
	v_mov_b32_e32 v9, v24
	s_addc_u32 s7, s99, s2
	v_writelane_b32 v53, s6, 12
	s_lshl_b64 s[68:69], s[30:31], 1
	s_lshl_b64 s[70:71], s[30:31], 3
	v_mad_u64_u32 v[24:25], null, s31, v25, v[8:9]
	v_mad_u64_u32 v[8:9], null, s31, v26, v[9:10]
	v_writelane_b32 v53, s7, 13
	s_lshl_b32 vcc_hi, s33, 1
	s_add_u32 s1, s98, s50
	v_lshlrev_b32_e32 v43, 1, v0
	s_addc_u32 s2, s99, s51
	v_add_co_u32 v25, vcc_lo, s16, v4
	s_add_u32 s1, s1, s8
	v_add_co_ci_u32_e64 v26, null, s17, v5, vcc_lo
	v_writelane_b32 v53, s8, 14
	s_addc_u32 s2, s2, s9
	v_add_co_u32 v27, vcc_lo, s1, v6
	v_cmp_lt_u64_e64 s90, 0x600, s[36:37]
	s_mul_i32 s6, s31, s33
	s_mul_hi_u32 s7, s30, s33
	v_mov_b32_e32 v29, s38
	v_cmp_eq_u32_e64 s0, 0, v42
	v_lshlrev_b32_e32 v14, 2, v0
	v_mov_b32_e32 v15, v3
	v_cmp_gt_u32_e64 s10, 2, v0
	v_add_nc_u32_e32 v44, 0xc00, v43
	v_mov_b32_e32 v20, v10
	v_mov_b32_e32 v22, v24
	;; [unrolled: 1-line block ×3, first 2 shown]
	v_lshl_or_b32 v48, v42, 3, 0xc00
	v_add_co_ci_u32_e64 v28, null, s2, v7, vcc_lo
	v_mov_b32_e32 v30, s39
	v_mov_b32_e32 v49, 0x8000
	v_mov_b32_e32 v50, -1
	v_mov_b32_e32 v52, 0
	v_mov_b32_e32 v47, 0
	;; [unrolled: 1-line block ×3, first 2 shown]
	s_add_i32 s7, s7, s6
	s_mul_i32 s6, s30, s33
	s_mov_b32 s96, s30
	s_mov_b32 s97, s31
	s_lshl_b64 s[42:43], s[6:7], 1
	s_mov_b32 s54, 14
	s_movk_i32 s58, 0x3f80
	s_mov_b32 s55, 0
	s_mov_b32 s46, 0
	v_writelane_b32 v53, s9, 15
                                        ; implicit-def: $sgpr59
                                        ; implicit-def: $sgpr57
                                        ; implicit-def: $sgpr56
                                        ; implicit-def: $sgpr8
                                        ; implicit-def: $sgpr47
                                        ; implicit-def: $sgpr41
                                        ; implicit-def: $sgpr48
                                        ; implicit-def: $sgpr1
                                        ; implicit-def: $sgpr40
                                        ; implicit-def: $sgpr7
	s_branch .LBB225_31
.LBB225_29:                             ;   in Loop: Header=BB225_31 Depth=1
	s_or_b32 exec_lo, exec_lo, s11
	v_mov_b32_e32 v30, v5
	v_mov_b32_e32 v29, v4
	s_andn2_b32 s7, s7, exec_lo
	s_and_b32 s9, s9, exec_lo
	s_andn2_b32 s40, s40, exec_lo
	s_or_b32 s7, s7, s9
	s_andn2_b32 s1, s1, exec_lo
	s_andn2_b32 s48, s48, exec_lo
	;; [unrolled: 1-line block ×3, first 2 shown]
	s_orn2_b32 s6, s6, exec_lo
.LBB225_30:                             ;   in Loop: Header=BB225_31 Depth=1
	s_or_b32 exec_lo, exec_lo, s2
	s_and_b32 s2, exec_lo, s6
	s_or_b32 s55, s2, s55
	s_andn2_b32 s2, s47, exec_lo
	s_and_b32 s6, s7, exec_lo
	s_andn2_b32 s8, s8, exec_lo
	s_or_b32 s47, s2, s6
	s_and_b32 s2, s40, exec_lo
	s_andn2_b32 s6, s56, exec_lo
	s_and_b32 s9, s1, exec_lo
	s_or_b32 s8, s8, s2
	s_or_b32 s56, s6, s9
	s_andn2_b32 s2, s57, exec_lo
	s_and_b32 s6, s48, exec_lo
	s_andn2_b32 s9, s59, exec_lo
	s_and_b32 s11, s41, exec_lo
	s_or_b32 s57, s2, s6
	s_or_b32 s59, s9, s11
	s_andn2_b32 exec_lo, exec_lo, s55
	s_cbranch_execz .LBB225_494
.LBB225_31:                             ; =>This Loop Header: Depth=1
                                        ;     Child Loop BB225_36 Depth 2
                                        ;     Child Loop BB225_50 Depth 2
	;; [unrolled: 1-line block ×25, first 2 shown]
	ds_read_b128 v[4:7], v3 offset:5120
	s_waitcnt lgkmcnt(0)
	v_readfirstlane_b32 s73, v5
	v_readfirstlane_b32 s72, v4
	s_cmp_lg_u64 s[72:73], 0
	s_cbranch_scc1 .LBB225_63
; %bb.32:                               ;   in Loop: Header=BB225_31 Depth=1
	s_and_b32 vcc_lo, exec_lo, s90
	s_cbranch_vccz .LBB225_44
; %bb.33:                               ;   in Loop: Header=BB225_31 Depth=1
	v_cmp_gt_u64_e32 vcc_lo, 0x601, v[6:7]
	s_mov_b32 s2, 0
	s_mov_b32 s6, 0
	s_cbranch_vccz .LBB225_45
; %bb.34:                               ;   in Loop: Header=BB225_31 Depth=1
	global_load_ushort v4, v3, s[64:65]
	global_load_ushort v8, v[12:13], off
	v_readlane_b32 s12, v53, 12
	v_readlane_b32 s13, v53, 13
	s_waitcnt vmcnt(1)
	v_and_b32_e32 v2, 0xffff, v4
	v_add_co_u32 v5, s6, v0, v2
	v_add_co_ci_u32_e64 v6, null, 0, 0, s6
	v_readfirstlane_b32 s6, v4
	v_mul_lo_u32 v7, s69, v5
	v_mad_u64_u32 v[4:5], null, s68, v5, s[12:13]
	v_mul_lo_u32 v6, s68, v6
	s_and_b32 s6, 0xffff, s6
	s_mov_b32 s12, 0
	s_mul_i32 s9, s69, s6
	s_mul_hi_u32 s11, s68, s6
	s_mul_i32 s13, s68, s6
	s_add_i32 s11, s11, s9
	v_add3_u32 v5, v7, v5, v6
	v_mov_b32_e32 v7, v1
	v_mov_b32_e32 v6, v0
	s_branch .LBB225_36
.LBB225_35:                             ;   in Loop: Header=BB225_36 Depth=2
	s_or_b32 exec_lo, exec_lo, s9
	v_add_co_u32 v4, vcc_lo, v4, s13
	v_add_co_ci_u32_e64 v5, null, s11, v5, vcc_lo
	v_mov_b32_e32 v8, v9
	s_andn2_b32 exec_lo, exec_lo, s12
	s_cbranch_execz .LBB225_118
.LBB225_36:                             ;   Parent Loop BB225_31 Depth=1
                                        ; =>  This Inner Loop Header: Depth=2
	v_add_co_u32 v6, vcc_lo, v6, v2
	v_add_co_ci_u32_e64 v7, null, 0, v7, vcc_lo
	s_waitcnt lgkmcnt(0)
	v_mov_b32_e32 v10, 0
	v_mov_b32_e32 v9, 0
	s_mov_b32 s9, exec_lo
	v_cmp_le_u64_e32 vcc_lo, s[36:37], v[6:7]
	v_cmpx_gt_u64_e64 s[36:37], v[6:7]
	s_cbranch_execz .LBB225_38
; %bb.37:                               ;   in Loop: Header=BB225_36 Depth=2
	global_load_ushort v9, v[4:5], off
.LBB225_38:                             ;   in Loop: Header=BB225_36 Depth=2
	s_or_b32 exec_lo, exec_lo, s9
	s_waitcnt vmcnt(0)
	v_cmp_lt_i16_e64 s6, -1, v8
	v_lshlrev_b32_e32 v31, 16, v8
	v_cndmask_b32_e64 v11, 0xffff, v49, s6
	v_cmp_o_f32_e64 s6, v31, v31
	v_xor_b32_sdwa v11, v11, v8 dst_sel:DWORD dst_unused:UNUSED_PAD src0_sel:DWORD src1_sel:WORD_0
	v_cndmask_b32_e64 v11, 0xffff, v11, s6
	v_and_b32_e32 v11, v11, v51
	v_cmp_eq_u32_e64 s6, v11, v47
	s_cmp_lg_u32 s6, 0
	s_cselect_b32 s9, -1, 0
	s_and_b32 s9, s0, s9
	s_and_saveexec_b32 s14, s9
	s_cbranch_execz .LBB225_42
; %bb.39:                               ;   in Loop: Header=BB225_36 Depth=2
	s_mov_b32 s17, exec_lo
	s_bcnt1_i32_b32 s15, s6
	v_mbcnt_lo_u32_b32 v10, s17, 0
	s_mov_b32 s16, exec_lo
                                        ; implicit-def: $vgpr11
	v_cmpx_eq_u32_e32 0, v10
; %bb.40:                               ;   in Loop: Header=BB225_36 Depth=2
	s_bcnt1_i32_b32 s9, s17
	s_mul_i32 s9, s15, s9
	v_mov_b32_e32 v11, s9
	ds_add_rtn_u32 v11, v3, v11 offset:5144
; %bb.41:                               ;   in Loop: Header=BB225_36 Depth=2
	s_or_b32 exec_lo, exec_lo, s16
	s_waitcnt lgkmcnt(0)
	v_readfirstlane_b32 s9, v11
	v_mad_u32_u24 v10, s15, v10, s9
.LBB225_42:                             ;   in Loop: Header=BB225_36 Depth=2
	s_or_b32 exec_lo, exec_lo, s14
	ds_bpermute_b32 v10, v3, v10
	s_and_b32 s9, exec_lo, vcc_lo
	s_or_b32 s12, s9, s12
	s_and_saveexec_b32 s9, s6
	s_cbranch_execz .LBB225_35
; %bb.43:                               ;   in Loop: Header=BB225_36 Depth=2
	v_and_b32_e32 v11, s6, v41
	v_bcnt_u32_b32 v11, v11, 0
	v_lshlrev_b32_e32 v11, 1, v11
	s_waitcnt lgkmcnt(0)
	v_lshl_add_u32 v10, v10, 1, v11
	ds_write_b16 v10, v8
	s_branch .LBB225_35
.LBB225_44:                             ;   in Loop: Header=BB225_31 Depth=1
	s_mov_b32 s2, -1
	s_mov_b32 s6, 0
.LBB225_45:                             ;   in Loop: Header=BB225_31 Depth=1
	s_and_b32 vcc_lo, exec_lo, s2
	s_cbranch_vccz .LBB225_61
.LBB225_46:                             ;   in Loop: Header=BB225_31 Depth=1
	s_mov_b32 s2, exec_lo
	v_readlane_b32 s6, v53, 6
	s_and_b32 s6, s2, s6
	s_mov_b32 exec_lo, s6
	s_cbranch_execz .LBB225_58
; %bb.47:                               ;   in Loop: Header=BB225_31 Depth=1
	global_load_ushort v4, v3, s[64:65]
	global_load_ushort v11, v[12:13], off
	v_mov_b32_e32 v8, v0
	s_mov_b32 s9, exec_lo
	s_waitcnt vmcnt(1)
	v_add_nc_u32_sdwa v2, v4, v0 dst_sel:DWORD dst_unused:UNUSED_PAD src0_sel:WORD_0 src1_sel:DWORD
	v_readfirstlane_b32 s6, v4
	v_cmpx_gt_u64_e64 s[36:37], v[2:3]
	s_cbranch_execz .LBB225_57
; %bb.48:                               ;   in Loop: Header=BB225_31 Depth=1
	s_and_b32 s11, s6, 0xffff
	v_readlane_b32 s12, v53, 7
	v_mov_b32_e32 v7, v1
	s_cmp_eq_u32 s11, 1
	v_mov_b32_e32 v5, v3
	v_mov_b32_e32 v6, v0
	;; [unrolled: 1-line block ×3, first 2 shown]
	s_cselect_b32 s6, -1, 0
                                        ; implicit-def: $vgpr8_vgpr9
	s_and_b32 s13, s12, s6
	s_mov_b32 s6, -1
	s_and_saveexec_b32 s12, s13
	s_cbranch_execz .LBB225_52
; %bb.49:                               ;   in Loop: Header=BB225_31 Depth=1
	v_add_co_u32 v4, s6, v2, 1
	v_add_co_ci_u32_e64 v5, null, 0, 0, s6
	v_mov_b32_e32 v8, v16
	s_waitcnt vmcnt(0)
	v_lshlrev_b32_e32 v31, 16, v11
	v_mov_b32_e32 v9, v17
	v_mov_b32_e32 v7, v5
	;; [unrolled: 1-line block ×6, first 2 shown]
	s_mov_b32 s13, 0
.LBB225_50:                             ;   Parent Loop BB225_31 Depth=1
                                        ; =>  This Inner Loop Header: Depth=2
	v_mul_lo_u32 v11, v5, s96
	v_mul_lo_u32 v36, v4, s97
	v_mad_u64_u32 v[32:33], null, v4, s96, 0
	v_mul_lo_u32 v37, v7, s30
	v_mul_lo_u32 v38, v6, s31
	v_mad_u64_u32 v[34:35], null, v6, s30, 0
	v_add3_u32 v33, v33, v36, v11
	v_add3_u32 v35, v35, v38, v37
	v_lshlrev_b64 v[32:33], 1, v[32:33]
	v_lshlrev_b64 v[34:35], 1, v[34:35]
	v_add_co_u32 v32, vcc_lo, s86, v32
	v_add_co_ci_u32_e64 v33, null, s87, v33, vcc_lo
	v_add_co_u32 v34, vcc_lo, s86, v34
	v_add_co_ci_u32_e64 v35, null, s87, v35, vcc_lo
	s_clause 0x1
	global_load_ushort v32, v[32:33], off
	global_load_ushort v11, v[34:35], off
	v_add_co_u32 v8, vcc_lo, v8, -2
	v_add_co_ci_u32_e64 v9, null, -1, v9, vcc_lo
	v_add_co_u32 v6, vcc_lo, v6, 2
	v_add_co_ci_u32_e64 v7, null, 0, v7, vcc_lo
	v_cmp_eq_u64_e64 s6, 0, v[8:9]
	v_add_co_u32 v4, vcc_lo, v4, 2
	v_add_co_ci_u32_e64 v5, null, 0, v5, vcc_lo
	s_or_b32 s13, s6, s13
	s_waitcnt vmcnt(1)
	v_alignbit_b32 v31, v32, v31, 16
	s_waitcnt vmcnt(0)
	v_perm_b32 v32, v11, v32, 0x5040100
	ds_write_b32 v10, v31
	v_add_nc_u32_e32 v10, 4, v10
	v_mov_b32_e32 v31, v32
	s_andn2_b32 exec_lo, exec_lo, s13
	s_cbranch_execnz .LBB225_50
; %bb.51:                               ;   in Loop: Header=BB225_31 Depth=1
	s_or_b32 exec_lo, exec_lo, s13
	v_add_co_u32 v4, vcc_lo, v2, v16
	v_readlane_b32 s6, v53, 10
	v_add_co_ci_u32_e64 v5, null, 0, v17, vcc_lo
	v_add_co_u32 v8, vcc_lo, v4, -1
	v_mov_b32_e32 v6, v18
	s_orn2_b32 s6, s6, exec_lo
	v_add_co_ci_u32_e64 v2, null, -1, v5, vcc_lo
	v_mov_b32_e32 v7, v19
.LBB225_52:                             ;   in Loop: Header=BB225_31 Depth=1
	s_or_b32 exec_lo, exec_lo, s12
	s_and_saveexec_b32 s12, s6
	s_cbranch_execz .LBB225_56
; %bb.53:                               ;   in Loop: Header=BB225_31 Depth=1
	v_readlane_b32 s14, v53, 12
	v_readlane_b32 s15, v53, 13
	v_mul_lo_u32 v2, s68, v5
	v_mul_lo_u32 v7, s69, v4
	s_mul_i32 s6, s69, s11
	s_sub_u32 s13, 0, s11
	v_mad_u64_u32 v[9:10], null, s68, v4, s[14:15]
	s_mul_hi_u32 s15, s68, s11
	s_subb_u32 s14, 0, 0
	s_add_i32 s15, s15, s6
	s_mul_i32 s16, s68, s11
	s_mov_b32 s17, 0
	v_add3_u32 v10, v7, v10, v2
	.p2align	6
.LBB225_54:                             ;   Parent Loop BB225_31 Depth=1
                                        ; =>  This Inner Loop Header: Depth=2
	s_waitcnt vmcnt(0)
	v_mov_b32_e32 v2, v11
	global_load_ushort v11, v[9:10], off
	v_mov_b32_e32 v32, v5
	v_mov_b32_e32 v31, v4
	v_lshlrev_b32_e32 v33, 1, v6
	v_add_co_u32 v4, vcc_lo, v31, s11
	v_add_co_ci_u32_e64 v5, null, 0, v32, vcc_lo
	v_add_co_u32 v9, vcc_lo, v9, s16
	v_add_co_ci_u32_e64 v10, null, s15, v10, vcc_lo
	v_cmp_le_u64_e32 vcc_lo, s[36:37], v[4:5]
	v_add_co_u32 v8, s6, s13, v4
	v_add_co_ci_u32_e64 v6, null, s14, v5, s6
	v_mov_b32_e32 v6, v31
	s_or_b32 s17, vcc_lo, s17
	v_mov_b32_e32 v7, v32
	ds_write_b16 v33, v2
	s_andn2_b32 exec_lo, exec_lo, s17
	s_cbranch_execnz .LBB225_54
; %bb.55:                               ;   in Loop: Header=BB225_31 Depth=1
	s_or_b32 exec_lo, exec_lo, s17
.LBB225_56:                             ;   in Loop: Header=BB225_31 Depth=1
	s_or_b32 exec_lo, exec_lo, s12
.LBB225_57:                             ;   in Loop: Header=BB225_31 Depth=1
	s_or_b32 exec_lo, exec_lo, s9
	v_lshlrev_b32_e32 v2, 1, v8
	s_waitcnt vmcnt(0)
	ds_write_b16 v2, v11
.LBB225_58:                             ;   in Loop: Header=BB225_31 Depth=1
	s_or_b32 exec_lo, exec_lo, s2
	s_waitcnt lgkmcnt(0)
	s_barrier
	buffer_gl0_inv
	s_and_saveexec_b32 s2, s3
; %bb.59:                               ;   in Loop: Header=BB225_31 Depth=1
	v_mov_b32_e32 v4, s36
	v_mov_b32_e32 v5, s37
	ds_write_b64 v3, v[4:5] offset:5120
; %bb.60:                               ;   in Loop: Header=BB225_31 Depth=1
	s_or_b32 exec_lo, exec_lo, s2
	s_waitcnt lgkmcnt(0)
	s_mov_b32 s6, -1
	s_barrier
.LBB225_61:                             ;   in Loop: Header=BB225_31 Depth=1
	s_and_b32 vcc_lo, exec_lo, s6
	s_mov_b64 s[72:73], 0
	s_cbranch_vccz .LBB225_63
; %bb.62:                               ;   in Loop: Header=BB225_31 Depth=1
	buffer_gl0_inv
	ds_read_b64 v[4:5], v3 offset:5120
	s_waitcnt lgkmcnt(0)
	v_readfirstlane_b32 s72, v4
.LBB225_63:                             ;   in Loop: Header=BB225_31 Depth=1
	s_cmp_lt_i32 s72, 1
	s_mov_b32 s2, -1
                                        ; implicit-def: $vgpr4_vgpr5
                                        ; implicit-def: $vgpr8_vgpr9
	s_cbranch_scc1 .LBB225_73
; %bb.64:                               ;   in Loop: Header=BB225_31 Depth=1
	s_and_b32 vcc_lo, exec_lo, s2
	s_cbranch_vccnz .LBB225_87
.LBB225_65:                             ;   in Loop: Header=BB225_31 Depth=1
	s_lshl_b32 s2, s46, 7
	s_and_saveexec_b32 s6, s0
	s_cbranch_execz .LBB225_67
.LBB225_66:                             ;   in Loop: Header=BB225_31 Depth=1
	v_lshl_add_u32 v2, s2, 3, v45
	ds_write_b128 v2, v[4:7]
	ds_write_b128 v2, v[8:11] offset:16
.LBB225_67:                             ;   in Loop: Header=BB225_31 Depth=1
	s_or_b32 exec_lo, exec_lo, s6
	s_waitcnt lgkmcnt(0)
	s_barrier
	buffer_gl0_inv
	s_and_saveexec_b32 s6, s89
	s_cbranch_execz .LBB225_102
; %bb.68:                               ;   in Loop: Header=BB225_31 Depth=1
	v_mov_b32_e32 v4, 0
	v_mov_b32_e32 v5, 0
	s_andn2_b32 vcc_lo, exec_lo, s92
	s_cbranch_vccnz .LBB225_101
; %bb.69:                               ;   in Loop: Header=BB225_31 Depth=1
	v_readlane_b32 s9, v53, 8
	v_mov_b32_e32 v4, 0
	v_mov_b32_e32 v5, 0
	s_andn2_b32 vcc_lo, exec_lo, s9
	s_cbranch_vccnz .LBB225_97
; %bb.70:                               ;   in Loop: Header=BB225_31 Depth=1
	v_lshl_add_u32 v2, s46, 10, v48
	s_mov_b32 s9, 0
	s_inst_prefetch 0x1
	.p2align	6
.LBB225_71:                             ;   Parent Loop BB225_31 Depth=1
                                        ; =>  This Inner Loop Header: Depth=2
	ds_read2_b64 v[6:9], v2 offset1:4
	ds_read2_b64 v[31:34], v2 offset0:8 offset1:12
	ds_read2_b64 v[35:38], v2 offset0:16 offset1:20
	s_add_i32 s9, s9, 8
	s_cmp_eq_u32 s91, s9
	s_waitcnt lgkmcnt(2)
	v_add_co_u32 v4, vcc_lo, v6, v4
	v_add_co_ci_u32_e64 v5, null, v7, v5, vcc_lo
	v_add_co_u32 v8, vcc_lo, v8, v4
	v_add_co_ci_u32_e64 v9, null, v9, v5, vcc_lo
	ds_read2_b64 v[4:7], v2 offset0:24 offset1:28
	s_waitcnt lgkmcnt(2)
	v_add_co_u32 v8, vcc_lo, v31, v8
	v_add_co_ci_u32_e64 v9, null, v32, v9, vcc_lo
	v_add_nc_u32_e32 v2, 0x100, v2
	v_add_co_u32 v8, vcc_lo, v33, v8
	v_add_co_ci_u32_e64 v9, null, v34, v9, vcc_lo
	s_waitcnt lgkmcnt(1)
	v_add_co_u32 v8, vcc_lo, v35, v8
	v_add_co_ci_u32_e64 v9, null, v36, v9, vcc_lo
	v_add_co_u32 v8, vcc_lo, v37, v8
	v_add_co_ci_u32_e64 v9, null, v38, v9, vcc_lo
	s_waitcnt lgkmcnt(0)
	v_add_co_u32 v4, vcc_lo, v4, v8
	v_add_co_ci_u32_e64 v5, null, v5, v9, vcc_lo
	v_add_co_u32 v4, vcc_lo, v6, v4
	v_add_co_ci_u32_e64 v5, null, v7, v5, vcc_lo
	s_cbranch_scc0 .LBB225_71
; %bb.72:                               ;   in Loop: Header=BB225_31 Depth=1
	s_inst_prefetch 0x2
	s_mov_b32 s9, s91
	s_branch .LBB225_98
.LBB225_73:                             ;   in Loop: Header=BB225_31 Depth=1
	global_load_ushort v2, v3, s[64:65]
	s_mov_b32 s12, s61
	s_mov_b32 s13, s37
	s_waitcnt vmcnt(0)
	v_readfirstlane_b32 s2, v2
	s_and_b32 s49, s2, 0xffff
	s_lshl_b32 s62, s49, 2
	s_cmp_lg_u64 s[12:13], 0
	s_cbranch_scc0 .LBB225_96
; %bb.74:                               ;   in Loop: Header=BB225_31 Depth=1
	v_cvt_f32_u32_e32 v2, s62
	s_sub_u32 s9, 0, s62
	s_subb_u32 s11, 0, 0
	v_fmac_f32_e64 v2, 0x4f800000, 0
	v_rcp_f32_e32 v2, v2
	v_mul_f32_e32 v2, 0x5f7ffffc, v2
	v_mul_f32_e32 v4, 0x2f800000, v2
	v_trunc_f32_e32 v4, v4
	v_fmac_f32_e32 v2, 0xcf800000, v4
	v_cvt_u32_f32_e32 v4, v4
	v_cvt_u32_f32_e32 v2, v2
	v_readfirstlane_b32 s2, v4
	v_readfirstlane_b32 s6, v2
	s_mul_i32 s12, s9, s2
	s_mul_hi_u32 s14, s9, s6
	s_mul_i32 s13, s11, s6
	s_add_i32 s12, s14, s12
	s_mul_i32 s15, s9, s6
	s_add_i32 s12, s12, s13
	s_mul_hi_u32 s14, s6, s15
	s_mul_i32 s17, s6, s12
	s_mul_hi_u32 s16, s2, s15
	s_mul_i32 s13, s2, s15
	s_mul_hi_u32 s15, s6, s12
	s_add_u32 s14, s14, s17
	s_addc_u32 s15, 0, s15
	s_mul_hi_u32 s18, s2, s12
	s_add_u32 s13, s14, s13
	s_mul_i32 s12, s2, s12
	s_addc_u32 s13, s15, s16
	s_addc_u32 s14, s18, 0
	s_add_u32 s12, s13, s12
	s_addc_u32 s13, 0, s14
	s_add_u32 s6, s6, s12
	s_cselect_b32 s12, -1, 0
	s_mul_hi_u32 s14, s9, s6
	s_cmp_lg_u32 s12, 0
	s_mul_i32 s12, s9, s6
	s_addc_u32 s2, s2, s13
	s_mul_i32 s11, s11, s6
	s_mul_i32 s9, s9, s2
	s_mul_hi_u32 s13, s6, s12
	s_add_i32 s9, s14, s9
	s_mul_hi_u32 s14, s2, s12
	s_add_i32 s9, s9, s11
	s_mul_i32 s11, s2, s12
	s_mul_i32 s16, s6, s9
	s_mul_hi_u32 s15, s6, s9
	s_add_u32 s13, s13, s16
	s_addc_u32 s15, 0, s15
	s_mul_hi_u32 s12, s2, s9
	s_add_u32 s11, s13, s11
	s_mul_i32 s9, s2, s9
	s_addc_u32 s11, s15, s14
	s_addc_u32 s12, s12, 0
	s_add_u32 s9, s11, s9
	s_addc_u32 s11, 0, s12
	s_add_u32 s6, s6, s9
	s_cselect_b32 s9, -1, 0
	s_mul_hi_u32 s12, s36, s6
	s_cmp_lg_u32 s9, 0
	s_mul_hi_u32 s9, s37, s6
	s_addc_u32 s2, s2, s11
	s_mul_i32 s6, s37, s6
	s_mul_i32 s13, s36, s2
	s_mul_hi_u32 s11, s36, s2
	s_add_u32 s12, s12, s13
	s_addc_u32 s11, 0, s11
	s_mul_hi_u32 s14, s37, s2
	s_add_u32 s6, s12, s6
	s_mul_i32 s2, s37, s2
	s_addc_u32 s6, s11, s9
	s_addc_u32 s9, s14, 0
	s_add_u32 s2, s6, s2
	s_addc_u32 s6, 0, s9
	s_mul_hi_u32 s9, s62, s2
	s_mul_i32 s6, s62, s6
	s_mul_i32 s2, s62, s2
	s_add_i32 s9, s9, s6
	s_sub_u32 s2, s36, s2
	s_cselect_b32 s6, -1, 0
	s_cmp_lg_u32 s6, 0
	s_subb_u32 s6, s37, s9
	s_sub_u32 s9, s2, s62
	s_cselect_b32 s11, -1, 0
	s_cmp_lg_u32 s11, 0
	s_subb_u32 s11, s6, 0
	s_sub_u32 s12, s9, s62
	s_cselect_b32 s13, -1, 0
	s_cmp_lg_u32 s13, 0
	s_subb_u32 s13, s11, 0
	s_cmp_ge_u32 s9, s62
	s_cselect_b32 s14, -1, 0
	s_cmp_eq_u32 s11, 0
	s_cselect_b32 s14, s14, -1
	s_cmp_lg_u32 s14, 0
	s_cselect_b32 s11, s13, s11
	s_cselect_b32 s9, s12, s9
	s_cmp_ge_u32 s2, s62
	s_cselect_b32 s12, -1, 0
	s_cmp_eq_u32 s6, 0
	s_cselect_b32 s12, s12, -1
	s_cmp_lg_u32 s12, 0
	s_cselect_b32 s13, s11, s6
	s_cselect_b32 s12, s9, s2
	s_cbranch_execnz .LBB225_76
.LBB225_75:                             ;   in Loop: Header=BB225_31 Depth=1
	v_cvt_f32_u32_e32 v2, s62
	s_sub_i32 s6, 0, s62
	v_rcp_iflag_f32_e32 v2, v2
	v_mul_f32_e32 v2, 0x4f7ffffe, v2
	v_cvt_u32_f32_e32 v2, v2
	v_readfirstlane_b32 s2, v2
	s_mul_i32 s6, s6, s2
	s_mul_hi_u32 s6, s2, s6
	s_add_i32 s2, s2, s6
	s_mul_hi_u32 s2, s36, s2
	s_mul_i32 s2, s2, s62
	s_sub_i32 s2, s36, s2
	s_sub_i32 s6, s2, s62
	s_cmp_ge_u32 s2, s62
	s_cselect_b32 s2, s6, s2
	s_sub_i32 s6, s2, s62
	s_cmp_ge_u32 s2, s62
	s_cselect_b32 s60, s6, s2
	s_mov_b64 s[12:13], s[60:61]
.LBB225_76:                             ;   in Loop: Header=BB225_31 Depth=1
	v_mov_b32_e32 v4, 0
	v_mov_b32_e32 v6, 0
	;; [unrolled: 1-line block ×8, first 2 shown]
	s_sub_u32 s74, s36, s12
	s_subb_u32 s75, s37, s13
	s_mov_b32 s2, exec_lo
	v_cmpx_gt_u64_e64 s[74:75], v[14:15]
	s_cbranch_execz .LBB225_80
; %bb.77:                               ;   in Loop: Header=BB225_31 Depth=1
	v_mov_b32_e32 v32, v26
	v_mov_b32_e32 v34, v24
	;; [unrolled: 1-line block ×10, first 2 shown]
	s_mul_i32 s6, s71, s49
	s_mul_hi_u32 s9, s70, s49
	s_mul_i32 s73, s70, s49
	s_add_i32 s60, s9, s6
	s_mov_b64 s[76:77], 0
	s_mov_b32 s84, 0
	s_mov_b64 s[78:79], 0
	s_mov_b64 s[80:81], 0
	;; [unrolled: 1-line block ×3, first 2 shown]
.LBB225_78:                             ;   Parent Loop BB225_31 Depth=1
                                        ; =>  This Inner Loop Header: Depth=2
	v_add_co_u32 v4, vcc_lo, v31, s50
	v_add_co_ci_u32_e64 v5, null, s51, v32, vcc_lo
	global_load_ushort v2, v[4:5], off
	v_add_co_u32 v4, vcc_lo, v33, s50
	v_add_co_ci_u32_e64 v5, null, s51, v34, vcc_lo
	global_load_ushort v6, v[4:5], off
	;; [unrolled: 3-line block ×4, first 2 shown]
	s_waitcnt vmcnt(3)
	v_cmp_lt_i16_e64 s12, -1, v2
	s_waitcnt vmcnt(2)
	v_lshlrev_b32_e32 v5, 16, v6
	v_cmp_o_f32_e32 vcc_lo, v5, v5
	s_waitcnt vmcnt(1)
	v_lshlrev_b32_e32 v5, 16, v7
	v_cmp_o_f32_e64 s6, v5, v5
	s_waitcnt vmcnt(0)
	v_lshlrev_b32_e32 v5, 16, v4
	v_cmp_o_f32_e64 s9, v5, v5
	v_lshlrev_b32_e32 v5, 16, v2
	v_cmp_o_f32_e64 s11, v5, v5
	v_cndmask_b32_e64 v5, 0xffff, v49, s12
	v_cmp_lt_i16_e64 s12, -1, v6
	v_xor_b32_sdwa v2, v5, v2 dst_sel:DWORD dst_unused:UNUSED_PAD src0_sel:DWORD src1_sel:WORD_0
	v_cndmask_b32_e64 v5, 0xffff, v49, s12
	v_cmp_lt_i16_e64 s12, -1, v7
	v_cndmask_b32_e64 v2, 0xffff, v2, s11
	v_xor_b32_sdwa v5, v5, v6 dst_sel:DWORD dst_unused:UNUSED_PAD src0_sel:DWORD src1_sel:WORD_0
	v_cndmask_b32_e64 v6, 0xffff, v49, s12
	v_cmp_lt_i16_e64 s12, -1, v4
	v_cndmask_b32_e32 v5, 0xffff, v5, vcc_lo
	v_xor_b32_sdwa v6, v6, v7 dst_sel:DWORD dst_unused:UNUSED_PAD src0_sel:DWORD src1_sel:WORD_0
	v_cndmask_b32_e64 v7, 0xffff, v49, s12
	v_cndmask_b32_e64 v6, 0xffff, v6, s6
	v_xor_b32_sdwa v4, v7, v4 dst_sel:DWORD dst_unused:UNUSED_PAD src0_sel:DWORD src1_sel:WORD_0
	v_and_b32_e32 v7, v2, v51
	v_bfe_u32 v2, v2, s54, 2
	v_cndmask_b32_e64 v4, 0xffff, v4, s9
	v_cmp_eq_u32_e64 s11, v7, v47
	v_cmp_eq_u32_e64 s12, 0, v2
	v_cmp_eq_u32_e64 s13, 1, v2
	v_cmp_eq_u32_e64 s14, 2, v2
	v_cmp_eq_u32_e64 s15, 3, v2
	v_bfe_u32 v2, v5, s54, 2
	v_and_b32_e32 v7, v5, v51
	s_and_b32 s12, s11, s12
	v_cmp_eq_u32_e64 s16, 0, v2
	v_cmp_eq_u32_e64 s17, 1, v2
	;; [unrolled: 1-line block ×4, first 2 shown]
	v_bfe_u32 v2, v6, s54, 2
	v_cmp_eq_u32_e32 vcc_lo, v7, v47
	v_and_b32_e32 v7, v6, v51
	v_cmp_eq_u32_e64 s20, 0, v2
	v_cmp_eq_u32_e64 s21, 1, v2
	;; [unrolled: 1-line block ×4, first 2 shown]
	v_bfe_u32 v2, v4, s54, 2
	v_cmp_eq_u32_e64 s6, v7, v47
	v_and_b32_e32 v7, v4, v51
	s_and_b32 s16, vcc_lo, s16
	v_cmp_eq_u32_e64 s24, 0, v2
	v_cmp_eq_u32_e64 s25, 1, v2
	;; [unrolled: 1-line block ×4, first 2 shown]
	v_cndmask_b32_e64 v2, 0, 1, s12
	v_cmp_eq_u32_e64 s9, v7, v47
	s_and_b32 s20, s6, s20
	v_cmp_ne_u32_e64 s12, 0, v2
	v_cndmask_b32_e64 v2, 0, 1, s16
	s_and_b32 s24, s9, s24
	s_bcnt1_i32_b32 s12, s12
	v_cmp_ne_u32_e64 s16, 0, v2
	v_cndmask_b32_e64 v2, 0, 1, s20
	s_bcnt1_i32_b32 s16, s16
	v_cmp_ne_u32_e64 s20, 0, v2
	v_cndmask_b32_e64 v2, 0, 1, s24
	s_add_i32 s12, s16, s12
	s_bcnt1_i32_b32 s20, s20
	v_cmp_ne_u32_e64 s24, 0, v2
	s_add_i32 s12, s12, s20
	s_bcnt1_i32_b32 s24, s24
	s_add_i32 s12, s12, s24
	s_add_u32 s82, s82, s12
	s_addc_u32 s83, s83, 0
	s_and_b32 s12, s11, s13
	s_and_b32 s13, vcc_lo, s17
	v_cndmask_b32_e64 v2, 0, 1, s12
	s_and_b32 s16, s6, s21
	s_and_b32 s17, s9, s25
	v_mov_b32_e32 v4, s82
	v_mov_b32_e32 v5, s83
	v_cmp_ne_u32_e64 s12, 0, v2
	v_cndmask_b32_e64 v2, 0, 1, s13
	s_bcnt1_i32_b32 s12, s12
	v_cmp_ne_u32_e64 s13, 0, v2
	v_cndmask_b32_e64 v2, 0, 1, s16
	s_bcnt1_i32_b32 s13, s13
	v_cmp_ne_u32_e64 s16, 0, v2
	v_cndmask_b32_e64 v2, 0, 1, s17
	s_add_i32 s12, s13, s12
	s_bcnt1_i32_b32 s16, s16
	v_cmp_ne_u32_e64 s17, 0, v2
	s_add_i32 s12, s12, s16
	s_bcnt1_i32_b32 s17, s17
	s_add_i32 s12, s12, s17
	s_add_u32 s80, s80, s12
	s_addc_u32 s81, s81, 0
	s_and_b32 s12, s11, s14
	s_and_b32 s13, vcc_lo, s18
	v_cndmask_b32_e64 v2, 0, 1, s12
	s_and_b32 s14, s6, s22
	s_and_b32 s16, s9, s26
	v_mov_b32_e32 v6, s80
	v_mov_b32_e32 v7, s81
	v_cmp_ne_u32_e64 s12, 0, v2
	v_cndmask_b32_e64 v2, 0, 1, s13
	s_bcnt1_i32_b32 s12, s12
	v_cmp_ne_u32_e64 s13, 0, v2
	v_cndmask_b32_e64 v2, 0, 1, s14
	s_bcnt1_i32_b32 s13, s13
	v_cmp_ne_u32_e64 s14, 0, v2
	v_cndmask_b32_e64 v2, 0, 1, s16
	s_add_i32 s12, s13, s12
	v_add_co_u32 v37, s13, v37, s73
	s_bcnt1_i32_b32 s14, s14
	v_cmp_ne_u32_e64 s16, 0, v2
	s_add_i32 s12, s12, s14
	v_add_co_ci_u32_e64 v38, null, s60, v38, s13
	v_add_co_u32 v35, s14, v35, s73
	s_bcnt1_i32_b32 s16, s16
	v_add_co_ci_u32_e64 v36, null, s60, v36, s14
	s_add_i32 s12, s12, s16
	v_add_co_u32 v31, s16, v31, s73
	s_add_u32 s78, s78, s12
	s_addc_u32 s79, s79, 0
	s_and_b32 s11, s11, s15
	s_and_b32 s12, vcc_lo, s19
	v_cndmask_b32_e64 v2, 0, 1, s11
	s_and_b32 s6, s6, s23
	s_and_b32 s9, s9, s27
	v_add_co_u32 v33, s15, v33, s73
	v_cmp_ne_u32_e64 s11, 0, v2
	v_cndmask_b32_e64 v2, 0, 1, s12
	v_add_co_u32 v39, s12, v39, s62
	v_add_co_ci_u32_e64 v40, null, 0, v40, s12
	v_cmp_ne_u32_e32 vcc_lo, 0, v2
	v_cndmask_b32_e64 v2, 0, 1, s6
	s_bcnt1_i32_b32 s11, s11
	v_cmp_le_u64_e64 s12, s[74:75], v[39:40]
	v_mov_b32_e32 v8, s78
	s_bcnt1_i32_b32 s13, vcc_lo
	v_cmp_ne_u32_e64 s6, 0, v2
	v_cndmask_b32_e64 v2, 0, 1, s9
	s_add_i32 s11, s13, s11
	v_add_co_ci_u32_e64 v34, null, s60, v34, s15
	s_bcnt1_i32_b32 s6, s6
	v_cmp_ne_u32_e64 s9, 0, v2
	s_add_i32 s6, s11, s6
	v_add_co_ci_u32_e64 v32, null, s60, v32, s16
	v_mov_b32_e32 v9, s79
	s_bcnt1_i32_b32 s9, s9
	s_add_i32 s6, s6, s9
	s_add_u32 s76, s76, s6
	s_addc_u32 s77, s77, 0
	v_mov_b32_e32 v10, s76
	v_mov_b32_e32 v11, s77
	s_or_b32 s84, s12, s84
	s_andn2_b32 exec_lo, exec_lo, s84
	s_cbranch_execnz .LBB225_78
; %bb.79:                               ;   in Loop: Header=BB225_31 Depth=1
	s_or_b32 exec_lo, exec_lo, s84
.LBB225_80:                             ;   in Loop: Header=BB225_31 Depth=1
	s_or_b32 exec_lo, exec_lo, s2
	v_add_co_u32 v31, s2, s74, v0
	v_add_co_ci_u32_e64 v32, null, s75, 0, s2
	s_mov_b32 s2, exec_lo
	v_cmpx_gt_u64_e64 s[36:37], v[31:32]
	s_cbranch_execz .LBB225_86
; %bb.81:                               ;   in Loop: Header=BB225_31 Depth=1
	v_mul_lo_u32 v2, v32, s30
	v_mul_lo_u32 v35, v31, s31
	v_mad_u64_u32 v[33:34], null, v31, s30, 0
	s_mov_b32 s13, 0
	v_add3_u32 v34, v34, v35, v2
	v_lshlrev_b64 v[33:34], 1, v[33:34]
	v_add_co_u32 v33, vcc_lo, s86, v33
	v_add_co_ci_u32_e64 v34, null, s87, v34, vcc_lo
	global_load_ushort v33, v[33:34], off
	s_branch .LBB225_83
.LBB225_82:                             ;   in Loop: Header=BB225_83 Depth=2
	s_or_b32 exec_lo, exec_lo, s9
	s_waitcnt vmcnt(0)
	v_cmp_lt_i16_e64 s6, -1, v33
	v_lshlrev_b32_e32 v35, 16, v33
	s_and_b32 s9, exec_lo, vcc_lo
	s_or_b32 s13, s9, s13
	v_cndmask_b32_e64 v34, 0xffff, v49, s6
	v_cmp_o_f32_e64 s6, v35, v35
	v_xor_b32_sdwa v33, v34, v33 dst_sel:DWORD dst_unused:UNUSED_PAD src0_sel:DWORD src1_sel:WORD_0
	v_cndmask_b32_e64 v33, 0xffff, v33, s6
	v_and_b32_e32 v34, v33, v51
	v_bfe_u32 v33, v33, s54, 2
	v_cmp_eq_u32_e32 vcc_lo, v34, v47
	v_cmp_eq_u32_e64 s6, 0, v33
	v_cmp_eq_u32_e64 s9, 1, v33
	;; [unrolled: 1-line block ×4, first 2 shown]
	s_and_b32 s6, vcc_lo, s6
	v_cndmask_b32_e64 v33, 0, 1, s6
	s_and_b32 s6, vcc_lo, s9
	v_cndmask_b32_e64 v34, 0, 1, s6
	;; [unrolled: 2-line block ×3, first 2 shown]
	s_and_b32 s6, vcc_lo, s12
	v_cmp_ne_u32_e32 vcc_lo, 0, v33
	v_cndmask_b32_e64 v36, 0, 1, s6
	v_cmp_ne_u32_e64 s6, 0, v34
	v_cmp_ne_u32_e64 s9, 0, v35
	v_mov_b32_e32 v33, v2
	s_bcnt1_i32_b32 s12, vcc_lo
	v_cmp_ne_u32_e64 s11, 0, v36
	s_bcnt1_i32_b32 s6, s6
	v_add_co_u32 v4, vcc_lo, v4, s12
	s_bcnt1_i32_b32 s9, s9
	v_add_co_ci_u32_e64 v5, null, 0, v5, vcc_lo
	v_add_co_u32 v6, vcc_lo, v6, s6
	v_add_co_ci_u32_e64 v7, null, 0, v7, vcc_lo
	v_add_co_u32 v8, vcc_lo, v8, s9
	s_bcnt1_i32_b32 s6, s11
	v_add_co_ci_u32_e64 v9, null, 0, v9, vcc_lo
	v_add_co_u32 v10, vcc_lo, v10, s6
	v_add_co_ci_u32_e64 v11, null, 0, v11, vcc_lo
	s_andn2_b32 exec_lo, exec_lo, s13
	s_cbranch_execz .LBB225_85
.LBB225_83:                             ;   Parent Loop BB225_31 Depth=1
                                        ; =>  This Inner Loop Header: Depth=2
	v_add_co_u32 v31, vcc_lo, v31, s49
	v_add_co_ci_u32_e64 v32, null, 0, v32, vcc_lo
	v_mov_b32_e32 v2, 0
	s_mov_b32 s9, exec_lo
	v_cmp_le_u64_e32 vcc_lo, s[36:37], v[31:32]
	v_cmpx_gt_u64_e64 s[36:37], v[31:32]
	s_cbranch_execz .LBB225_82
; %bb.84:                               ;   in Loop: Header=BB225_83 Depth=2
	v_mul_lo_u32 v2, v32, s30
	v_mul_lo_u32 v36, v31, s31
	v_mad_u64_u32 v[34:35], null, v31, s30, 0
	v_add3_u32 v35, v35, v36, v2
	v_lshlrev_b64 v[34:35], 1, v[34:35]
	v_add_co_u32 v34, s6, s86, v34
	v_add_co_ci_u32_e64 v35, null, s87, v35, s6
	global_load_ushort v2, v[34:35], off
	s_branch .LBB225_82
.LBB225_85:                             ;   in Loop: Header=BB225_31 Depth=1
	s_or_b32 exec_lo, exec_lo, s13
.LBB225_86:                             ;   in Loop: Header=BB225_31 Depth=1
	s_or_b32 exec_lo, exec_lo, s2
	s_branch .LBB225_65
.LBB225_87:                             ;   in Loop: Header=BB225_31 Depth=1
	global_load_ushort v2, v3, s[64:65]
	v_mov_b32_e32 v6, 0
	v_mov_b32_e32 v8, 0
	;; [unrolled: 1-line block ×6, first 2 shown]
	s_mov_b32 s60, exec_lo
	s_waitcnt vmcnt(0)
	v_readfirstlane_b32 s2, v2
	s_and_b32 s2, 0xffff, s2
	s_lshl_b32 s49, s2, 2
	v_cvt_f32_u32_e32 v4, s49
	s_sub_i32 s9, 0, s49
	v_rcp_iflag_f32_e32 v4, v4
	v_mul_f32_e32 v4, 0x4f7ffffe, v4
	v_cvt_u32_f32_e32 v4, v4
	v_readfirstlane_b32 s6, v4
	v_mov_b32_e32 v4, 0
	v_mov_b32_e32 v5, 0
	s_mul_i32 s9, s9, s6
	s_mul_hi_u32 s9, s6, s9
	s_add_i32 s6, s6, s9
	s_mul_hi_u32 s6, s72, s6
	s_mul_i32 s9, s6, s49
	s_add_i32 s11, s6, 1
	s_sub_i32 s9, s72, s9
	s_sub_i32 s12, s9, s49
	s_cmp_ge_u32 s9, s49
	s_cselect_b32 s6, s11, s6
	s_cselect_b32 s9, s12, s9
	s_add_i32 s11, s6, 1
	s_cmp_ge_u32 s9, s49
	s_cselect_b32 s6, s11, s6
	s_mul_hi_u32 s75, s2, s6
	s_mul_i32 s74, s2, s6
	s_lshl_b64 s[76:77], s[74:75], 2
	v_cmpx_gt_u64_e64 s[76:77], v[14:15]
	s_cbranch_execz .LBB225_91
; %bb.88:                               ;   in Loop: Header=BB225_31 Depth=1
	v_mov_b32_e32 v32, v15
	v_mov_b32_e32 v33, v46
	;; [unrolled: 1-line block ×3, first 2 shown]
	s_lshl_b32 s62, s2, 3
	s_mov_b64 s[78:79], 0
	s_mov_b32 s73, 0
	s_mov_b64 s[80:81], 0
	s_mov_b64 s[82:83], 0
	;; [unrolled: 1-line block ×3, first 2 shown]
.LBB225_89:                             ;   Parent Loop BB225_31 Depth=1
                                        ; =>  This Inner Loop Header: Depth=2
	ds_read_b64 v[4:5], v33
	v_add_nc_u32_e32 v33, s62, v33
	s_waitcnt lgkmcnt(0)
	v_cmp_lt_i16_e32 vcc_lo, -1, v4
	v_cmp_gt_i16_sdwa s6, v4, v50 src0_sel:WORD_1 src1_sel:DWORD
	v_cmp_lt_i16_e64 s9, -1, v5
	v_cmp_gt_i16_sdwa s11, v5, v50 src0_sel:WORD_1 src1_sel:DWORD
	v_lshlrev_b32_e32 v10, 16, v4
	v_cndmask_b32_e32 v6, 0xffff, v49, vcc_lo
	v_cndmask_b32_e64 v7, 0xffff, v49, s6
	v_cndmask_b32_e64 v8, 0xffff, v49, s9
	;; [unrolled: 1-line block ×3, first 2 shown]
	v_cmp_o_f32_e32 vcc_lo, v10, v10
	v_xor_b32_sdwa v6, v6, v4 dst_sel:DWORD dst_unused:UNUSED_PAD src0_sel:DWORD src1_sel:WORD_0
	v_xor_b32_sdwa v7, v7, v4 dst_sel:DWORD dst_unused:UNUSED_PAD src0_sel:DWORD src1_sel:WORD_1
	v_and_b32_e32 v4, 0xffff0000, v4
	v_xor_b32_sdwa v8, v8, v5 dst_sel:DWORD dst_unused:UNUSED_PAD src0_sel:DWORD src1_sel:WORD_0
	v_xor_b32_sdwa v9, v9, v5 dst_sel:DWORD dst_unused:UNUSED_PAD src0_sel:DWORD src1_sel:WORD_1
	v_lshlrev_b32_e32 v11, 16, v5
	v_and_b32_e32 v5, 0xffff0000, v5
	v_cmp_o_f32_e64 s6, v4, v4
	v_cndmask_b32_e32 v4, 0xffff, v6, vcc_lo
	v_cmp_o_f32_e64 s9, v11, v11
	v_cmp_o_f32_e64 s11, v5, v5
	v_and_b32_e32 v5, v4, v51
	v_bfe_u32 v4, v4, s54, 2
	v_cmp_eq_u32_e32 vcc_lo, v5, v47
	v_cndmask_b32_e64 v5, 0xffff, v7, s6
	v_cmp_eq_u32_e64 s12, 0, v4
	v_cmp_eq_u32_e64 s13, 1, v4
	;; [unrolled: 1-line block ×4, first 2 shown]
	v_and_b32_e32 v6, v5, v51
	v_bfe_u32 v4, v5, s54, 2
	s_and_b32 s12, vcc_lo, s12
	v_cmp_eq_u32_e64 s6, v6, v47
	v_cndmask_b32_e64 v6, 0xffff, v8, s9
	v_cmp_eq_u32_e64 s16, 0, v4
	v_cmp_eq_u32_e64 s17, 1, v4
	;; [unrolled: 1-line block ×4, first 2 shown]
	v_and_b32_e32 v7, v6, v51
	v_bfe_u32 v4, v6, s54, 2
	s_and_b32 s16, s6, s16
	v_cmp_eq_u32_e64 s9, v7, v47
	v_cndmask_b32_e64 v7, 0xffff, v9, s11
	v_cmp_eq_u32_e64 s20, 0, v4
	v_cmp_eq_u32_e64 s21, 1, v4
	;; [unrolled: 1-line block ×4, first 2 shown]
	v_bfe_u32 v4, v7, s54, 2
	v_and_b32_e32 v8, v7, v51
	s_and_b32 s20, s9, s20
	v_cmp_eq_u32_e64 s24, 0, v4
	v_cmp_eq_u32_e64 s25, 1, v4
	;; [unrolled: 1-line block ×4, first 2 shown]
	v_cndmask_b32_e64 v4, 0, 1, s12
	v_cmp_eq_u32_e64 s11, v8, v47
	v_cmp_ne_u32_e64 s12, 0, v4
	v_cndmask_b32_e64 v4, 0, 1, s16
	s_and_b32 s24, s11, s24
	s_bcnt1_i32_b32 s12, s12
	v_cmp_ne_u32_e64 s16, 0, v4
	v_cndmask_b32_e64 v4, 0, 1, s20
	s_bcnt1_i32_b32 s16, s16
	v_cmp_ne_u32_e64 s20, 0, v4
	v_cndmask_b32_e64 v4, 0, 1, s24
	s_add_i32 s12, s16, s12
	s_bcnt1_i32_b32 s20, s20
	v_cmp_ne_u32_e64 s24, 0, v4
	s_add_i32 s12, s12, s20
	s_bcnt1_i32_b32 s24, s24
	s_add_i32 s12, s12, s24
	s_add_u32 s84, s84, s12
	s_addc_u32 s85, s85, 0
	s_and_b32 s12, vcc_lo, s13
	s_and_b32 s13, s6, s17
	v_cndmask_b32_e64 v4, 0, 1, s12
	s_and_b32 s16, s9, s21
	s_and_b32 s17, s11, s25
	v_cmp_ne_u32_e64 s12, 0, v4
	v_cndmask_b32_e64 v4, 0, 1, s13
	s_bcnt1_i32_b32 s12, s12
	v_cmp_ne_u32_e64 s13, 0, v4
	v_cndmask_b32_e64 v4, 0, 1, s16
	s_bcnt1_i32_b32 s13, s13
	v_cmp_ne_u32_e64 s16, 0, v4
	v_cndmask_b32_e64 v4, 0, 1, s17
	s_add_i32 s12, s13, s12
	s_bcnt1_i32_b32 s16, s16
	v_cmp_ne_u32_e64 s17, 0, v4
	s_add_i32 s12, s12, s16
	s_bcnt1_i32_b32 s17, s17
	s_add_i32 s12, s12, s17
	s_add_u32 s82, s82, s12
	s_addc_u32 s83, s83, 0
	s_and_b32 s12, vcc_lo, s14
	s_and_b32 s13, s6, s18
	v_cndmask_b32_e64 v4, 0, 1, s12
	s_and_b32 s14, s9, s22
	s_and_b32 s16, s11, s26
	v_mov_b32_e32 v6, s82
	v_mov_b32_e32 v7, s83
	v_cmp_ne_u32_e64 s12, 0, v4
	v_cndmask_b32_e64 v4, 0, 1, s13
	s_bcnt1_i32_b32 s12, s12
	v_cmp_ne_u32_e64 s13, 0, v4
	v_cndmask_b32_e64 v4, 0, 1, s14
	s_bcnt1_i32_b32 s13, s13
	v_cmp_ne_u32_e64 s14, 0, v4
	v_cndmask_b32_e64 v4, 0, 1, s16
	s_add_i32 s12, s13, s12
	s_bcnt1_i32_b32 s14, s14
	v_cmp_ne_u32_e64 s16, 0, v4
	s_add_i32 s12, s12, s14
	s_bcnt1_i32_b32 s16, s16
	s_add_i32 s12, s12, s16
	s_add_u32 s80, s80, s12
	s_addc_u32 s81, s81, 0
	s_and_b32 s12, vcc_lo, s15
	s_and_b32 s6, s6, s19
	v_cndmask_b32_e64 v4, 0, 1, s12
	s_and_b32 s9, s9, s23
	s_and_b32 s11, s11, s27
	v_add_co_u32 v31, s12, v31, s49
	v_cmp_ne_u32_e32 vcc_lo, 0, v4
	v_cndmask_b32_e64 v4, 0, 1, s6
	v_add_co_ci_u32_e64 v32, null, 0, v32, s12
	v_mov_b32_e32 v8, s80
	s_bcnt1_i32_b32 s13, vcc_lo
	v_cmp_ne_u32_e64 s6, 0, v4
	v_cndmask_b32_e64 v4, 0, 1, s9
	v_cmp_le_u64_e64 s12, s[76:77], v[31:32]
	v_mov_b32_e32 v9, s81
	s_bcnt1_i32_b32 s6, s6
	v_cmp_ne_u32_e64 s9, 0, v4
	v_cndmask_b32_e64 v4, 0, 1, s11
	s_add_i32 s6, s6, s13
	s_bcnt1_i32_b32 s9, s9
	v_cmp_ne_u32_e64 s11, 0, v4
	s_add_i32 s6, s6, s9
	v_mov_b32_e32 v4, s84
	v_mov_b32_e32 v5, s85
	s_bcnt1_i32_b32 s11, s11
	s_add_i32 s6, s6, s11
	s_add_u32 s78, s78, s6
	s_addc_u32 s79, s79, 0
	v_mov_b32_e32 v10, s78
	v_mov_b32_e32 v11, s79
	s_or_b32 s73, s12, s73
	s_andn2_b32 exec_lo, exec_lo, s73
	s_cbranch_execnz .LBB225_89
; %bb.90:                               ;   in Loop: Header=BB225_31 Depth=1
	s_or_b32 exec_lo, exec_lo, s73
.LBB225_91:                             ;   in Loop: Header=BB225_31 Depth=1
	s_or_b32 exec_lo, exec_lo, s60
	v_add_co_u32 v31, s6, s76, v0
	v_and_b32_e32 v2, 0xffff, v2
	v_add_co_ci_u32_e64 v32, null, s77, 0, s6
	s_and_b32 s60, s72, 0x7fffffff
	s_mov_b32 s14, exec_lo
	v_cmpx_gt_u64_e64 s[60:61], v[31:32]
	s_cbranch_execz .LBB225_95
; %bb.92:                               ;   in Loop: Header=BB225_31 Depth=1
	v_lshl_add_u32 v33, s74, 3, v43
	s_lshl_b32 s15, s2, 1
	s_mov_b32 s2, 0
.LBB225_93:                             ;   Parent Loop BB225_31 Depth=1
                                        ; =>  This Inner Loop Header: Depth=2
	ds_read_u16 v34, v33
	v_add_co_u32 v31, vcc_lo, v31, v2
	v_add_co_ci_u32_e64 v32, null, 0, v32, vcc_lo
	v_add_nc_u32_e32 v33, s15, v33
	v_cmp_le_u64_e32 vcc_lo, s[60:61], v[31:32]
	s_waitcnt lgkmcnt(0)
	v_cmp_lt_i16_e64 s6, -1, v34
	v_lshlrev_b32_e32 v36, 16, v34
	v_cndmask_b32_e64 v35, 0xffff, v49, s6
	v_cmp_o_f32_e64 s6, v36, v36
	v_xor_b32_sdwa v34, v35, v34 dst_sel:DWORD dst_unused:UNUSED_PAD src0_sel:DWORD src1_sel:WORD_0
	v_cndmask_b32_e64 v34, 0xffff, v34, s6
	v_and_b32_e32 v35, v34, v51
	v_bfe_u32 v34, v34, s54, 2
	v_cmp_eq_u32_e64 s6, v35, v47
	v_cmp_eq_u32_e64 s9, 0, v34
	v_cmp_eq_u32_e64 s11, 1, v34
	v_cmp_eq_u32_e64 s12, 2, v34
	v_cmp_eq_u32_e64 s13, 3, v34
	s_and_b32 s9, s6, s9
	v_cndmask_b32_e64 v34, 0, 1, s9
	s_and_b32 s9, s6, s11
	v_cndmask_b32_e64 v35, 0, 1, s9
	s_and_b32 s9, s6, s12
	s_and_b32 s6, s6, s13
	v_cndmask_b32_e64 v36, 0, 1, s9
	v_cndmask_b32_e64 v37, 0, 1, s6
	v_cmp_ne_u32_e64 s6, 0, v34
	v_cmp_ne_u32_e64 s9, 0, v35
	;; [unrolled: 1-line block ×4, first 2 shown]
	s_bcnt1_i32_b32 s6, s6
	s_bcnt1_i32_b32 s9, s9
	v_add_co_u32 v4, s6, v4, s6
	s_bcnt1_i32_b32 s11, s11
	v_add_co_ci_u32_e64 v5, null, 0, v5, s6
	v_add_co_u32 v6, s6, v6, s9
	s_bcnt1_i32_b32 s12, s12
	v_add_co_ci_u32_e64 v7, null, 0, v7, s6
	v_add_co_u32 v8, s6, v8, s11
	v_add_co_ci_u32_e64 v9, null, 0, v9, s6
	v_add_co_u32 v10, s6, v10, s12
	v_add_co_ci_u32_e64 v11, null, 0, v11, s6
	s_or_b32 s2, vcc_lo, s2
	s_andn2_b32 exec_lo, exec_lo, s2
	s_cbranch_execnz .LBB225_93
; %bb.94:                               ;   in Loop: Header=BB225_31 Depth=1
	s_or_b32 exec_lo, exec_lo, s2
.LBB225_95:                             ;   in Loop: Header=BB225_31 Depth=1
	s_or_b32 exec_lo, exec_lo, s14
	s_lshl_b32 s2, s46, 7
	s_and_saveexec_b32 s6, s0
	s_cbranch_execnz .LBB225_66
	s_branch .LBB225_67
.LBB225_96:                             ;   in Loop: Header=BB225_31 Depth=1
                                        ; implicit-def: $sgpr12_sgpr13
	s_branch .LBB225_75
.LBB225_97:                             ;   in Loop: Header=BB225_31 Depth=1
	s_mov_b32 s9, 0
.LBB225_98:                             ;   in Loop: Header=BB225_31 Depth=1
	v_readlane_b32 s11, v53, 11
	s_andn2_b32 vcc_lo, exec_lo, s11
	s_cbranch_vccnz .LBB225_101
; %bb.99:                               ;   in Loop: Header=BB225_31 Depth=1
	s_lshl_b32 s11, s46, 10
	s_lshl_b32 s9, s9, 5
	v_add3_u32 v2, s11, s9, v48
	v_readlane_b32 s9, v53, 9
.LBB225_100:                            ;   Parent Loop BB225_31 Depth=1
                                        ; =>  This Inner Loop Header: Depth=2
	ds_read_b64 v[6:7], v2
	v_add_nc_u32_e32 v2, 32, v2
	s_add_i32 s9, s9, -1
	s_cmp_lg_u32 s9, 0
	s_waitcnt lgkmcnt(0)
	v_add_co_u32 v4, vcc_lo, v6, v4
	v_add_co_ci_u32_e64 v5, null, v7, v5, vcc_lo
	s_cbranch_scc1 .LBB225_100
.LBB225_101:                            ;   in Loop: Header=BB225_31 Depth=1
	v_add_lshl_u32 v2, s2, v42, 3
	ds_write_b64 v2, v[4:5] offset:3072
.LBB225_102:                            ;   in Loop: Header=BB225_31 Depth=1
	s_or_b32 exec_lo, exec_lo, s6
	s_lshl_b32 s2, s2, 3
	s_waitcnt lgkmcnt(0)
	v_mov_b32_e32 v2, s2
	s_barrier
	buffer_gl0_inv
	v_cmp_eq_u64_e64 s9, 1, v[29:30]
	s_lshl_b32 s11, 3, s54
	ds_read_b128 v[4:7], v2 offset:3072
	ds_read_b128 v[8:11], v2 offset:3088
	s_mov_b32 s75, -1
	s_not_b32 s26, s11
	s_mov_b32 s27, 0
	s_andn2_b32 vcc_lo, exec_lo, s88
	s_mov_b32 s72, 0
	s_mov_b32 s49, 0
                                        ; implicit-def: $sgpr73
                                        ; implicit-def: $sgpr74
                                        ; implicit-def: $vgpr2
	s_waitcnt lgkmcnt(1)
	v_readfirstlane_b32 s13, v5
	v_readfirstlane_b32 s12, v4
	;; [unrolled: 1-line block ×4, first 2 shown]
	s_waitcnt lgkmcnt(0)
	v_readfirstlane_b32 s17, v9
	v_readfirstlane_b32 s16, v8
	;; [unrolled: 1-line block ×4, first 2 shown]
                                        ; implicit-def: $vgpr4_vgpr5
                                        ; implicit-def: $vgpr10
                                        ; implicit-def: $vgpr11
                                        ; implicit-def: $vgpr8
	s_cbranch_vccnz .LBB225_297
; %bb.103:                              ;   in Loop: Header=BB225_31 Depth=1
	s_cmp_eq_u64 s[12:13], 1
	v_mov_b32_e32 v10, v47
	v_mov_b32_e32 v11, v51
	;; [unrolled: 1-line block ×3, first 2 shown]
	s_cselect_b32 s2, -1, 0
                                        ; implicit-def: $sgpr74
                                        ; implicit-def: $sgpr73
	s_and_b32 s77, s2, s9
	s_mov_b32 s2, -1
	s_and_saveexec_b32 s49, s77
	s_cbranch_execz .LBB225_138
; %bb.104:                              ;   in Loop: Header=BB225_31 Depth=1
	ds_read_b64 v[4:5], v3 offset:5120
	s_waitcnt lgkmcnt(0)
	s_barrier
	buffer_gl0_inv
	v_readfirstlane_b32 s20, v4
	v_readfirstlane_b32 s21, v5
	s_and_saveexec_b32 s2, s10
; %bb.105:                              ;   in Loop: Header=BB225_31 Depth=1
	ds_write_b16 v44, v3
; %bb.106:                              ;   in Loop: Header=BB225_31 Depth=1
	s_or_b32 exec_lo, exec_lo, s2
	v_and_b32_e32 v10, s26, v47
	v_or_b32_e32 v11, s11, v51
	s_mov_b32 s73, -1
	s_mov_b32 s74, 0
	s_cmp_eq_u64 s[20:21], 0
	s_mov_b32 s2, 0
	s_mov_b32 s6, -1
	s_waitcnt lgkmcnt(0)
	s_barrier
	buffer_gl0_inv
                                        ; implicit-def: $vgpr8
	s_cbranch_scc1 .LBB225_123
; %bb.107:                              ;   in Loop: Header=BB225_31 Depth=1
	s_add_u32 s2, s20, s93
	s_addc_u32 s23, s21, s94
	s_mov_b32 s22, s61
	s_cmp_lg_u64 s[22:23], 0
	s_cbranch_scc0 .LBB225_164
; %bb.108:                              ;   in Loop: Header=BB225_31 Depth=1
	v_cvt_f32_u32_e32 v2, s33
	s_sub_u32 s24, 0, s33
	s_subb_u32 s25, 0, 0
	v_fmac_f32_e64 v2, 0x4f800000, 0
	v_rcp_f32_e32 v2, v2
	v_mul_f32_e32 v2, 0x5f7ffffc, v2
	v_mul_f32_e32 v4, 0x2f800000, v2
	v_trunc_f32_e32 v4, v4
	v_fmac_f32_e32 v2, 0xcf800000, v4
	v_cvt_u32_f32_e32 v4, v4
	v_cvt_u32_f32_e32 v2, v2
	v_readfirstlane_b32 s6, v4
	v_readfirstlane_b32 s22, v2
	s_mul_i32 s60, s24, s6
	s_mul_hi_u32 s66, s24, s22
	s_mul_i32 s62, s25, s22
	s_add_i32 s60, s66, s60
	s_mul_i32 s67, s24, s22
	s_add_i32 s60, s60, s62
	s_mul_hi_u32 s66, s22, s67
	s_mul_i32 s75, s22, s60
	s_mul_hi_u32 s72, s6, s67
	s_mul_i32 s62, s6, s67
	s_mul_hi_u32 s67, s22, s60
	s_add_u32 s66, s66, s75
	s_addc_u32 s67, 0, s67
	s_mul_hi_u32 s76, s6, s60
	s_add_u32 s62, s66, s62
	s_mul_i32 s60, s6, s60
	s_addc_u32 s62, s67, s72
	s_addc_u32 s66, s76, 0
	s_add_u32 s60, s62, s60
	s_addc_u32 s62, 0, s66
	s_add_u32 s22, s22, s60
	s_cselect_b32 s60, -1, 0
	s_mul_hi_u32 s66, s24, s22
	s_cmp_lg_u32 s60, 0
	s_mul_i32 s60, s24, s22
	s_addc_u32 s6, s6, s62
	s_mul_i32 s25, s25, s22
	s_mul_i32 s24, s24, s6
	s_mul_hi_u32 s62, s22, s60
	s_add_i32 s24, s66, s24
	s_mul_hi_u32 s66, s6, s60
	s_add_i32 s24, s24, s25
	s_mul_i32 s25, s6, s60
	s_mul_i32 s72, s22, s24
	s_mul_hi_u32 s67, s22, s24
	s_add_u32 s62, s62, s72
	s_addc_u32 s67, 0, s67
	s_mul_hi_u32 s60, s6, s24
	s_add_u32 s25, s62, s25
	s_mul_i32 s24, s6, s24
	s_addc_u32 s25, s67, s66
	s_addc_u32 s60, s60, 0
	s_add_u32 s24, s25, s24
	s_addc_u32 s25, 0, s60
	s_add_u32 s22, s22, s24
	s_cselect_b32 s24, -1, 0
	s_mul_hi_u32 s60, s2, s22
	s_cmp_lg_u32 s24, 0
	s_mul_hi_u32 s24, s23, s22
	s_addc_u32 s6, s6, s25
	s_mul_i32 s22, s23, s22
	s_mul_i32 s62, s2, s6
	s_mul_hi_u32 s25, s2, s6
	s_add_u32 s60, s60, s62
	s_addc_u32 s25, 0, s25
	s_mul_hi_u32 s66, s23, s6
	s_add_u32 s22, s60, s22
	s_mul_i32 s6, s23, s6
	s_addc_u32 s22, s25, s24
	s_addc_u32 s24, s66, 0
	s_add_u32 s6, s22, s6
	s_addc_u32 s22, 0, s24
	s_mul_hi_u32 s24, s33, s6
	s_mul_i32 s22, s33, s22
	s_mul_i32 s6, s33, s6
	s_add_i32 s24, s24, s22
	s_sub_u32 s6, s2, s6
	s_cselect_b32 s22, -1, 0
	s_cmp_lg_u32 s22, 0
	s_subb_u32 s22, s23, s24
	s_sub_u32 s24, s6, s33
	s_cselect_b32 s25, -1, 0
	s_cmp_lg_u32 s25, 0
	s_subb_u32 s25, s22, 0
	s_sub_u32 s60, s24, s33
	s_cselect_b32 s62, -1, 0
	s_cmp_lg_u32 s62, 0
	s_subb_u32 s62, s25, 0
	s_cmp_ge_u32 s24, s33
	s_cselect_b32 s66, -1, 0
	s_cmp_eq_u32 s25, 0
	s_cselect_b32 s66, s66, -1
	s_cmp_lg_u32 s66, 0
	s_cselect_b32 s25, s62, s25
	s_cselect_b32 s24, s60, s24
	s_cmp_ge_u32 s6, s33
	s_cselect_b32 s60, -1, 0
	s_cmp_eq_u32 s22, 0
	s_cselect_b32 s60, s60, -1
	s_cmp_lg_u32 s60, 0
	s_cselect_b32 s25, s25, s22
	s_cselect_b32 s24, s24, s6
	s_cbranch_execnz .LBB225_110
.LBB225_109:                            ;   in Loop: Header=BB225_31 Depth=1
	v_cvt_f32_u32_e32 v2, s33
	s_sub_i32 s22, 0, s33
	v_rcp_iflag_f32_e32 v2, v2
	v_mul_f32_e32 v2, 0x4f7ffffe, v2
	v_cvt_u32_f32_e32 v2, v2
	v_readfirstlane_b32 s6, v2
	s_mul_i32 s22, s22, s6
	s_mul_hi_u32 s22, s6, s22
	s_add_i32 s6, s6, s22
	s_mul_hi_u32 s6, s2, s6
	s_mul_i32 s6, s6, s33
	s_sub_i32 s6, s2, s6
	s_sub_i32 s22, s6, s33
	s_cmp_ge_u32 s6, s33
	s_cselect_b32 s6, s22, s6
	s_sub_i32 s22, s6, s33
	s_cmp_ge_u32 s6, s33
	s_cselect_b32 s60, s22, s6
	s_mov_b64 s[24:25], s[60:61]
.LBB225_110:                            ;   in Loop: Header=BB225_31 Depth=1
	s_sub_u32 s22, s2, s24
	s_subb_u32 s23, s23, s25
	s_mov_b32 s6, 0
	s_mov_b32 s2, 0
	s_mov_b32 s24, exec_lo
                                        ; implicit-def: $vgpr8
	v_cmpx_gt_u64_e64 s[22:23], v[0:1]
	s_cbranch_execz .LBB225_122
; %bb.111:                              ;   in Loop: Header=BB225_31 Depth=1
	v_mov_b32_e32 v5, v1
	v_mov_b32_e32 v2, v43
	;; [unrolled: 1-line block ×3, first 2 shown]
                                        ; implicit-def: $sgpr25
	s_branch .LBB225_114
.LBB225_112:                            ;   in Loop: Header=BB225_114 Depth=2
	s_or_b32 exec_lo, exec_lo, s60
	s_waitcnt lgkmcnt(0)
	s_barrier
	buffer_gl0_inv
	ds_read_b32 v6, v3 offset:3072
	s_mov_b32 s60, -1
	s_mov_b32 s62, -1
	s_waitcnt lgkmcnt(0)
	s_barrier
	buffer_gl0_inv
	v_and_b32_e32 v7, 0x7fff, v6
	v_cmp_ne_u32_e32 vcc_lo, 0, v7
	s_cbranch_vccz .LBB225_117
.LBB225_113:                            ;   in Loop: Header=BB225_114 Depth=2
	s_and_b32 s60, exec_lo, s60
	s_or_b32 s2, s60, s2
	s_andn2_b32 s25, s25, exec_lo
	s_and_b32 s60, s62, exec_lo
	s_or_b32 s25, s25, s60
	s_andn2_b32 exec_lo, exec_lo, s2
	s_cbranch_execz .LBB225_121
.LBB225_114:                            ;   Parent Loop BB225_31 Depth=1
                                        ; =>  This Inner Loop Header: Depth=2
	s_mov_b32 s60, exec_lo
	v_cmpx_gt_u64_e64 s[20:21], v[4:5]
	s_cbranch_execz .LBB225_112
; %bb.115:                              ;   in Loop: Header=BB225_114 Depth=2
	ds_read_u16 v6, v2
	s_waitcnt lgkmcnt(0)
	v_cmp_lt_i16_e32 vcc_lo, -1, v6
	v_lshlrev_b32_e32 v8, 16, v6
	v_cndmask_b32_e32 v7, 0xffff, v49, vcc_lo
	v_cmp_o_f32_e32 vcc_lo, v8, v8
	v_xor_b32_sdwa v7, v7, v6 dst_sel:DWORD dst_unused:UNUSED_PAD src0_sel:DWORD src1_sel:WORD_0
	v_cndmask_b32_e32 v7, 0xffff, v7, vcc_lo
	v_and_b32_e32 v7, v7, v11
	v_cmp_eq_u32_e32 vcc_lo, v7, v10
	s_and_b32 exec_lo, exec_lo, vcc_lo
	s_cbranch_execz .LBB225_112
; %bb.116:                              ;   in Loop: Header=BB225_114 Depth=2
	v_perm_b32 v6, v6, s58, 0x5040100
	ds_write_b32 v3, v6 offset:3072
	s_branch .LBB225_112
.LBB225_117:                            ;   in Loop: Header=BB225_114 Depth=2
	v_add_co_u32 v4, vcc_lo, v4, s33
	v_add_co_ci_u32_e64 v5, null, 0, v5, vcc_lo
	v_add_nc_u32_e32 v2, vcc_hi, v2
	s_mov_b32 s62, 0
	v_cmp_le_u64_e32 vcc_lo, s[22:23], v[4:5]
	s_orn2_b32 s60, vcc_lo, exec_lo
	s_branch .LBB225_113
.LBB225_118:                            ;   in Loop: Header=BB225_31 Depth=1
	s_or_b32 exec_lo, exec_lo, s12
	s_waitcnt lgkmcnt(0)
	s_barrier
	buffer_gl0_inv
	s_and_saveexec_b32 s6, s3
	s_cbranch_execz .LBB225_120
; %bb.119:                              ;   in Loop: Header=BB225_31 Depth=1
	ds_read_b32 v4, v3 offset:5144
	s_waitcnt lgkmcnt(0)
	v_ashrrev_i32_e32 v5, 31, v4
	ds_write_b64 v3, v[4:5] offset:5120
.LBB225_120:                            ;   in Loop: Header=BB225_31 Depth=1
	s_or_b32 exec_lo, exec_lo, s6
	s_waitcnt lgkmcnt(0)
	s_mov_b32 s6, -1
	s_barrier
	s_and_b32 vcc_lo, exec_lo, s2
	s_cbranch_vccnz .LBB225_46
	s_branch .LBB225_61
.LBB225_121:                            ;   in Loop: Header=BB225_31 Depth=1
	s_or_b32 exec_lo, exec_lo, s2
	v_lshrrev_b32_e32 v8, 16, v6
	s_and_b32 s2, s25, exec_lo
.LBB225_122:                            ;   in Loop: Header=BB225_31 Depth=1
	s_or_b32 exec_lo, exec_lo, s24
.LBB225_123:                            ;   in Loop: Header=BB225_31 Depth=1
	s_and_b32 vcc_lo, exec_lo, s6
	s_cbranch_vccz .LBB225_137
; %bb.124:                              ;   in Loop: Header=BB225_31 Depth=1
	s_mov_b32 s62, s61
	s_cmp_lg_u64 s[62:63], 0
	s_cbranch_scc0 .LBB225_165
; %bb.125:                              ;   in Loop: Header=BB225_31 Depth=1
	v_cvt_f32_u32_e32 v2, s33
	s_sub_u32 s21, 0, s33
	s_subb_u32 s22, 0, 0
	v_fmac_f32_e64 v2, 0x4f800000, 0
	v_rcp_f32_e32 v2, v2
	v_mul_f32_e32 v2, 0x5f7ffffc, v2
	v_mul_f32_e32 v4, 0x2f800000, v2
	v_trunc_f32_e32 v4, v4
	v_fmac_f32_e32 v2, 0xcf800000, v4
	v_cvt_u32_f32_e32 v4, v4
	v_cvt_u32_f32_e32 v2, v2
	v_readfirstlane_b32 s6, v4
	v_readfirstlane_b32 s20, v2
	s_mul_i32 s23, s21, s6
	s_mul_hi_u32 s25, s21, s20
	s_mul_i32 s24, s22, s20
	s_add_i32 s23, s25, s23
	s_mul_i32 s60, s21, s20
	s_add_i32 s23, s23, s24
	s_mul_hi_u32 s25, s20, s60
	s_mul_i32 s66, s20, s23
	s_mul_hi_u32 s62, s6, s60
	s_mul_i32 s24, s6, s60
	s_mul_hi_u32 s60, s20, s23
	s_add_u32 s25, s25, s66
	s_addc_u32 s60, 0, s60
	s_mul_hi_u32 s67, s6, s23
	s_add_u32 s24, s25, s24
	s_mul_i32 s23, s6, s23
	s_addc_u32 s24, s60, s62
	s_addc_u32 s25, s67, 0
	s_add_u32 s23, s24, s23
	s_addc_u32 s24, 0, s25
	s_add_u32 s20, s20, s23
	s_cselect_b32 s23, -1, 0
	s_mul_hi_u32 s25, s21, s20
	s_cmp_lg_u32 s23, 0
	s_mul_i32 s23, s21, s20
	s_addc_u32 s6, s6, s24
	s_mul_i32 s22, s22, s20
	s_mul_i32 s21, s21, s6
	s_mul_hi_u32 s24, s20, s23
	s_add_i32 s21, s25, s21
	s_mul_hi_u32 s25, s6, s23
	s_add_i32 s21, s21, s22
	s_mul_i32 s22, s6, s23
	s_mul_i32 s62, s20, s21
	s_mul_hi_u32 s60, s20, s21
	s_add_u32 s24, s24, s62
	s_addc_u32 s60, 0, s60
	s_mul_hi_u32 s23, s6, s21
	s_add_u32 s22, s24, s22
	s_mul_i32 s21, s6, s21
	s_addc_u32 s22, s60, s25
	s_addc_u32 s23, s23, 0
	s_add_u32 s21, s22, s21
	s_addc_u32 s22, 0, s23
	s_add_u32 s20, s20, s21
	s_cselect_b32 s21, -1, 0
	s_mul_hi_u32 s23, s95, s20
	s_cmp_lg_u32 s21, 0
	s_mul_hi_u32 s21, s63, s20
	s_addc_u32 s6, s6, s22
	s_mul_i32 s20, s63, s20
	s_mul_i32 s24, s95, s6
	s_mul_hi_u32 s22, s95, s6
	s_add_u32 s23, s23, s24
	s_addc_u32 s22, 0, s22
	s_mul_hi_u32 s25, s63, s6
	s_add_u32 s20, s23, s20
	s_mul_i32 s6, s63, s6
	s_addc_u32 s20, s22, s21
	s_addc_u32 s21, s25, 0
	s_add_u32 s6, s20, s6
	s_addc_u32 s20, 0, s21
	s_mul_hi_u32 s21, s33, s6
	s_mul_i32 s20, s33, s20
	s_mul_i32 s6, s33, s6
	s_add_i32 s21, s21, s20
	s_sub_u32 s6, s95, s6
	s_cselect_b32 s20, -1, 0
	s_cmp_lg_u32 s20, 0
	s_subb_u32 s20, s63, s21
	s_sub_u32 s21, s6, s33
	s_cselect_b32 s22, -1, 0
	s_cmp_lg_u32 s22, 0
	s_subb_u32 s22, s20, 0
	;; [unrolled: 4-line block ×3, first 2 shown]
	s_cmp_ge_u32 s21, s33
	s_cselect_b32 s25, -1, 0
	s_cmp_eq_u32 s22, 0
	s_cselect_b32 s25, s25, -1
	s_cmp_lg_u32 s25, 0
	s_cselect_b32 s22, s24, s22
	s_cselect_b32 s23, s23, s21
	s_cmp_ge_u32 s6, s33
	s_cselect_b32 s21, -1, 0
	s_cmp_eq_u32 s20, 0
	s_cselect_b32 s21, s21, -1
	s_cmp_lg_u32 s21, 0
	s_cselect_b32 s21, s22, s20
	s_cselect_b32 s20, s23, s6
	s_cbranch_execnz .LBB225_127
.LBB225_126:                            ;   in Loop: Header=BB225_31 Depth=1
	v_cvt_f32_u32_e32 v2, s33
	s_sub_i32 s20, 0, s33
	v_rcp_iflag_f32_e32 v2, v2
	v_mul_f32_e32 v2, 0x4f7ffffe, v2
	v_cvt_u32_f32_e32 v2, v2
	v_readfirstlane_b32 s6, v2
	s_mul_i32 s20, s20, s6
	s_mul_hi_u32 s20, s6, s20
	s_add_i32 s6, s6, s20
	s_mul_hi_u32 s6, s95, s6
	s_mul_i32 s6, s6, s33
	s_sub_i32 s6, s95, s6
	s_sub_i32 s20, s6, s33
	s_cmp_ge_u32 s6, s33
	s_cselect_b32 s6, s20, s6
	s_sub_i32 s20, s6, s33
	s_cmp_ge_u32 s6, s33
	s_cselect_b32 s60, s20, s6
	s_mov_b64 s[20:21], s[60:61]
.LBB225_127:                            ;   in Loop: Header=BB225_31 Depth=1
	s_sub_u32 s20, s95, s20
	s_subb_u32 s21, s63, s21
	s_mov_b32 s22, exec_lo
                                        ; implicit-def: $vgpr8
	v_cmpx_gt_u64_e64 s[20:21], v[0:1]
	s_cbranch_execz .LBB225_136
; %bb.128:                              ;   in Loop: Header=BB225_31 Depth=1
	v_mov_b32_e32 v4, v27
	v_mov_b32_e32 v7, v1
	;; [unrolled: 1-line block ×4, first 2 shown]
	s_mov_b32 s23, 0
                                        ; implicit-def: $sgpr24
	s_branch .LBB225_131
.LBB225_129:                            ;   in Loop: Header=BB225_131 Depth=2
	s_or_b32 exec_lo, exec_lo, s6
	s_waitcnt lgkmcnt(0)
	s_barrier
	buffer_gl0_inv
	ds_read_b32 v2, v3 offset:3072
	s_mov_b32 s6, -1
	s_mov_b32 s25, -1
	s_waitcnt lgkmcnt(0)
	s_barrier
	buffer_gl0_inv
	v_and_b32_e32 v8, 0x7fff, v2
	v_cmp_ne_u32_e32 vcc_lo, 0, v8
	s_cbranch_vccz .LBB225_134
.LBB225_130:                            ;   in Loop: Header=BB225_131 Depth=2
	s_and_b32 s6, exec_lo, s6
	s_or_b32 s23, s6, s23
	s_andn2_b32 s6, s24, exec_lo
	s_and_b32 s24, s25, exec_lo
	s_or_b32 s24, s6, s24
	s_andn2_b32 exec_lo, exec_lo, s23
	s_cbranch_execz .LBB225_135
.LBB225_131:                            ;   Parent Loop BB225_31 Depth=1
                                        ; =>  This Inner Loop Header: Depth=2
	s_mov_b32 s6, exec_lo
	v_cmpx_gt_u64_e64 s[36:37], v[6:7]
	s_cbranch_execz .LBB225_129
; %bb.132:                              ;   in Loop: Header=BB225_131 Depth=2
	global_load_ushort v2, v[4:5], off
	s_waitcnt vmcnt(0)
	v_cmp_lt_i16_e32 vcc_lo, -1, v2
	v_lshlrev_b32_e32 v9, 16, v2
	v_cndmask_b32_e32 v8, 0xffff, v49, vcc_lo
	v_cmp_o_f32_e32 vcc_lo, v9, v9
	v_xor_b32_sdwa v8, v8, v2 dst_sel:DWORD dst_unused:UNUSED_PAD src0_sel:DWORD src1_sel:WORD_0
	v_cndmask_b32_e32 v8, 0xffff, v8, vcc_lo
	v_and_b32_e32 v8, v8, v11
	v_cmp_eq_u32_e32 vcc_lo, v8, v10
	s_and_b32 exec_lo, exec_lo, vcc_lo
	s_cbranch_execz .LBB225_129
; %bb.133:                              ;   in Loop: Header=BB225_131 Depth=2
	v_perm_b32 v2, v2, s58, 0x5040100
	ds_write_b32 v3, v2 offset:3072
	s_branch .LBB225_129
.LBB225_134:                            ;   in Loop: Header=BB225_131 Depth=2
	v_add_co_u32 v6, vcc_lo, v6, s33
	v_add_co_ci_u32_e64 v7, null, 0, v7, vcc_lo
	v_add_co_u32 v4, s6, v4, s42
	v_add_co_ci_u32_e64 v5, null, s43, v5, s6
	v_cmp_le_u64_e32 vcc_lo, s[20:21], v[6:7]
	s_mov_b32 s25, 0
	s_orn2_b32 s6, vcc_lo, exec_lo
	s_branch .LBB225_130
.LBB225_135:                            ;   in Loop: Header=BB225_31 Depth=1
	s_or_b32 exec_lo, exec_lo, s23
	v_lshrrev_b32_e32 v8, 16, v2
	s_andn2_b32 s2, s2, exec_lo
	s_and_b32 s6, s24, exec_lo
	s_or_b32 s2, s2, s6
.LBB225_136:                            ;   in Loop: Header=BB225_31 Depth=1
	s_or_b32 exec_lo, exec_lo, s22
	s_mov_b32 s73, 0
	s_mov_b32 s74, -1
.LBB225_137:                            ;   in Loop: Header=BB225_31 Depth=1
	s_orn2_b32 s2, s2, exec_lo
.LBB225_138:                            ;   in Loop: Header=BB225_31 Depth=1
	s_or_b32 exec_lo, exec_lo, s49
	s_mov_b32 s75, 0
	s_mov_b32 s72, 0
	;; [unrolled: 1-line block ×3, first 2 shown]
                                        ; implicit-def: $vgpr4_vgpr5
                                        ; implicit-def: $vgpr2
	s_and_saveexec_b32 s76, s2
	s_cbranch_execz .LBB225_296
; %bb.139:                              ;   in Loop: Header=BB225_31 Depth=1
	v_mov_b32_e32 v4, 1
	v_mov_b32_e32 v5, 0
	;; [unrolled: 1-line block ×3, first 2 shown]
	s_xor_b32 s20, s77, -1
	s_mov_b32 s6, 0
	s_and_saveexec_b32 s2, s20
	s_cbranch_execz .LBB225_148
; %bb.140:                              ;   in Loop: Header=BB225_31 Depth=1
	s_mov_b32 s6, exec_lo
	v_cmpx_ge_u64_e64 s[12:13], v[29:30]
	s_xor_b32 s6, exec_lo, s6
	s_cbranch_execz .LBB225_145
; %bb.141:                              ;   in Loop: Header=BB225_31 Depth=1
	ds_read_b64 v[4:5], v3 offset:5120
	v_and_b32_e32 v10, s26, v10
	v_or_b32_e32 v11, s11, v11
	s_waitcnt lgkmcnt(0)
	v_cmp_ne_u64_e32 vcc_lo, 0, v[4:5]
	s_cbranch_vccnz .LBB225_145
; %bb.142:                              ;   in Loop: Header=BB225_31 Depth=1
	s_and_saveexec_b32 s20, s3
; %bb.143:                              ;   in Loop: Header=BB225_31 Depth=1
	v_mov_b32_e32 v4, s12
	v_mov_b32_e32 v5, s13
	ds_write_b64 v3, v[4:5] offset:5128
; %bb.144:                              ;   in Loop: Header=BB225_31 Depth=1
	s_or_b32 exec_lo, exec_lo, s20
	s_waitcnt lgkmcnt(0)
	s_barrier
	buffer_gl0_inv
.LBB225_145:                            ;   in Loop: Header=BB225_31 Depth=1
	s_or_saveexec_b32 s6, s6
	v_mov_b32_e32 v4, v29
	v_mov_b32_e32 v2, 8
	;; [unrolled: 1-line block ×3, first 2 shown]
	s_mov_b32 s20, 0
	s_xor_b32 exec_lo, exec_lo, s6
; %bb.146:                              ;   in Loop: Header=BB225_31 Depth=1
	v_sub_co_u32 v4, vcc_lo, v29, s12
	v_subrev_co_ci_u32_e64 v5, null, s13, v30, vcc_lo
	v_mov_b32_e32 v2, 0
	s_mov_b32 s20, exec_lo
; %bb.147:                              ;   in Loop: Header=BB225_31 Depth=1
	s_or_b32 exec_lo, exec_lo, s6
	s_and_b32 s6, s20, exec_lo
.LBB225_148:                            ;   in Loop: Header=BB225_31 Depth=1
	s_or_b32 exec_lo, exec_lo, s2
	s_mov_b32 s2, -1
                                        ; implicit-def: $sgpr72
                                        ; implicit-def: $sgpr77
	s_and_saveexec_b32 s20, s6
	s_xor_b32 s49, exec_lo, s20
	s_cbranch_execz .LBB225_293
; %bb.149:                              ;   in Loop: Header=BB225_31 Depth=1
	v_cmp_eq_u64_e32 vcc_lo, 1, v[4:5]
	s_cmp_eq_u64 s[14:15], 1
                                        ; implicit-def: $sgpr77
                                        ; implicit-def: $sgpr72
	s_cselect_b32 s2, -1, 0
	s_and_b32 s79, s2, vcc_lo
	s_mov_b32 s2, -1
	s_and_saveexec_b32 s78, s79
	s_cbranch_execz .LBB225_183
; %bb.150:                              ;   in Loop: Header=BB225_31 Depth=1
	ds_read_b64 v[6:7], v3 offset:5120
	s_waitcnt lgkmcnt(0)
	s_barrier
	buffer_gl0_inv
	v_readfirstlane_b32 s20, v6
	v_readfirstlane_b32 s21, v7
	s_and_saveexec_b32 s2, s10
; %bb.151:                              ;   in Loop: Header=BB225_31 Depth=1
	ds_write_b16 v44, v3
; %bb.152:                              ;   in Loop: Header=BB225_31 Depth=1
	s_or_b32 exec_lo, exec_lo, s2
	s_lshl_b32 s2, 1, s54
	v_or_b32_e32 v11, s11, v11
	v_and_or_b32 v10, v10, s26, s2
	s_mov_b32 s72, -1
	s_mov_b32 s77, 0
	s_cmp_eq_u64 s[20:21], 0
	s_mov_b32 s2, 0
	s_mov_b32 s24, -1
	s_waitcnt lgkmcnt(0)
	s_barrier
	buffer_gl0_inv
                                        ; implicit-def: $vgpr8
	s_cbranch_scc1 .LBB225_168
; %bb.153:                              ;   in Loop: Header=BB225_31 Depth=1
	s_add_u32 s2, s20, s93
	s_addc_u32 s23, s21, s94
	s_mov_b32 s22, s61
	s_cmp_lg_u64 s[22:23], 0
	s_cbranch_scc0 .LBB225_209
; %bb.154:                              ;   in Loop: Header=BB225_31 Depth=1
	v_cvt_f32_u32_e32 v6, s33
	s_sub_u32 s24, 0, s33
	s_subb_u32 s25, 0, 0
	v_fmac_f32_e64 v6, 0x4f800000, 0
	v_rcp_f32_e32 v6, v6
	v_mul_f32_e32 v6, 0x5f7ffffc, v6
	v_mul_f32_e32 v7, 0x2f800000, v6
	v_trunc_f32_e32 v7, v7
	v_fmac_f32_e32 v6, 0xcf800000, v7
	v_cvt_u32_f32_e32 v7, v7
	v_cvt_u32_f32_e32 v6, v6
	v_readfirstlane_b32 s6, v7
	v_readfirstlane_b32 s22, v6
	s_mul_i32 s60, s24, s6
	s_mul_hi_u32 s66, s24, s22
	s_mul_i32 s62, s25, s22
	s_add_i32 s60, s66, s60
	s_mul_i32 s67, s24, s22
	s_add_i32 s60, s60, s62
	s_mul_hi_u32 s66, s22, s67
	s_mul_i32 s81, s22, s60
	s_mul_hi_u32 s80, s6, s67
	s_mul_i32 s62, s6, s67
	s_mul_hi_u32 s67, s22, s60
	s_add_u32 s66, s66, s81
	s_addc_u32 s67, 0, s67
	s_mul_hi_u32 s82, s6, s60
	s_add_u32 s62, s66, s62
	s_mul_i32 s60, s6, s60
	s_addc_u32 s62, s67, s80
	s_addc_u32 s66, s82, 0
	s_add_u32 s60, s62, s60
	s_addc_u32 s62, 0, s66
	s_add_u32 s22, s22, s60
	s_cselect_b32 s60, -1, 0
	s_mul_hi_u32 s66, s24, s22
	s_cmp_lg_u32 s60, 0
	s_mul_i32 s60, s24, s22
	s_addc_u32 s6, s6, s62
	s_mul_i32 s25, s25, s22
	s_mul_i32 s24, s24, s6
	s_mul_hi_u32 s62, s22, s60
	s_add_i32 s24, s66, s24
	s_mul_hi_u32 s66, s6, s60
	s_add_i32 s24, s24, s25
	s_mul_i32 s25, s6, s60
	s_mul_i32 s80, s22, s24
	s_mul_hi_u32 s67, s22, s24
	s_add_u32 s62, s62, s80
	s_addc_u32 s67, 0, s67
	s_mul_hi_u32 s60, s6, s24
	s_add_u32 s25, s62, s25
	s_mul_i32 s24, s6, s24
	s_addc_u32 s25, s67, s66
	s_addc_u32 s60, s60, 0
	s_add_u32 s24, s25, s24
	s_addc_u32 s25, 0, s60
	s_add_u32 s22, s22, s24
	s_cselect_b32 s24, -1, 0
	s_mul_hi_u32 s60, s2, s22
	s_cmp_lg_u32 s24, 0
	s_mul_hi_u32 s24, s23, s22
	s_addc_u32 s6, s6, s25
	s_mul_i32 s22, s23, s22
	s_mul_i32 s62, s2, s6
	s_mul_hi_u32 s25, s2, s6
	s_add_u32 s60, s60, s62
	s_addc_u32 s25, 0, s25
	s_mul_hi_u32 s66, s23, s6
	s_add_u32 s22, s60, s22
	s_mul_i32 s6, s23, s6
	s_addc_u32 s22, s25, s24
	s_addc_u32 s24, s66, 0
	s_add_u32 s6, s22, s6
	s_addc_u32 s22, 0, s24
	s_mul_hi_u32 s24, s33, s6
	s_mul_i32 s22, s33, s22
	s_mul_i32 s6, s33, s6
	s_add_i32 s24, s24, s22
	s_sub_u32 s6, s2, s6
	s_cselect_b32 s22, -1, 0
	s_cmp_lg_u32 s22, 0
	s_subb_u32 s22, s23, s24
	s_sub_u32 s24, s6, s33
	s_cselect_b32 s25, -1, 0
	s_cmp_lg_u32 s25, 0
	s_subb_u32 s25, s22, 0
	;; [unrolled: 4-line block ×3, first 2 shown]
	s_cmp_ge_u32 s24, s33
	s_cselect_b32 s66, -1, 0
	s_cmp_eq_u32 s25, 0
	s_cselect_b32 s66, s66, -1
	s_cmp_lg_u32 s66, 0
	s_cselect_b32 s25, s62, s25
	s_cselect_b32 s24, s60, s24
	s_cmp_ge_u32 s6, s33
	s_cselect_b32 s60, -1, 0
	s_cmp_eq_u32 s22, 0
	s_cselect_b32 s60, s60, -1
	s_cmp_lg_u32 s60, 0
	s_cselect_b32 s25, s25, s22
	s_cselect_b32 s24, s24, s6
	s_cbranch_execnz .LBB225_156
.LBB225_155:                            ;   in Loop: Header=BB225_31 Depth=1
	v_cvt_f32_u32_e32 v6, s33
	s_sub_i32 s22, 0, s33
	v_rcp_iflag_f32_e32 v6, v6
	v_mul_f32_e32 v6, 0x4f7ffffe, v6
	v_cvt_u32_f32_e32 v6, v6
	v_readfirstlane_b32 s6, v6
	s_mul_i32 s22, s22, s6
	s_mul_hi_u32 s22, s6, s22
	s_add_i32 s6, s6, s22
	s_mul_hi_u32 s6, s2, s6
	s_mul_i32 s6, s6, s33
	s_sub_i32 s6, s2, s6
	s_sub_i32 s22, s6, s33
	s_cmp_ge_u32 s6, s33
	s_cselect_b32 s6, s22, s6
	s_sub_i32 s22, s6, s33
	s_cmp_ge_u32 s6, s33
	s_cselect_b32 s60, s22, s6
	s_mov_b64 s[24:25], s[60:61]
.LBB225_156:                            ;   in Loop: Header=BB225_31 Depth=1
	s_sub_u32 s22, s2, s24
	s_subb_u32 s23, s23, s25
	s_mov_b32 s24, 0
	s_mov_b32 s2, 0
	s_mov_b32 s25, exec_lo
                                        ; implicit-def: $vgpr8
	v_cmpx_gt_u64_e64 s[22:23], v[0:1]
	s_cbranch_execz .LBB225_167
; %bb.157:                              ;   in Loop: Header=BB225_31 Depth=1
	v_mov_b32_e32 v7, v1
	v_mov_b32_e32 v8, v43
	;; [unrolled: 1-line block ×3, first 2 shown]
                                        ; implicit-def: $sgpr60
	s_branch .LBB225_160
.LBB225_158:                            ;   in Loop: Header=BB225_160 Depth=2
	s_or_b32 exec_lo, exec_lo, s62
	s_waitcnt lgkmcnt(0)
	s_barrier
	buffer_gl0_inv
	ds_read_b32 v9, v3 offset:3072
	s_mov_b32 s6, -1
	s_mov_b32 s62, -1
	s_waitcnt lgkmcnt(0)
	s_barrier
	buffer_gl0_inv
	v_and_b32_e32 v31, 0x7fff, v9
	v_cmp_ne_u32_e32 vcc_lo, 0, v31
	s_cbranch_vccz .LBB225_163
.LBB225_159:                            ;   in Loop: Header=BB225_160 Depth=2
	s_and_b32 s6, exec_lo, s6
	s_or_b32 s2, s6, s2
	s_andn2_b32 s6, s60, exec_lo
	s_and_b32 s60, s62, exec_lo
	s_or_b32 s60, s6, s60
	s_andn2_b32 exec_lo, exec_lo, s2
	s_cbranch_execz .LBB225_166
.LBB225_160:                            ;   Parent Loop BB225_31 Depth=1
                                        ; =>  This Inner Loop Header: Depth=2
	s_mov_b32 s62, exec_lo
	v_cmpx_gt_u64_e64 s[20:21], v[6:7]
	s_cbranch_execz .LBB225_158
; %bb.161:                              ;   in Loop: Header=BB225_160 Depth=2
	ds_read_u16 v9, v8
	s_waitcnt lgkmcnt(0)
	v_lshlrev_b32_e32 v31, 16, v9
	v_cmp_lt_i16_e64 s6, -1, v9
	v_cmp_o_f32_e32 vcc_lo, v31, v31
	v_cndmask_b32_e64 v31, 0xffff, v49, s6
	v_xor_b32_sdwa v31, v31, v9 dst_sel:DWORD dst_unused:UNUSED_PAD src0_sel:DWORD src1_sel:WORD_0
	v_cndmask_b32_e32 v31, 0xffff, v31, vcc_lo
	v_and_b32_e32 v31, v31, v11
	v_cmp_eq_u32_e32 vcc_lo, v31, v10
	s_and_b32 exec_lo, exec_lo, vcc_lo
	s_cbranch_execz .LBB225_158
; %bb.162:                              ;   in Loop: Header=BB225_160 Depth=2
	v_perm_b32 v9, v9, s58, 0x5040100
	ds_write_b32 v3, v9 offset:3072
	s_branch .LBB225_158
.LBB225_163:                            ;   in Loop: Header=BB225_160 Depth=2
	v_add_co_u32 v6, vcc_lo, v6, s33
	v_add_co_ci_u32_e64 v7, null, 0, v7, vcc_lo
	v_add_nc_u32_e32 v8, vcc_hi, v8
	s_mov_b32 s62, 0
	v_cmp_le_u64_e32 vcc_lo, s[22:23], v[6:7]
	s_orn2_b32 s6, vcc_lo, exec_lo
	s_branch .LBB225_159
.LBB225_164:                            ;   in Loop: Header=BB225_31 Depth=1
                                        ; implicit-def: $sgpr24_sgpr25
	s_andn2_b32 vcc_lo, exec_lo, s6
	s_cbranch_vccz .LBB225_109
	s_branch .LBB225_110
.LBB225_165:                            ;   in Loop: Header=BB225_31 Depth=1
                                        ; implicit-def: $sgpr20_sgpr21
	s_branch .LBB225_126
.LBB225_166:                            ;   in Loop: Header=BB225_31 Depth=1
	s_or_b32 exec_lo, exec_lo, s2
	v_lshrrev_b32_e32 v8, 16, v9
	s_and_b32 s2, s60, exec_lo
.LBB225_167:                            ;   in Loop: Header=BB225_31 Depth=1
	s_or_b32 exec_lo, exec_lo, s25
.LBB225_168:                            ;   in Loop: Header=BB225_31 Depth=1
	s_and_b32 vcc_lo, exec_lo, s24
	s_cbranch_vccz .LBB225_182
; %bb.169:                              ;   in Loop: Header=BB225_31 Depth=1
	s_mov_b32 s62, s61
	s_cmp_lg_u64 s[62:63], 0
	s_cbranch_scc0 .LBB225_210
; %bb.170:                              ;   in Loop: Header=BB225_31 Depth=1
	v_cvt_f32_u32_e32 v6, s33
	s_sub_u32 s21, 0, s33
	s_subb_u32 s22, 0, 0
	v_fmac_f32_e64 v6, 0x4f800000, 0
	v_rcp_f32_e32 v6, v6
	v_mul_f32_e32 v6, 0x5f7ffffc, v6
	v_mul_f32_e32 v7, 0x2f800000, v6
	v_trunc_f32_e32 v7, v7
	v_fmac_f32_e32 v6, 0xcf800000, v7
	v_cvt_u32_f32_e32 v7, v7
	v_cvt_u32_f32_e32 v6, v6
	v_readfirstlane_b32 s6, v7
	v_readfirstlane_b32 s20, v6
	s_mul_i32 s23, s21, s6
	s_mul_hi_u32 s25, s21, s20
	s_mul_i32 s24, s22, s20
	s_add_i32 s23, s25, s23
	s_mul_i32 s60, s21, s20
	s_add_i32 s23, s23, s24
	s_mul_hi_u32 s25, s20, s60
	s_mul_i32 s66, s20, s23
	s_mul_hi_u32 s62, s6, s60
	s_mul_i32 s24, s6, s60
	s_mul_hi_u32 s60, s20, s23
	s_add_u32 s25, s25, s66
	s_addc_u32 s60, 0, s60
	s_mul_hi_u32 s67, s6, s23
	s_add_u32 s24, s25, s24
	s_mul_i32 s23, s6, s23
	s_addc_u32 s24, s60, s62
	s_addc_u32 s25, s67, 0
	s_add_u32 s23, s24, s23
	s_addc_u32 s24, 0, s25
	s_add_u32 s20, s20, s23
	s_cselect_b32 s23, -1, 0
	s_mul_hi_u32 s25, s21, s20
	s_cmp_lg_u32 s23, 0
	s_mul_i32 s23, s21, s20
	s_addc_u32 s6, s6, s24
	s_mul_i32 s22, s22, s20
	s_mul_i32 s21, s21, s6
	s_mul_hi_u32 s24, s20, s23
	s_add_i32 s21, s25, s21
	s_mul_hi_u32 s25, s6, s23
	s_add_i32 s21, s21, s22
	s_mul_i32 s22, s6, s23
	s_mul_i32 s62, s20, s21
	s_mul_hi_u32 s60, s20, s21
	s_add_u32 s24, s24, s62
	s_addc_u32 s60, 0, s60
	s_mul_hi_u32 s23, s6, s21
	s_add_u32 s22, s24, s22
	s_mul_i32 s21, s6, s21
	s_addc_u32 s22, s60, s25
	s_addc_u32 s23, s23, 0
	s_add_u32 s21, s22, s21
	s_addc_u32 s22, 0, s23
	s_add_u32 s20, s20, s21
	s_cselect_b32 s21, -1, 0
	s_mul_hi_u32 s23, s95, s20
	s_cmp_lg_u32 s21, 0
	s_mul_hi_u32 s21, s63, s20
	s_addc_u32 s6, s6, s22
	s_mul_i32 s20, s63, s20
	s_mul_i32 s24, s95, s6
	s_mul_hi_u32 s22, s95, s6
	s_add_u32 s23, s23, s24
	s_addc_u32 s22, 0, s22
	s_mul_hi_u32 s25, s63, s6
	s_add_u32 s20, s23, s20
	s_mul_i32 s6, s63, s6
	s_addc_u32 s20, s22, s21
	s_addc_u32 s21, s25, 0
	s_add_u32 s6, s20, s6
	s_addc_u32 s20, 0, s21
	s_mul_hi_u32 s21, s33, s6
	s_mul_i32 s20, s33, s20
	s_mul_i32 s6, s33, s6
	s_add_i32 s21, s21, s20
	s_sub_u32 s6, s95, s6
	s_cselect_b32 s20, -1, 0
	s_cmp_lg_u32 s20, 0
	s_subb_u32 s20, s63, s21
	s_sub_u32 s21, s6, s33
	s_cselect_b32 s22, -1, 0
	s_cmp_lg_u32 s22, 0
	s_subb_u32 s22, s20, 0
	;; [unrolled: 4-line block ×3, first 2 shown]
	s_cmp_ge_u32 s21, s33
	s_cselect_b32 s25, -1, 0
	s_cmp_eq_u32 s22, 0
	s_cselect_b32 s25, s25, -1
	s_cmp_lg_u32 s25, 0
	s_cselect_b32 s22, s24, s22
	s_cselect_b32 s23, s23, s21
	s_cmp_ge_u32 s6, s33
	s_cselect_b32 s21, -1, 0
	s_cmp_eq_u32 s20, 0
	s_cselect_b32 s21, s21, -1
	s_cmp_lg_u32 s21, 0
	s_cselect_b32 s21, s22, s20
	s_cselect_b32 s20, s23, s6
	s_cbranch_execnz .LBB225_172
.LBB225_171:                            ;   in Loop: Header=BB225_31 Depth=1
	v_cvt_f32_u32_e32 v6, s33
	s_sub_i32 s20, 0, s33
	v_rcp_iflag_f32_e32 v6, v6
	v_mul_f32_e32 v6, 0x4f7ffffe, v6
	v_cvt_u32_f32_e32 v6, v6
	v_readfirstlane_b32 s6, v6
	s_mul_i32 s20, s20, s6
	s_mul_hi_u32 s20, s6, s20
	s_add_i32 s6, s6, s20
	s_mul_hi_u32 s6, s95, s6
	s_mul_i32 s6, s6, s33
	s_sub_i32 s6, s95, s6
	s_sub_i32 s20, s6, s33
	s_cmp_ge_u32 s6, s33
	s_cselect_b32 s6, s20, s6
	s_sub_i32 s20, s6, s33
	s_cmp_ge_u32 s6, s33
	s_cselect_b32 s60, s20, s6
	s_mov_b64 s[20:21], s[60:61]
.LBB225_172:                            ;   in Loop: Header=BB225_31 Depth=1
	s_sub_u32 s20, s95, s20
	s_subb_u32 s21, s63, s21
	s_mov_b32 s22, exec_lo
                                        ; implicit-def: $vgpr8
	v_cmpx_gt_u64_e64 s[20:21], v[0:1]
	s_cbranch_execz .LBB225_181
; %bb.173:                              ;   in Loop: Header=BB225_31 Depth=1
	v_mov_b32_e32 v6, v27
	v_mov_b32_e32 v9, v1
	;; [unrolled: 1-line block ×4, first 2 shown]
	s_mov_b32 s23, 0
                                        ; implicit-def: $sgpr24
	s_branch .LBB225_176
.LBB225_174:                            ;   in Loop: Header=BB225_176 Depth=2
	s_or_b32 exec_lo, exec_lo, s25
	s_waitcnt lgkmcnt(0)
	s_barrier
	buffer_gl0_inv
	ds_read_b32 v31, v3 offset:3072
	s_mov_b32 s6, -1
	s_mov_b32 s25, -1
	s_waitcnt lgkmcnt(0)
	s_barrier
	buffer_gl0_inv
	v_and_b32_e32 v32, 0x7fff, v31
	v_cmp_eq_u32_e32 vcc_lo, 0, v32
	s_cbranch_vccnz .LBB225_179
.LBB225_175:                            ;   in Loop: Header=BB225_176 Depth=2
	s_and_b32 s6, exec_lo, s6
	s_or_b32 s23, s6, s23
	s_andn2_b32 s6, s24, exec_lo
	s_and_b32 s24, s25, exec_lo
	s_or_b32 s24, s6, s24
	s_andn2_b32 exec_lo, exec_lo, s23
	s_cbranch_execz .LBB225_180
.LBB225_176:                            ;   Parent Loop BB225_31 Depth=1
                                        ; =>  This Inner Loop Header: Depth=2
	s_mov_b32 s25, exec_lo
	v_cmpx_gt_u64_e64 s[36:37], v[8:9]
	s_cbranch_execz .LBB225_174
; %bb.177:                              ;   in Loop: Header=BB225_176 Depth=2
	global_load_ushort v31, v[6:7], off
	s_waitcnt vmcnt(0)
	v_lshlrev_b32_e32 v32, 16, v31
	v_cmp_lt_i16_e64 s6, -1, v31
	v_cmp_o_f32_e32 vcc_lo, v32, v32
	v_cndmask_b32_e64 v32, 0xffff, v49, s6
	v_xor_b32_sdwa v32, v32, v31 dst_sel:DWORD dst_unused:UNUSED_PAD src0_sel:DWORD src1_sel:WORD_0
	v_cndmask_b32_e32 v32, 0xffff, v32, vcc_lo
	v_and_b32_e32 v32, v32, v11
	v_cmp_eq_u32_e32 vcc_lo, v32, v10
	s_and_b32 exec_lo, exec_lo, vcc_lo
	s_cbranch_execz .LBB225_174
; %bb.178:                              ;   in Loop: Header=BB225_176 Depth=2
	v_perm_b32 v31, v31, s58, 0x5040100
	ds_write_b32 v3, v31 offset:3072
	s_branch .LBB225_174
.LBB225_179:                            ;   in Loop: Header=BB225_176 Depth=2
	v_add_co_u32 v8, vcc_lo, v8, s33
	v_add_co_ci_u32_e64 v9, null, 0, v9, vcc_lo
	v_add_co_u32 v6, s6, v6, s42
	v_add_co_ci_u32_e64 v7, null, s43, v7, s6
	v_cmp_le_u64_e32 vcc_lo, s[20:21], v[8:9]
	s_mov_b32 s25, 0
	s_orn2_b32 s6, vcc_lo, exec_lo
	s_branch .LBB225_175
.LBB225_180:                            ;   in Loop: Header=BB225_31 Depth=1
	s_or_b32 exec_lo, exec_lo, s23
	v_lshrrev_b32_e32 v8, 16, v31
	s_andn2_b32 s2, s2, exec_lo
	s_and_b32 s6, s24, exec_lo
	s_or_b32 s2, s2, s6
.LBB225_181:                            ;   in Loop: Header=BB225_31 Depth=1
	s_or_b32 exec_lo, exec_lo, s22
	s_mov_b32 s72, 0
	s_mov_b32 s77, -1
.LBB225_182:                            ;   in Loop: Header=BB225_31 Depth=1
	s_orn2_b32 s2, s2, exec_lo
.LBB225_183:                            ;   in Loop: Header=BB225_31 Depth=1
	s_or_b32 exec_lo, exec_lo, s78
	s_mov_b32 s6, 0
	s_and_saveexec_b32 s78, s2
	s_cbranch_execz .LBB225_292
; %bb.184:                              ;   in Loop: Header=BB225_31 Depth=1
	v_mov_b32_e32 v6, 1
	v_mov_b32_e32 v7, 0
	;; [unrolled: 1-line block ×3, first 2 shown]
	s_xor_b32 s20, s79, -1
	s_and_saveexec_b32 s2, s20
	s_cbranch_execz .LBB225_193
; %bb.185:                              ;   in Loop: Header=BB225_31 Depth=1
	s_mov_b32 s6, exec_lo
	v_cmpx_ge_u64_e64 s[14:15], v[4:5]
	s_xor_b32 s6, exec_lo, s6
	s_cbranch_execz .LBB225_190
; %bb.186:                              ;   in Loop: Header=BB225_31 Depth=1
	ds_read_b64 v[6:7], v3 offset:5120
	s_lshl_b32 s20, 1, s54
	v_or_b32_e32 v11, s11, v11
	v_and_or_b32 v10, v10, s26, s20
	s_waitcnt lgkmcnt(0)
	v_cmp_ne_u64_e32 vcc_lo, 0, v[6:7]
	s_cbranch_vccnz .LBB225_190
; %bb.187:                              ;   in Loop: Header=BB225_31 Depth=1
	s_and_saveexec_b32 s20, s3
; %bb.188:                              ;   in Loop: Header=BB225_31 Depth=1
	v_mov_b32_e32 v6, s14
	v_mov_b32_e32 v7, s15
	ds_write_b64 v3, v[6:7] offset:5128
; %bb.189:                              ;   in Loop: Header=BB225_31 Depth=1
	s_or_b32 exec_lo, exec_lo, s20
	s_waitcnt lgkmcnt(0)
	s_barrier
	buffer_gl0_inv
.LBB225_190:                            ;   in Loop: Header=BB225_31 Depth=1
	s_or_saveexec_b32 s6, s6
	v_mov_b32_e32 v2, 8
	s_mov_b32 s20, 0
	s_xor_b32 exec_lo, exec_lo, s6
; %bb.191:                              ;   in Loop: Header=BB225_31 Depth=1
	v_sub_co_u32 v4, vcc_lo, v4, s14
	v_subrev_co_ci_u32_e64 v5, null, s15, v5, vcc_lo
	v_mov_b32_e32 v2, 0
	s_mov_b32 s20, exec_lo
; %bb.192:                              ;   in Loop: Header=BB225_31 Depth=1
	s_or_b32 exec_lo, exec_lo, s6
	v_mov_b32_e32 v7, v5
	v_mov_b32_e32 v6, v4
	s_and_b32 s6, s20, exec_lo
.LBB225_193:                            ;   in Loop: Header=BB225_31 Depth=1
	s_or_b32 exec_lo, exec_lo, s2
	s_mov_b32 s2, -1
                                        ; implicit-def: $sgpr80
                                        ; implicit-def: $sgpr81
	s_and_saveexec_b32 s79, s6
	s_cbranch_execz .LBB225_291
; %bb.194:                              ;   in Loop: Header=BB225_31 Depth=1
	v_cmp_eq_u64_e32 vcc_lo, 1, v[6:7]
	s_cmp_eq_u64 s[16:17], 1
                                        ; implicit-def: $sgpr81
                                        ; implicit-def: $sgpr80
	s_cselect_b32 s2, -1, 0
	s_and_b32 s83, s2, vcc_lo
	s_mov_b32 s2, -1
	s_and_saveexec_b32 s82, s83
	s_cbranch_execz .LBB225_228
; %bb.195:                              ;   in Loop: Header=BB225_31 Depth=1
	ds_read_b64 v[4:5], v3 offset:5120
	s_waitcnt lgkmcnt(0)
	s_barrier
	buffer_gl0_inv
	v_readfirstlane_b32 s20, v4
	v_readfirstlane_b32 s21, v5
	s_and_saveexec_b32 s2, s10
; %bb.196:                              ;   in Loop: Header=BB225_31 Depth=1
	ds_write_b16 v44, v3
; %bb.197:                              ;   in Loop: Header=BB225_31 Depth=1
	s_or_b32 exec_lo, exec_lo, s2
	s_lshl_b32 s2, 2, s54
	v_or_b32_e32 v11, s11, v11
	v_and_or_b32 v10, v10, s26, s2
	s_mov_b32 s80, -1
	s_mov_b32 s81, 0
	s_cmp_eq_u64 s[20:21], 0
	s_mov_b32 s2, 0
	s_mov_b32 s24, -1
	s_waitcnt lgkmcnt(0)
	s_barrier
	buffer_gl0_inv
                                        ; implicit-def: $vgpr8
	s_cbranch_scc1 .LBB225_213
; %bb.198:                              ;   in Loop: Header=BB225_31 Depth=1
	s_add_u32 s2, s20, s93
	s_addc_u32 s23, s21, s94
	s_mov_b32 s22, s61
	s_cmp_lg_u64 s[22:23], 0
	s_cbranch_scc0 .LBB225_245
; %bb.199:                              ;   in Loop: Header=BB225_31 Depth=1
	v_cvt_f32_u32_e32 v4, s33
	s_sub_u32 s24, 0, s33
	s_subb_u32 s25, 0, 0
	v_fmac_f32_e64 v4, 0x4f800000, 0
	v_rcp_f32_e32 v4, v4
	v_mul_f32_e32 v4, 0x5f7ffffc, v4
	v_mul_f32_e32 v5, 0x2f800000, v4
	v_trunc_f32_e32 v5, v5
	v_fmac_f32_e32 v4, 0xcf800000, v5
	v_cvt_u32_f32_e32 v5, v5
	v_cvt_u32_f32_e32 v4, v4
	v_readfirstlane_b32 s6, v5
	v_readfirstlane_b32 s22, v4
	s_mul_i32 s60, s24, s6
	s_mul_hi_u32 s66, s24, s22
	s_mul_i32 s62, s25, s22
	s_add_i32 s60, s66, s60
	s_mul_i32 s67, s24, s22
	s_add_i32 s60, s60, s62
	s_mul_hi_u32 s66, s22, s67
	s_mul_i32 s85, s22, s60
	s_mul_hi_u32 s84, s6, s67
	s_mul_i32 s62, s6, s67
	s_mul_hi_u32 s67, s22, s60
	s_add_u32 s66, s66, s85
	s_addc_u32 s67, 0, s67
	s_mul_hi_u32 vcc_lo, s6, s60
	s_add_u32 s62, s66, s62
	s_mul_i32 s60, s6, s60
	s_addc_u32 s62, s67, s84
	s_addc_u32 s66, vcc_lo, 0
	s_add_u32 s60, s62, s60
	s_addc_u32 s62, 0, s66
	s_add_u32 s22, s22, s60
	s_cselect_b32 s60, -1, 0
	s_mul_hi_u32 s66, s24, s22
	s_cmp_lg_u32 s60, 0
	s_mul_i32 s60, s24, s22
	s_addc_u32 s6, s6, s62
	s_mul_i32 s25, s25, s22
	s_mul_i32 s24, s24, s6
	s_mul_hi_u32 s62, s22, s60
	s_add_i32 s24, s66, s24
	s_mul_hi_u32 s66, s6, s60
	s_add_i32 s24, s24, s25
	s_mul_i32 s25, s6, s60
	s_mul_i32 s84, s22, s24
	s_mul_hi_u32 s67, s22, s24
	s_add_u32 s62, s62, s84
	s_addc_u32 s67, 0, s67
	s_mul_hi_u32 s60, s6, s24
	s_add_u32 s25, s62, s25
	s_mul_i32 s24, s6, s24
	s_addc_u32 s25, s67, s66
	s_addc_u32 s60, s60, 0
	s_add_u32 s24, s25, s24
	s_addc_u32 s25, 0, s60
	s_add_u32 s22, s22, s24
	s_cselect_b32 s24, -1, 0
	s_mul_hi_u32 s60, s2, s22
	s_cmp_lg_u32 s24, 0
	s_mul_hi_u32 s24, s23, s22
	s_addc_u32 s6, s6, s25
	s_mul_i32 s22, s23, s22
	s_mul_i32 s62, s2, s6
	s_mul_hi_u32 s25, s2, s6
	s_add_u32 s60, s60, s62
	s_addc_u32 s25, 0, s25
	s_mul_hi_u32 s66, s23, s6
	s_add_u32 s22, s60, s22
	s_mul_i32 s6, s23, s6
	s_addc_u32 s22, s25, s24
	s_addc_u32 s24, s66, 0
	s_add_u32 s6, s22, s6
	s_addc_u32 s22, 0, s24
	s_mul_hi_u32 s24, s33, s6
	s_mul_i32 s22, s33, s22
	s_mul_i32 s6, s33, s6
	s_add_i32 s24, s24, s22
	s_sub_u32 s6, s2, s6
	s_cselect_b32 s22, -1, 0
	s_cmp_lg_u32 s22, 0
	s_subb_u32 s22, s23, s24
	s_sub_u32 s24, s6, s33
	s_cselect_b32 s25, -1, 0
	s_cmp_lg_u32 s25, 0
	s_subb_u32 s25, s22, 0
	;; [unrolled: 4-line block ×3, first 2 shown]
	s_cmp_ge_u32 s24, s33
	s_cselect_b32 s66, -1, 0
	s_cmp_eq_u32 s25, 0
	s_cselect_b32 s66, s66, -1
	s_cmp_lg_u32 s66, 0
	s_cselect_b32 s25, s62, s25
	s_cselect_b32 s24, s60, s24
	s_cmp_ge_u32 s6, s33
	s_cselect_b32 s60, -1, 0
	s_cmp_eq_u32 s22, 0
	s_cselect_b32 s60, s60, -1
	s_cmp_lg_u32 s60, 0
	s_cselect_b32 s25, s25, s22
	s_cselect_b32 s24, s24, s6
	s_cbranch_execnz .LBB225_201
.LBB225_200:                            ;   in Loop: Header=BB225_31 Depth=1
	v_cvt_f32_u32_e32 v4, s33
	s_sub_i32 s22, 0, s33
	v_rcp_iflag_f32_e32 v4, v4
	v_mul_f32_e32 v4, 0x4f7ffffe, v4
	v_cvt_u32_f32_e32 v4, v4
	v_readfirstlane_b32 s6, v4
	s_mul_i32 s22, s22, s6
	s_mul_hi_u32 s22, s6, s22
	s_add_i32 s6, s6, s22
	s_mul_hi_u32 s6, s2, s6
	s_mul_i32 s6, s6, s33
	s_sub_i32 s6, s2, s6
	s_sub_i32 s22, s6, s33
	s_cmp_ge_u32 s6, s33
	s_cselect_b32 s6, s22, s6
	s_sub_i32 s22, s6, s33
	s_cmp_ge_u32 s6, s33
	s_cselect_b32 s60, s22, s6
	s_mov_b64 s[24:25], s[60:61]
.LBB225_201:                            ;   in Loop: Header=BB225_31 Depth=1
	s_sub_u32 s22, s2, s24
	s_subb_u32 s23, s23, s25
	s_mov_b32 s24, 0
	s_mov_b32 s2, 0
	s_mov_b32 s25, exec_lo
                                        ; implicit-def: $vgpr8
	v_cmpx_gt_u64_e64 s[22:23], v[0:1]
	s_cbranch_execz .LBB225_212
; %bb.202:                              ;   in Loop: Header=BB225_31 Depth=1
	v_mov_b32_e32 v5, v1
	v_mov_b32_e32 v8, v43
	v_mov_b32_e32 v4, v0
                                        ; implicit-def: $sgpr60
	s_branch .LBB225_205
.LBB225_203:                            ;   in Loop: Header=BB225_205 Depth=2
	s_or_b32 exec_lo, exec_lo, s62
	s_waitcnt lgkmcnt(0)
	s_barrier
	buffer_gl0_inv
	ds_read_b32 v9, v3 offset:3072
	s_mov_b32 s6, -1
	s_mov_b32 s62, -1
	s_waitcnt lgkmcnt(0)
	s_barrier
	buffer_gl0_inv
	v_and_b32_e32 v31, 0x7fff, v9
	v_cmp_ne_u32_e32 vcc_lo, 0, v31
	s_cbranch_vccz .LBB225_208
.LBB225_204:                            ;   in Loop: Header=BB225_205 Depth=2
	s_and_b32 s6, exec_lo, s6
	s_or_b32 s2, s6, s2
	s_andn2_b32 s6, s60, exec_lo
	s_and_b32 s60, s62, exec_lo
	s_or_b32 s60, s6, s60
	s_andn2_b32 exec_lo, exec_lo, s2
	s_cbranch_execz .LBB225_211
.LBB225_205:                            ;   Parent Loop BB225_31 Depth=1
                                        ; =>  This Inner Loop Header: Depth=2
	s_mov_b32 s62, exec_lo
	v_cmpx_gt_u64_e64 s[20:21], v[4:5]
	s_cbranch_execz .LBB225_203
; %bb.206:                              ;   in Loop: Header=BB225_205 Depth=2
	ds_read_u16 v9, v8
	s_waitcnt lgkmcnt(0)
	v_lshlrev_b32_e32 v31, 16, v9
	v_cmp_lt_i16_e64 s6, -1, v9
	v_cmp_o_f32_e32 vcc_lo, v31, v31
	v_cndmask_b32_e64 v31, 0xffff, v49, s6
	v_xor_b32_sdwa v31, v31, v9 dst_sel:DWORD dst_unused:UNUSED_PAD src0_sel:DWORD src1_sel:WORD_0
	v_cndmask_b32_e32 v31, 0xffff, v31, vcc_lo
	v_and_b32_e32 v31, v31, v11
	v_cmp_eq_u32_e32 vcc_lo, v31, v10
	s_and_b32 exec_lo, exec_lo, vcc_lo
	s_cbranch_execz .LBB225_203
; %bb.207:                              ;   in Loop: Header=BB225_205 Depth=2
	v_perm_b32 v9, v9, s58, 0x5040100
	ds_write_b32 v3, v9 offset:3072
	s_branch .LBB225_203
.LBB225_208:                            ;   in Loop: Header=BB225_205 Depth=2
	v_add_co_u32 v4, vcc_lo, v4, s33
	v_add_co_ci_u32_e64 v5, null, 0, v5, vcc_lo
	v_add_nc_u32_e32 v8, vcc_hi, v8
	s_mov_b32 s62, 0
	v_cmp_le_u64_e32 vcc_lo, s[22:23], v[4:5]
	s_orn2_b32 s6, vcc_lo, exec_lo
	s_branch .LBB225_204
.LBB225_209:                            ;   in Loop: Header=BB225_31 Depth=1
                                        ; implicit-def: $sgpr24_sgpr25
	s_branch .LBB225_155
.LBB225_210:                            ;   in Loop: Header=BB225_31 Depth=1
                                        ; implicit-def: $sgpr20_sgpr21
	s_branch .LBB225_171
.LBB225_211:                            ;   in Loop: Header=BB225_31 Depth=1
	s_or_b32 exec_lo, exec_lo, s2
	v_lshrrev_b32_e32 v8, 16, v9
	s_and_b32 s2, s60, exec_lo
.LBB225_212:                            ;   in Loop: Header=BB225_31 Depth=1
	s_or_b32 exec_lo, exec_lo, s25
.LBB225_213:                            ;   in Loop: Header=BB225_31 Depth=1
	s_and_b32 vcc_lo, exec_lo, s24
	s_cbranch_vccz .LBB225_227
; %bb.214:                              ;   in Loop: Header=BB225_31 Depth=1
	s_mov_b32 s62, s61
	s_cmp_lg_u64 s[62:63], 0
	s_cbranch_scc0 .LBB225_246
; %bb.215:                              ;   in Loop: Header=BB225_31 Depth=1
	v_cvt_f32_u32_e32 v4, s33
	s_sub_u32 s21, 0, s33
	s_subb_u32 s22, 0, 0
	v_fmac_f32_e64 v4, 0x4f800000, 0
	v_rcp_f32_e32 v4, v4
	v_mul_f32_e32 v4, 0x5f7ffffc, v4
	v_mul_f32_e32 v5, 0x2f800000, v4
	v_trunc_f32_e32 v5, v5
	v_fmac_f32_e32 v4, 0xcf800000, v5
	v_cvt_u32_f32_e32 v5, v5
	v_cvt_u32_f32_e32 v4, v4
	v_readfirstlane_b32 s6, v5
	v_readfirstlane_b32 s20, v4
	s_mul_i32 s23, s21, s6
	s_mul_hi_u32 s25, s21, s20
	s_mul_i32 s24, s22, s20
	s_add_i32 s23, s25, s23
	s_mul_i32 s60, s21, s20
	s_add_i32 s23, s23, s24
	s_mul_hi_u32 s25, s20, s60
	s_mul_i32 s66, s20, s23
	s_mul_hi_u32 s62, s6, s60
	s_mul_i32 s24, s6, s60
	s_mul_hi_u32 s60, s20, s23
	s_add_u32 s25, s25, s66
	s_addc_u32 s60, 0, s60
	s_mul_hi_u32 s67, s6, s23
	s_add_u32 s24, s25, s24
	s_mul_i32 s23, s6, s23
	s_addc_u32 s24, s60, s62
	s_addc_u32 s25, s67, 0
	s_add_u32 s23, s24, s23
	s_addc_u32 s24, 0, s25
	s_add_u32 s20, s20, s23
	s_cselect_b32 s23, -1, 0
	s_mul_hi_u32 s25, s21, s20
	s_cmp_lg_u32 s23, 0
	s_mul_i32 s23, s21, s20
	s_addc_u32 s6, s6, s24
	s_mul_i32 s22, s22, s20
	s_mul_i32 s21, s21, s6
	s_mul_hi_u32 s24, s20, s23
	s_add_i32 s21, s25, s21
	s_mul_hi_u32 s25, s6, s23
	s_add_i32 s21, s21, s22
	s_mul_i32 s22, s6, s23
	s_mul_i32 s62, s20, s21
	s_mul_hi_u32 s60, s20, s21
	s_add_u32 s24, s24, s62
	s_addc_u32 s60, 0, s60
	s_mul_hi_u32 s23, s6, s21
	s_add_u32 s22, s24, s22
	s_mul_i32 s21, s6, s21
	s_addc_u32 s22, s60, s25
	s_addc_u32 s23, s23, 0
	s_add_u32 s21, s22, s21
	s_addc_u32 s22, 0, s23
	s_add_u32 s20, s20, s21
	s_cselect_b32 s21, -1, 0
	s_mul_hi_u32 s23, s95, s20
	s_cmp_lg_u32 s21, 0
	s_mul_hi_u32 s21, s63, s20
	s_addc_u32 s6, s6, s22
	s_mul_i32 s20, s63, s20
	s_mul_i32 s24, s95, s6
	s_mul_hi_u32 s22, s95, s6
	s_add_u32 s23, s23, s24
	s_addc_u32 s22, 0, s22
	s_mul_hi_u32 s25, s63, s6
	s_add_u32 s20, s23, s20
	s_mul_i32 s6, s63, s6
	s_addc_u32 s20, s22, s21
	s_addc_u32 s21, s25, 0
	s_add_u32 s6, s20, s6
	s_addc_u32 s20, 0, s21
	s_mul_hi_u32 s21, s33, s6
	s_mul_i32 s20, s33, s20
	s_mul_i32 s6, s33, s6
	s_add_i32 s21, s21, s20
	s_sub_u32 s6, s95, s6
	s_cselect_b32 s20, -1, 0
	s_cmp_lg_u32 s20, 0
	s_subb_u32 s20, s63, s21
	s_sub_u32 s21, s6, s33
	s_cselect_b32 s22, -1, 0
	s_cmp_lg_u32 s22, 0
	s_subb_u32 s22, s20, 0
	;; [unrolled: 4-line block ×3, first 2 shown]
	s_cmp_ge_u32 s21, s33
	s_cselect_b32 s25, -1, 0
	s_cmp_eq_u32 s22, 0
	s_cselect_b32 s25, s25, -1
	s_cmp_lg_u32 s25, 0
	s_cselect_b32 s22, s24, s22
	s_cselect_b32 s23, s23, s21
	s_cmp_ge_u32 s6, s33
	s_cselect_b32 s21, -1, 0
	s_cmp_eq_u32 s20, 0
	s_cselect_b32 s21, s21, -1
	s_cmp_lg_u32 s21, 0
	s_cselect_b32 s21, s22, s20
	s_cselect_b32 s20, s23, s6
	s_cbranch_execnz .LBB225_217
.LBB225_216:                            ;   in Loop: Header=BB225_31 Depth=1
	v_cvt_f32_u32_e32 v4, s33
	s_sub_i32 s20, 0, s33
	v_rcp_iflag_f32_e32 v4, v4
	v_mul_f32_e32 v4, 0x4f7ffffe, v4
	v_cvt_u32_f32_e32 v4, v4
	v_readfirstlane_b32 s6, v4
	s_mul_i32 s20, s20, s6
	s_mul_hi_u32 s20, s6, s20
	s_add_i32 s6, s6, s20
	s_mul_hi_u32 s6, s95, s6
	s_mul_i32 s6, s6, s33
	s_sub_i32 s6, s95, s6
	s_sub_i32 s20, s6, s33
	s_cmp_ge_u32 s6, s33
	s_cselect_b32 s6, s20, s6
	s_sub_i32 s20, s6, s33
	s_cmp_ge_u32 s6, s33
	s_cselect_b32 s60, s20, s6
	s_mov_b64 s[20:21], s[60:61]
.LBB225_217:                            ;   in Loop: Header=BB225_31 Depth=1
	s_sub_u32 s20, s95, s20
	s_subb_u32 s21, s63, s21
	s_mov_b32 s22, exec_lo
                                        ; implicit-def: $vgpr8
	v_cmpx_gt_u64_e64 s[20:21], v[0:1]
	s_cbranch_execz .LBB225_226
; %bb.218:                              ;   in Loop: Header=BB225_31 Depth=1
	v_mov_b32_e32 v4, v27
	v_mov_b32_e32 v9, v1
	;; [unrolled: 1-line block ×4, first 2 shown]
	s_mov_b32 s23, 0
                                        ; implicit-def: $sgpr24
	s_branch .LBB225_221
.LBB225_219:                            ;   in Loop: Header=BB225_221 Depth=2
	s_or_b32 exec_lo, exec_lo, s25
	s_waitcnt lgkmcnt(0)
	s_barrier
	buffer_gl0_inv
	ds_read_b32 v31, v3 offset:3072
	s_mov_b32 s6, -1
	s_mov_b32 s25, -1
	s_waitcnt lgkmcnt(0)
	s_barrier
	buffer_gl0_inv
	v_and_b32_e32 v32, 0x7fff, v31
	v_cmp_eq_u32_e32 vcc_lo, 0, v32
	s_cbranch_vccnz .LBB225_224
.LBB225_220:                            ;   in Loop: Header=BB225_221 Depth=2
	s_and_b32 s6, exec_lo, s6
	s_or_b32 s23, s6, s23
	s_andn2_b32 s6, s24, exec_lo
	s_and_b32 s24, s25, exec_lo
	s_or_b32 s24, s6, s24
	s_andn2_b32 exec_lo, exec_lo, s23
	s_cbranch_execz .LBB225_225
.LBB225_221:                            ;   Parent Loop BB225_31 Depth=1
                                        ; =>  This Inner Loop Header: Depth=2
	s_mov_b32 s25, exec_lo
	v_cmpx_gt_u64_e64 s[36:37], v[8:9]
	s_cbranch_execz .LBB225_219
; %bb.222:                              ;   in Loop: Header=BB225_221 Depth=2
	global_load_ushort v31, v[4:5], off
	s_waitcnt vmcnt(0)
	v_lshlrev_b32_e32 v32, 16, v31
	v_cmp_lt_i16_e64 s6, -1, v31
	v_cmp_o_f32_e32 vcc_lo, v32, v32
	v_cndmask_b32_e64 v32, 0xffff, v49, s6
	v_xor_b32_sdwa v32, v32, v31 dst_sel:DWORD dst_unused:UNUSED_PAD src0_sel:DWORD src1_sel:WORD_0
	v_cndmask_b32_e32 v32, 0xffff, v32, vcc_lo
	v_and_b32_e32 v32, v32, v11
	v_cmp_eq_u32_e32 vcc_lo, v32, v10
	s_and_b32 exec_lo, exec_lo, vcc_lo
	s_cbranch_execz .LBB225_219
; %bb.223:                              ;   in Loop: Header=BB225_221 Depth=2
	v_perm_b32 v31, v31, s58, 0x5040100
	ds_write_b32 v3, v31 offset:3072
	s_branch .LBB225_219
.LBB225_224:                            ;   in Loop: Header=BB225_221 Depth=2
	v_add_co_u32 v8, vcc_lo, v8, s33
	v_add_co_ci_u32_e64 v9, null, 0, v9, vcc_lo
	v_add_co_u32 v4, s6, v4, s42
	v_add_co_ci_u32_e64 v5, null, s43, v5, s6
	v_cmp_le_u64_e32 vcc_lo, s[20:21], v[8:9]
	s_mov_b32 s25, 0
	s_orn2_b32 s6, vcc_lo, exec_lo
	s_branch .LBB225_220
.LBB225_225:                            ;   in Loop: Header=BB225_31 Depth=1
	s_or_b32 exec_lo, exec_lo, s23
	v_lshrrev_b32_e32 v8, 16, v31
	s_andn2_b32 s2, s2, exec_lo
	s_and_b32 s6, s24, exec_lo
	s_or_b32 s2, s2, s6
.LBB225_226:                            ;   in Loop: Header=BB225_31 Depth=1
	s_or_b32 exec_lo, exec_lo, s22
	s_mov_b32 s80, 0
	s_mov_b32 s81, -1
.LBB225_227:                            ;   in Loop: Header=BB225_31 Depth=1
	s_orn2_b32 s2, s2, exec_lo
.LBB225_228:                            ;   in Loop: Header=BB225_31 Depth=1
	s_or_b32 exec_lo, exec_lo, s82
	s_mov_b32 s6, 0
	s_and_saveexec_b32 s82, s2
	s_cbranch_execz .LBB225_290
; %bb.229:                              ;   in Loop: Header=BB225_31 Depth=1
	v_mov_b32_e32 v4, 1
	v_mov_b32_e32 v5, 0
	;; [unrolled: 1-line block ×3, first 2 shown]
	s_xor_b32 s6, s83, -1
	s_mov_b32 s20, 0
	s_and_saveexec_b32 s2, s6
	s_cbranch_execz .LBB225_238
; %bb.230:                              ;   in Loop: Header=BB225_31 Depth=1
	s_mov_b32 s6, exec_lo
	v_cmpx_ge_u64_e64 s[16:17], v[6:7]
	s_xor_b32 s6, exec_lo, s6
	s_cbranch_execz .LBB225_235
; %bb.231:                              ;   in Loop: Header=BB225_31 Depth=1
	ds_read_b64 v[4:5], v3 offset:5120
	s_lshl_b32 s20, 2, s54
	v_or_b32_e32 v11, s11, v11
	v_and_or_b32 v10, v10, s26, s20
	s_waitcnt lgkmcnt(0)
	v_cmp_ne_u64_e32 vcc_lo, 0, v[4:5]
	s_cbranch_vccnz .LBB225_235
; %bb.232:                              ;   in Loop: Header=BB225_31 Depth=1
	s_and_saveexec_b32 s20, s3
; %bb.233:                              ;   in Loop: Header=BB225_31 Depth=1
	v_mov_b32_e32 v4, s16
	v_mov_b32_e32 v5, s17
	ds_write_b64 v3, v[4:5] offset:5128
; %bb.234:                              ;   in Loop: Header=BB225_31 Depth=1
	s_or_b32 exec_lo, exec_lo, s20
	s_waitcnt lgkmcnt(0)
	s_barrier
	buffer_gl0_inv
.LBB225_235:                            ;   in Loop: Header=BB225_31 Depth=1
	s_or_saveexec_b32 s6, s6
	v_mov_b32_e32 v2, 8
	s_mov_b32 s20, 0
	s_xor_b32 exec_lo, exec_lo, s6
; %bb.236:                              ;   in Loop: Header=BB225_31 Depth=1
	v_sub_co_u32 v6, vcc_lo, v6, s16
	v_subrev_co_ci_u32_e64 v7, null, s17, v7, vcc_lo
	v_mov_b32_e32 v2, 0
	s_mov_b32 s20, exec_lo
; %bb.237:                              ;   in Loop: Header=BB225_31 Depth=1
	s_or_b32 exec_lo, exec_lo, s6
	v_mov_b32_e32 v4, v6
	v_mov_b32_e32 v5, v7
	s_and_b32 s20, s20, exec_lo
.LBB225_238:                            ;   in Loop: Header=BB225_31 Depth=1
	s_or_b32 exec_lo, exec_lo, s2
	s_mov_b32 s6, -1
                                        ; implicit-def: $sgpr2
                                        ; implicit-def: $sgpr62
	s_and_saveexec_b32 s83, s20
	s_cbranch_execz .LBB225_289
; %bb.239:                              ;   in Loop: Header=BB225_31 Depth=1
	v_cmp_eq_u64_e32 vcc_lo, 1, v[4:5]
	s_cmp_eq_u64 s[18:19], 1
	s_mov_b32 s20, -1
	s_cselect_b32 s2, -1, 0
                                        ; implicit-def: $sgpr62
	s_and_b32 s84, s2, vcc_lo
                                        ; implicit-def: $sgpr2
	s_and_saveexec_b32 s85, s84
	s_cbranch_execz .LBB225_277
; %bb.240:                              ;   in Loop: Header=BB225_31 Depth=1
	ds_read_b64 v[6:7], v3 offset:5120
	s_waitcnt lgkmcnt(0)
	s_barrier
	buffer_gl0_inv
	v_readfirstlane_b32 s20, v6
	v_readfirstlane_b32 s21, v7
	s_and_saveexec_b32 s2, s10
; %bb.241:                              ;   in Loop: Header=BB225_31 Depth=1
	ds_write_b16 v44, v3
; %bb.242:                              ;   in Loop: Header=BB225_31 Depth=1
	s_or_b32 exec_lo, exec_lo, s2
	v_or_b32_e32 v10, s11, v10
	v_or_b32_e32 v11, s11, v11
	s_mov_b32 s62, -1
	s_mov_b32 s2, 0
	s_cmp_eq_u64 s[20:21], 0
	s_mov_b32 s24, 0
	s_mov_b32 s25, -1
	s_waitcnt lgkmcnt(0)
	s_barrier
	buffer_gl0_inv
                                        ; implicit-def: $vgpr8
	s_cbranch_scc1 .LBB225_260
; %bb.243:                              ;   in Loop: Header=BB225_31 Depth=1
	v_writelane_b32 v53, s84, 16
	s_add_u32 s6, s20, s93
	s_addc_u32 s23, s21, s94
	s_mov_b32 s22, s61
	s_cmp_lg_u64 s[22:23], 0
	v_writelane_b32 v53, s104, 17
	s_cbranch_scc0 .LBB225_247
; %bb.244:                              ;   in Loop: Header=BB225_31 Depth=1
	v_cvt_f32_u32_e32 v6, s33
	s_sub_u32 s25, 0, s33
	s_subb_u32 s60, 0, 0
	v_fmac_f32_e64 v6, 0x4f800000, 0
	v_rcp_f32_e32 v6, v6
	v_mul_f32_e32 v6, 0x5f7ffffc, v6
	v_mul_f32_e32 v7, 0x2f800000, v6
	v_trunc_f32_e32 v7, v7
	v_fmac_f32_e32 v6, 0xcf800000, v7
	v_cvt_u32_f32_e32 v7, v7
	v_cvt_u32_f32_e32 v6, v6
	v_readfirstlane_b32 s22, v7
	v_readfirstlane_b32 s24, v6
	s_mul_i32 s66, s25, s22
	s_mul_hi_u32 vcc_lo, s25, s24
	s_mul_i32 s67, s60, s24
	s_add_i32 s66, vcc_lo, s66
	s_mul_i32 s98, s25, s24
	s_add_i32 s66, s66, s67
	s_mul_hi_u32 vcc_lo, s24, s98
	s_mul_i32 s99, s24, s66
	s_mul_hi_u32 s84, s22, s98
	s_mul_i32 s67, s22, s98
	s_mul_hi_u32 s98, s24, s66
	s_add_u32 s99, vcc_lo, s99
	s_addc_u32 s98, 0, s98
	s_mul_hi_u32 s104, s22, s66
	s_add_u32 s67, s99, s67
	s_mul_i32 s66, s22, s66
	s_addc_u32 s67, s98, s84
	s_addc_u32 s84, s104, 0
	s_add_u32 s66, s67, s66
	s_addc_u32 s67, 0, s84
	s_add_u32 s24, s24, s66
	s_cselect_b32 s66, -1, 0
	s_mul_hi_u32 s84, s25, s24
	s_cmp_lg_u32 s66, 0
	s_mul_i32 s66, s25, s24
	s_addc_u32 s22, s22, s67
	s_mul_i32 s60, s60, s24
	s_mul_i32 s25, s25, s22
	s_mul_hi_u32 s67, s24, s66
	s_add_i32 s25, s84, s25
	s_mul_hi_u32 s84, s22, s66
	s_add_i32 s25, s25, s60
	s_mul_i32 s60, s22, s66
	s_mul_i32 s99, s24, s25
	s_mul_hi_u32 s98, s24, s25
	s_add_u32 s67, s67, s99
	s_addc_u32 s98, 0, s98
	s_mul_hi_u32 s66, s22, s25
	s_add_u32 s60, s67, s60
	s_mul_i32 s25, s22, s25
	s_addc_u32 s60, s98, s84
	s_addc_u32 s66, s66, 0
	s_add_u32 s25, s60, s25
	s_addc_u32 s60, 0, s66
	s_add_u32 s24, s24, s25
	s_cselect_b32 s25, -1, 0
	s_mul_hi_u32 s66, s6, s24
	s_cmp_lg_u32 s25, 0
	s_mul_hi_u32 s25, s23, s24
	s_addc_u32 s22, s22, s60
	s_mul_i32 s24, s23, s24
	s_mul_i32 s67, s6, s22
	s_mul_hi_u32 s60, s6, s22
	s_add_u32 s66, s66, s67
	s_addc_u32 s60, 0, s60
	s_mul_hi_u32 s84, s23, s22
	s_add_u32 s24, s66, s24
	s_mul_i32 s22, s23, s22
	s_addc_u32 s24, s60, s25
	s_addc_u32 s25, s84, 0
	s_add_u32 s22, s24, s22
	s_addc_u32 s24, 0, s25
	s_mul_hi_u32 s25, s33, s22
	s_mul_i32 s24, s33, s24
	s_mul_i32 s22, s33, s22
	s_add_i32 s25, s25, s24
	s_sub_u32 s22, s6, s22
	s_cselect_b32 s24, -1, 0
	s_cmp_lg_u32 s24, 0
	s_subb_u32 s24, s23, s25
	s_sub_u32 s25, s22, s33
	s_cselect_b32 s60, -1, 0
	s_cmp_lg_u32 s60, 0
	s_subb_u32 s60, s24, 0
	;; [unrolled: 4-line block ×3, first 2 shown]
	s_cmp_ge_u32 s25, s33
	s_cselect_b32 s84, -1, 0
	s_cmp_eq_u32 s60, 0
	s_cselect_b32 s84, s84, -1
	s_cmp_lg_u32 s84, 0
	s_cselect_b32 s60, s67, s60
	s_cselect_b32 s66, s66, s25
	s_cmp_ge_u32 s22, s33
	s_cselect_b32 s25, -1, 0
	s_cmp_eq_u32 s24, 0
	s_cselect_b32 s25, s25, -1
	s_cmp_lg_u32 s25, 0
	s_cselect_b32 s25, s60, s24
	s_cselect_b32 s24, s66, s22
	s_mov_b32 s22, 0
	s_branch .LBB225_248
.LBB225_245:                            ;   in Loop: Header=BB225_31 Depth=1
                                        ; implicit-def: $sgpr24_sgpr25
	s_branch .LBB225_200
.LBB225_246:                            ;   in Loop: Header=BB225_31 Depth=1
                                        ; implicit-def: $sgpr20_sgpr21
	s_branch .LBB225_216
.LBB225_247:                            ;   in Loop: Header=BB225_31 Depth=1
	s_mov_b32 s22, -1
                                        ; implicit-def: $sgpr24_sgpr25
.LBB225_248:                            ;   in Loop: Header=BB225_31 Depth=1
	s_andn2_b32 vcc_lo, exec_lo, s22
	s_cbranch_vccnz .LBB225_250
; %bb.249:                              ;   in Loop: Header=BB225_31 Depth=1
	v_cvt_f32_u32_e32 v6, s33
	s_sub_i32 s24, 0, s33
	v_rcp_iflag_f32_e32 v6, v6
	v_mul_f32_e32 v6, 0x4f7ffffe, v6
	v_cvt_u32_f32_e32 v6, v6
	v_readfirstlane_b32 s22, v6
	s_mul_i32 s24, s24, s22
	s_mul_hi_u32 s24, s22, s24
	s_add_i32 s22, s22, s24
	s_mul_hi_u32 s22, s6, s22
	s_mul_i32 s22, s22, s33
	s_sub_i32 s22, s6, s22
	s_sub_i32 s24, s22, s33
	s_cmp_ge_u32 s22, s33
	s_cselect_b32 s22, s24, s22
	s_sub_i32 s24, s22, s33
	s_cmp_ge_u32 s22, s33
	s_cselect_b32 s60, s24, s22
	s_mov_b64 s[24:25], s[60:61]
.LBB225_250:                            ;   in Loop: Header=BB225_31 Depth=1
	s_sub_u32 s22, s6, s24
	s_subb_u32 s23, s23, s25
	s_mov_b32 s25, 0
	s_mov_b32 s24, 0
	s_mov_b32 s60, exec_lo
                                        ; implicit-def: $vgpr8
	v_cmpx_gt_u64_e64 s[22:23], v[0:1]
	s_load_dwordx2 s[98:99], s[4:5], 0x0
	v_readlane_b32 s104, v53, 17
	v_readlane_b32 s84, v53, 16
	s_cbranch_execz .LBB225_259
; %bb.251:                              ;   in Loop: Header=BB225_31 Depth=1
	v_mov_b32_e32 v7, v1
	v_mov_b32_e32 v8, v43
	;; [unrolled: 1-line block ×3, first 2 shown]
                                        ; implicit-def: $sgpr66
	s_branch .LBB225_254
.LBB225_252:                            ;   in Loop: Header=BB225_254 Depth=2
	s_or_b32 exec_lo, exec_lo, s67
	s_waitcnt lgkmcnt(0)
	s_barrier
	buffer_gl0_inv
	ds_read_b32 v9, v3 offset:3072
	s_mov_b32 s6, -1
	s_mov_b32 s67, -1
	s_waitcnt lgkmcnt(0)
	s_barrier
	buffer_gl0_inv
	v_and_b32_e32 v31, 0x7fff, v9
	v_cmp_ne_u32_e32 vcc_lo, 0, v31
	s_cbranch_vccz .LBB225_257
.LBB225_253:                            ;   in Loop: Header=BB225_254 Depth=2
	s_and_b32 s6, exec_lo, s6
	s_or_b32 s24, s6, s24
	s_andn2_b32 s6, s66, exec_lo
	s_and_b32 s66, s67, exec_lo
	s_or_b32 s66, s6, s66
	s_andn2_b32 exec_lo, exec_lo, s24
	s_cbranch_execz .LBB225_258
.LBB225_254:                            ;   Parent Loop BB225_31 Depth=1
                                        ; =>  This Inner Loop Header: Depth=2
	s_mov_b32 s67, exec_lo
	v_cmpx_gt_u64_e64 s[20:21], v[6:7]
	s_cbranch_execz .LBB225_252
; %bb.255:                              ;   in Loop: Header=BB225_254 Depth=2
	ds_read_u16 v9, v8
	s_waitcnt lgkmcnt(0)
	v_lshlrev_b32_e32 v31, 16, v9
	v_cmp_lt_i16_e64 s6, -1, v9
	v_cmp_o_f32_e32 vcc_lo, v31, v31
	v_cndmask_b32_e64 v31, 0xffff, v49, s6
	v_xor_b32_sdwa v31, v31, v9 dst_sel:DWORD dst_unused:UNUSED_PAD src0_sel:DWORD src1_sel:WORD_0
	v_cndmask_b32_e32 v31, 0xffff, v31, vcc_lo
	v_and_b32_e32 v31, v31, v11
	v_cmp_eq_u32_e32 vcc_lo, v31, v10
	s_and_b32 exec_lo, exec_lo, vcc_lo
	s_cbranch_execz .LBB225_252
; %bb.256:                              ;   in Loop: Header=BB225_254 Depth=2
	v_perm_b32 v9, v9, s58, 0x5040100
	ds_write_b32 v3, v9 offset:3072
	s_branch .LBB225_252
.LBB225_257:                            ;   in Loop: Header=BB225_254 Depth=2
	v_add_co_u32 v6, vcc_lo, v6, s33
	v_add_co_ci_u32_e64 v7, null, 0, v7, vcc_lo
	v_add_nc_u32_e32 v8, vcc_hi, v8
	s_mov_b32 s67, 0
	v_cmp_le_u64_e32 vcc_lo, s[22:23], v[6:7]
	s_orn2_b32 s6, vcc_lo, exec_lo
	s_branch .LBB225_253
.LBB225_258:                            ;   in Loop: Header=BB225_31 Depth=1
	s_or_b32 exec_lo, exec_lo, s24
	v_lshrrev_b32_e32 v8, 16, v9
	s_and_b32 s24, s66, exec_lo
.LBB225_259:                            ;   in Loop: Header=BB225_31 Depth=1
	s_or_b32 exec_lo, exec_lo, s60
.LBB225_260:                            ;   in Loop: Header=BB225_31 Depth=1
	s_and_b32 vcc_lo, exec_lo, s25
	s_cbranch_vccz .LBB225_276
; %bb.261:                              ;   in Loop: Header=BB225_31 Depth=1
	s_mov_b32 s62, s61
	s_cmp_lg_u64 s[62:63], 0
	s_cbranch_scc0 .LBB225_263
; %bb.262:                              ;   in Loop: Header=BB225_31 Depth=1
	v_cvt_f32_u32_e32 v6, s33
	s_sub_u32 s20, 0, s33
	s_subb_u32 s21, 0, 0
	v_fmac_f32_e64 v6, 0x4f800000, 0
	v_rcp_f32_e32 v6, v6
	v_mul_f32_e32 v6, 0x5f7ffffc, v6
	v_mul_f32_e32 v7, 0x2f800000, v6
	v_trunc_f32_e32 v7, v7
	v_fmac_f32_e32 v6, 0xcf800000, v7
	v_cvt_u32_f32_e32 v7, v7
	v_cvt_u32_f32_e32 v6, v6
	v_readfirstlane_b32 s2, v7
	v_readfirstlane_b32 s6, v6
	s_mul_i32 s22, s20, s2
	s_mul_hi_u32 s25, s20, s6
	s_mul_i32 s23, s21, s6
	s_add_i32 s22, s25, s22
	s_mul_i32 s60, s20, s6
	s_add_i32 s22, s22, s23
	s_mul_hi_u32 s25, s6, s60
	s_mul_i32 s66, s6, s22
	s_mul_hi_u32 s62, s2, s60
	s_mul_i32 s23, s2, s60
	s_mul_hi_u32 s60, s6, s22
	s_add_u32 s25, s25, s66
	s_addc_u32 s60, 0, s60
	s_mul_hi_u32 s67, s2, s22
	s_add_u32 s23, s25, s23
	s_mul_i32 s22, s2, s22
	s_addc_u32 s23, s60, s62
	s_addc_u32 s25, s67, 0
	s_add_u32 s22, s23, s22
	s_addc_u32 s23, 0, s25
	s_add_u32 s6, s6, s22
	s_cselect_b32 s22, -1, 0
	s_mul_hi_u32 s25, s20, s6
	s_cmp_lg_u32 s22, 0
	s_mul_i32 s22, s20, s6
	s_addc_u32 s2, s2, s23
	s_mul_i32 s21, s21, s6
	s_mul_i32 s20, s20, s2
	s_mul_hi_u32 s23, s6, s22
	s_add_i32 s20, s25, s20
	s_mul_hi_u32 s25, s2, s22
	s_add_i32 s20, s20, s21
	s_mul_i32 s21, s2, s22
	s_mul_i32 s62, s6, s20
	s_mul_hi_u32 s60, s6, s20
	s_add_u32 s23, s23, s62
	s_addc_u32 s60, 0, s60
	s_mul_hi_u32 s22, s2, s20
	s_add_u32 s21, s23, s21
	s_mul_i32 s20, s2, s20
	s_addc_u32 s21, s60, s25
	s_addc_u32 s22, s22, 0
	s_add_u32 s20, s21, s20
	s_addc_u32 s21, 0, s22
	s_add_u32 s6, s6, s20
	s_cselect_b32 s20, -1, 0
	s_mul_hi_u32 s22, s95, s6
	s_cmp_lg_u32 s20, 0
	s_mul_hi_u32 s20, s63, s6
	s_addc_u32 s2, s2, s21
	s_mul_i32 s6, s63, s6
	s_mul_i32 s23, s95, s2
	s_mul_hi_u32 s21, s95, s2
	s_add_u32 s22, s22, s23
	s_addc_u32 s21, 0, s21
	s_mul_hi_u32 s25, s63, s2
	s_add_u32 s6, s22, s6
	s_mul_i32 s2, s63, s2
	s_addc_u32 s6, s21, s20
	s_addc_u32 s20, s25, 0
	s_add_u32 s2, s6, s2
	s_addc_u32 s6, 0, s20
	s_mul_hi_u32 s20, s33, s2
	s_mul_i32 s6, s33, s6
	s_mul_i32 s2, s33, s2
	s_add_i32 s20, s20, s6
	s_sub_u32 s2, s95, s2
	s_cselect_b32 s6, -1, 0
	s_cmp_lg_u32 s6, 0
	s_subb_u32 s6, s63, s20
	s_sub_u32 s20, s2, s33
	s_cselect_b32 s21, -1, 0
	s_cmp_lg_u32 s21, 0
	s_subb_u32 s21, s6, 0
	;; [unrolled: 4-line block ×3, first 2 shown]
	s_cmp_ge_u32 s20, s33
	s_cselect_b32 s25, -1, 0
	s_cmp_eq_u32 s21, 0
	s_cselect_b32 s25, s25, -1
	s_cmp_lg_u32 s25, 0
	s_cselect_b32 s21, s23, s21
	s_cselect_b32 s20, s22, s20
	s_cmp_ge_u32 s2, s33
	s_cselect_b32 s22, -1, 0
	s_cmp_eq_u32 s6, 0
	s_cselect_b32 s22, s22, -1
	s_cmp_lg_u32 s22, 0
	s_cselect_b32 s21, s21, s6
	s_cselect_b32 s20, s20, s2
	s_mov_b32 s2, 0
	s_branch .LBB225_264
.LBB225_263:                            ;   in Loop: Header=BB225_31 Depth=1
	s_mov_b32 s2, -1
                                        ; implicit-def: $sgpr20_sgpr21
.LBB225_264:                            ;   in Loop: Header=BB225_31 Depth=1
	s_andn2_b32 vcc_lo, exec_lo, s2
	s_cbranch_vccnz .LBB225_266
; %bb.265:                              ;   in Loop: Header=BB225_31 Depth=1
	v_cvt_f32_u32_e32 v6, s33
	s_sub_i32 s6, 0, s33
	v_rcp_iflag_f32_e32 v6, v6
	v_mul_f32_e32 v6, 0x4f7ffffe, v6
	v_cvt_u32_f32_e32 v6, v6
	v_readfirstlane_b32 s2, v6
	s_mul_i32 s6, s6, s2
	s_mul_hi_u32 s6, s2, s6
	s_add_i32 s2, s2, s6
	s_mul_hi_u32 s2, s95, s2
	s_mul_i32 s2, s2, s33
	s_sub_i32 s2, s95, s2
	s_sub_i32 s6, s2, s33
	s_cmp_ge_u32 s2, s33
	s_cselect_b32 s2, s6, s2
	s_sub_i32 s6, s2, s33
	s_cmp_ge_u32 s2, s33
	s_cselect_b32 s60, s6, s2
	s_mov_b64 s[20:21], s[60:61]
.LBB225_266:                            ;   in Loop: Header=BB225_31 Depth=1
	s_sub_u32 s20, s95, s20
	s_subb_u32 s21, s63, s21
	s_mov_b32 s2, exec_lo
                                        ; implicit-def: $vgpr8
	v_cmpx_gt_u64_e64 s[20:21], v[0:1]
	s_cbranch_execz .LBB225_275
; %bb.267:                              ;   in Loop: Header=BB225_31 Depth=1
	v_mov_b32_e32 v6, v27
	v_mov_b32_e32 v9, v1
	;; [unrolled: 1-line block ×4, first 2 shown]
	s_mov_b32 s22, 0
                                        ; implicit-def: $sgpr23
	s_branch .LBB225_270
.LBB225_268:                            ;   in Loop: Header=BB225_270 Depth=2
	s_or_b32 exec_lo, exec_lo, s25
	s_waitcnt lgkmcnt(0)
	s_barrier
	buffer_gl0_inv
	ds_read_b32 v31, v3 offset:3072
	s_mov_b32 s6, -1
	s_mov_b32 s25, -1
	s_waitcnt lgkmcnt(0)
	s_barrier
	buffer_gl0_inv
	v_and_b32_e32 v32, 0x7fff, v31
	v_cmp_eq_u32_e32 vcc_lo, 0, v32
	s_cbranch_vccnz .LBB225_273
.LBB225_269:                            ;   in Loop: Header=BB225_270 Depth=2
	s_and_b32 s6, exec_lo, s6
	s_or_b32 s22, s6, s22
	s_andn2_b32 s6, s23, exec_lo
	s_and_b32 s23, s25, exec_lo
	s_or_b32 s23, s6, s23
	s_andn2_b32 exec_lo, exec_lo, s22
	s_cbranch_execz .LBB225_274
.LBB225_270:                            ;   Parent Loop BB225_31 Depth=1
                                        ; =>  This Inner Loop Header: Depth=2
	s_mov_b32 s25, exec_lo
	v_cmpx_gt_u64_e64 s[36:37], v[8:9]
	s_cbranch_execz .LBB225_268
; %bb.271:                              ;   in Loop: Header=BB225_270 Depth=2
	global_load_ushort v31, v[6:7], off
	s_waitcnt vmcnt(0)
	v_lshlrev_b32_e32 v32, 16, v31
	v_cmp_lt_i16_e64 s6, -1, v31
	v_cmp_o_f32_e32 vcc_lo, v32, v32
	v_cndmask_b32_e64 v32, 0xffff, v49, s6
	v_xor_b32_sdwa v32, v32, v31 dst_sel:DWORD dst_unused:UNUSED_PAD src0_sel:DWORD src1_sel:WORD_0
	v_cndmask_b32_e32 v32, 0xffff, v32, vcc_lo
	v_and_b32_e32 v32, v32, v11
	v_cmp_eq_u32_e32 vcc_lo, v32, v10
	s_and_b32 exec_lo, exec_lo, vcc_lo
	s_cbranch_execz .LBB225_268
; %bb.272:                              ;   in Loop: Header=BB225_270 Depth=2
	v_perm_b32 v31, v31, s58, 0x5040100
	ds_write_b32 v3, v31 offset:3072
	s_branch .LBB225_268
.LBB225_273:                            ;   in Loop: Header=BB225_270 Depth=2
	v_add_co_u32 v8, vcc_lo, v8, s33
	v_add_co_ci_u32_e64 v9, null, 0, v9, vcc_lo
	v_add_co_u32 v6, s6, v6, s42
	v_add_co_ci_u32_e64 v7, null, s43, v7, s6
	v_cmp_le_u64_e32 vcc_lo, s[20:21], v[8:9]
	s_mov_b32 s25, 0
	s_orn2_b32 s6, vcc_lo, exec_lo
	s_branch .LBB225_269
.LBB225_274:                            ;   in Loop: Header=BB225_31 Depth=1
	s_or_b32 exec_lo, exec_lo, s22
	v_lshrrev_b32_e32 v8, 16, v31
	s_andn2_b32 s6, s24, exec_lo
	s_and_b32 s20, s23, exec_lo
	s_or_b32 s24, s6, s20
.LBB225_275:                            ;   in Loop: Header=BB225_31 Depth=1
	s_or_b32 exec_lo, exec_lo, s2
	s_mov_b32 s62, 0
	s_mov_b32 s2, -1
.LBB225_276:                            ;   in Loop: Header=BB225_31 Depth=1
	s_orn2_b32 s20, s24, exec_lo
.LBB225_277:                            ;   in Loop: Header=BB225_31 Depth=1
	s_or_b32 exec_lo, exec_lo, s85
	s_mov_b32 s21, 0
	s_and_saveexec_b32 s6, s20
	s_cbranch_execz .LBB225_288
; %bb.278:                              ;   in Loop: Header=BB225_31 Depth=1
	v_mov_b32_e32 v6, 1
	v_mov_b32_e32 v7, 0
	;; [unrolled: 1-line block ×3, first 2 shown]
	s_xor_b32 s21, s84, -1
	s_and_saveexec_b32 s20, s21
	s_cbranch_execz .LBB225_287
; %bb.279:                              ;   in Loop: Header=BB225_31 Depth=1
	s_mov_b32 s21, exec_lo
	v_cmpx_ge_u64_e64 s[18:19], v[4:5]
	s_xor_b32 s21, exec_lo, s21
	s_cbranch_execz .LBB225_284
; %bb.280:                              ;   in Loop: Header=BB225_31 Depth=1
	ds_read_b64 v[6:7], v3 offset:5120
	v_or_b32_e32 v10, s11, v10
	v_or_b32_e32 v11, s11, v11
	s_waitcnt lgkmcnt(0)
	v_cmp_ne_u64_e32 vcc_lo, 0, v[6:7]
	s_cbranch_vccnz .LBB225_284
; %bb.281:                              ;   in Loop: Header=BB225_31 Depth=1
	s_and_saveexec_b32 s22, s3
; %bb.282:                              ;   in Loop: Header=BB225_31 Depth=1
	v_mov_b32_e32 v6, s18
	v_mov_b32_e32 v7, s19
	ds_write_b64 v3, v[6:7] offset:5128
; %bb.283:                              ;   in Loop: Header=BB225_31 Depth=1
	s_or_b32 exec_lo, exec_lo, s22
	s_waitcnt lgkmcnt(0)
	s_barrier
	buffer_gl0_inv
.LBB225_284:                            ;   in Loop: Header=BB225_31 Depth=1
	s_andn2_saveexec_b32 s21, s21
; %bb.285:                              ;   in Loop: Header=BB225_31 Depth=1
	v_sub_co_u32 v4, vcc_lo, v4, s18
	v_subrev_co_ci_u32_e64 v5, null, s19, v5, vcc_lo
; %bb.286:                              ;   in Loop: Header=BB225_31 Depth=1
	s_or_b32 exec_lo, exec_lo, s21
	v_mov_b32_e32 v7, v5
	v_mov_b32_e32 v2, 8
	;; [unrolled: 1-line block ×3, first 2 shown]
.LBB225_287:                            ;   in Loop: Header=BB225_31 Depth=1
	s_or_b32 exec_lo, exec_lo, s20
	v_mov_b32_e32 v4, v6
	v_mov_b32_e32 v5, v7
	s_mov_b32 s21, exec_lo
.LBB225_288:                            ;   in Loop: Header=BB225_31 Depth=1
	s_or_b32 exec_lo, exec_lo, s6
	s_orn2_b32 s6, s21, exec_lo
.LBB225_289:                            ;   in Loop: Header=BB225_31 Depth=1
	s_or_b32 exec_lo, exec_lo, s83
	v_mov_b32_e32 v7, v5
	v_mov_b32_e32 v6, v4
	s_andn2_b32 s20, s81, exec_lo
	s_and_b32 s2, s2, exec_lo
	s_andn2_b32 s21, s80, exec_lo
	s_and_b32 s22, s62, exec_lo
	s_or_b32 s81, s20, s2
	s_or_b32 s80, s21, s22
	s_and_b32 s6, s6, exec_lo
.LBB225_290:                            ;   in Loop: Header=BB225_31 Depth=1
	s_or_b32 exec_lo, exec_lo, s82
	s_orn2_b32 s2, s6, exec_lo
.LBB225_291:                            ;   in Loop: Header=BB225_31 Depth=1
	s_or_b32 exec_lo, exec_lo, s79
	v_mov_b32_e32 v4, v6
	v_mov_b32_e32 v5, v7
	s_andn2_b32 s6, s77, exec_lo
	s_and_b32 s20, s81, exec_lo
	s_andn2_b32 s21, s72, exec_lo
	s_and_b32 s22, s80, exec_lo
	s_or_b32 s77, s6, s20
	s_or_b32 s72, s21, s22
	s_and_b32 s6, s2, exec_lo
.LBB225_292:                            ;   in Loop: Header=BB225_31 Depth=1
	s_or_b32 exec_lo, exec_lo, s78
	s_orn2_b32 s2, s6, exec_lo
.LBB225_293:                            ;   in Loop: Header=BB225_31 Depth=1
	s_or_b32 exec_lo, exec_lo, s49
	s_mov_b32 s6, 0
	s_mov_b32 s20, 0
	s_and_saveexec_b32 s21, s2
	s_xor_b32 s2, exec_lo, s21
; %bb.294:                              ;   in Loop: Header=BB225_31 Depth=1
	v_cmp_ne_u32_e32 vcc_lo, 8, v2
	v_cmp_eq_u32_e64 s6, 8, v2
	s_and_b32 s20, vcc_lo, exec_lo
	s_and_b32 s6, s6, exec_lo
; %bb.295:                              ;   in Loop: Header=BB225_31 Depth=1
	s_or_b32 exec_lo, exec_lo, s2
	s_andn2_b32 s2, s74, exec_lo
	s_and_b32 s21, s77, exec_lo
	s_andn2_b32 s22, s73, exec_lo
	s_and_b32 s23, s72, exec_lo
	s_or_b32 s74, s2, s21
	s_or_b32 s73, s22, s23
	s_and_b32 s49, s20, exec_lo
	s_and_b32 s72, s6, exec_lo
.LBB225_296:                            ;   in Loop: Header=BB225_31 Depth=1
	s_or_b32 exec_lo, exec_lo, s76
.LBB225_297:                            ;   in Loop: Header=BB225_31 Depth=1
	s_and_b32 vcc_lo, exec_lo, s75
	s_cbranch_vccz .LBB225_313
; %bb.298:                              ;   in Loop: Header=BB225_31 Depth=1
	s_cmp_eq_u64 s[18:19], 1
                                        ; implicit-def: $sgpr27
	s_cselect_b32 s2, -1, 0
	s_and_b32 s73, s2, s9
	s_mov_b32 s2, -1
                                        ; implicit-def: $sgpr9
	s_and_saveexec_b32 s74, s73
	s_cbranch_execz .LBB225_331
; %bb.299:                              ;   in Loop: Header=BB225_31 Depth=1
	ds_read_b64 v[4:5], v3 offset:5120
	s_waitcnt lgkmcnt(0)
	s_barrier
	buffer_gl0_inv
	v_readfirstlane_b32 s20, v4
	v_readfirstlane_b32 s21, v5
	s_and_saveexec_b32 s2, s10
; %bb.300:                              ;   in Loop: Header=BB225_31 Depth=1
	ds_write_b16 v44, v3
; %bb.301:                              ;   in Loop: Header=BB225_31 Depth=1
	s_or_b32 exec_lo, exec_lo, s2
	v_or_b32_e32 v47, s11, v47
	v_or_b32_e32 v51, s11, v51
	s_mov_b32 s27, -1
	s_mov_b32 s9, 0
	s_cmp_eq_u64 s[20:21], 0
	s_mov_b32 s2, 0
	s_mov_b32 s6, -1
	s_waitcnt lgkmcnt(0)
	s_barrier
	buffer_gl0_inv
                                        ; implicit-def: $vgpr52
	s_cbranch_scc1 .LBB225_316
; %bb.302:                              ;   in Loop: Header=BB225_31 Depth=1
	s_add_u32 s2, s20, s93
	s_addc_u32 s23, s21, s94
	s_mov_b32 s22, s61
	s_cmp_lg_u64 s[22:23], 0
	s_cbranch_scc0 .LBB225_357
; %bb.303:                              ;   in Loop: Header=BB225_31 Depth=1
	v_cvt_f32_u32_e32 v2, s33
	s_sub_u32 s24, 0, s33
	s_subb_u32 s25, 0, 0
	v_fmac_f32_e64 v2, 0x4f800000, 0
	v_rcp_f32_e32 v2, v2
	v_mul_f32_e32 v2, 0x5f7ffffc, v2
	v_mul_f32_e32 v4, 0x2f800000, v2
	v_trunc_f32_e32 v4, v4
	v_fmac_f32_e32 v2, 0xcf800000, v4
	v_cvt_u32_f32_e32 v4, v4
	v_cvt_u32_f32_e32 v2, v2
	v_readfirstlane_b32 s6, v4
	v_readfirstlane_b32 s22, v2
	s_mul_i32 s60, s24, s6
	s_mul_hi_u32 s66, s24, s22
	s_mul_i32 s62, s25, s22
	s_add_i32 s60, s66, s60
	s_mul_i32 s67, s24, s22
	s_add_i32 s60, s60, s62
	s_mul_hi_u32 s66, s22, s67
	s_mul_i32 s76, s22, s60
	s_mul_hi_u32 s75, s6, s67
	s_mul_i32 s62, s6, s67
	s_mul_hi_u32 s67, s22, s60
	s_add_u32 s66, s66, s76
	s_addc_u32 s67, 0, s67
	s_mul_hi_u32 s77, s6, s60
	s_add_u32 s62, s66, s62
	s_mul_i32 s60, s6, s60
	s_addc_u32 s62, s67, s75
	s_addc_u32 s66, s77, 0
	s_add_u32 s60, s62, s60
	s_addc_u32 s62, 0, s66
	s_add_u32 s22, s22, s60
	s_cselect_b32 s60, -1, 0
	s_mul_hi_u32 s66, s24, s22
	s_cmp_lg_u32 s60, 0
	s_mul_i32 s60, s24, s22
	s_addc_u32 s6, s6, s62
	s_mul_i32 s25, s25, s22
	s_mul_i32 s24, s24, s6
	s_mul_hi_u32 s62, s22, s60
	s_add_i32 s24, s66, s24
	s_mul_hi_u32 s66, s6, s60
	s_add_i32 s24, s24, s25
	s_mul_i32 s25, s6, s60
	s_mul_i32 s75, s22, s24
	s_mul_hi_u32 s67, s22, s24
	s_add_u32 s62, s62, s75
	s_addc_u32 s67, 0, s67
	s_mul_hi_u32 s60, s6, s24
	s_add_u32 s25, s62, s25
	s_mul_i32 s24, s6, s24
	s_addc_u32 s25, s67, s66
	s_addc_u32 s60, s60, 0
	s_add_u32 s24, s25, s24
	s_addc_u32 s25, 0, s60
	s_add_u32 s22, s22, s24
	s_cselect_b32 s24, -1, 0
	s_mul_hi_u32 s60, s2, s22
	s_cmp_lg_u32 s24, 0
	s_mul_hi_u32 s24, s23, s22
	s_addc_u32 s6, s6, s25
	s_mul_i32 s22, s23, s22
	s_mul_i32 s62, s2, s6
	s_mul_hi_u32 s25, s2, s6
	s_add_u32 s60, s60, s62
	s_addc_u32 s25, 0, s25
	s_mul_hi_u32 s66, s23, s6
	s_add_u32 s22, s60, s22
	s_mul_i32 s6, s23, s6
	s_addc_u32 s22, s25, s24
	s_addc_u32 s24, s66, 0
	s_add_u32 s6, s22, s6
	s_addc_u32 s22, 0, s24
	s_mul_hi_u32 s24, s33, s6
	s_mul_i32 s22, s33, s22
	s_mul_i32 s6, s33, s6
	s_add_i32 s24, s24, s22
	s_sub_u32 s6, s2, s6
	s_cselect_b32 s22, -1, 0
	s_cmp_lg_u32 s22, 0
	s_subb_u32 s22, s23, s24
	s_sub_u32 s24, s6, s33
	s_cselect_b32 s25, -1, 0
	s_cmp_lg_u32 s25, 0
	s_subb_u32 s25, s22, 0
	;; [unrolled: 4-line block ×3, first 2 shown]
	s_cmp_ge_u32 s24, s33
	s_cselect_b32 s66, -1, 0
	s_cmp_eq_u32 s25, 0
	s_cselect_b32 s66, s66, -1
	s_cmp_lg_u32 s66, 0
	s_cselect_b32 s25, s62, s25
	s_cselect_b32 s24, s60, s24
	s_cmp_ge_u32 s6, s33
	s_cselect_b32 s60, -1, 0
	s_cmp_eq_u32 s22, 0
	s_cselect_b32 s60, s60, -1
	s_cmp_lg_u32 s60, 0
	s_cselect_b32 s25, s25, s22
	s_cselect_b32 s24, s24, s6
	s_cbranch_execnz .LBB225_305
.LBB225_304:                            ;   in Loop: Header=BB225_31 Depth=1
	v_cvt_f32_u32_e32 v2, s33
	s_sub_i32 s22, 0, s33
	v_rcp_iflag_f32_e32 v2, v2
	v_mul_f32_e32 v2, 0x4f7ffffe, v2
	v_cvt_u32_f32_e32 v2, v2
	v_readfirstlane_b32 s6, v2
	s_mul_i32 s22, s22, s6
	s_mul_hi_u32 s22, s6, s22
	s_add_i32 s6, s6, s22
	s_mul_hi_u32 s6, s2, s6
	s_mul_i32 s6, s6, s33
	s_sub_i32 s6, s2, s6
	s_sub_i32 s22, s6, s33
	s_cmp_ge_u32 s6, s33
	s_cselect_b32 s6, s22, s6
	s_sub_i32 s22, s6, s33
	s_cmp_ge_u32 s6, s33
	s_cselect_b32 s60, s22, s6
	s_mov_b64 s[24:25], s[60:61]
.LBB225_305:                            ;   in Loop: Header=BB225_31 Depth=1
	s_sub_u32 s22, s2, s24
	s_subb_u32 s23, s23, s25
	s_mov_b32 s6, 0
	s_mov_b32 s2, 0
	s_mov_b32 s24, exec_lo
                                        ; implicit-def: $vgpr52
	v_cmpx_gt_u64_e64 s[22:23], v[0:1]
	s_cbranch_execz .LBB225_315
; %bb.306:                              ;   in Loop: Header=BB225_31 Depth=1
	v_mov_b32_e32 v5, v1
	v_mov_b32_e32 v2, v43
	;; [unrolled: 1-line block ×3, first 2 shown]
                                        ; implicit-def: $sgpr25
	s_branch .LBB225_309
.LBB225_307:                            ;   in Loop: Header=BB225_309 Depth=2
	s_or_b32 exec_lo, exec_lo, s60
	s_waitcnt lgkmcnt(0)
	s_barrier
	buffer_gl0_inv
	ds_read_b32 v6, v3 offset:3072
	s_mov_b32 s60, -1
	s_mov_b32 s62, -1
	s_waitcnt lgkmcnt(0)
	s_barrier
	buffer_gl0_inv
	v_and_b32_e32 v7, 0x7fff, v6
	v_cmp_ne_u32_e32 vcc_lo, 0, v7
	s_cbranch_vccz .LBB225_312
.LBB225_308:                            ;   in Loop: Header=BB225_309 Depth=2
	s_and_b32 s60, exec_lo, s60
	s_or_b32 s2, s60, s2
	s_andn2_b32 s25, s25, exec_lo
	s_and_b32 s60, s62, exec_lo
	s_or_b32 s25, s25, s60
	s_andn2_b32 exec_lo, exec_lo, s2
	s_cbranch_execz .LBB225_314
.LBB225_309:                            ;   Parent Loop BB225_31 Depth=1
                                        ; =>  This Inner Loop Header: Depth=2
	s_mov_b32 s60, exec_lo
	v_cmpx_gt_u64_e64 s[20:21], v[4:5]
	s_cbranch_execz .LBB225_307
; %bb.310:                              ;   in Loop: Header=BB225_309 Depth=2
	ds_read_u16 v6, v2
	s_waitcnt lgkmcnt(0)
	v_cmp_lt_i16_e32 vcc_lo, -1, v6
	v_lshlrev_b32_e32 v8, 16, v6
	v_cndmask_b32_e32 v7, 0xffff, v49, vcc_lo
	v_cmp_o_f32_e32 vcc_lo, v8, v8
	v_xor_b32_sdwa v7, v7, v6 dst_sel:DWORD dst_unused:UNUSED_PAD src0_sel:DWORD src1_sel:WORD_0
	v_cndmask_b32_e32 v7, 0xffff, v7, vcc_lo
	v_and_b32_e32 v7, v7, v51
	v_cmp_eq_u32_e32 vcc_lo, v7, v47
	s_and_b32 exec_lo, exec_lo, vcc_lo
	s_cbranch_execz .LBB225_307
; %bb.311:                              ;   in Loop: Header=BB225_309 Depth=2
	v_perm_b32 v6, v6, s58, 0x5040100
	ds_write_b32 v3, v6 offset:3072
	s_branch .LBB225_307
.LBB225_312:                            ;   in Loop: Header=BB225_309 Depth=2
	v_add_co_u32 v4, vcc_lo, v4, s33
	v_add_co_ci_u32_e64 v5, null, 0, v5, vcc_lo
	v_add_nc_u32_e32 v2, vcc_hi, v2
	s_mov_b32 s62, 0
	v_cmp_le_u64_e32 vcc_lo, s[22:23], v[4:5]
	s_orn2_b32 s60, vcc_lo, exec_lo
	s_branch .LBB225_308
.LBB225_313:                            ;   in Loop: Header=BB225_31 Depth=1
	v_mov_b32_e32 v47, v10
	v_mov_b32_e32 v51, v11
	;; [unrolled: 1-line block ×3, first 2 shown]
	s_mov_b32 s9, 0
	s_and_saveexec_b32 s2, s72
	s_cbranch_execnz .LBB225_490
	s_branch .LBB225_491
.LBB225_314:                            ;   in Loop: Header=BB225_31 Depth=1
	s_or_b32 exec_lo, exec_lo, s2
	v_lshrrev_b32_e32 v52, 16, v6
	s_and_b32 s2, s25, exec_lo
.LBB225_315:                            ;   in Loop: Header=BB225_31 Depth=1
	s_or_b32 exec_lo, exec_lo, s24
.LBB225_316:                            ;   in Loop: Header=BB225_31 Depth=1
	s_and_b32 vcc_lo, exec_lo, s6
	s_cbranch_vccz .LBB225_330
; %bb.317:                              ;   in Loop: Header=BB225_31 Depth=1
	s_mov_b32 s62, s61
	s_cmp_lg_u64 s[62:63], 0
	s_cbranch_scc0 .LBB225_358
; %bb.318:                              ;   in Loop: Header=BB225_31 Depth=1
	v_cvt_f32_u32_e32 v2, s33
	s_sub_u32 s20, 0, s33
	s_subb_u32 s21, 0, 0
	v_fmac_f32_e64 v2, 0x4f800000, 0
	v_rcp_f32_e32 v2, v2
	v_mul_f32_e32 v2, 0x5f7ffffc, v2
	v_mul_f32_e32 v4, 0x2f800000, v2
	v_trunc_f32_e32 v4, v4
	v_fmac_f32_e32 v2, 0xcf800000, v4
	v_cvt_u32_f32_e32 v4, v4
	v_cvt_u32_f32_e32 v2, v2
	v_readfirstlane_b32 s6, v4
	v_readfirstlane_b32 s9, v2
	s_mul_i32 s22, s20, s6
	s_mul_hi_u32 s24, s20, s9
	s_mul_i32 s23, s21, s9
	s_add_i32 s22, s24, s22
	s_mul_i32 s25, s20, s9
	s_add_i32 s22, s22, s23
	s_mul_hi_u32 s24, s9, s25
	s_mul_i32 s60, s9, s22
	s_mul_hi_u32 s27, s6, s25
	s_mul_i32 s23, s6, s25
	s_mul_hi_u32 s25, s9, s22
	s_add_u32 s24, s24, s60
	s_addc_u32 s25, 0, s25
	s_mul_hi_u32 s62, s6, s22
	s_add_u32 s23, s24, s23
	s_mul_i32 s22, s6, s22
	s_addc_u32 s23, s25, s27
	s_addc_u32 s24, s62, 0
	s_add_u32 s22, s23, s22
	s_addc_u32 s23, 0, s24
	s_add_u32 s9, s9, s22
	s_cselect_b32 s22, -1, 0
	s_mul_hi_u32 s24, s20, s9
	s_cmp_lg_u32 s22, 0
	s_mul_i32 s22, s20, s9
	s_addc_u32 s6, s6, s23
	s_mul_i32 s21, s21, s9
	s_mul_i32 s20, s20, s6
	s_mul_hi_u32 s23, s9, s22
	s_add_i32 s20, s24, s20
	s_mul_hi_u32 s24, s6, s22
	s_add_i32 s20, s20, s21
	s_mul_i32 s21, s6, s22
	s_mul_i32 s27, s9, s20
	s_mul_hi_u32 s25, s9, s20
	s_add_u32 s23, s23, s27
	s_addc_u32 s25, 0, s25
	s_mul_hi_u32 s22, s6, s20
	s_add_u32 s21, s23, s21
	s_mul_i32 s20, s6, s20
	s_addc_u32 s21, s25, s24
	s_addc_u32 s22, s22, 0
	s_add_u32 s20, s21, s20
	s_addc_u32 s21, 0, s22
	s_add_u32 s9, s9, s20
	s_cselect_b32 s20, -1, 0
	s_mul_hi_u32 s22, s95, s9
	s_cmp_lg_u32 s20, 0
	s_mul_hi_u32 s20, s63, s9
	s_addc_u32 s6, s6, s21
	s_mul_i32 s9, s63, s9
	s_mul_i32 s23, s95, s6
	s_mul_hi_u32 s21, s95, s6
	s_add_u32 s22, s22, s23
	s_addc_u32 s21, 0, s21
	s_mul_hi_u32 s24, s63, s6
	s_add_u32 s9, s22, s9
	s_mul_i32 s6, s63, s6
	s_addc_u32 s9, s21, s20
	s_addc_u32 s20, s24, 0
	s_add_u32 s6, s9, s6
	s_addc_u32 s9, 0, s20
	s_mul_hi_u32 s20, s33, s6
	s_mul_i32 s9, s33, s9
	s_mul_i32 s6, s33, s6
	s_add_i32 s20, s20, s9
	s_sub_u32 s6, s95, s6
	s_cselect_b32 s9, -1, 0
	s_cmp_lg_u32 s9, 0
	s_subb_u32 s9, s63, s20
	s_sub_u32 s20, s6, s33
	s_cselect_b32 s21, -1, 0
	s_cmp_lg_u32 s21, 0
	s_subb_u32 s21, s9, 0
	;; [unrolled: 4-line block ×3, first 2 shown]
	s_cmp_ge_u32 s20, s33
	s_cselect_b32 s24, -1, 0
	s_cmp_eq_u32 s21, 0
	s_cselect_b32 s24, s24, -1
	s_cmp_lg_u32 s24, 0
	s_cselect_b32 s21, s23, s21
	s_cselect_b32 s20, s22, s20
	s_cmp_ge_u32 s6, s33
	s_cselect_b32 s22, -1, 0
	s_cmp_eq_u32 s9, 0
	s_cselect_b32 s22, s22, -1
	s_cmp_lg_u32 s22, 0
	s_cselect_b32 s21, s21, s9
	s_cselect_b32 s20, s20, s6
	s_cbranch_execnz .LBB225_320
.LBB225_319:                            ;   in Loop: Header=BB225_31 Depth=1
	v_cvt_f32_u32_e32 v2, s33
	s_sub_i32 s9, 0, s33
	v_rcp_iflag_f32_e32 v2, v2
	v_mul_f32_e32 v2, 0x4f7ffffe, v2
	v_cvt_u32_f32_e32 v2, v2
	v_readfirstlane_b32 s6, v2
	s_mul_i32 s9, s9, s6
	s_mul_hi_u32 s9, s6, s9
	s_add_i32 s6, s6, s9
	s_mul_hi_u32 s6, s95, s6
	s_mul_i32 s6, s6, s33
	s_sub_i32 s6, s95, s6
	s_sub_i32 s9, s6, s33
	s_cmp_ge_u32 s6, s33
	s_cselect_b32 s6, s9, s6
	s_sub_i32 s9, s6, s33
	s_cmp_ge_u32 s6, s33
	s_cselect_b32 s60, s9, s6
	s_mov_b64 s[20:21], s[60:61]
.LBB225_320:                            ;   in Loop: Header=BB225_31 Depth=1
	s_sub_u32 s20, s95, s20
	s_subb_u32 s21, s63, s21
	s_mov_b32 s9, exec_lo
                                        ; implicit-def: $vgpr52
	v_cmpx_gt_u64_e64 s[20:21], v[0:1]
	s_cbranch_execz .LBB225_329
; %bb.321:                              ;   in Loop: Header=BB225_31 Depth=1
	v_mov_b32_e32 v4, v27
	v_mov_b32_e32 v7, v1
	;; [unrolled: 1-line block ×4, first 2 shown]
	s_mov_b32 s22, 0
                                        ; implicit-def: $sgpr23
	s_branch .LBB225_324
.LBB225_322:                            ;   in Loop: Header=BB225_324 Depth=2
	s_or_b32 exec_lo, exec_lo, s6
	s_waitcnt lgkmcnt(0)
	s_barrier
	buffer_gl0_inv
	ds_read_b32 v2, v3 offset:3072
	s_mov_b32 s6, -1
	s_mov_b32 s24, -1
	s_waitcnt lgkmcnt(0)
	s_barrier
	buffer_gl0_inv
	v_and_b32_e32 v8, 0x7fff, v2
	v_cmp_ne_u32_e32 vcc_lo, 0, v8
	s_cbranch_vccz .LBB225_327
.LBB225_323:                            ;   in Loop: Header=BB225_324 Depth=2
	s_and_b32 s6, exec_lo, s6
	s_or_b32 s22, s6, s22
	s_andn2_b32 s6, s23, exec_lo
	s_and_b32 s23, s24, exec_lo
	s_or_b32 s23, s6, s23
	s_andn2_b32 exec_lo, exec_lo, s22
	s_cbranch_execz .LBB225_328
.LBB225_324:                            ;   Parent Loop BB225_31 Depth=1
                                        ; =>  This Inner Loop Header: Depth=2
	s_mov_b32 s6, exec_lo
	v_cmpx_gt_u64_e64 s[36:37], v[6:7]
	s_cbranch_execz .LBB225_322
; %bb.325:                              ;   in Loop: Header=BB225_324 Depth=2
	global_load_ushort v2, v[4:5], off
	s_waitcnt vmcnt(0)
	v_cmp_lt_i16_e32 vcc_lo, -1, v2
	v_lshlrev_b32_e32 v9, 16, v2
	v_cndmask_b32_e32 v8, 0xffff, v49, vcc_lo
	v_cmp_o_f32_e32 vcc_lo, v9, v9
	v_xor_b32_sdwa v8, v8, v2 dst_sel:DWORD dst_unused:UNUSED_PAD src0_sel:DWORD src1_sel:WORD_0
	v_cndmask_b32_e32 v8, 0xffff, v8, vcc_lo
	v_and_b32_e32 v8, v8, v51
	v_cmp_eq_u32_e32 vcc_lo, v8, v47
	s_and_b32 exec_lo, exec_lo, vcc_lo
	s_cbranch_execz .LBB225_322
; %bb.326:                              ;   in Loop: Header=BB225_324 Depth=2
	v_perm_b32 v2, v2, s58, 0x5040100
	ds_write_b32 v3, v2 offset:3072
	s_branch .LBB225_322
.LBB225_327:                            ;   in Loop: Header=BB225_324 Depth=2
	v_add_co_u32 v6, vcc_lo, v6, s33
	v_add_co_ci_u32_e64 v7, null, 0, v7, vcc_lo
	v_add_co_u32 v4, s6, v4, s42
	v_add_co_ci_u32_e64 v5, null, s43, v5, s6
	v_cmp_le_u64_e32 vcc_lo, s[20:21], v[6:7]
	s_mov_b32 s24, 0
	s_orn2_b32 s6, vcc_lo, exec_lo
	s_branch .LBB225_323
.LBB225_328:                            ;   in Loop: Header=BB225_31 Depth=1
	s_or_b32 exec_lo, exec_lo, s22
	v_lshrrev_b32_e32 v52, 16, v2
	s_andn2_b32 s2, s2, exec_lo
	s_and_b32 s6, s23, exec_lo
	s_or_b32 s2, s2, s6
.LBB225_329:                            ;   in Loop: Header=BB225_31 Depth=1
	s_or_b32 exec_lo, exec_lo, s9
	s_mov_b32 s27, 0
	s_mov_b32 s9, -1
.LBB225_330:                            ;   in Loop: Header=BB225_31 Depth=1
	s_orn2_b32 s2, s2, exec_lo
.LBB225_331:                            ;   in Loop: Header=BB225_31 Depth=1
	s_or_b32 exec_lo, exec_lo, s74
                                        ; implicit-def: $vgpr4_vgpr5
                                        ; implicit-def: $vgpr2
	s_and_saveexec_b32 s24, s2
	s_cbranch_execz .LBB225_489
; %bb.332:                              ;   in Loop: Header=BB225_31 Depth=1
	v_mov_b32_e32 v4, 1
	v_mov_b32_e32 v5, 0
	;; [unrolled: 1-line block ×3, first 2 shown]
	s_xor_b32 s20, s73, -1
	s_mov_b32 s6, 0
	s_and_saveexec_b32 s2, s20
	s_cbranch_execz .LBB225_341
; %bb.333:                              ;   in Loop: Header=BB225_31 Depth=1
	s_mov_b32 s6, exec_lo
	v_cmpx_ge_u64_e64 s[18:19], v[29:30]
	s_xor_b32 s6, exec_lo, s6
	s_cbranch_execz .LBB225_338
; %bb.334:                              ;   in Loop: Header=BB225_31 Depth=1
	ds_read_b64 v[4:5], v3 offset:5120
	v_or_b32_e32 v47, s11, v47
	v_or_b32_e32 v51, s11, v51
	s_waitcnt lgkmcnt(0)
	v_cmp_ne_u64_e32 vcc_lo, 0, v[4:5]
	s_cbranch_vccnz .LBB225_338
; %bb.335:                              ;   in Loop: Header=BB225_31 Depth=1
	s_and_saveexec_b32 s20, s3
; %bb.336:                              ;   in Loop: Header=BB225_31 Depth=1
	v_mov_b32_e32 v4, s18
	v_mov_b32_e32 v5, s19
	ds_write_b64 v3, v[4:5] offset:5128
; %bb.337:                              ;   in Loop: Header=BB225_31 Depth=1
	s_or_b32 exec_lo, exec_lo, s20
	s_waitcnt lgkmcnt(0)
	s_barrier
	buffer_gl0_inv
.LBB225_338:                            ;   in Loop: Header=BB225_31 Depth=1
	s_or_saveexec_b32 s6, s6
	v_mov_b32_e32 v2, 5
	s_mov_b32 s20, 0
	s_xor_b32 exec_lo, exec_lo, s6
; %bb.339:                              ;   in Loop: Header=BB225_31 Depth=1
	v_sub_co_u32 v29, vcc_lo, v29, s18
	v_subrev_co_ci_u32_e64 v30, null, s19, v30, vcc_lo
	v_mov_b32_e32 v2, 0
	s_mov_b32 s20, exec_lo
; %bb.340:                              ;   in Loop: Header=BB225_31 Depth=1
	s_or_b32 exec_lo, exec_lo, s6
	v_mov_b32_e32 v4, v29
	v_mov_b32_e32 v5, v30
	s_and_b32 s6, s20, exec_lo
.LBB225_341:                            ;   in Loop: Header=BB225_31 Depth=1
	s_or_b32 exec_lo, exec_lo, s2
	s_mov_b32 s2, -1
                                        ; implicit-def: $sgpr73
                                        ; implicit-def: $sgpr74
	s_and_saveexec_b32 s18, s6
	s_xor_b32 s25, exec_lo, s18
	s_cbranch_execz .LBB225_486
; %bb.342:                              ;   in Loop: Header=BB225_31 Depth=1
	v_cmp_eq_u64_e32 vcc_lo, 1, v[4:5]
	s_cmp_eq_u64 s[16:17], 1
                                        ; implicit-def: $sgpr74
                                        ; implicit-def: $sgpr73
	s_cselect_b32 s2, -1, 0
	s_and_b32 s75, s2, vcc_lo
	s_mov_b32 s2, -1
	s_and_saveexec_b32 s76, s75
	s_cbranch_execz .LBB225_376
; %bb.343:                              ;   in Loop: Header=BB225_31 Depth=1
	ds_read_b64 v[6:7], v3 offset:5120
	s_waitcnt lgkmcnt(0)
	s_barrier
	buffer_gl0_inv
	v_readfirstlane_b32 s18, v6
	v_readfirstlane_b32 s19, v7
	s_and_saveexec_b32 s2, s10
; %bb.344:                              ;   in Loop: Header=BB225_31 Depth=1
	ds_write_b16 v44, v3
; %bb.345:                              ;   in Loop: Header=BB225_31 Depth=1
	s_or_b32 exec_lo, exec_lo, s2
	s_lshl_b32 s2, 2, s54
	v_or_b32_e32 v51, s11, v51
	v_and_or_b32 v47, v47, s26, s2
	s_mov_b32 s73, -1
	s_mov_b32 s74, 0
	s_cmp_eq_u64 s[18:19], 0
	s_mov_b32 s2, 0
	s_mov_b32 s22, -1
	s_waitcnt lgkmcnt(0)
	s_barrier
	buffer_gl0_inv
                                        ; implicit-def: $vgpr52
	s_cbranch_scc1 .LBB225_361
; %bb.346:                              ;   in Loop: Header=BB225_31 Depth=1
	s_add_u32 s2, s18, s93
	s_addc_u32 s21, s19, s94
	s_mov_b32 s20, s61
	s_cmp_lg_u64 s[20:21], 0
	s_cbranch_scc0 .LBB225_402
; %bb.347:                              ;   in Loop: Header=BB225_31 Depth=1
	v_cvt_f32_u32_e32 v6, s33
	s_sub_u32 s22, 0, s33
	s_subb_u32 s23, 0, 0
	v_fmac_f32_e64 v6, 0x4f800000, 0
	v_rcp_f32_e32 v6, v6
	v_mul_f32_e32 v6, 0x5f7ffffc, v6
	v_mul_f32_e32 v7, 0x2f800000, v6
	v_trunc_f32_e32 v7, v7
	v_fmac_f32_e32 v6, 0xcf800000, v7
	v_cvt_u32_f32_e32 v7, v7
	v_cvt_u32_f32_e32 v6, v6
	v_readfirstlane_b32 s6, v7
	v_readfirstlane_b32 s20, v6
	s_mul_i32 s60, s22, s6
	s_mul_hi_u32 s66, s22, s20
	s_mul_i32 s62, s23, s20
	s_add_i32 s60, s66, s60
	s_mul_i32 s67, s22, s20
	s_add_i32 s60, s60, s62
	s_mul_hi_u32 s66, s20, s67
	s_mul_i32 s78, s20, s60
	s_mul_hi_u32 s77, s6, s67
	s_mul_i32 s62, s6, s67
	s_mul_hi_u32 s67, s20, s60
	s_add_u32 s66, s66, s78
	s_addc_u32 s67, 0, s67
	s_mul_hi_u32 s79, s6, s60
	s_add_u32 s62, s66, s62
	s_mul_i32 s60, s6, s60
	s_addc_u32 s62, s67, s77
	s_addc_u32 s66, s79, 0
	s_add_u32 s60, s62, s60
	s_addc_u32 s62, 0, s66
	s_add_u32 s20, s20, s60
	s_cselect_b32 s60, -1, 0
	s_mul_hi_u32 s66, s22, s20
	s_cmp_lg_u32 s60, 0
	s_mul_i32 s60, s22, s20
	s_addc_u32 s6, s6, s62
	s_mul_i32 s23, s23, s20
	s_mul_i32 s22, s22, s6
	s_mul_hi_u32 s62, s20, s60
	s_add_i32 s22, s66, s22
	s_mul_hi_u32 s66, s6, s60
	s_add_i32 s22, s22, s23
	s_mul_i32 s23, s6, s60
	s_mul_i32 s77, s20, s22
	s_mul_hi_u32 s67, s20, s22
	s_add_u32 s62, s62, s77
	s_addc_u32 s67, 0, s67
	s_mul_hi_u32 s60, s6, s22
	s_add_u32 s23, s62, s23
	s_mul_i32 s22, s6, s22
	s_addc_u32 s23, s67, s66
	s_addc_u32 s60, s60, 0
	s_add_u32 s22, s23, s22
	s_addc_u32 s23, 0, s60
	s_add_u32 s20, s20, s22
	s_cselect_b32 s22, -1, 0
	s_mul_hi_u32 s60, s2, s20
	s_cmp_lg_u32 s22, 0
	s_mul_hi_u32 s22, s21, s20
	s_addc_u32 s6, s6, s23
	s_mul_i32 s20, s21, s20
	s_mul_i32 s62, s2, s6
	s_mul_hi_u32 s23, s2, s6
	s_add_u32 s60, s60, s62
	s_addc_u32 s23, 0, s23
	s_mul_hi_u32 s66, s21, s6
	s_add_u32 s20, s60, s20
	s_mul_i32 s6, s21, s6
	s_addc_u32 s20, s23, s22
	s_addc_u32 s22, s66, 0
	s_add_u32 s6, s20, s6
	s_addc_u32 s20, 0, s22
	s_mul_hi_u32 s22, s33, s6
	s_mul_i32 s20, s33, s20
	s_mul_i32 s6, s33, s6
	s_add_i32 s22, s22, s20
	s_sub_u32 s6, s2, s6
	s_cselect_b32 s20, -1, 0
	s_cmp_lg_u32 s20, 0
	s_subb_u32 s20, s21, s22
	s_sub_u32 s22, s6, s33
	s_cselect_b32 s23, -1, 0
	s_cmp_lg_u32 s23, 0
	s_subb_u32 s23, s20, 0
	;; [unrolled: 4-line block ×3, first 2 shown]
	s_cmp_ge_u32 s22, s33
	s_cselect_b32 s66, -1, 0
	s_cmp_eq_u32 s23, 0
	s_cselect_b32 s66, s66, -1
	s_cmp_lg_u32 s66, 0
	s_cselect_b32 s23, s62, s23
	s_cselect_b32 s22, s60, s22
	s_cmp_ge_u32 s6, s33
	s_cselect_b32 s60, -1, 0
	s_cmp_eq_u32 s20, 0
	s_cselect_b32 s60, s60, -1
	s_cmp_lg_u32 s60, 0
	s_cselect_b32 s23, s23, s20
	s_cselect_b32 s22, s22, s6
	s_cbranch_execnz .LBB225_349
.LBB225_348:                            ;   in Loop: Header=BB225_31 Depth=1
	v_cvt_f32_u32_e32 v6, s33
	s_sub_i32 s20, 0, s33
	v_rcp_iflag_f32_e32 v6, v6
	v_mul_f32_e32 v6, 0x4f7ffffe, v6
	v_cvt_u32_f32_e32 v6, v6
	v_readfirstlane_b32 s6, v6
	s_mul_i32 s20, s20, s6
	s_mul_hi_u32 s20, s6, s20
	s_add_i32 s6, s6, s20
	s_mul_hi_u32 s6, s2, s6
	s_mul_i32 s6, s6, s33
	s_sub_i32 s6, s2, s6
	s_sub_i32 s20, s6, s33
	s_cmp_ge_u32 s6, s33
	s_cselect_b32 s6, s20, s6
	s_sub_i32 s20, s6, s33
	s_cmp_ge_u32 s6, s33
	s_cselect_b32 s60, s20, s6
	s_mov_b64 s[22:23], s[60:61]
.LBB225_349:                            ;   in Loop: Header=BB225_31 Depth=1
	s_sub_u32 s20, s2, s22
	s_subb_u32 s21, s21, s23
	s_mov_b32 s22, 0
	s_mov_b32 s2, 0
	s_mov_b32 s23, exec_lo
                                        ; implicit-def: $vgpr52
	v_cmpx_gt_u64_e64 s[20:21], v[0:1]
	s_cbranch_execz .LBB225_360
; %bb.350:                              ;   in Loop: Header=BB225_31 Depth=1
	v_mov_b32_e32 v7, v1
	v_mov_b32_e32 v8, v43
	;; [unrolled: 1-line block ×3, first 2 shown]
                                        ; implicit-def: $sgpr60
	s_branch .LBB225_353
.LBB225_351:                            ;   in Loop: Header=BB225_353 Depth=2
	s_or_b32 exec_lo, exec_lo, s62
	s_waitcnt lgkmcnt(0)
	s_barrier
	buffer_gl0_inv
	ds_read_b32 v9, v3 offset:3072
	s_mov_b32 s6, -1
	s_mov_b32 s62, -1
	s_waitcnt lgkmcnt(0)
	s_barrier
	buffer_gl0_inv
	v_and_b32_e32 v10, 0x7fff, v9
	v_cmp_ne_u32_e32 vcc_lo, 0, v10
	s_cbranch_vccz .LBB225_356
.LBB225_352:                            ;   in Loop: Header=BB225_353 Depth=2
	s_and_b32 s6, exec_lo, s6
	s_or_b32 s2, s6, s2
	s_andn2_b32 s6, s60, exec_lo
	s_and_b32 s60, s62, exec_lo
	s_or_b32 s60, s6, s60
	s_andn2_b32 exec_lo, exec_lo, s2
	s_cbranch_execz .LBB225_359
.LBB225_353:                            ;   Parent Loop BB225_31 Depth=1
                                        ; =>  This Inner Loop Header: Depth=2
	s_mov_b32 s62, exec_lo
	v_cmpx_gt_u64_e64 s[18:19], v[6:7]
	s_cbranch_execz .LBB225_351
; %bb.354:                              ;   in Loop: Header=BB225_353 Depth=2
	ds_read_u16 v9, v8
	s_waitcnt lgkmcnt(0)
	v_lshlrev_b32_e32 v10, 16, v9
	v_cmp_lt_i16_e64 s6, -1, v9
	v_cmp_o_f32_e32 vcc_lo, v10, v10
	v_cndmask_b32_e64 v10, 0xffff, v49, s6
	v_xor_b32_sdwa v10, v10, v9 dst_sel:DWORD dst_unused:UNUSED_PAD src0_sel:DWORD src1_sel:WORD_0
	v_cndmask_b32_e32 v10, 0xffff, v10, vcc_lo
	v_and_b32_e32 v10, v10, v51
	v_cmp_eq_u32_e32 vcc_lo, v10, v47
	s_and_b32 exec_lo, exec_lo, vcc_lo
	s_cbranch_execz .LBB225_351
; %bb.355:                              ;   in Loop: Header=BB225_353 Depth=2
	v_perm_b32 v9, v9, s58, 0x5040100
	ds_write_b32 v3, v9 offset:3072
	s_branch .LBB225_351
.LBB225_356:                            ;   in Loop: Header=BB225_353 Depth=2
	v_add_co_u32 v6, vcc_lo, v6, s33
	v_add_co_ci_u32_e64 v7, null, 0, v7, vcc_lo
	v_add_nc_u32_e32 v8, vcc_hi, v8
	s_mov_b32 s62, 0
	v_cmp_le_u64_e32 vcc_lo, s[20:21], v[6:7]
	s_orn2_b32 s6, vcc_lo, exec_lo
	s_branch .LBB225_352
.LBB225_357:                            ;   in Loop: Header=BB225_31 Depth=1
                                        ; implicit-def: $sgpr24_sgpr25
	s_andn2_b32 vcc_lo, exec_lo, s6
	s_cbranch_vccz .LBB225_304
	s_branch .LBB225_305
.LBB225_358:                            ;   in Loop: Header=BB225_31 Depth=1
                                        ; implicit-def: $sgpr20_sgpr21
	s_branch .LBB225_319
.LBB225_359:                            ;   in Loop: Header=BB225_31 Depth=1
	s_or_b32 exec_lo, exec_lo, s2
	v_lshrrev_b32_e32 v52, 16, v9
	s_and_b32 s2, s60, exec_lo
.LBB225_360:                            ;   in Loop: Header=BB225_31 Depth=1
	s_or_b32 exec_lo, exec_lo, s23
.LBB225_361:                            ;   in Loop: Header=BB225_31 Depth=1
	s_and_b32 vcc_lo, exec_lo, s22
	s_cbranch_vccz .LBB225_375
; %bb.362:                              ;   in Loop: Header=BB225_31 Depth=1
	s_mov_b32 s62, s61
	s_cmp_lg_u64 s[62:63], 0
	s_cbranch_scc0 .LBB225_403
; %bb.363:                              ;   in Loop: Header=BB225_31 Depth=1
	v_cvt_f32_u32_e32 v6, s33
	s_sub_u32 s19, 0, s33
	s_subb_u32 s20, 0, 0
	v_fmac_f32_e64 v6, 0x4f800000, 0
	v_rcp_f32_e32 v6, v6
	v_mul_f32_e32 v6, 0x5f7ffffc, v6
	v_mul_f32_e32 v7, 0x2f800000, v6
	v_trunc_f32_e32 v7, v7
	v_fmac_f32_e32 v6, 0xcf800000, v7
	v_cvt_u32_f32_e32 v7, v7
	v_cvt_u32_f32_e32 v6, v6
	v_readfirstlane_b32 s6, v7
	v_readfirstlane_b32 s18, v6
	s_mul_i32 s21, s19, s6
	s_mul_hi_u32 s23, s19, s18
	s_mul_i32 s22, s20, s18
	s_add_i32 s21, s23, s21
	s_mul_i32 s60, s19, s18
	s_add_i32 s21, s21, s22
	s_mul_hi_u32 s23, s18, s60
	s_mul_i32 s66, s18, s21
	s_mul_hi_u32 s62, s6, s60
	s_mul_i32 s22, s6, s60
	s_mul_hi_u32 s60, s18, s21
	s_add_u32 s23, s23, s66
	s_addc_u32 s60, 0, s60
	s_mul_hi_u32 s67, s6, s21
	s_add_u32 s22, s23, s22
	s_mul_i32 s21, s6, s21
	s_addc_u32 s22, s60, s62
	s_addc_u32 s23, s67, 0
	s_add_u32 s21, s22, s21
	s_addc_u32 s22, 0, s23
	s_add_u32 s18, s18, s21
	s_cselect_b32 s21, -1, 0
	s_mul_hi_u32 s23, s19, s18
	s_cmp_lg_u32 s21, 0
	s_mul_i32 s21, s19, s18
	s_addc_u32 s6, s6, s22
	s_mul_i32 s20, s20, s18
	s_mul_i32 s19, s19, s6
	s_mul_hi_u32 s22, s18, s21
	s_add_i32 s19, s23, s19
	s_mul_hi_u32 s23, s6, s21
	s_add_i32 s19, s19, s20
	s_mul_i32 s20, s6, s21
	s_mul_i32 s62, s18, s19
	s_mul_hi_u32 s60, s18, s19
	s_add_u32 s22, s22, s62
	s_addc_u32 s60, 0, s60
	s_mul_hi_u32 s21, s6, s19
	s_add_u32 s20, s22, s20
	s_mul_i32 s19, s6, s19
	s_addc_u32 s20, s60, s23
	s_addc_u32 s21, s21, 0
	s_add_u32 s19, s20, s19
	s_addc_u32 s20, 0, s21
	s_add_u32 s18, s18, s19
	s_cselect_b32 s19, -1, 0
	s_mul_hi_u32 s21, s95, s18
	s_cmp_lg_u32 s19, 0
	s_mul_hi_u32 s19, s63, s18
	s_addc_u32 s6, s6, s20
	s_mul_i32 s18, s63, s18
	s_mul_i32 s22, s95, s6
	s_mul_hi_u32 s20, s95, s6
	s_add_u32 s21, s21, s22
	s_addc_u32 s20, 0, s20
	s_mul_hi_u32 s23, s63, s6
	s_add_u32 s18, s21, s18
	s_mul_i32 s6, s63, s6
	s_addc_u32 s18, s20, s19
	s_addc_u32 s19, s23, 0
	s_add_u32 s6, s18, s6
	s_addc_u32 s18, 0, s19
	s_mul_hi_u32 s19, s33, s6
	s_mul_i32 s18, s33, s18
	s_mul_i32 s6, s33, s6
	s_add_i32 s19, s19, s18
	s_sub_u32 s6, s95, s6
	s_cselect_b32 s18, -1, 0
	s_cmp_lg_u32 s18, 0
	s_subb_u32 s18, s63, s19
	s_sub_u32 s19, s6, s33
	s_cselect_b32 s20, -1, 0
	s_cmp_lg_u32 s20, 0
	s_subb_u32 s20, s18, 0
	s_sub_u32 s21, s19, s33
	s_cselect_b32 s22, -1, 0
	s_cmp_lg_u32 s22, 0
	s_subb_u32 s22, s20, 0
	s_cmp_ge_u32 s19, s33
	s_cselect_b32 s23, -1, 0
	s_cmp_eq_u32 s20, 0
	s_cselect_b32 s23, s23, -1
	s_cmp_lg_u32 s23, 0
	s_cselect_b32 s20, s22, s20
	s_cselect_b32 s21, s21, s19
	s_cmp_ge_u32 s6, s33
	s_cselect_b32 s19, -1, 0
	s_cmp_eq_u32 s18, 0
	s_cselect_b32 s19, s19, -1
	s_cmp_lg_u32 s19, 0
	s_cselect_b32 s19, s20, s18
	s_cselect_b32 s18, s21, s6
	s_cbranch_execnz .LBB225_365
.LBB225_364:                            ;   in Loop: Header=BB225_31 Depth=1
	v_cvt_f32_u32_e32 v6, s33
	s_sub_i32 s18, 0, s33
	v_rcp_iflag_f32_e32 v6, v6
	v_mul_f32_e32 v6, 0x4f7ffffe, v6
	v_cvt_u32_f32_e32 v6, v6
	v_readfirstlane_b32 s6, v6
	s_mul_i32 s18, s18, s6
	s_mul_hi_u32 s18, s6, s18
	s_add_i32 s6, s6, s18
	s_mul_hi_u32 s6, s95, s6
	s_mul_i32 s6, s6, s33
	s_sub_i32 s6, s95, s6
	s_sub_i32 s18, s6, s33
	s_cmp_ge_u32 s6, s33
	s_cselect_b32 s6, s18, s6
	s_sub_i32 s18, s6, s33
	s_cmp_ge_u32 s6, s33
	s_cselect_b32 s60, s18, s6
	s_mov_b64 s[18:19], s[60:61]
.LBB225_365:                            ;   in Loop: Header=BB225_31 Depth=1
	s_sub_u32 s18, s95, s18
	s_subb_u32 s19, s63, s19
	s_mov_b32 s20, exec_lo
                                        ; implicit-def: $vgpr52
	v_cmpx_gt_u64_e64 s[18:19], v[0:1]
	s_cbranch_execz .LBB225_374
; %bb.366:                              ;   in Loop: Header=BB225_31 Depth=1
	v_mov_b32_e32 v6, v27
	v_mov_b32_e32 v9, v1
	;; [unrolled: 1-line block ×4, first 2 shown]
	s_mov_b32 s21, 0
                                        ; implicit-def: $sgpr22
	s_branch .LBB225_369
.LBB225_367:                            ;   in Loop: Header=BB225_369 Depth=2
	s_or_b32 exec_lo, exec_lo, s6
	s_waitcnt lgkmcnt(0)
	s_barrier
	buffer_gl0_inv
	ds_read_b32 v10, v3 offset:3072
	s_mov_b32 s6, -1
	s_mov_b32 s23, -1
	s_waitcnt lgkmcnt(0)
	s_barrier
	buffer_gl0_inv
	v_and_b32_e32 v11, 0x7fff, v10
	v_cmp_eq_u32_e32 vcc_lo, 0, v11
	s_cbranch_vccnz .LBB225_372
.LBB225_368:                            ;   in Loop: Header=BB225_369 Depth=2
	s_and_b32 s6, exec_lo, s6
	s_or_b32 s21, s6, s21
	s_andn2_b32 s6, s22, exec_lo
	s_and_b32 s22, s23, exec_lo
	s_or_b32 s22, s6, s22
	s_andn2_b32 exec_lo, exec_lo, s21
	s_cbranch_execz .LBB225_373
.LBB225_369:                            ;   Parent Loop BB225_31 Depth=1
                                        ; =>  This Inner Loop Header: Depth=2
	s_mov_b32 s6, exec_lo
	v_cmpx_gt_u64_e64 s[36:37], v[8:9]
	s_cbranch_execz .LBB225_367
; %bb.370:                              ;   in Loop: Header=BB225_369 Depth=2
	global_load_ushort v10, v[6:7], off
	s_waitcnt vmcnt(0)
	v_cmp_lt_i16_e32 vcc_lo, -1, v10
	v_lshlrev_b32_e32 v29, 16, v10
	v_cndmask_b32_e32 v11, 0xffff, v49, vcc_lo
	v_cmp_o_f32_e32 vcc_lo, v29, v29
	v_xor_b32_sdwa v11, v11, v10 dst_sel:DWORD dst_unused:UNUSED_PAD src0_sel:DWORD src1_sel:WORD_0
	v_cndmask_b32_e32 v11, 0xffff, v11, vcc_lo
	v_and_b32_e32 v11, v11, v51
	v_cmp_eq_u32_e32 vcc_lo, v11, v47
	s_and_b32 exec_lo, exec_lo, vcc_lo
	s_cbranch_execz .LBB225_367
; %bb.371:                              ;   in Loop: Header=BB225_369 Depth=2
	v_perm_b32 v10, v10, s58, 0x5040100
	ds_write_b32 v3, v10 offset:3072
	s_branch .LBB225_367
.LBB225_372:                            ;   in Loop: Header=BB225_369 Depth=2
	v_add_co_u32 v8, vcc_lo, v8, s33
	v_add_co_ci_u32_e64 v9, null, 0, v9, vcc_lo
	v_add_co_u32 v6, s6, v6, s42
	v_add_co_ci_u32_e64 v7, null, s43, v7, s6
	v_cmp_le_u64_e32 vcc_lo, s[18:19], v[8:9]
	s_mov_b32 s23, 0
	s_orn2_b32 s6, vcc_lo, exec_lo
	s_branch .LBB225_368
.LBB225_373:                            ;   in Loop: Header=BB225_31 Depth=1
	s_or_b32 exec_lo, exec_lo, s21
	v_lshrrev_b32_e32 v52, 16, v10
	s_andn2_b32 s2, s2, exec_lo
	s_and_b32 s6, s22, exec_lo
	s_or_b32 s2, s2, s6
.LBB225_374:                            ;   in Loop: Header=BB225_31 Depth=1
	s_or_b32 exec_lo, exec_lo, s20
	s_mov_b32 s73, 0
	s_mov_b32 s74, -1
.LBB225_375:                            ;   in Loop: Header=BB225_31 Depth=1
	s_orn2_b32 s2, s2, exec_lo
.LBB225_376:                            ;   in Loop: Header=BB225_31 Depth=1
	s_or_b32 exec_lo, exec_lo, s76
	s_mov_b32 s6, 0
	s_and_saveexec_b32 s22, s2
	s_cbranch_execz .LBB225_485
; %bb.377:                              ;   in Loop: Header=BB225_31 Depth=1
	v_mov_b32_e32 v6, 1
	v_mov_b32_e32 v7, 0
	;; [unrolled: 1-line block ×3, first 2 shown]
	s_xor_b32 s18, s75, -1
	s_and_saveexec_b32 s2, s18
	s_cbranch_execz .LBB225_386
; %bb.378:                              ;   in Loop: Header=BB225_31 Depth=1
	s_mov_b32 s6, exec_lo
	v_cmpx_ge_u64_e64 s[16:17], v[4:5]
	s_xor_b32 s6, exec_lo, s6
	s_cbranch_execz .LBB225_383
; %bb.379:                              ;   in Loop: Header=BB225_31 Depth=1
	ds_read_b64 v[6:7], v3 offset:5120
	s_lshl_b32 s18, 2, s54
	v_or_b32_e32 v51, s11, v51
	v_and_or_b32 v47, v47, s26, s18
	s_waitcnt lgkmcnt(0)
	v_cmp_ne_u64_e32 vcc_lo, 0, v[6:7]
	s_cbranch_vccnz .LBB225_383
; %bb.380:                              ;   in Loop: Header=BB225_31 Depth=1
	s_and_saveexec_b32 s18, s3
; %bb.381:                              ;   in Loop: Header=BB225_31 Depth=1
	v_mov_b32_e32 v6, s16
	v_mov_b32_e32 v7, s17
	ds_write_b64 v3, v[6:7] offset:5128
; %bb.382:                              ;   in Loop: Header=BB225_31 Depth=1
	s_or_b32 exec_lo, exec_lo, s18
	s_waitcnt lgkmcnt(0)
	s_barrier
	buffer_gl0_inv
.LBB225_383:                            ;   in Loop: Header=BB225_31 Depth=1
	s_or_saveexec_b32 s6, s6
	v_mov_b32_e32 v2, 5
	s_mov_b32 s18, 0
	s_xor_b32 exec_lo, exec_lo, s6
; %bb.384:                              ;   in Loop: Header=BB225_31 Depth=1
	v_sub_co_u32 v4, vcc_lo, v4, s16
	v_subrev_co_ci_u32_e64 v5, null, s17, v5, vcc_lo
	v_mov_b32_e32 v2, 0
	s_mov_b32 s18, exec_lo
; %bb.385:                              ;   in Loop: Header=BB225_31 Depth=1
	s_or_b32 exec_lo, exec_lo, s6
	v_mov_b32_e32 v7, v5
	v_mov_b32_e32 v6, v4
	s_and_b32 s6, s18, exec_lo
.LBB225_386:                            ;   in Loop: Header=BB225_31 Depth=1
	s_or_b32 exec_lo, exec_lo, s2
	s_mov_b32 s2, -1
                                        ; implicit-def: $sgpr75
                                        ; implicit-def: $sgpr76
	s_and_saveexec_b32 s23, s6
	s_cbranch_execz .LBB225_484
; %bb.387:                              ;   in Loop: Header=BB225_31 Depth=1
	v_cmp_eq_u64_e32 vcc_lo, 1, v[6:7]
	s_cmp_eq_u64 s[14:15], 1
                                        ; implicit-def: $sgpr76
                                        ; implicit-def: $sgpr75
	s_cselect_b32 s2, -1, 0
	s_and_b32 s77, s2, vcc_lo
	s_mov_b32 s2, -1
	s_and_saveexec_b32 s78, s77
	s_cbranch_execz .LBB225_421
; %bb.388:                              ;   in Loop: Header=BB225_31 Depth=1
	ds_read_b64 v[4:5], v3 offset:5120
	s_waitcnt lgkmcnt(0)
	s_barrier
	buffer_gl0_inv
	v_readfirstlane_b32 s16, v4
	v_readfirstlane_b32 s17, v5
	s_and_saveexec_b32 s2, s10
; %bb.389:                              ;   in Loop: Header=BB225_31 Depth=1
	ds_write_b16 v44, v3
; %bb.390:                              ;   in Loop: Header=BB225_31 Depth=1
	s_or_b32 exec_lo, exec_lo, s2
	s_lshl_b32 s2, 1, s54
	v_or_b32_e32 v51, s11, v51
	v_and_or_b32 v47, v47, s26, s2
	s_mov_b32 s75, -1
	s_mov_b32 s76, 0
	s_cmp_eq_u64 s[16:17], 0
	s_mov_b32 s2, 0
	s_mov_b32 s20, -1
	s_waitcnt lgkmcnt(0)
	s_barrier
	buffer_gl0_inv
                                        ; implicit-def: $vgpr52
	s_cbranch_scc1 .LBB225_406
; %bb.391:                              ;   in Loop: Header=BB225_31 Depth=1
	s_add_u32 s2, s16, s93
	s_addc_u32 s19, s17, s94
	s_mov_b32 s18, s61
	s_cmp_lg_u64 s[18:19], 0
	s_cbranch_scc0 .LBB225_438
; %bb.392:                              ;   in Loop: Header=BB225_31 Depth=1
	v_cvt_f32_u32_e32 v4, s33
	s_sub_u32 s20, 0, s33
	s_subb_u32 s21, 0, 0
	v_fmac_f32_e64 v4, 0x4f800000, 0
	v_rcp_f32_e32 v4, v4
	v_mul_f32_e32 v4, 0x5f7ffffc, v4
	v_mul_f32_e32 v5, 0x2f800000, v4
	v_trunc_f32_e32 v5, v5
	v_fmac_f32_e32 v4, 0xcf800000, v5
	v_cvt_u32_f32_e32 v5, v5
	v_cvt_u32_f32_e32 v4, v4
	v_readfirstlane_b32 s6, v5
	v_readfirstlane_b32 s18, v4
	s_mul_i32 s60, s20, s6
	s_mul_hi_u32 s66, s20, s18
	s_mul_i32 s62, s21, s18
	s_add_i32 s60, s66, s60
	s_mul_i32 s67, s20, s18
	s_add_i32 s60, s60, s62
	s_mul_hi_u32 s66, s18, s67
	s_mul_i32 s80, s18, s60
	s_mul_hi_u32 s79, s6, s67
	s_mul_i32 s62, s6, s67
	s_mul_hi_u32 s67, s18, s60
	s_add_u32 s66, s66, s80
	s_addc_u32 s67, 0, s67
	s_mul_hi_u32 s81, s6, s60
	s_add_u32 s62, s66, s62
	s_mul_i32 s60, s6, s60
	s_addc_u32 s62, s67, s79
	s_addc_u32 s66, s81, 0
	s_add_u32 s60, s62, s60
	s_addc_u32 s62, 0, s66
	s_add_u32 s18, s18, s60
	s_cselect_b32 s60, -1, 0
	s_mul_hi_u32 s66, s20, s18
	s_cmp_lg_u32 s60, 0
	s_mul_i32 s60, s20, s18
	s_addc_u32 s6, s6, s62
	s_mul_i32 s21, s21, s18
	s_mul_i32 s20, s20, s6
	s_mul_hi_u32 s62, s18, s60
	s_add_i32 s20, s66, s20
	s_mul_hi_u32 s66, s6, s60
	s_add_i32 s20, s20, s21
	s_mul_i32 s21, s6, s60
	s_mul_i32 s79, s18, s20
	s_mul_hi_u32 s67, s18, s20
	s_add_u32 s62, s62, s79
	s_addc_u32 s67, 0, s67
	s_mul_hi_u32 s60, s6, s20
	s_add_u32 s21, s62, s21
	s_mul_i32 s20, s6, s20
	s_addc_u32 s21, s67, s66
	s_addc_u32 s60, s60, 0
	s_add_u32 s20, s21, s20
	s_addc_u32 s21, 0, s60
	s_add_u32 s18, s18, s20
	s_cselect_b32 s20, -1, 0
	s_mul_hi_u32 s60, s2, s18
	s_cmp_lg_u32 s20, 0
	s_mul_hi_u32 s20, s19, s18
	s_addc_u32 s6, s6, s21
	s_mul_i32 s18, s19, s18
	s_mul_i32 s62, s2, s6
	s_mul_hi_u32 s21, s2, s6
	s_add_u32 s60, s60, s62
	s_addc_u32 s21, 0, s21
	s_mul_hi_u32 s66, s19, s6
	s_add_u32 s18, s60, s18
	s_mul_i32 s6, s19, s6
	s_addc_u32 s18, s21, s20
	s_addc_u32 s20, s66, 0
	s_add_u32 s6, s18, s6
	s_addc_u32 s18, 0, s20
	s_mul_hi_u32 s20, s33, s6
	s_mul_i32 s18, s33, s18
	s_mul_i32 s6, s33, s6
	s_add_i32 s20, s20, s18
	s_sub_u32 s6, s2, s6
	s_cselect_b32 s18, -1, 0
	s_cmp_lg_u32 s18, 0
	s_subb_u32 s18, s19, s20
	s_sub_u32 s20, s6, s33
	s_cselect_b32 s21, -1, 0
	s_cmp_lg_u32 s21, 0
	s_subb_u32 s21, s18, 0
	;; [unrolled: 4-line block ×3, first 2 shown]
	s_cmp_ge_u32 s20, s33
	s_cselect_b32 s66, -1, 0
	s_cmp_eq_u32 s21, 0
	s_cselect_b32 s66, s66, -1
	s_cmp_lg_u32 s66, 0
	s_cselect_b32 s21, s62, s21
	s_cselect_b32 s20, s60, s20
	s_cmp_ge_u32 s6, s33
	s_cselect_b32 s60, -1, 0
	s_cmp_eq_u32 s18, 0
	s_cselect_b32 s60, s60, -1
	s_cmp_lg_u32 s60, 0
	s_cselect_b32 s21, s21, s18
	s_cselect_b32 s20, s20, s6
	s_cbranch_execnz .LBB225_394
.LBB225_393:                            ;   in Loop: Header=BB225_31 Depth=1
	v_cvt_f32_u32_e32 v4, s33
	s_sub_i32 s18, 0, s33
	v_rcp_iflag_f32_e32 v4, v4
	v_mul_f32_e32 v4, 0x4f7ffffe, v4
	v_cvt_u32_f32_e32 v4, v4
	v_readfirstlane_b32 s6, v4
	s_mul_i32 s18, s18, s6
	s_mul_hi_u32 s18, s6, s18
	s_add_i32 s6, s6, s18
	s_mul_hi_u32 s6, s2, s6
	s_mul_i32 s6, s6, s33
	s_sub_i32 s6, s2, s6
	s_sub_i32 s18, s6, s33
	s_cmp_ge_u32 s6, s33
	s_cselect_b32 s6, s18, s6
	s_sub_i32 s18, s6, s33
	s_cmp_ge_u32 s6, s33
	s_cselect_b32 s60, s18, s6
	s_mov_b64 s[20:21], s[60:61]
.LBB225_394:                            ;   in Loop: Header=BB225_31 Depth=1
	s_sub_u32 s18, s2, s20
	s_subb_u32 s19, s19, s21
	s_mov_b32 s20, 0
	s_mov_b32 s2, 0
	s_mov_b32 s21, exec_lo
                                        ; implicit-def: $vgpr52
	v_cmpx_gt_u64_e64 s[18:19], v[0:1]
	s_cbranch_execz .LBB225_405
; %bb.395:                              ;   in Loop: Header=BB225_31 Depth=1
	v_mov_b32_e32 v5, v1
	v_mov_b32_e32 v8, v43
	v_mov_b32_e32 v4, v0
                                        ; implicit-def: $sgpr60
	s_branch .LBB225_398
.LBB225_396:                            ;   in Loop: Header=BB225_398 Depth=2
	s_or_b32 exec_lo, exec_lo, s62
	s_waitcnt lgkmcnt(0)
	s_barrier
	buffer_gl0_inv
	ds_read_b32 v9, v3 offset:3072
	s_mov_b32 s6, -1
	s_mov_b32 s62, -1
	s_waitcnt lgkmcnt(0)
	s_barrier
	buffer_gl0_inv
	v_and_b32_e32 v10, 0x7fff, v9
	v_cmp_ne_u32_e32 vcc_lo, 0, v10
	s_cbranch_vccz .LBB225_401
.LBB225_397:                            ;   in Loop: Header=BB225_398 Depth=2
	s_and_b32 s6, exec_lo, s6
	s_or_b32 s2, s6, s2
	s_andn2_b32 s6, s60, exec_lo
	s_and_b32 s60, s62, exec_lo
	s_or_b32 s60, s6, s60
	s_andn2_b32 exec_lo, exec_lo, s2
	s_cbranch_execz .LBB225_404
.LBB225_398:                            ;   Parent Loop BB225_31 Depth=1
                                        ; =>  This Inner Loop Header: Depth=2
	s_mov_b32 s62, exec_lo
	v_cmpx_gt_u64_e64 s[16:17], v[4:5]
	s_cbranch_execz .LBB225_396
; %bb.399:                              ;   in Loop: Header=BB225_398 Depth=2
	ds_read_u16 v9, v8
	s_waitcnt lgkmcnt(0)
	v_lshlrev_b32_e32 v10, 16, v9
	v_cmp_lt_i16_e64 s6, -1, v9
	v_cmp_o_f32_e32 vcc_lo, v10, v10
	v_cndmask_b32_e64 v10, 0xffff, v49, s6
	v_xor_b32_sdwa v10, v10, v9 dst_sel:DWORD dst_unused:UNUSED_PAD src0_sel:DWORD src1_sel:WORD_0
	v_cndmask_b32_e32 v10, 0xffff, v10, vcc_lo
	v_and_b32_e32 v10, v10, v51
	v_cmp_eq_u32_e32 vcc_lo, v10, v47
	s_and_b32 exec_lo, exec_lo, vcc_lo
	s_cbranch_execz .LBB225_396
; %bb.400:                              ;   in Loop: Header=BB225_398 Depth=2
	v_perm_b32 v9, v9, s58, 0x5040100
	ds_write_b32 v3, v9 offset:3072
	s_branch .LBB225_396
.LBB225_401:                            ;   in Loop: Header=BB225_398 Depth=2
	v_add_co_u32 v4, vcc_lo, v4, s33
	v_add_co_ci_u32_e64 v5, null, 0, v5, vcc_lo
	v_add_nc_u32_e32 v8, vcc_hi, v8
	s_mov_b32 s62, 0
	v_cmp_le_u64_e32 vcc_lo, s[18:19], v[4:5]
	s_orn2_b32 s6, vcc_lo, exec_lo
	s_branch .LBB225_397
.LBB225_402:                            ;   in Loop: Header=BB225_31 Depth=1
                                        ; implicit-def: $sgpr22_sgpr23
	s_branch .LBB225_348
.LBB225_403:                            ;   in Loop: Header=BB225_31 Depth=1
                                        ; implicit-def: $sgpr18_sgpr19
	s_branch .LBB225_364
.LBB225_404:                            ;   in Loop: Header=BB225_31 Depth=1
	s_or_b32 exec_lo, exec_lo, s2
	v_lshrrev_b32_e32 v52, 16, v9
	s_and_b32 s2, s60, exec_lo
.LBB225_405:                            ;   in Loop: Header=BB225_31 Depth=1
	s_or_b32 exec_lo, exec_lo, s21
.LBB225_406:                            ;   in Loop: Header=BB225_31 Depth=1
	s_and_b32 vcc_lo, exec_lo, s20
	s_cbranch_vccz .LBB225_420
; %bb.407:                              ;   in Loop: Header=BB225_31 Depth=1
	s_mov_b32 s62, s61
	s_cmp_lg_u64 s[62:63], 0
	s_cbranch_scc0 .LBB225_439
; %bb.408:                              ;   in Loop: Header=BB225_31 Depth=1
	v_cvt_f32_u32_e32 v4, s33
	s_sub_u32 s17, 0, s33
	s_subb_u32 s18, 0, 0
	v_fmac_f32_e64 v4, 0x4f800000, 0
	v_rcp_f32_e32 v4, v4
	v_mul_f32_e32 v4, 0x5f7ffffc, v4
	v_mul_f32_e32 v5, 0x2f800000, v4
	v_trunc_f32_e32 v5, v5
	v_fmac_f32_e32 v4, 0xcf800000, v5
	v_cvt_u32_f32_e32 v5, v5
	v_cvt_u32_f32_e32 v4, v4
	v_readfirstlane_b32 s6, v5
	v_readfirstlane_b32 s16, v4
	s_mul_i32 s19, s17, s6
	s_mul_hi_u32 s21, s17, s16
	s_mul_i32 s20, s18, s16
	s_add_i32 s19, s21, s19
	s_mul_i32 s60, s17, s16
	s_add_i32 s19, s19, s20
	s_mul_hi_u32 s21, s16, s60
	s_mul_i32 s66, s16, s19
	s_mul_hi_u32 s62, s6, s60
	s_mul_i32 s20, s6, s60
	s_mul_hi_u32 s60, s16, s19
	s_add_u32 s21, s21, s66
	s_addc_u32 s60, 0, s60
	s_mul_hi_u32 s67, s6, s19
	s_add_u32 s20, s21, s20
	s_mul_i32 s19, s6, s19
	s_addc_u32 s20, s60, s62
	s_addc_u32 s21, s67, 0
	s_add_u32 s19, s20, s19
	s_addc_u32 s20, 0, s21
	s_add_u32 s16, s16, s19
	s_cselect_b32 s19, -1, 0
	s_mul_hi_u32 s21, s17, s16
	s_cmp_lg_u32 s19, 0
	s_mul_i32 s19, s17, s16
	s_addc_u32 s6, s6, s20
	s_mul_i32 s18, s18, s16
	s_mul_i32 s17, s17, s6
	s_mul_hi_u32 s20, s16, s19
	s_add_i32 s17, s21, s17
	s_mul_hi_u32 s21, s6, s19
	s_add_i32 s17, s17, s18
	s_mul_i32 s18, s6, s19
	s_mul_i32 s62, s16, s17
	s_mul_hi_u32 s60, s16, s17
	s_add_u32 s20, s20, s62
	s_addc_u32 s60, 0, s60
	s_mul_hi_u32 s19, s6, s17
	s_add_u32 s18, s20, s18
	s_mul_i32 s17, s6, s17
	s_addc_u32 s18, s60, s21
	s_addc_u32 s19, s19, 0
	s_add_u32 s17, s18, s17
	s_addc_u32 s18, 0, s19
	s_add_u32 s16, s16, s17
	s_cselect_b32 s17, -1, 0
	s_mul_hi_u32 s19, s95, s16
	s_cmp_lg_u32 s17, 0
	s_mul_hi_u32 s17, s63, s16
	s_addc_u32 s6, s6, s18
	s_mul_i32 s16, s63, s16
	s_mul_i32 s20, s95, s6
	s_mul_hi_u32 s18, s95, s6
	s_add_u32 s19, s19, s20
	s_addc_u32 s18, 0, s18
	s_mul_hi_u32 s21, s63, s6
	s_add_u32 s16, s19, s16
	s_mul_i32 s6, s63, s6
	s_addc_u32 s16, s18, s17
	s_addc_u32 s17, s21, 0
	s_add_u32 s6, s16, s6
	s_addc_u32 s16, 0, s17
	s_mul_hi_u32 s17, s33, s6
	s_mul_i32 s16, s33, s16
	s_mul_i32 s6, s33, s6
	s_add_i32 s17, s17, s16
	s_sub_u32 s6, s95, s6
	s_cselect_b32 s16, -1, 0
	s_cmp_lg_u32 s16, 0
	s_subb_u32 s16, s63, s17
	s_sub_u32 s17, s6, s33
	s_cselect_b32 s18, -1, 0
	s_cmp_lg_u32 s18, 0
	s_subb_u32 s18, s16, 0
	;; [unrolled: 4-line block ×3, first 2 shown]
	s_cmp_ge_u32 s17, s33
	s_cselect_b32 s21, -1, 0
	s_cmp_eq_u32 s18, 0
	s_cselect_b32 s21, s21, -1
	s_cmp_lg_u32 s21, 0
	s_cselect_b32 s18, s20, s18
	s_cselect_b32 s19, s19, s17
	s_cmp_ge_u32 s6, s33
	s_cselect_b32 s17, -1, 0
	s_cmp_eq_u32 s16, 0
	s_cselect_b32 s17, s17, -1
	s_cmp_lg_u32 s17, 0
	s_cselect_b32 s17, s18, s16
	s_cselect_b32 s16, s19, s6
	s_cbranch_execnz .LBB225_410
.LBB225_409:                            ;   in Loop: Header=BB225_31 Depth=1
	v_cvt_f32_u32_e32 v4, s33
	s_sub_i32 s16, 0, s33
	v_rcp_iflag_f32_e32 v4, v4
	v_mul_f32_e32 v4, 0x4f7ffffe, v4
	v_cvt_u32_f32_e32 v4, v4
	v_readfirstlane_b32 s6, v4
	s_mul_i32 s16, s16, s6
	s_mul_hi_u32 s16, s6, s16
	s_add_i32 s6, s6, s16
	s_mul_hi_u32 s6, s95, s6
	s_mul_i32 s6, s6, s33
	s_sub_i32 s6, s95, s6
	s_sub_i32 s16, s6, s33
	s_cmp_ge_u32 s6, s33
	s_cselect_b32 s6, s16, s6
	s_sub_i32 s16, s6, s33
	s_cmp_ge_u32 s6, s33
	s_cselect_b32 s60, s16, s6
	s_mov_b64 s[16:17], s[60:61]
.LBB225_410:                            ;   in Loop: Header=BB225_31 Depth=1
	s_sub_u32 s16, s95, s16
	s_subb_u32 s17, s63, s17
	s_mov_b32 s18, exec_lo
                                        ; implicit-def: $vgpr52
	v_cmpx_gt_u64_e64 s[16:17], v[0:1]
	s_cbranch_execz .LBB225_419
; %bb.411:                              ;   in Loop: Header=BB225_31 Depth=1
	v_mov_b32_e32 v4, v27
	v_mov_b32_e32 v9, v1
	v_mov_b32_e32 v5, v28
	v_mov_b32_e32 v8, v0
	s_mov_b32 s19, 0
                                        ; implicit-def: $sgpr20
	s_branch .LBB225_414
.LBB225_412:                            ;   in Loop: Header=BB225_414 Depth=2
	s_or_b32 exec_lo, exec_lo, s6
	s_waitcnt lgkmcnt(0)
	s_barrier
	buffer_gl0_inv
	ds_read_b32 v10, v3 offset:3072
	s_mov_b32 s6, -1
	s_mov_b32 s21, -1
	s_waitcnt lgkmcnt(0)
	s_barrier
	buffer_gl0_inv
	v_and_b32_e32 v11, 0x7fff, v10
	v_cmp_eq_u32_e32 vcc_lo, 0, v11
	s_cbranch_vccnz .LBB225_417
.LBB225_413:                            ;   in Loop: Header=BB225_414 Depth=2
	s_and_b32 s6, exec_lo, s6
	s_or_b32 s19, s6, s19
	s_andn2_b32 s6, s20, exec_lo
	s_and_b32 s20, s21, exec_lo
	s_or_b32 s20, s6, s20
	s_andn2_b32 exec_lo, exec_lo, s19
	s_cbranch_execz .LBB225_418
.LBB225_414:                            ;   Parent Loop BB225_31 Depth=1
                                        ; =>  This Inner Loop Header: Depth=2
	s_mov_b32 s6, exec_lo
	v_cmpx_gt_u64_e64 s[36:37], v[8:9]
	s_cbranch_execz .LBB225_412
; %bb.415:                              ;   in Loop: Header=BB225_414 Depth=2
	global_load_ushort v10, v[4:5], off
	s_waitcnt vmcnt(0)
	v_cmp_lt_i16_e32 vcc_lo, -1, v10
	v_lshlrev_b32_e32 v29, 16, v10
	v_cndmask_b32_e32 v11, 0xffff, v49, vcc_lo
	v_cmp_o_f32_e32 vcc_lo, v29, v29
	v_xor_b32_sdwa v11, v11, v10 dst_sel:DWORD dst_unused:UNUSED_PAD src0_sel:DWORD src1_sel:WORD_0
	v_cndmask_b32_e32 v11, 0xffff, v11, vcc_lo
	v_and_b32_e32 v11, v11, v51
	v_cmp_eq_u32_e32 vcc_lo, v11, v47
	s_and_b32 exec_lo, exec_lo, vcc_lo
	s_cbranch_execz .LBB225_412
; %bb.416:                              ;   in Loop: Header=BB225_414 Depth=2
	v_perm_b32 v10, v10, s58, 0x5040100
	ds_write_b32 v3, v10 offset:3072
	s_branch .LBB225_412
.LBB225_417:                            ;   in Loop: Header=BB225_414 Depth=2
	v_add_co_u32 v8, vcc_lo, v8, s33
	v_add_co_ci_u32_e64 v9, null, 0, v9, vcc_lo
	v_add_co_u32 v4, s6, v4, s42
	v_add_co_ci_u32_e64 v5, null, s43, v5, s6
	v_cmp_le_u64_e32 vcc_lo, s[16:17], v[8:9]
	s_mov_b32 s21, 0
	s_orn2_b32 s6, vcc_lo, exec_lo
	s_branch .LBB225_413
.LBB225_418:                            ;   in Loop: Header=BB225_31 Depth=1
	s_or_b32 exec_lo, exec_lo, s19
	v_lshrrev_b32_e32 v52, 16, v10
	s_andn2_b32 s2, s2, exec_lo
	s_and_b32 s6, s20, exec_lo
	s_or_b32 s2, s2, s6
.LBB225_419:                            ;   in Loop: Header=BB225_31 Depth=1
	s_or_b32 exec_lo, exec_lo, s18
	s_mov_b32 s75, 0
	s_mov_b32 s76, -1
.LBB225_420:                            ;   in Loop: Header=BB225_31 Depth=1
	s_orn2_b32 s2, s2, exec_lo
.LBB225_421:                            ;   in Loop: Header=BB225_31 Depth=1
	s_or_b32 exec_lo, exec_lo, s78
	s_mov_b32 s6, 0
	s_and_saveexec_b32 s20, s2
	s_cbranch_execz .LBB225_483
; %bb.422:                              ;   in Loop: Header=BB225_31 Depth=1
	v_mov_b32_e32 v4, 1
	v_mov_b32_e32 v5, 0
	;; [unrolled: 1-line block ×3, first 2 shown]
	s_xor_b32 s16, s77, -1
	s_and_saveexec_b32 s2, s16
	s_cbranch_execz .LBB225_431
; %bb.423:                              ;   in Loop: Header=BB225_31 Depth=1
	s_mov_b32 s6, exec_lo
	v_cmpx_ge_u64_e64 s[14:15], v[6:7]
	s_xor_b32 s6, exec_lo, s6
	s_cbranch_execz .LBB225_428
; %bb.424:                              ;   in Loop: Header=BB225_31 Depth=1
	ds_read_b64 v[4:5], v3 offset:5120
	s_lshl_b32 s16, 1, s54
	v_or_b32_e32 v51, s11, v51
	v_and_or_b32 v47, v47, s26, s16
	s_waitcnt lgkmcnt(0)
	v_cmp_ne_u64_e32 vcc_lo, 0, v[4:5]
	s_cbranch_vccnz .LBB225_428
; %bb.425:                              ;   in Loop: Header=BB225_31 Depth=1
	s_and_saveexec_b32 s16, s3
; %bb.426:                              ;   in Loop: Header=BB225_31 Depth=1
	v_mov_b32_e32 v4, s14
	v_mov_b32_e32 v5, s15
	ds_write_b64 v3, v[4:5] offset:5128
; %bb.427:                              ;   in Loop: Header=BB225_31 Depth=1
	s_or_b32 exec_lo, exec_lo, s16
	s_waitcnt lgkmcnt(0)
	s_barrier
	buffer_gl0_inv
.LBB225_428:                            ;   in Loop: Header=BB225_31 Depth=1
	s_or_saveexec_b32 s6, s6
	v_mov_b32_e32 v2, 5
	s_mov_b32 s16, 0
	s_xor_b32 exec_lo, exec_lo, s6
; %bb.429:                              ;   in Loop: Header=BB225_31 Depth=1
	v_sub_co_u32 v6, vcc_lo, v6, s14
	v_subrev_co_ci_u32_e64 v7, null, s15, v7, vcc_lo
	v_mov_b32_e32 v2, 0
	s_mov_b32 s16, exec_lo
; %bb.430:                              ;   in Loop: Header=BB225_31 Depth=1
	s_or_b32 exec_lo, exec_lo, s6
	v_mov_b32_e32 v4, v6
	v_mov_b32_e32 v5, v7
	s_and_b32 s6, s16, exec_lo
.LBB225_431:                            ;   in Loop: Header=BB225_31 Depth=1
	s_or_b32 exec_lo, exec_lo, s2
	s_mov_b32 s2, -1
                                        ; implicit-def: $sgpr79
                                        ; implicit-def: $sgpr62
	s_and_saveexec_b32 s21, s6
	s_cbranch_execz .LBB225_482
; %bb.432:                              ;   in Loop: Header=BB225_31 Depth=1
	v_cmp_eq_u64_e32 vcc_lo, 1, v[4:5]
	s_cmp_eq_u64 s[12:13], 1
	s_mov_b32 s6, -1
	s_cselect_b32 s2, -1, 0
                                        ; implicit-def: $sgpr79
                                        ; implicit-def: $sgpr62
	s_and_b32 s77, s2, vcc_lo
	s_and_saveexec_b32 s78, s77
	s_cbranch_execz .LBB225_470
; %bb.433:                              ;   in Loop: Header=BB225_31 Depth=1
	ds_read_b64 v[6:7], v3 offset:5120
	s_waitcnt lgkmcnt(0)
	s_barrier
	buffer_gl0_inv
	v_readfirstlane_b32 s14, v6
	v_readfirstlane_b32 s15, v7
	s_and_saveexec_b32 s2, s10
; %bb.434:                              ;   in Loop: Header=BB225_31 Depth=1
	ds_write_b16 v44, v3
; %bb.435:                              ;   in Loop: Header=BB225_31 Depth=1
	s_or_b32 exec_lo, exec_lo, s2
	v_and_b32_e32 v47, s26, v47
	v_or_b32_e32 v51, s11, v51
	s_mov_b32 s62, -1
	s_mov_b32 s79, 0
	s_cmp_eq_u64 s[14:15], 0
	s_mov_b32 s2, 0
	s_mov_b32 s18, -1
	s_waitcnt lgkmcnt(0)
	s_barrier
	buffer_gl0_inv
                                        ; implicit-def: $vgpr52
	s_cbranch_scc1 .LBB225_453
; %bb.436:                              ;   in Loop: Header=BB225_31 Depth=1
	s_add_u32 s2, s14, s93
	s_addc_u32 s17, s15, s94
	s_mov_b32 s16, s61
	s_cmp_lg_u64 s[16:17], 0
	s_cbranch_scc0 .LBB225_440
; %bb.437:                              ;   in Loop: Header=BB225_31 Depth=1
	v_cvt_f32_u32_e32 v6, s33
	s_sub_u32 s18, 0, s33
	s_subb_u32 s19, 0, 0
	v_fmac_f32_e64 v6, 0x4f800000, 0
	v_rcp_f32_e32 v6, v6
	v_mul_f32_e32 v6, 0x5f7ffffc, v6
	v_mul_f32_e32 v7, 0x2f800000, v6
	v_trunc_f32_e32 v7, v7
	v_fmac_f32_e32 v6, 0xcf800000, v7
	v_cvt_u32_f32_e32 v7, v7
	v_cvt_u32_f32_e32 v6, v6
	v_readfirstlane_b32 s6, v7
	v_readfirstlane_b32 s16, v6
	s_mul_i32 s60, s18, s6
	s_mul_hi_u32 s67, s18, s16
	s_mul_i32 s66, s19, s16
	s_add_i32 s60, s67, s60
	s_mul_i32 s80, s18, s16
	s_add_i32 s60, s60, s66
	s_mul_hi_u32 s67, s16, s80
	s_mul_i32 s82, s16, s60
	s_mul_hi_u32 s81, s6, s80
	s_mul_i32 s66, s6, s80
	s_mul_hi_u32 s80, s16, s60
	s_add_u32 s67, s67, s82
	s_addc_u32 s80, 0, s80
	s_mul_hi_u32 s83, s6, s60
	s_add_u32 s66, s67, s66
	s_mul_i32 s60, s6, s60
	s_addc_u32 s66, s80, s81
	s_addc_u32 s67, s83, 0
	s_add_u32 s60, s66, s60
	s_addc_u32 s66, 0, s67
	s_add_u32 s16, s16, s60
	s_cselect_b32 s60, -1, 0
	s_mul_hi_u32 s67, s18, s16
	s_cmp_lg_u32 s60, 0
	s_mul_i32 s60, s18, s16
	s_addc_u32 s6, s6, s66
	s_mul_i32 s19, s19, s16
	s_mul_i32 s18, s18, s6
	s_mul_hi_u32 s66, s16, s60
	s_add_i32 s18, s67, s18
	s_mul_hi_u32 s67, s6, s60
	s_add_i32 s18, s18, s19
	s_mul_i32 s19, s6, s60
	s_mul_i32 s81, s16, s18
	s_mul_hi_u32 s80, s16, s18
	s_add_u32 s66, s66, s81
	s_addc_u32 s80, 0, s80
	s_mul_hi_u32 s60, s6, s18
	s_add_u32 s19, s66, s19
	s_mul_i32 s18, s6, s18
	s_addc_u32 s19, s80, s67
	s_addc_u32 s60, s60, 0
	s_add_u32 s18, s19, s18
	s_addc_u32 s19, 0, s60
	s_add_u32 s16, s16, s18
	s_cselect_b32 s18, -1, 0
	s_mul_hi_u32 s60, s2, s16
	s_cmp_lg_u32 s18, 0
	s_mul_hi_u32 s18, s17, s16
	s_addc_u32 s6, s6, s19
	s_mul_i32 s16, s17, s16
	s_mul_i32 s66, s2, s6
	s_mul_hi_u32 s19, s2, s6
	s_add_u32 s60, s60, s66
	s_addc_u32 s19, 0, s19
	s_mul_hi_u32 s67, s17, s6
	s_add_u32 s16, s60, s16
	s_mul_i32 s6, s17, s6
	s_addc_u32 s16, s19, s18
	s_addc_u32 s18, s67, 0
	s_add_u32 s6, s16, s6
	s_addc_u32 s16, 0, s18
	s_mul_hi_u32 s18, s33, s6
	s_mul_i32 s16, s33, s16
	s_mul_i32 s6, s33, s6
	s_add_i32 s18, s18, s16
	s_sub_u32 s6, s2, s6
	s_cselect_b32 s16, -1, 0
	s_cmp_lg_u32 s16, 0
	s_subb_u32 s16, s17, s18
	s_sub_u32 s18, s6, s33
	s_cselect_b32 s19, -1, 0
	s_cmp_lg_u32 s19, 0
	s_subb_u32 s19, s16, 0
	;; [unrolled: 4-line block ×3, first 2 shown]
	s_cmp_ge_u32 s18, s33
	s_cselect_b32 s67, -1, 0
	s_cmp_eq_u32 s19, 0
	s_cselect_b32 s67, s67, -1
	s_cmp_lg_u32 s67, 0
	s_cselect_b32 s19, s66, s19
	s_cselect_b32 s18, s60, s18
	s_cmp_ge_u32 s6, s33
	s_cselect_b32 s60, -1, 0
	s_cmp_eq_u32 s16, 0
	s_cselect_b32 s60, s60, -1
	s_cmp_lg_u32 s60, 0
	s_cselect_b32 s19, s19, s16
	s_cselect_b32 s18, s18, s6
	s_mov_b32 s6, 0
	s_branch .LBB225_441
.LBB225_438:                            ;   in Loop: Header=BB225_31 Depth=1
                                        ; implicit-def: $sgpr20_sgpr21
	s_branch .LBB225_393
.LBB225_439:                            ;   in Loop: Header=BB225_31 Depth=1
                                        ; implicit-def: $sgpr16_sgpr17
	s_branch .LBB225_409
.LBB225_440:                            ;   in Loop: Header=BB225_31 Depth=1
                                        ; implicit-def: $sgpr18_sgpr19
.LBB225_441:                            ;   in Loop: Header=BB225_31 Depth=1
	s_andn2_b32 vcc_lo, exec_lo, s6
	s_cbranch_vccnz .LBB225_443
; %bb.442:                              ;   in Loop: Header=BB225_31 Depth=1
	v_cvt_f32_u32_e32 v6, s33
	s_sub_i32 s16, 0, s33
	v_rcp_iflag_f32_e32 v6, v6
	v_mul_f32_e32 v6, 0x4f7ffffe, v6
	v_cvt_u32_f32_e32 v6, v6
	v_readfirstlane_b32 s6, v6
	s_mul_i32 s16, s16, s6
	s_mul_hi_u32 s16, s6, s16
	s_add_i32 s6, s6, s16
	s_mul_hi_u32 s6, s2, s6
	s_mul_i32 s6, s6, s33
	s_sub_i32 s6, s2, s6
	s_sub_i32 s16, s6, s33
	s_cmp_ge_u32 s6, s33
	s_cselect_b32 s6, s16, s6
	s_sub_i32 s16, s6, s33
	s_cmp_ge_u32 s6, s33
	s_cselect_b32 s60, s16, s6
	s_mov_b64 s[18:19], s[60:61]
.LBB225_443:                            ;   in Loop: Header=BB225_31 Depth=1
	s_sub_u32 s16, s2, s18
	s_subb_u32 s17, s17, s19
	s_mov_b32 s18, 0
	s_mov_b32 s2, 0
	s_mov_b32 s19, exec_lo
                                        ; implicit-def: $vgpr52
	v_cmpx_gt_u64_e64 s[16:17], v[0:1]
	s_cbranch_execz .LBB225_452
; %bb.444:                              ;   in Loop: Header=BB225_31 Depth=1
	v_mov_b32_e32 v7, v1
	v_mov_b32_e32 v8, v43
	;; [unrolled: 1-line block ×3, first 2 shown]
                                        ; implicit-def: $sgpr60
	s_branch .LBB225_447
.LBB225_445:                            ;   in Loop: Header=BB225_447 Depth=2
	s_or_b32 exec_lo, exec_lo, s66
	s_waitcnt lgkmcnt(0)
	s_barrier
	buffer_gl0_inv
	ds_read_b32 v9, v3 offset:3072
	s_mov_b32 s6, -1
	s_mov_b32 s66, -1
	s_waitcnt lgkmcnt(0)
	s_barrier
	buffer_gl0_inv
	v_and_b32_e32 v10, 0x7fff, v9
	v_cmp_ne_u32_e32 vcc_lo, 0, v10
	s_cbranch_vccz .LBB225_450
.LBB225_446:                            ;   in Loop: Header=BB225_447 Depth=2
	s_and_b32 s6, exec_lo, s6
	s_or_b32 s2, s6, s2
	s_andn2_b32 s6, s60, exec_lo
	s_and_b32 s60, s66, exec_lo
	s_or_b32 s60, s6, s60
	s_andn2_b32 exec_lo, exec_lo, s2
	s_cbranch_execz .LBB225_451
.LBB225_447:                            ;   Parent Loop BB225_31 Depth=1
                                        ; =>  This Inner Loop Header: Depth=2
	s_mov_b32 s66, exec_lo
	v_cmpx_gt_u64_e64 s[14:15], v[6:7]
	s_cbranch_execz .LBB225_445
; %bb.448:                              ;   in Loop: Header=BB225_447 Depth=2
	ds_read_u16 v9, v8
	s_waitcnt lgkmcnt(0)
	v_lshlrev_b32_e32 v10, 16, v9
	v_cmp_lt_i16_e64 s6, -1, v9
	v_cmp_o_f32_e32 vcc_lo, v10, v10
	v_cndmask_b32_e64 v10, 0xffff, v49, s6
	v_xor_b32_sdwa v10, v10, v9 dst_sel:DWORD dst_unused:UNUSED_PAD src0_sel:DWORD src1_sel:WORD_0
	v_cndmask_b32_e32 v10, 0xffff, v10, vcc_lo
	v_and_b32_e32 v10, v10, v51
	v_cmp_eq_u32_e32 vcc_lo, v10, v47
	s_and_b32 exec_lo, exec_lo, vcc_lo
	s_cbranch_execz .LBB225_445
; %bb.449:                              ;   in Loop: Header=BB225_447 Depth=2
	v_perm_b32 v9, v9, s58, 0x5040100
	ds_write_b32 v3, v9 offset:3072
	s_branch .LBB225_445
.LBB225_450:                            ;   in Loop: Header=BB225_447 Depth=2
	v_add_co_u32 v6, vcc_lo, v6, s33
	v_add_co_ci_u32_e64 v7, null, 0, v7, vcc_lo
	v_add_nc_u32_e32 v8, vcc_hi, v8
	s_mov_b32 s66, 0
	v_cmp_le_u64_e32 vcc_lo, s[16:17], v[6:7]
	s_orn2_b32 s6, vcc_lo, exec_lo
	s_branch .LBB225_446
.LBB225_451:                            ;   in Loop: Header=BB225_31 Depth=1
	s_or_b32 exec_lo, exec_lo, s2
	v_lshrrev_b32_e32 v52, 16, v9
	s_and_b32 s2, s60, exec_lo
.LBB225_452:                            ;   in Loop: Header=BB225_31 Depth=1
	s_or_b32 exec_lo, exec_lo, s19
.LBB225_453:                            ;   in Loop: Header=BB225_31 Depth=1
	s_and_b32 vcc_lo, exec_lo, s18
	s_cbranch_vccz .LBB225_469
; %bb.454:                              ;   in Loop: Header=BB225_31 Depth=1
	s_mov_b32 s62, s61
	s_cmp_lg_u64 s[62:63], 0
	s_cbranch_scc0 .LBB225_456
; %bb.455:                              ;   in Loop: Header=BB225_31 Depth=1
	v_cvt_f32_u32_e32 v6, s33
	s_sub_u32 s15, 0, s33
	s_subb_u32 s16, 0, 0
	v_fmac_f32_e64 v6, 0x4f800000, 0
	v_rcp_f32_e32 v6, v6
	v_mul_f32_e32 v6, 0x5f7ffffc, v6
	v_mul_f32_e32 v7, 0x2f800000, v6
	v_trunc_f32_e32 v7, v7
	v_fmac_f32_e32 v6, 0xcf800000, v7
	v_cvt_u32_f32_e32 v7, v7
	v_cvt_u32_f32_e32 v6, v6
	v_readfirstlane_b32 s6, v7
	v_readfirstlane_b32 s14, v6
	s_mul_i32 s17, s15, s6
	s_mul_hi_u32 s19, s15, s14
	s_mul_i32 s18, s16, s14
	s_add_i32 s17, s19, s17
	s_mul_i32 s60, s15, s14
	s_add_i32 s17, s17, s18
	s_mul_hi_u32 s19, s14, s60
	s_mul_i32 s66, s14, s17
	s_mul_hi_u32 s62, s6, s60
	s_mul_i32 s18, s6, s60
	s_mul_hi_u32 s60, s14, s17
	s_add_u32 s19, s19, s66
	s_addc_u32 s60, 0, s60
	s_mul_hi_u32 s67, s6, s17
	s_add_u32 s18, s19, s18
	s_mul_i32 s17, s6, s17
	s_addc_u32 s18, s60, s62
	s_addc_u32 s19, s67, 0
	s_add_u32 s17, s18, s17
	s_addc_u32 s18, 0, s19
	s_add_u32 s14, s14, s17
	s_cselect_b32 s17, -1, 0
	s_mul_hi_u32 s19, s15, s14
	s_cmp_lg_u32 s17, 0
	s_mul_i32 s17, s15, s14
	s_addc_u32 s6, s6, s18
	s_mul_i32 s16, s16, s14
	s_mul_i32 s15, s15, s6
	s_mul_hi_u32 s18, s14, s17
	s_add_i32 s15, s19, s15
	s_mul_hi_u32 s19, s6, s17
	s_add_i32 s15, s15, s16
	s_mul_i32 s16, s6, s17
	s_mul_i32 s62, s14, s15
	s_mul_hi_u32 s60, s14, s15
	s_add_u32 s18, s18, s62
	s_addc_u32 s60, 0, s60
	s_mul_hi_u32 s17, s6, s15
	s_add_u32 s16, s18, s16
	s_mul_i32 s15, s6, s15
	s_addc_u32 s16, s60, s19
	s_addc_u32 s17, s17, 0
	s_add_u32 s15, s16, s15
	s_addc_u32 s16, 0, s17
	s_add_u32 s14, s14, s15
	s_cselect_b32 s15, -1, 0
	s_mul_hi_u32 s17, s95, s14
	s_cmp_lg_u32 s15, 0
	s_mul_hi_u32 s15, s63, s14
	s_addc_u32 s6, s6, s16
	s_mul_i32 s14, s63, s14
	s_mul_i32 s18, s95, s6
	s_mul_hi_u32 s16, s95, s6
	s_add_u32 s17, s17, s18
	s_addc_u32 s16, 0, s16
	s_mul_hi_u32 s19, s63, s6
	s_add_u32 s14, s17, s14
	s_mul_i32 s6, s63, s6
	s_addc_u32 s14, s16, s15
	s_addc_u32 s15, s19, 0
	s_add_u32 s6, s14, s6
	s_addc_u32 s14, 0, s15
	s_mul_hi_u32 s15, s33, s6
	s_mul_i32 s14, s33, s14
	s_mul_i32 s6, s33, s6
	s_add_i32 s15, s15, s14
	s_sub_u32 s6, s95, s6
	s_cselect_b32 s14, -1, 0
	s_cmp_lg_u32 s14, 0
	s_subb_u32 s14, s63, s15
	s_sub_u32 s15, s6, s33
	s_cselect_b32 s16, -1, 0
	s_cmp_lg_u32 s16, 0
	s_subb_u32 s16, s14, 0
	;; [unrolled: 4-line block ×3, first 2 shown]
	s_cmp_ge_u32 s15, s33
	s_cselect_b32 s19, -1, 0
	s_cmp_eq_u32 s16, 0
	s_cselect_b32 s19, s19, -1
	s_cmp_lg_u32 s19, 0
	s_cselect_b32 s16, s18, s16
	s_cselect_b32 s17, s17, s15
	s_cmp_ge_u32 s6, s33
	s_cselect_b32 s15, -1, 0
	s_cmp_eq_u32 s14, 0
	s_cselect_b32 s15, s15, -1
	s_cmp_lg_u32 s15, 0
	s_cselect_b32 s15, s16, s14
	s_cselect_b32 s14, s17, s6
	s_mov_b32 s6, 0
	s_branch .LBB225_457
.LBB225_456:                            ;   in Loop: Header=BB225_31 Depth=1
	s_mov_b32 s6, -1
                                        ; implicit-def: $sgpr14_sgpr15
.LBB225_457:                            ;   in Loop: Header=BB225_31 Depth=1
	s_andn2_b32 vcc_lo, exec_lo, s6
	s_cbranch_vccnz .LBB225_459
; %bb.458:                              ;   in Loop: Header=BB225_31 Depth=1
	v_cvt_f32_u32_e32 v6, s33
	s_sub_i32 s14, 0, s33
	v_rcp_iflag_f32_e32 v6, v6
	v_mul_f32_e32 v6, 0x4f7ffffe, v6
	v_cvt_u32_f32_e32 v6, v6
	v_readfirstlane_b32 s6, v6
	s_mul_i32 s14, s14, s6
	s_mul_hi_u32 s14, s6, s14
	s_add_i32 s6, s6, s14
	s_mul_hi_u32 s6, s95, s6
	s_mul_i32 s6, s6, s33
	s_sub_i32 s6, s95, s6
	s_sub_i32 s14, s6, s33
	s_cmp_ge_u32 s6, s33
	s_cselect_b32 s6, s14, s6
	s_sub_i32 s14, s6, s33
	s_cmp_ge_u32 s6, s33
	s_cselect_b32 s60, s14, s6
	s_mov_b64 s[14:15], s[60:61]
.LBB225_459:                            ;   in Loop: Header=BB225_31 Depth=1
	s_sub_u32 s14, s95, s14
	s_subb_u32 s15, s63, s15
	s_mov_b32 s16, exec_lo
                                        ; implicit-def: $vgpr52
	v_cmpx_gt_u64_e64 s[14:15], v[0:1]
	s_cbranch_execz .LBB225_468
; %bb.460:                              ;   in Loop: Header=BB225_31 Depth=1
	v_mov_b32_e32 v6, v27
	v_mov_b32_e32 v9, v1
	;; [unrolled: 1-line block ×4, first 2 shown]
	s_mov_b32 s17, 0
                                        ; implicit-def: $sgpr18
	s_branch .LBB225_463
.LBB225_461:                            ;   in Loop: Header=BB225_463 Depth=2
	s_or_b32 exec_lo, exec_lo, s19
	s_waitcnt lgkmcnt(0)
	s_barrier
	buffer_gl0_inv
	ds_read_b32 v10, v3 offset:3072
	s_mov_b32 s6, -1
	s_mov_b32 s19, -1
	s_waitcnt lgkmcnt(0)
	s_barrier
	buffer_gl0_inv
	v_and_b32_e32 v11, 0x7fff, v10
	v_cmp_eq_u32_e32 vcc_lo, 0, v11
	s_cbranch_vccnz .LBB225_466
.LBB225_462:                            ;   in Loop: Header=BB225_463 Depth=2
	s_and_b32 s6, exec_lo, s6
	s_or_b32 s17, s6, s17
	s_andn2_b32 s6, s18, exec_lo
	s_and_b32 s18, s19, exec_lo
	s_or_b32 s18, s6, s18
	s_andn2_b32 exec_lo, exec_lo, s17
	s_cbranch_execz .LBB225_467
.LBB225_463:                            ;   Parent Loop BB225_31 Depth=1
                                        ; =>  This Inner Loop Header: Depth=2
	s_mov_b32 s19, exec_lo
	v_cmpx_gt_u64_e64 s[36:37], v[8:9]
	s_cbranch_execz .LBB225_461
; %bb.464:                              ;   in Loop: Header=BB225_463 Depth=2
	global_load_ushort v10, v[6:7], off
	s_waitcnt vmcnt(0)
	v_lshlrev_b32_e32 v11, 16, v10
	v_cmp_lt_i16_e64 s6, -1, v10
	v_cmp_o_f32_e32 vcc_lo, v11, v11
	v_cndmask_b32_e64 v11, 0xffff, v49, s6
	v_xor_b32_sdwa v11, v11, v10 dst_sel:DWORD dst_unused:UNUSED_PAD src0_sel:DWORD src1_sel:WORD_0
	v_cndmask_b32_e32 v11, 0xffff, v11, vcc_lo
	v_and_b32_e32 v11, v11, v51
	v_cmp_eq_u32_e32 vcc_lo, v11, v47
	s_and_b32 exec_lo, exec_lo, vcc_lo
	s_cbranch_execz .LBB225_461
; %bb.465:                              ;   in Loop: Header=BB225_463 Depth=2
	v_perm_b32 v10, v10, s58, 0x5040100
	ds_write_b32 v3, v10 offset:3072
	s_branch .LBB225_461
.LBB225_466:                            ;   in Loop: Header=BB225_463 Depth=2
	v_add_co_u32 v8, vcc_lo, v8, s33
	v_add_co_ci_u32_e64 v9, null, 0, v9, vcc_lo
	v_add_co_u32 v6, s6, v6, s42
	v_add_co_ci_u32_e64 v7, null, s43, v7, s6
	v_cmp_le_u64_e32 vcc_lo, s[14:15], v[8:9]
	s_mov_b32 s19, 0
	s_orn2_b32 s6, vcc_lo, exec_lo
	s_branch .LBB225_462
.LBB225_467:                            ;   in Loop: Header=BB225_31 Depth=1
	s_or_b32 exec_lo, exec_lo, s17
	v_lshrrev_b32_e32 v52, 16, v10
	s_andn2_b32 s2, s2, exec_lo
	s_and_b32 s6, s18, exec_lo
	s_or_b32 s2, s2, s6
.LBB225_468:                            ;   in Loop: Header=BB225_31 Depth=1
	s_or_b32 exec_lo, exec_lo, s16
	s_mov_b32 s62, 0
	s_mov_b32 s79, -1
.LBB225_469:                            ;   in Loop: Header=BB225_31 Depth=1
	s_orn2_b32 s6, s2, exec_lo
.LBB225_470:                            ;   in Loop: Header=BB225_31 Depth=1
	s_or_b32 exec_lo, exec_lo, s78
	s_mov_b32 s14, 0
	s_and_saveexec_b32 s2, s6
	s_cbranch_execz .LBB225_481
; %bb.471:                              ;   in Loop: Header=BB225_31 Depth=1
	v_mov_b32_e32 v6, 1
	v_mov_b32_e32 v7, 0
	;; [unrolled: 1-line block ×3, first 2 shown]
	s_xor_b32 s14, s77, -1
	s_and_saveexec_b32 s6, s14
	s_cbranch_execz .LBB225_480
; %bb.472:                              ;   in Loop: Header=BB225_31 Depth=1
	s_mov_b32 s14, exec_lo
	v_cmpx_ge_u64_e64 s[12:13], v[4:5]
	s_xor_b32 s14, exec_lo, s14
	s_cbranch_execz .LBB225_477
; %bb.473:                              ;   in Loop: Header=BB225_31 Depth=1
	ds_read_b64 v[6:7], v3 offset:5120
	v_and_b32_e32 v47, s26, v47
	v_or_b32_e32 v51, s11, v51
	s_waitcnt lgkmcnt(0)
	v_cmp_ne_u64_e32 vcc_lo, 0, v[6:7]
	s_cbranch_vccnz .LBB225_477
; %bb.474:                              ;   in Loop: Header=BB225_31 Depth=1
	s_and_saveexec_b32 s11, s3
; %bb.475:                              ;   in Loop: Header=BB225_31 Depth=1
	v_mov_b32_e32 v6, s12
	v_mov_b32_e32 v7, s13
	ds_write_b64 v3, v[6:7] offset:5128
; %bb.476:                              ;   in Loop: Header=BB225_31 Depth=1
	s_or_b32 exec_lo, exec_lo, s11
	s_waitcnt lgkmcnt(0)
	s_barrier
	buffer_gl0_inv
.LBB225_477:                            ;   in Loop: Header=BB225_31 Depth=1
	s_andn2_saveexec_b32 s11, s14
; %bb.478:                              ;   in Loop: Header=BB225_31 Depth=1
	v_sub_co_u32 v4, vcc_lo, v4, s12
	v_subrev_co_ci_u32_e64 v5, null, s13, v5, vcc_lo
; %bb.479:                              ;   in Loop: Header=BB225_31 Depth=1
	s_or_b32 exec_lo, exec_lo, s11
	v_mov_b32_e32 v7, v5
	v_mov_b32_e32 v2, 5
	;; [unrolled: 1-line block ×3, first 2 shown]
.LBB225_480:                            ;   in Loop: Header=BB225_31 Depth=1
	s_or_b32 exec_lo, exec_lo, s6
	v_mov_b32_e32 v4, v6
	v_mov_b32_e32 v5, v7
	s_mov_b32 s14, exec_lo
.LBB225_481:                            ;   in Loop: Header=BB225_31 Depth=1
	s_or_b32 exec_lo, exec_lo, s2
	s_orn2_b32 s2, s14, exec_lo
.LBB225_482:                            ;   in Loop: Header=BB225_31 Depth=1
	s_or_b32 exec_lo, exec_lo, s21
	v_mov_b32_e32 v7, v5
	v_mov_b32_e32 v6, v4
	s_andn2_b32 s6, s76, exec_lo
	s_and_b32 s11, s79, exec_lo
	s_andn2_b32 s12, s75, exec_lo
	s_and_b32 s13, s62, exec_lo
	s_or_b32 s76, s6, s11
	s_or_b32 s75, s12, s13
	s_and_b32 s6, s2, exec_lo
.LBB225_483:                            ;   in Loop: Header=BB225_31 Depth=1
	s_or_b32 exec_lo, exec_lo, s20
	s_orn2_b32 s2, s6, exec_lo
.LBB225_484:                            ;   in Loop: Header=BB225_31 Depth=1
	s_or_b32 exec_lo, exec_lo, s23
	v_mov_b32_e32 v4, v6
	v_mov_b32_e32 v5, v7
	s_andn2_b32 s6, s74, exec_lo
	s_and_b32 s11, s76, exec_lo
	s_andn2_b32 s12, s73, exec_lo
	s_and_b32 s13, s75, exec_lo
	s_or_b32 s74, s6, s11
	s_or_b32 s73, s12, s13
	s_and_b32 s6, s2, exec_lo
.LBB225_485:                            ;   in Loop: Header=BB225_31 Depth=1
	s_or_b32 exec_lo, exec_lo, s22
	s_orn2_b32 s2, s6, exec_lo
.LBB225_486:                            ;   in Loop: Header=BB225_31 Depth=1
	s_or_b32 exec_lo, exec_lo, s25
	s_mov_b32 s6, s72
	s_mov_b32 s11, s49
	s_and_saveexec_b32 s12, s2
; %bb.487:                              ;   in Loop: Header=BB225_31 Depth=1
	v_cmp_ne_u32_e32 vcc_lo, 5, v2
	v_cmp_eq_u32_e64 s6, 5, v2
	s_andn2_b32 s2, s49, exec_lo
	s_andn2_b32 s13, s72, exec_lo
	s_and_b32 s11, vcc_lo, exec_lo
	s_and_b32 s6, s6, exec_lo
	s_or_b32 s11, s2, s11
	s_or_b32 s6, s13, s6
; %bb.488:                              ;   in Loop: Header=BB225_31 Depth=1
	s_or_b32 exec_lo, exec_lo, s12
	s_andn2_b32 s2, s9, exec_lo
	s_and_b32 s9, s74, exec_lo
	s_andn2_b32 s12, s27, exec_lo
	s_and_b32 s13, s73, exec_lo
	s_or_b32 s9, s2, s9
	s_or_b32 s27, s12, s13
	s_andn2_b32 s2, s49, exec_lo
	s_and_b32 s11, s11, exec_lo
	s_andn2_b32 s12, s72, exec_lo
	s_and_b32 s6, s6, exec_lo
	s_or_b32 s49, s2, s11
	s_or_b32 s72, s12, s6
.LBB225_489:                            ;   in Loop: Header=BB225_31 Depth=1
	s_or_b32 exec_lo, exec_lo, s24
	s_mov_b32 s73, 0
	s_mov_b32 s74, 0
	s_and_saveexec_b32 s2, s72
.LBB225_490:                            ;   in Loop: Header=BB225_31 Depth=1
	v_mov_b32_e32 v2, 0
	s_or_b32 s49, s49, exec_lo
.LBB225_491:                            ;   in Loop: Header=BB225_31 Depth=1
	s_or_b32 exec_lo, exec_lo, s2
	s_andn2_b32 s2, s40, exec_lo
	s_and_b32 s9, s9, exec_lo
	s_andn2_b32 s1, s1, exec_lo
	s_and_b32 s11, s27, exec_lo
	v_mov_b32_e32 v30, v5
	v_mov_b32_e32 v29, v4
	s_or_b32 s40, s2, s9
	s_or_b32 s1, s1, s11
	s_andn2_b32 s2, s48, exec_lo
	s_and_b32 s9, s74, exec_lo
	s_andn2_b32 s11, s41, exec_lo
	s_and_b32 s12, s73, exec_lo
	s_mov_b32 s6, -1
	s_andn2_b32 s7, s7, exec_lo
	s_or_b32 s48, s2, s9
	s_or_b32 s41, s11, s12
	s_and_saveexec_b32 s2, s49
	s_xor_b32 s2, exec_lo, s2
	s_cbranch_execz .LBB225_30
; %bb.492:                              ;   in Loop: Header=BB225_31 Depth=1
	s_mov_b32 s9, -1
	s_mov_b32 s11, exec_lo
	v_cmpx_eq_u32_e32 0, v2
	s_cbranch_execz .LBB225_29
; %bb.493:                              ;   in Loop: Header=BB225_31 Depth=1
	s_xor_b32 s46, s46, 1
	s_add_i32 s12, s54, -2
	s_cmp_eq_u32 s54, 0
	s_mov_b32 s54, s12
	s_cselect_b32 s6, -1, 0
	s_xor_b32 s9, exec_lo, -1
	s_orn2_b32 s6, s6, exec_lo
	s_branch .LBB225_29
.LBB225_494:
	s_or_b32 exec_lo, exec_lo, s55
	s_xor_b32 s2, s8, -1
	s_xor_b32 s7, s56, -1
	;; [unrolled: 1-line block ×5, first 2 shown]
	s_mov_b32 s6, 0
	s_and_saveexec_b32 s10, s9
	s_xor_b32 s12, exec_lo, s10
	s_cbranch_execnz .LBB225_499
; %bb.495:
	s_andn2_saveexec_b32 s0, s12
	s_cbranch_execnz .LBB225_518
.LBB225_496:
	s_or_b32 exec_lo, exec_lo, s0
	s_and_saveexec_b32 s0, s6
.LBB225_497:
	; divergent unreachable
.LBB225_498:
	s_endpgm
.LBB225_499:
	s_and_saveexec_b32 s9, s8
	s_xor_b32 s13, exec_lo, s9
	s_cbranch_execz .LBB225_516
; %bb.500:
	s_and_saveexec_b32 s8, s7
	s_xor_b32 s14, exec_lo, s8
	s_cbranch_execz .LBB225_514
; %bb.501:
	s_and_saveexec_b32 s7, s2
	s_xor_b32 s15, exec_lo, s7
	s_cbranch_execz .LBB225_512
; %bb.502:
	s_and_saveexec_b32 s2, s1
	s_xor_b32 s1, exec_lo, s2
; %bb.503:
	v_and_b32_e32 v2, 0x8000, v47
	v_mov_b32_e32 v3, 0xffff
	v_cmp_eq_u32_e32 vcc_lo, 0, v2
	v_cndmask_b32_e32 v2, 0x8000, v3, vcc_lo
	v_xor_b32_e32 v52, v2, v47
; %bb.504:
	s_or_b32 exec_lo, exec_lo, s1
	s_and_saveexec_b32 s1, s3
; %bb.505:
	v_mov_b32_e32 v2, 0
	v_mov_b32_e32 v3, v2
	ds_write_b64 v2, v[2:3] offset:5136
; %bb.506:
	s_or_b32 exec_lo, exec_lo, s1
	v_mov_b32_e32 v18, 0
	s_waitcnt lgkmcnt(0)
	s_barrier
	buffer_gl0_inv
	s_mov_b32 s1, exec_lo
	v_readlane_b32 s2, v53, 6
	s_and_b32 s2, s1, s2
	s_mov_b32 exec_lo, s2
	s_cbranch_execz .LBB225_508
; %bb.507:
	global_load_ushort v18, v[12:13], off
.LBB225_508:
	s_or_b32 exec_lo, exec_lo, s1
	s_load_dwordx2 s[18:19], s[4:5], 0x440
	v_readlane_b32 s10, v53, 0
	v_readlane_b32 s11, v53, 1
	s_add_u32 s1, s36, 31
	s_addc_u32 s7, s37, 0
	s_and_b32 s6, s1, 0xffffffe0
	s_mul_i32 s1, s10, s35
	s_mul_hi_u32 s2, s10, s34
	v_mov_b32_e32 v17, 0x8000
	s_add_i32 s1, s2, s1
	s_mul_i32 s2, s11, s34
	v_cmp_lt_i16_e32 vcc_lo, -1, v52
	s_add_i32 s3, s1, s2
	s_mul_i32 s2, s10, s34
	v_lshlrev_b32_e32 v3, 16, v52
	s_lshl_b64 s[2:3], s[2:3], 1
	v_cndmask_b32_e32 v2, 0xffff, v17, vcc_lo
	s_mov_b32 s20, -1
	v_cmp_o_f32_e32 vcc_lo, v3, v3
	s_waitcnt lgkmcnt(0)
	s_mul_i32 s1, s18, s53
	s_mul_hi_u32 s8, s18, s52
	s_mul_i32 s16, s19, s52
	s_add_i32 s1, s8, s1
	s_clause 0x1
	s_load_dwordx2 s[8:9], s[4:5], 0x368
	s_load_dwordx2 s[10:11], s[4:5], 0x510
	v_readlane_b32 s4, v53, 2
	v_readlane_b32 s5, v53, 3
	s_add_i32 s19, s1, s16
	s_mul_i32 s18, s18, s52
	v_xor_b32_sdwa v2, v2, v52 dst_sel:DWORD dst_unused:UNUSED_PAD src0_sel:DWORD src1_sel:WORD_0
	s_add_u32 s1, s4, s2
	s_addc_u32 s4, s5, s3
	s_lshl_b64 s[2:3], s[28:29], 1
	s_add_u32 s5, s1, s2
	s_addc_u32 s16, s4, s3
	s_lshl_b64 s[2:3], s[18:19], 3
	v_readlane_b32 s18, v53, 4
	v_readlane_b32 s19, v53, 5
	v_cndmask_b32_e32 v16, 0xffff, v2, vcc_lo
	v_cmp_gt_u64_e32 vcc_lo, s[6:7], v[0:1]
	s_add_u32 s1, s18, s2
	s_addc_u32 s4, s19, s3
	s_lshl_b64 s[2:3], s[44:45], 3
	s_add_u32 s17, s1, s2
	s_addc_u32 s18, s4, s3
	s_mov_b32 s1, 0
	s_mov_b32 s2, 0
	s_and_saveexec_b32 s19, vcc_lo
	s_cbranch_execnz .LBB225_519
; %bb.509:
	s_or_b32 exec_lo, exec_lo, s19
	s_and_saveexec_b32 s3, s20
	s_cbranch_execnz .LBB225_536
.LBB225_510:
	s_or_b32 exec_lo, exec_lo, s3
	s_and_saveexec_b32 s0, s2
	s_xor_b32 s0, exec_lo, s0
	s_cbranch_execnz .LBB225_561
.LBB225_511:
	s_or_b32 exec_lo, exec_lo, s0
	s_and_b32 s6, s1, exec_lo
.LBB225_512:
	s_andn2_saveexec_b32 s0, s15
	s_cbranch_execnz .LBB225_563
.LBB225_513:
	s_or_b32 exec_lo, exec_lo, s0
	s_and_b32 s6, s6, exec_lo
.LBB225_514:
	s_andn2_saveexec_b32 s0, s14
	s_cbranch_execnz .LBB225_562
.LBB225_515:
	s_or_b32 exec_lo, exec_lo, s0
	s_and_b32 s6, s6, exec_lo
.LBB225_516:
	s_andn2_saveexec_b32 s0, s13
	s_cbranch_execnz .LBB225_557
.LBB225_517:
	s_or_b32 exec_lo, exec_lo, s0
	s_and_b32 s6, s6, exec_lo
	s_andn2_saveexec_b32 s0, s12
	s_cbranch_execz .LBB225_496
.LBB225_518:
	s_or_b32 s6, s6, exec_lo
	s_trap 2
	s_or_b32 exec_lo, exec_lo, s0
	s_and_saveexec_b32 s0, s6
	s_cbranch_execnz .LBB225_497
	s_branch .LBB225_498
.LBB225_519:
	v_add_co_u32 v2, s2, v0, s33
	v_add_co_ci_u32_e64 v3, null, 0, 0, s2
	v_readlane_b32 s20, v53, 14
	v_mul_lo_u32 v4, s31, v2
	v_readlane_b32 s21, v53, 15
	v_mul_lo_u32 v5, s30, v3
	v_mad_u64_u32 v[2:3], null, s30, v2, 0
	s_add_u32 s2, s98, s50
	s_addc_u32 s3, s99, s51
	s_add_u32 s2, s2, s20
	s_addc_u32 s4, s3, s21
	v_mov_b32_e32 v11, v1
	v_mov_b32_e32 v10, v0
	v_add3_u32 v3, v3, v5, v4
                                        ; implicit-def: $sgpr20
                                        ; implicit-def: $vgpr8_vgpr9
	v_lshlrev_b64 v[4:5], 1, v[2:3]
	v_mov_b32_e32 v3, 0
	v_add_co_u32 v4, s3, s2, v4
	v_add_co_ci_u32_e64 v5, null, s4, v5, s3
	s_mov_b32 s2, 0
	s_branch .LBB225_521
.LBB225_520:                            ;   in Loop: Header=BB225_521 Depth=1
	s_or_b32 exec_lo, exec_lo, s21
	s_xor_b32 s3, s22, -1
	s_and_b32 s4, exec_lo, s4
	v_mov_b32_e32 v11, v7
	v_mov_b32_e32 v10, v6
	s_or_b32 s2, s4, s2
	s_waitcnt vmcnt(0)
	v_mov_b32_e32 v18, v19
	s_andn2_b32 s4, s20, exec_lo
	s_and_b32 s3, s3, exec_lo
	s_or_b32 s20, s4, s3
	s_andn2_b32 exec_lo, exec_lo, s2
	s_cbranch_execz .LBB225_535
.LBB225_521:                            ; =>This Inner Loop Header: Depth=1
	v_add_co_u32 v6, s3, v10, s33
	v_add_co_ci_u32_e64 v7, null, 0, v11, s3
	v_mov_b32_e32 v19, 0
	s_mov_b32 s4, exec_lo
	v_cmpx_gt_u64_e64 s[36:37], v[6:7]
	s_cbranch_execz .LBB225_523
; %bb.522:                              ;   in Loop: Header=BB225_521 Depth=1
	global_load_ushort v19, v[4:5], off
.LBB225_523:                            ;   in Loop: Header=BB225_521 Depth=1
	s_or_b32 exec_lo, exec_lo, s4
	s_mov_b32 s21, 0
	s_mov_b32 s4, exec_lo
	v_cmpx_gt_u64_e64 s[36:37], v[10:11]
	s_cbranch_execz .LBB225_525
; %bb.524:                              ;   in Loop: Header=BB225_521 Depth=1
	s_waitcnt vmcnt(0)
	v_cmp_lt_i16_e64 s3, -1, v18
	v_lshlrev_b32_e32 v14, 16, v18
	v_cndmask_b32_e64 v2, 0xffff, v17, s3
	v_cmp_o_f32_e64 s3, v14, v14
	v_xor_b32_sdwa v2, v2, v18 dst_sel:DWORD dst_unused:UNUSED_PAD src0_sel:DWORD src1_sel:WORD_0
	v_cndmask_b32_e64 v2, 0xffff, v2, s3
	v_cmp_gt_u32_e64 s3, v2, v16
	v_cndmask_b32_e64 v14, 0, 1, s3
	v_cmp_lt_u32_e64 s3, v2, v16
	v_cndmask_b32_e64 v2, 0, 1, s3
	v_cndmask_b32_e64 v2, v2, v14, s104
	v_and_b32_e32 v2, 1, v2
	v_cmp_eq_u32_e64 s3, 1, v2
	s_and_b32 s21, s3, exec_lo
.LBB225_525:                            ;   in Loop: Header=BB225_521 Depth=1
	s_or_b32 exec_lo, exec_lo, s4
	v_cndmask_b32_e64 v2, 0, 1, s21
	v_cmp_ne_u32_e64 s3, 0, v2
	s_cmp_lg_u32 s3, 0
	s_cselect_b32 s4, -1, 0
	s_and_b32 s4, s0, s4
	s_and_saveexec_b32 s22, s4
	s_cbranch_execz .LBB225_529
; %bb.526:                              ;   in Loop: Header=BB225_521 Depth=1
	s_mov_b32 s25, exec_lo
	s_bcnt1_i32_b32 s23, s3
	v_mbcnt_lo_u32_b32 v14, s25, 0
	s_mov_b32 s24, exec_lo
                                        ; implicit-def: $vgpr8_vgpr9
	v_cmpx_eq_u32_e32 0, v14
	s_cbranch_execz .LBB225_528
; %bb.527:                              ;   in Loop: Header=BB225_521 Depth=1
	s_bcnt1_i32_b32 s4, s25
	s_mul_i32 s4, s23, s4
	v_mov_b32_e32 v2, s4
	s_waitcnt lgkmcnt(0)
	ds_add_rtn_u64 v[8:9], v3, v[2:3] offset:5136
.LBB225_528:                            ;   in Loop: Header=BB225_521 Depth=1
	s_or_b32 exec_lo, exec_lo, s24
	s_waitcnt lgkmcnt(0)
	v_readfirstlane_b32 s25, v9
	v_readfirstlane_b32 s24, v8
	v_mad_u64_u32 v[8:9], null, s23, v14, s[24:25]
.LBB225_529:                            ;   in Loop: Header=BB225_521 Depth=1
	s_or_b32 exec_lo, exec_lo, s22
	s_waitcnt lgkmcnt(0)
	ds_bpermute_b32 v8, v3, v8
	ds_bpermute_b32 v9, v3, v9
	s_mov_b32 s4, -1
	s_mov_b32 s23, -1
	s_and_saveexec_b32 s22, s21
	s_cbranch_execz .LBB225_533
; %bb.530:                              ;   in Loop: Header=BB225_521 Depth=1
	v_and_b32_e32 v2, s3, v41
	s_mov_b32 s21, 0
	s_mov_b32 s23, exec_lo
	v_bcnt_u32_b32 v2, v2, 0
	s_waitcnt lgkmcnt(0)
	v_add_co_u32 v14, s3, v8, v2
	v_add_co_ci_u32_e64 v15, null, 0, v9, s3
	v_cmpx_gt_u64_e64 s[38:39], v[14:15]
	s_cbranch_execz .LBB225_532
; %bb.531:                              ;   in Loop: Header=BB225_521 Depth=1
	v_mul_lo_u32 v2, v15, s8
	v_mul_lo_u32 v22, v14, s9
	v_mad_u64_u32 v[20:21], null, v14, s8, 0
	v_mul_lo_u32 v23, v15, s10
	v_mul_lo_u32 v24, v14, s11
	v_mad_u64_u32 v[14:15], null, v14, s10, 0
	s_mov_b32 s21, exec_lo
	v_add3_u32 v21, v21, v22, v2
	v_add3_u32 v15, v15, v24, v23
	v_lshlrev_b64 v[20:21], 1, v[20:21]
	v_lshlrev_b64 v[14:15], 3, v[14:15]
	v_add_co_u32 v20, s3, s5, v20
	v_add_co_ci_u32_e64 v21, null, s16, v21, s3
	v_add_co_u32 v14, s3, s17, v14
	v_add_co_ci_u32_e64 v15, null, s18, v15, s3
	s_waitcnt vmcnt(0)
	global_store_short v[20:21], v18, off
	global_store_dwordx2 v[14:15], v[10:11], off
.LBB225_532:                            ;   in Loop: Header=BB225_521 Depth=1
	s_or_b32 exec_lo, exec_lo, s23
	s_orn2_b32 s23, s21, exec_lo
.LBB225_533:                            ;   in Loop: Header=BB225_521 Depth=1
	s_or_b32 exec_lo, exec_lo, s22
	s_mov_b32 s22, -1
	s_and_saveexec_b32 s21, s23
	s_cbranch_execz .LBB225_520
; %bb.534:                              ;   in Loop: Header=BB225_521 Depth=1
	v_cmp_le_u64_e64 s3, s[6:7], v[6:7]
	v_add_co_u32 v4, s4, v4, s42
	v_add_co_ci_u32_e64 v5, null, s43, v5, s4
	s_xor_b32 s22, exec_lo, -1
	s_orn2_b32 s4, s3, exec_lo
	s_branch .LBB225_520
.LBB225_535:
	s_or_b32 exec_lo, exec_lo, s2
	s_mov_b32 s2, exec_lo
	s_orn2_b32 s20, s20, exec_lo
	s_or_b32 exec_lo, exec_lo, s19
	s_and_saveexec_b32 s3, s20
	s_cbranch_execz .LBB225_510
.LBB225_536:
	v_mov_b32_e32 v14, 0
	s_waitcnt vmcnt(0) lgkmcnt(0)
	s_waitcnt_vscnt null, 0x0
	s_barrier
	buffer_gl0_inv
	s_mov_b32 s1, exec_lo
	v_readlane_b32 s4, v53, 6
	s_and_b32 s4, s1, s4
	s_mov_b32 exec_lo, s4
	s_cbranch_execz .LBB225_538
; %bb.537:
	global_load_ushort v14, v[12:13], off
.LBB225_538:
	s_or_b32 exec_lo, exec_lo, s1
	s_mov_b32 s1, 0
	s_and_saveexec_b32 s4, vcc_lo
	s_cbranch_execz .LBB225_560
; %bb.539:
	v_add_co_u32 v2, s1, v0, s33
	v_add_co_ci_u32_e64 v3, null, 0, 0, s1
	v_readlane_b32 s20, v53, 14
	v_mul_lo_u32 v4, s31, v2
	v_readlane_b32 s21, v53, 15
	v_mul_lo_u32 v5, s30, v3
	v_mad_u64_u32 v[2:3], null, s30, v2, 0
	s_add_u32 s1, s98, s50
	s_addc_u32 s19, s99, s51
	s_add_u32 s1, s1, s20
	s_addc_u32 s19, s19, s21
	v_mov_b32_e32 v12, 0x8000
                                        ; implicit-def: $sgpr20
                                        ; implicit-def: $vgpr8_vgpr9
	v_add3_u32 v3, v3, v5, v4
	v_lshlrev_b64 v[4:5], 1, v[2:3]
	v_mov_b32_e32 v3, 0
	v_add_co_u32 v4, vcc_lo, s1, v4
	v_add_co_ci_u32_e64 v5, null, s19, v5, vcc_lo
	s_mov_b32 s19, 0
	s_branch .LBB225_542
.LBB225_540:                            ;   in Loop: Header=BB225_542 Depth=1
	s_or_b32 exec_lo, exec_lo, s22
	s_orn2_b32 s24, s23, exec_lo
	s_orn2_b32 s23, s1, exec_lo
.LBB225_541:                            ;   in Loop: Header=BB225_542 Depth=1
	s_or_b32 exec_lo, exec_lo, s21
	s_xor_b32 s1, s24, -1
	s_and_b32 s21, exec_lo, s23
	v_mov_b32_e32 v0, v6
	v_mov_b32_e32 v1, v7
	s_or_b32 s19, s21, s19
	s_waitcnt vmcnt(0)
	v_mov_b32_e32 v14, v13
	s_andn2_b32 s20, s20, exec_lo
	s_and_b32 s1, s1, exec_lo
	s_or_b32 s20, s20, s1
	s_andn2_b32 exec_lo, exec_lo, s19
	s_cbranch_execz .LBB225_558
.LBB225_542:                            ; =>This Inner Loop Header: Depth=1
	v_add_co_u32 v6, vcc_lo, v0, s33
	v_add_co_ci_u32_e64 v7, null, 0, v1, vcc_lo
	v_mov_b32_e32 v13, 0
	s_mov_b32 s1, exec_lo
	v_cmpx_gt_u64_e64 s[36:37], v[6:7]
	s_cbranch_execz .LBB225_544
; %bb.543:                              ;   in Loop: Header=BB225_542 Depth=1
	global_load_ushort v13, v[4:5], off
.LBB225_544:                            ;   in Loop: Header=BB225_542 Depth=1
	s_or_b32 exec_lo, exec_lo, s1
	s_mov_b32 s22, 0
	s_mov_b32 s1, exec_lo
	v_cmpx_gt_u64_e64 s[36:37], v[0:1]
	s_cbranch_execz .LBB225_546
; %bb.545:                              ;   in Loop: Header=BB225_542 Depth=1
	s_waitcnt vmcnt(0)
	v_cmp_lt_i16_e32 vcc_lo, -1, v14
	v_lshlrev_b32_e32 v10, 16, v14
	v_cndmask_b32_e32 v2, 0xffff, v12, vcc_lo
	v_cmp_o_f32_e32 vcc_lo, v10, v10
	v_xor_b32_sdwa v2, v2, v14 dst_sel:DWORD dst_unused:UNUSED_PAD src0_sel:DWORD src1_sel:WORD_0
	v_cndmask_b32_e32 v2, 0xffff, v2, vcc_lo
	v_cmp_eq_u32_e32 vcc_lo, v2, v16
	s_and_b32 s22, vcc_lo, exec_lo
.LBB225_546:                            ;   in Loop: Header=BB225_542 Depth=1
	s_or_b32 exec_lo, exec_lo, s1
	v_cndmask_b32_e64 v2, 0, 1, s22
	v_cmp_ne_u32_e32 vcc_lo, 0, v2
	s_cmp_lg_u32 vcc_lo, 0
	s_cselect_b32 s1, -1, 0
	s_and_b32 s1, s0, s1
	s_and_saveexec_b32 s21, s1
	s_cbranch_execz .LBB225_550
; %bb.547:                              ;   in Loop: Header=BB225_542 Depth=1
	s_mov_b32 s25, exec_lo
	s_bcnt1_i32_b32 s23, vcc_lo
	v_mbcnt_lo_u32_b32 v10, s25, 0
	s_mov_b32 s24, exec_lo
                                        ; implicit-def: $vgpr8_vgpr9
	v_cmpx_eq_u32_e32 0, v10
; %bb.548:                              ;   in Loop: Header=BB225_542 Depth=1
	s_bcnt1_i32_b32 s1, s25
	s_mul_i32 s1, s23, s1
	v_mov_b32_e32 v2, s1
	ds_add_rtn_u64 v[8:9], v3, v[2:3] offset:5136
; %bb.549:                              ;   in Loop: Header=BB225_542 Depth=1
	s_or_b32 exec_lo, exec_lo, s24
	s_waitcnt lgkmcnt(0)
	v_readfirstlane_b32 s25, v9
	v_readfirstlane_b32 s24, v8
	v_mad_u64_u32 v[8:9], null, s23, v10, s[24:25]
.LBB225_550:                            ;   in Loop: Header=BB225_542 Depth=1
	s_or_b32 exec_lo, exec_lo, s21
	ds_bpermute_b32 v8, v3, v8
	ds_bpermute_b32 v9, v3, v9
	s_cmp_eq_u32 vcc_lo, 0
	s_mov_b32 s23, -1
	s_cselect_b32 s21, -1, 0
	s_mov_b32 s24, -1
	s_waitcnt lgkmcnt(0)
	v_cmp_gt_u64_e64 s1, s[38:39], v[8:9]
	s_or_b32 s1, s21, s1
	s_and_saveexec_b32 s21, s1
	s_cbranch_execz .LBB225_541
; %bb.551:                              ;   in Loop: Header=BB225_542 Depth=1
	v_and_b32_e32 v2, vcc_lo, v41
	v_sub_co_u32 v10, vcc_lo, s38, v8
	v_sub_co_ci_u32_e64 v11, null, s39, v9, vcc_lo
	v_bcnt_u32_b32 v2, v2, 0
	s_mov_b32 s1, -1
	v_bcnt_u32_b32 v2, 0, v2
	v_cmp_gt_u64_e32 vcc_lo, v[10:11], v[2:3]
	s_and_b32 s25, s22, vcc_lo
	s_and_saveexec_b32 s22, s25
	s_cbranch_execz .LBB225_555
; %bb.552:                              ;   in Loop: Header=BB225_542 Depth=1
	v_add_co_u32 v10, vcc_lo, v8, v2
	v_add_co_ci_u32_e64 v11, null, 0, v9, vcc_lo
	s_mov_b32 s24, 0
	s_mov_b32 s23, exec_lo
	v_cmpx_gt_u64_e64 s[38:39], v[10:11]
	s_cbranch_execz .LBB225_554
; %bb.553:                              ;   in Loop: Header=BB225_542 Depth=1
	v_mul_lo_u32 v2, v11, s8
	v_mul_lo_u32 v15, v10, s9
	v_mad_u64_u32 v[17:18], null, v10, s8, 0
	v_mul_lo_u32 v19, v11, s10
	v_mul_lo_u32 v20, v10, s11
	v_mad_u64_u32 v[10:11], null, v10, s10, 0
	s_mov_b32 s24, exec_lo
	v_add3_u32 v18, v18, v15, v2
	v_add3_u32 v11, v11, v20, v19
	v_lshlrev_b64 v[17:18], 1, v[17:18]
	v_lshlrev_b64 v[10:11], 3, v[10:11]
	v_add_co_u32 v17, vcc_lo, s5, v17
	v_add_co_ci_u32_e64 v18, null, s16, v18, vcc_lo
	v_add_co_u32 v10, vcc_lo, s17, v10
	v_add_co_ci_u32_e64 v11, null, s18, v11, vcc_lo
	s_waitcnt vmcnt(0)
	global_store_short v[17:18], v14, off
	global_store_dwordx2 v[10:11], v[0:1], off
.LBB225_554:                            ;   in Loop: Header=BB225_542 Depth=1
	s_or_b32 exec_lo, exec_lo, s23
	s_xor_b32 s23, exec_lo, -1
	s_orn2_b32 s24, s24, exec_lo
.LBB225_555:                            ;   in Loop: Header=BB225_542 Depth=1
	s_or_b32 exec_lo, exec_lo, s22
	s_and_saveexec_b32 s22, s24
	s_cbranch_execz .LBB225_540
; %bb.556:                              ;   in Loop: Header=BB225_542 Depth=1
	v_cmp_le_u64_e32 vcc_lo, s[6:7], v[6:7]
	v_add_co_u32 v4, s1, v4, s42
	v_add_co_ci_u32_e64 v5, null, s43, v5, s1
	s_or_b32 s23, s23, exec_lo
	s_orn2_b32 s1, vcc_lo, exec_lo
	s_branch .LBB225_540
.LBB225_557:
	s_or_b32 s6, s6, exec_lo
	s_trap 2
	s_branch .LBB225_517
.LBB225_558:
	s_or_b32 exec_lo, exec_lo, s19
	s_mov_b32 s0, 0
	s_and_saveexec_b32 s1, s20
	s_xor_b32 s1, exec_lo, s1
	s_cbranch_execnz .LBB225_564
.LBB225_559:
	s_or_b32 exec_lo, exec_lo, s1
	s_and_b32 s1, s0, exec_lo
.LBB225_560:
	s_or_b32 exec_lo, exec_lo, s4
	s_and_b32 s1, s1, exec_lo
	s_andn2_b32 s2, s2, exec_lo
	s_or_b32 exec_lo, exec_lo, s3
	s_and_saveexec_b32 s0, s2
	s_xor_b32 s0, exec_lo, s0
	s_cbranch_execz .LBB225_511
.LBB225_561:
	s_or_b32 s1, s1, exec_lo
	s_trap 2
	s_branch .LBB225_511
.LBB225_562:
	s_or_b32 s6, s6, exec_lo
	s_trap 2
	s_branch .LBB225_515
.LBB225_563:
	s_or_b32 s6, s6, exec_lo
	s_trap 2
	s_branch .LBB225_513
.LBB225_564:
	s_mov_b32 s0, exec_lo
	s_trap 2
	s_branch .LBB225_559
	.section	.rodata,"a",@progbits
	.p2align	6, 0x0
	.amdhsa_kernel _ZN2at6native6sbtopk10gatherTopKIN3c108BFloat16EmLin1ELb0EEEvNS_4cuda6detail10TensorInfoIKT_T0_EESA_SA_bSA_SA_NS7_IS8_SA_EESA_NS7_IlSA_EESA_PS8_
		.amdhsa_group_segment_fixed_size 5152
		.amdhsa_private_segment_fixed_size 0
		.amdhsa_kernarg_size 1568
		.amdhsa_user_sgpr_count 6
		.amdhsa_user_sgpr_private_segment_buffer 1
		.amdhsa_user_sgpr_dispatch_ptr 0
		.amdhsa_user_sgpr_queue_ptr 0
		.amdhsa_user_sgpr_kernarg_segment_ptr 1
		.amdhsa_user_sgpr_dispatch_id 0
		.amdhsa_user_sgpr_flat_scratch_init 0
		.amdhsa_user_sgpr_private_segment_size 0
		.amdhsa_wavefront_size32 1
		.amdhsa_uses_dynamic_stack 0
		.amdhsa_system_sgpr_private_segment_wavefront_offset 0
		.amdhsa_system_sgpr_workgroup_id_x 1
		.amdhsa_system_sgpr_workgroup_id_y 1
		.amdhsa_system_sgpr_workgroup_id_z 1
		.amdhsa_system_sgpr_workgroup_info 0
		.amdhsa_system_vgpr_workitem_id 0
		.amdhsa_next_free_vgpr 54
		.amdhsa_next_free_sgpr 105
		.amdhsa_reserve_vcc 1
		.amdhsa_reserve_flat_scratch 0
		.amdhsa_float_round_mode_32 0
		.amdhsa_float_round_mode_16_64 0
		.amdhsa_float_denorm_mode_32 3
		.amdhsa_float_denorm_mode_16_64 3
		.amdhsa_dx10_clamp 1
		.amdhsa_ieee_mode 1
		.amdhsa_fp16_overflow 0
		.amdhsa_workgroup_processor_mode 1
		.amdhsa_memory_ordered 1
		.amdhsa_forward_progress 1
		.amdhsa_shared_vgpr_count 0
		.amdhsa_exception_fp_ieee_invalid_op 0
		.amdhsa_exception_fp_denorm_src 0
		.amdhsa_exception_fp_ieee_div_zero 0
		.amdhsa_exception_fp_ieee_overflow 0
		.amdhsa_exception_fp_ieee_underflow 0
		.amdhsa_exception_fp_ieee_inexact 0
		.amdhsa_exception_int_div_zero 0
	.end_amdhsa_kernel
	.section	.text._ZN2at6native6sbtopk10gatherTopKIN3c108BFloat16EmLin1ELb0EEEvNS_4cuda6detail10TensorInfoIKT_T0_EESA_SA_bSA_SA_NS7_IS8_SA_EESA_NS7_IlSA_EESA_PS8_,"axG",@progbits,_ZN2at6native6sbtopk10gatherTopKIN3c108BFloat16EmLin1ELb0EEEvNS_4cuda6detail10TensorInfoIKT_T0_EESA_SA_bSA_SA_NS7_IS8_SA_EESA_NS7_IlSA_EESA_PS8_,comdat
.Lfunc_end225:
	.size	_ZN2at6native6sbtopk10gatherTopKIN3c108BFloat16EmLin1ELb0EEEvNS_4cuda6detail10TensorInfoIKT_T0_EESA_SA_bSA_SA_NS7_IS8_SA_EESA_NS7_IlSA_EESA_PS8_, .Lfunc_end225-_ZN2at6native6sbtopk10gatherTopKIN3c108BFloat16EmLin1ELb0EEEvNS_4cuda6detail10TensorInfoIKT_T0_EESA_SA_bSA_SA_NS7_IS8_SA_EESA_NS7_IlSA_EESA_PS8_
                                        ; -- End function
	.set _ZN2at6native6sbtopk10gatherTopKIN3c108BFloat16EmLin1ELb0EEEvNS_4cuda6detail10TensorInfoIKT_T0_EESA_SA_bSA_SA_NS7_IS8_SA_EESA_NS7_IlSA_EESA_PS8_.num_vgpr, 54
	.set _ZN2at6native6sbtopk10gatherTopKIN3c108BFloat16EmLin1ELb0EEEvNS_4cuda6detail10TensorInfoIKT_T0_EESA_SA_bSA_SA_NS7_IS8_SA_EESA_NS7_IlSA_EESA_PS8_.num_agpr, 0
	.set _ZN2at6native6sbtopk10gatherTopKIN3c108BFloat16EmLin1ELb0EEEvNS_4cuda6detail10TensorInfoIKT_T0_EESA_SA_bSA_SA_NS7_IS8_SA_EESA_NS7_IlSA_EESA_PS8_.numbered_sgpr, 105
	.set _ZN2at6native6sbtopk10gatherTopKIN3c108BFloat16EmLin1ELb0EEEvNS_4cuda6detail10TensorInfoIKT_T0_EESA_SA_bSA_SA_NS7_IS8_SA_EESA_NS7_IlSA_EESA_PS8_.num_named_barrier, 0
	.set _ZN2at6native6sbtopk10gatherTopKIN3c108BFloat16EmLin1ELb0EEEvNS_4cuda6detail10TensorInfoIKT_T0_EESA_SA_bSA_SA_NS7_IS8_SA_EESA_NS7_IlSA_EESA_PS8_.private_seg_size, 0
	.set _ZN2at6native6sbtopk10gatherTopKIN3c108BFloat16EmLin1ELb0EEEvNS_4cuda6detail10TensorInfoIKT_T0_EESA_SA_bSA_SA_NS7_IS8_SA_EESA_NS7_IlSA_EESA_PS8_.uses_vcc, 1
	.set _ZN2at6native6sbtopk10gatherTopKIN3c108BFloat16EmLin1ELb0EEEvNS_4cuda6detail10TensorInfoIKT_T0_EESA_SA_bSA_SA_NS7_IS8_SA_EESA_NS7_IlSA_EESA_PS8_.uses_flat_scratch, 0
	.set _ZN2at6native6sbtopk10gatherTopKIN3c108BFloat16EmLin1ELb0EEEvNS_4cuda6detail10TensorInfoIKT_T0_EESA_SA_bSA_SA_NS7_IS8_SA_EESA_NS7_IlSA_EESA_PS8_.has_dyn_sized_stack, 0
	.set _ZN2at6native6sbtopk10gatherTopKIN3c108BFloat16EmLin1ELb0EEEvNS_4cuda6detail10TensorInfoIKT_T0_EESA_SA_bSA_SA_NS7_IS8_SA_EESA_NS7_IlSA_EESA_PS8_.has_recursion, 0
	.set _ZN2at6native6sbtopk10gatherTopKIN3c108BFloat16EmLin1ELb0EEEvNS_4cuda6detail10TensorInfoIKT_T0_EESA_SA_bSA_SA_NS7_IS8_SA_EESA_NS7_IlSA_EESA_PS8_.has_indirect_call, 0
	.section	.AMDGPU.csdata,"",@progbits
; Kernel info:
; codeLenInByte = 29012
; TotalNumSgprs: 107
; NumVgprs: 54
; ScratchSize: 0
; MemoryBound: 0
; FloatMode: 240
; IeeeMode: 1
; LDSByteSize: 5152 bytes/workgroup (compile time only)
; SGPRBlocks: 0
; VGPRBlocks: 6
; NumSGPRsForWavesPerEU: 107
; NumVGPRsForWavesPerEU: 54
; Occupancy: 16
; WaveLimiterHint : 1
; COMPUTE_PGM_RSRC2:SCRATCH_EN: 0
; COMPUTE_PGM_RSRC2:USER_SGPR: 6
; COMPUTE_PGM_RSRC2:TRAP_HANDLER: 0
; COMPUTE_PGM_RSRC2:TGID_X_EN: 1
; COMPUTE_PGM_RSRC2:TGID_Y_EN: 1
; COMPUTE_PGM_RSRC2:TGID_Z_EN: 1
; COMPUTE_PGM_RSRC2:TIDIG_COMP_CNT: 0
	.section	.AMDGPU.gpr_maximums,"",@progbits
	.set amdgpu.max_num_vgpr, 0
	.set amdgpu.max_num_agpr, 0
	.set amdgpu.max_num_sgpr, 0
	.section	.AMDGPU.csdata,"",@progbits
	.type	__hip_cuid_e2f417a41ee592f7,@object ; @__hip_cuid_e2f417a41ee592f7
	.section	.bss,"aw",@nobits
	.globl	__hip_cuid_e2f417a41ee592f7
__hip_cuid_e2f417a41ee592f7:
	.byte	0                               ; 0x0
	.size	__hip_cuid_e2f417a41ee592f7, 1

	.ident	"AMD clang version 22.0.0git (https://github.com/RadeonOpenCompute/llvm-project roc-7.2.4 26084 f58b06dce1f9c15707c5f808fd002e18c2accf7e)"
	.section	".note.GNU-stack","",@progbits
	.addrsig
	.addrsig_sym __hip_cuid_e2f417a41ee592f7
	.amdgpu_metadata
---
amdhsa.kernels:
  - .args:
      - .address_space:  global
        .offset:         0
        .size:           8
        .value_kind:     global_buffer
      - .offset:         8
        .size:           4
        .value_kind:     by_value
      - .offset:         12
        .size:           4
        .value_kind:     by_value
      - .offset:         16
        .size:           4
        .value_kind:     hidden_block_count_x
      - .offset:         20
        .size:           4
        .value_kind:     hidden_block_count_y
      - .offset:         24
        .size:           4
        .value_kind:     hidden_block_count_z
      - .offset:         28
        .size:           2
        .value_kind:     hidden_group_size_x
      - .offset:         30
        .size:           2
        .value_kind:     hidden_group_size_y
      - .offset:         32
        .size:           2
        .value_kind:     hidden_group_size_z
      - .offset:         34
        .size:           2
        .value_kind:     hidden_remainder_x
      - .offset:         36
        .size:           2
        .value_kind:     hidden_remainder_y
      - .offset:         38
        .size:           2
        .value_kind:     hidden_remainder_z
      - .offset:         56
        .size:           8
        .value_kind:     hidden_global_offset_x
      - .offset:         64
        .size:           8
        .value_kind:     hidden_global_offset_y
      - .offset:         72
        .size:           8
        .value_kind:     hidden_global_offset_z
      - .offset:         80
        .size:           2
        .value_kind:     hidden_grid_dims
    .group_segment_fixed_size: 0
    .kernarg_segment_align: 8
    .kernarg_segment_size: 272
    .language:       OpenCL C
    .language_version:
      - 2
      - 0
    .max_flat_workgroup_size: 1024
    .name:           _ZN2at6native6mbtopk4fillIjjEEvPT_S3_T0_
    .private_segment_fixed_size: 0
    .sgpr_count:     10
    .sgpr_spill_count: 0
    .symbol:         _ZN2at6native6mbtopk4fillIjjEEvPT_S3_T0_.kd
    .uniform_work_group_size: 1
    .uses_dynamic_stack: false
    .vgpr_count:     5
    .vgpr_spill_count: 0
    .wavefront_size: 32
    .workgroup_processor_mode: 1
  - .args:
      - .offset:         0
        .size:           216
        .value_kind:     by_value
      - .offset:         216
        .size:           4
        .value_kind:     by_value
      - .address_space:  global
        .offset:         224
        .size:           8
        .value_kind:     global_buffer
      - .offset:         232
        .size:           4
        .value_kind:     by_value
      - .offset:         236
        .size:           4
        .value_kind:     by_value
      - .offset:         240
        .size:           4
        .value_kind:     by_value
      - .offset:         244
        .size:           4
        .value_kind:     by_value
      - .offset:         248
        .size:           4
        .value_kind:     by_value
      - .offset:         252
        .size:           4
        .value_kind:     by_value
      - .address_space:  global
        .offset:         256
        .size:           8
        .value_kind:     global_buffer
      - .address_space:  global
        .offset:         264
        .size:           8
        .value_kind:     global_buffer
      - .offset:         272
        .size:           4
        .value_kind:     hidden_block_count_x
      - .offset:         276
        .size:           4
        .value_kind:     hidden_block_count_y
      - .offset:         280
        .size:           4
        .value_kind:     hidden_block_count_z
      - .offset:         284
        .size:           2
        .value_kind:     hidden_group_size_x
      - .offset:         286
        .size:           2
        .value_kind:     hidden_group_size_y
      - .offset:         288
        .size:           2
        .value_kind:     hidden_group_size_z
      - .offset:         290
        .size:           2
        .value_kind:     hidden_remainder_x
      - .offset:         292
        .size:           2
        .value_kind:     hidden_remainder_y
      - .offset:         294
        .size:           2
        .value_kind:     hidden_remainder_z
      - .offset:         312
        .size:           8
        .value_kind:     hidden_global_offset_x
      - .offset:         320
        .size:           8
        .value_kind:     hidden_global_offset_y
      - .offset:         328
        .size:           8
        .value_kind:     hidden_global_offset_z
      - .offset:         336
        .size:           2
        .value_kind:     hidden_grid_dims
    .group_segment_fixed_size: 1024
    .kernarg_segment_align: 8
    .kernarg_segment_size: 528
    .language:       OpenCL C
    .language_version:
      - 2
      - 0
    .max_flat_workgroup_size: 256
    .name:           _ZN2at6native6mbtopk23computeBlockDigitCountsIhjjLi1EEEvNS_4cuda6detail10TensorInfoIKT_T0_EEjPjjS8_iijT1_PSB_Ps
    .private_segment_fixed_size: 0
    .sgpr_count:     20
    .sgpr_spill_count: 0
    .symbol:         _ZN2at6native6mbtopk23computeBlockDigitCountsIhjjLi1EEEvNS_4cuda6detail10TensorInfoIKT_T0_EEjPjjS8_iijT1_PSB_Ps.kd
    .uniform_work_group_size: 1
    .uses_dynamic_stack: false
    .vgpr_count:     10
    .vgpr_spill_count: 0
    .wavefront_size: 32
    .workgroup_processor_mode: 1
  - .args:
      - .address_space:  global
        .offset:         0
        .size:           8
        .value_kind:     global_buffer
      - .address_space:  global
        .offset:         8
        .size:           8
        .value_kind:     global_buffer
      - .address_space:  global
        .offset:         16
        .size:           8
        .value_kind:     global_buffer
      - .offset:         24
        .size:           4
        .value_kind:     by_value
      - .offset:         28
        .size:           4
        .value_kind:     by_value
      - .offset:         32
        .size:           1
        .value_kind:     by_value
      - .address_space:  global
        .offset:         40
        .size:           8
        .value_kind:     global_buffer
      - .address_space:  global
        .offset:         48
        .size:           8
        .value_kind:     global_buffer
      - .address_space:  global
        .offset:         56
        .size:           8
        .value_kind:     global_buffer
      - .address_space:  global
        .offset:         64
        .size:           8
        .value_kind:     global_buffer
      - .address_space:  global
        .offset:         72
        .size:           8
        .value_kind:     global_buffer
      - .offset:         80
        .size:           4
        .value_kind:     by_value
      - .offset:         88
        .size:           4
        .value_kind:     hidden_block_count_x
      - .offset:         92
        .size:           4
        .value_kind:     hidden_block_count_y
      - .offset:         96
        .size:           4
        .value_kind:     hidden_block_count_z
      - .offset:         100
        .size:           2
        .value_kind:     hidden_group_size_x
      - .offset:         102
        .size:           2
        .value_kind:     hidden_group_size_y
      - .offset:         104
        .size:           2
        .value_kind:     hidden_group_size_z
      - .offset:         106
        .size:           2
        .value_kind:     hidden_remainder_x
      - .offset:         108
        .size:           2
        .value_kind:     hidden_remainder_y
      - .offset:         110
        .size:           2
        .value_kind:     hidden_remainder_z
      - .offset:         128
        .size:           8
        .value_kind:     hidden_global_offset_x
      - .offset:         136
        .size:           8
        .value_kind:     hidden_global_offset_y
      - .offset:         144
        .size:           8
        .value_kind:     hidden_global_offset_z
      - .offset:         152
        .size:           2
        .value_kind:     hidden_grid_dims
    .group_segment_fixed_size: 2116
    .kernarg_segment_align: 8
    .kernarg_segment_size: 344
    .language:       OpenCL C
    .language_version:
      - 2
      - 0
    .max_flat_workgroup_size: 256
    .name:           _ZN2at6native6mbtopk29computeBlockwiseWithinKCountsIjhEEvPT_PsPjjibS6_PT0_S6_S4_S6_j
    .private_segment_fixed_size: 0
    .sgpr_count:     28
    .sgpr_spill_count: 0
    .symbol:         _ZN2at6native6mbtopk29computeBlockwiseWithinKCountsIjhEEvPT_PsPjjibS6_PT0_S6_S4_S6_j.kd
    .uniform_work_group_size: 1
    .uses_dynamic_stack: false
    .vgpr_count:     15
    .vgpr_spill_count: 0
    .wavefront_size: 32
    .workgroup_processor_mode: 1
  - .args:
      - .offset:         0
        .size:           216
        .value_kind:     by_value
      - .offset:         216
        .size:           4
        .value_kind:     by_value
      - .offset:         220
        .size:           4
        .value_kind:     by_value
      - .offset:         224
        .size:           1
        .value_kind:     by_value
      - .offset:         228
        .size:           4
        .value_kind:     by_value
      - .offset:         232
        .size:           4
        .value_kind:     by_value
      - .offset:         240
        .size:           216
        .value_kind:     by_value
      - .offset:         456
        .size:           4
        .value_kind:     by_value
      - .offset:         464
        .size:           216
        .value_kind:     by_value
      - .offset:         680
        .size:           4
        .value_kind:     by_value
      - .offset:         684
        .size:           4
        .value_kind:     by_value
      - .offset:         688
        .size:           4
        .value_kind:     by_value
      - .address_space:  global
        .offset:         696
        .size:           8
        .value_kind:     global_buffer
      - .address_space:  global
        .offset:         704
        .size:           8
        .value_kind:     global_buffer
      - .address_space:  global
        .offset:         712
        .size:           8
        .value_kind:     global_buffer
      - .offset:         720
        .size:           4
        .value_kind:     by_value
      - .offset:         728
        .size:           4
        .value_kind:     hidden_block_count_x
      - .offset:         732
        .size:           4
        .value_kind:     hidden_block_count_y
      - .offset:         736
        .size:           4
        .value_kind:     hidden_block_count_z
      - .offset:         740
        .size:           2
        .value_kind:     hidden_group_size_x
      - .offset:         742
        .size:           2
        .value_kind:     hidden_group_size_y
      - .offset:         744
        .size:           2
        .value_kind:     hidden_group_size_z
      - .offset:         746
        .size:           2
        .value_kind:     hidden_remainder_x
      - .offset:         748
        .size:           2
        .value_kind:     hidden_remainder_y
      - .offset:         750
        .size:           2
        .value_kind:     hidden_remainder_z
      - .offset:         768
        .size:           8
        .value_kind:     hidden_global_offset_x
      - .offset:         776
        .size:           8
        .value_kind:     hidden_global_offset_y
      - .offset:         784
        .size:           8
        .value_kind:     hidden_global_offset_z
      - .offset:         792
        .size:           2
        .value_kind:     hidden_grid_dims
    .group_segment_fixed_size: 1068
    .kernarg_segment_align: 8
    .kernarg_segment_size: 984
    .language:       OpenCL C
    .language_version:
      - 2
      - 0
    .max_flat_workgroup_size: 256
    .name:           _ZN2at6native6mbtopk10gatherTopKIhjLi1EEEvNS_4cuda6detail10TensorInfoIKT_T0_EES8_S8_bjS8_NS5_IS6_S8_EES8_NS5_IlS8_EES8_jjPS6_PjSD_j
    .private_segment_fixed_size: 0
    .sgpr_count:     37
    .sgpr_spill_count: 0
    .symbol:         _ZN2at6native6mbtopk10gatherTopKIhjLi1EEEvNS_4cuda6detail10TensorInfoIKT_T0_EES8_S8_bjS8_NS5_IS6_S8_EES8_NS5_IlS8_EES8_jjPS6_PjSD_j.kd
    .uniform_work_group_size: 1
    .uses_dynamic_stack: false
    .vgpr_count:     25
    .vgpr_spill_count: 0
    .wavefront_size: 32
    .workgroup_processor_mode: 1
  - .args:
      - .offset:         0
        .size:           216
        .value_kind:     by_value
      - .offset:         216
        .size:           4
        .value_kind:     by_value
      - .offset:         220
        .size:           4
        .value_kind:     by_value
      - .offset:         224
        .size:           1
        .value_kind:     by_value
      - .offset:         228
        .size:           4
        .value_kind:     by_value
      - .offset:         232
        .size:           4
        .value_kind:     by_value
      - .offset:         240
        .size:           216
        .value_kind:     by_value
      - .offset:         456
        .size:           4
        .value_kind:     by_value
      - .offset:         464
        .size:           216
        .value_kind:     by_value
      - .offset:         680
        .size:           4
        .value_kind:     by_value
      - .address_space:  global
        .offset:         688
        .size:           8
        .value_kind:     global_buffer
      - .offset:         696
        .size:           4
        .value_kind:     hidden_block_count_x
      - .offset:         700
        .size:           4
        .value_kind:     hidden_block_count_y
      - .offset:         704
        .size:           4
        .value_kind:     hidden_block_count_z
      - .offset:         708
        .size:           2
        .value_kind:     hidden_group_size_x
      - .offset:         710
        .size:           2
        .value_kind:     hidden_group_size_y
      - .offset:         712
        .size:           2
        .value_kind:     hidden_group_size_z
      - .offset:         714
        .size:           2
        .value_kind:     hidden_remainder_x
      - .offset:         716
        .size:           2
        .value_kind:     hidden_remainder_y
      - .offset:         718
        .size:           2
        .value_kind:     hidden_remainder_z
      - .offset:         736
        .size:           8
        .value_kind:     hidden_global_offset_x
      - .offset:         744
        .size:           8
        .value_kind:     hidden_global_offset_y
      - .offset:         752
        .size:           8
        .value_kind:     hidden_global_offset_z
      - .offset:         760
        .size:           2
        .value_kind:     hidden_grid_dims
    .group_segment_fixed_size: 4112
    .kernarg_segment_align: 8
    .kernarg_segment_size: 952
    .language:       OpenCL C
    .language_version:
      - 2
      - 0
    .max_flat_workgroup_size: 1024
    .name:           _ZN2at6native6sbtopk10gatherTopKIhjLi1ELb0EEEvNS_4cuda6detail10TensorInfoIKT_T0_EES8_S8_bS8_S8_NS5_IS6_S8_EES8_NS5_IlS8_EES8_PS6_
    .private_segment_fixed_size: 0
    .sgpr_count:     97
    .sgpr_spill_count: 0
    .symbol:         _ZN2at6native6sbtopk10gatherTopKIhjLi1ELb0EEEvNS_4cuda6detail10TensorInfoIKT_T0_EES8_S8_bS8_S8_NS5_IS6_S8_EES8_NS5_IlS8_EES8_PS6_.kd
    .uniform_work_group_size: 1
    .uses_dynamic_stack: false
    .vgpr_count:     68
    .vgpr_spill_count: 0
    .wavefront_size: 32
    .workgroup_processor_mode: 1
  - .args:
      - .offset:         0
        .size:           216
        .value_kind:     by_value
      - .offset:         216
        .size:           4
        .value_kind:     by_value
      - .address_space:  global
        .offset:         224
        .size:           8
        .value_kind:     global_buffer
      - .offset:         232
        .size:           4
        .value_kind:     by_value
      - .offset:         236
        .size:           4
        .value_kind:     by_value
      - .offset:         240
        .size:           4
        .value_kind:     by_value
      - .offset:         244
        .size:           4
        .value_kind:     by_value
      - .offset:         248
        .size:           4
        .value_kind:     by_value
      - .offset:         252
        .size:           4
        .value_kind:     by_value
      - .address_space:  global
        .offset:         256
        .size:           8
        .value_kind:     global_buffer
      - .address_space:  global
        .offset:         264
        .size:           8
        .value_kind:     global_buffer
      - .offset:         272
        .size:           4
        .value_kind:     hidden_block_count_x
      - .offset:         276
        .size:           4
        .value_kind:     hidden_block_count_y
      - .offset:         280
        .size:           4
        .value_kind:     hidden_block_count_z
      - .offset:         284
        .size:           2
        .value_kind:     hidden_group_size_x
      - .offset:         286
        .size:           2
        .value_kind:     hidden_group_size_y
      - .offset:         288
        .size:           2
        .value_kind:     hidden_group_size_z
      - .offset:         290
        .size:           2
        .value_kind:     hidden_remainder_x
      - .offset:         292
        .size:           2
        .value_kind:     hidden_remainder_y
      - .offset:         294
        .size:           2
        .value_kind:     hidden_remainder_z
      - .offset:         312
        .size:           8
        .value_kind:     hidden_global_offset_x
      - .offset:         320
        .size:           8
        .value_kind:     hidden_global_offset_y
      - .offset:         328
        .size:           8
        .value_kind:     hidden_global_offset_z
      - .offset:         336
        .size:           2
        .value_kind:     hidden_grid_dims
    .group_segment_fixed_size: 1024
    .kernarg_segment_align: 8
    .kernarg_segment_size: 528
    .language:       OpenCL C
    .language_version:
      - 2
      - 0
    .max_flat_workgroup_size: 256
    .name:           _ZN2at6native6mbtopk23computeBlockDigitCountsIhjjLi2EEEvNS_4cuda6detail10TensorInfoIKT_T0_EEjPjjS8_iijT1_PSB_Ps
    .private_segment_fixed_size: 0
    .sgpr_count:     24
    .sgpr_spill_count: 0
    .symbol:         _ZN2at6native6mbtopk23computeBlockDigitCountsIhjjLi2EEEvNS_4cuda6detail10TensorInfoIKT_T0_EEjPjjS8_iijT1_PSB_Ps.kd
    .uniform_work_group_size: 1
    .uses_dynamic_stack: false
    .vgpr_count:     10
    .vgpr_spill_count: 0
    .wavefront_size: 32
    .workgroup_processor_mode: 1
  - .args:
      - .offset:         0
        .size:           216
        .value_kind:     by_value
      - .offset:         216
        .size:           4
        .value_kind:     by_value
      - .offset:         220
        .size:           4
        .value_kind:     by_value
      - .offset:         224
        .size:           1
        .value_kind:     by_value
      - .offset:         228
        .size:           4
        .value_kind:     by_value
      - .offset:         232
        .size:           4
        .value_kind:     by_value
      - .offset:         240
        .size:           216
        .value_kind:     by_value
      - .offset:         456
        .size:           4
        .value_kind:     by_value
      - .offset:         464
        .size:           216
        .value_kind:     by_value
      - .offset:         680
        .size:           4
        .value_kind:     by_value
      - .offset:         684
        .size:           4
        .value_kind:     by_value
      - .offset:         688
        .size:           4
        .value_kind:     by_value
      - .address_space:  global
        .offset:         696
        .size:           8
        .value_kind:     global_buffer
      - .address_space:  global
        .offset:         704
        .size:           8
        .value_kind:     global_buffer
      - .address_space:  global
        .offset:         712
        .size:           8
        .value_kind:     global_buffer
      - .offset:         720
        .size:           4
        .value_kind:     by_value
      - .offset:         728
        .size:           4
        .value_kind:     hidden_block_count_x
      - .offset:         732
        .size:           4
        .value_kind:     hidden_block_count_y
      - .offset:         736
        .size:           4
        .value_kind:     hidden_block_count_z
      - .offset:         740
        .size:           2
        .value_kind:     hidden_group_size_x
      - .offset:         742
        .size:           2
        .value_kind:     hidden_group_size_y
      - .offset:         744
        .size:           2
        .value_kind:     hidden_group_size_z
      - .offset:         746
        .size:           2
        .value_kind:     hidden_remainder_x
      - .offset:         748
        .size:           2
        .value_kind:     hidden_remainder_y
      - .offset:         750
        .size:           2
        .value_kind:     hidden_remainder_z
      - .offset:         768
        .size:           8
        .value_kind:     hidden_global_offset_x
      - .offset:         776
        .size:           8
        .value_kind:     hidden_global_offset_y
      - .offset:         784
        .size:           8
        .value_kind:     hidden_global_offset_z
      - .offset:         792
        .size:           2
        .value_kind:     hidden_grid_dims
    .group_segment_fixed_size: 1068
    .kernarg_segment_align: 8
    .kernarg_segment_size: 984
    .language:       OpenCL C
    .language_version:
      - 2
      - 0
    .max_flat_workgroup_size: 256
    .name:           _ZN2at6native6mbtopk10gatherTopKIhjLi2EEEvNS_4cuda6detail10TensorInfoIKT_T0_EES8_S8_bjS8_NS5_IS6_S8_EES8_NS5_IlS8_EES8_jjPS6_PjSD_j
    .private_segment_fixed_size: 0
    .sgpr_count:     49
    .sgpr_spill_count: 0
    .symbol:         _ZN2at6native6mbtopk10gatherTopKIhjLi2EEEvNS_4cuda6detail10TensorInfoIKT_T0_EES8_S8_bjS8_NS5_IS6_S8_EES8_NS5_IlS8_EES8_jjPS6_PjSD_j.kd
    .uniform_work_group_size: 1
    .uses_dynamic_stack: false
    .vgpr_count:     25
    .vgpr_spill_count: 0
    .wavefront_size: 32
    .workgroup_processor_mode: 1
  - .args:
      - .offset:         0
        .size:           216
        .value_kind:     by_value
      - .offset:         216
        .size:           4
        .value_kind:     by_value
      - .offset:         220
        .size:           4
        .value_kind:     by_value
      - .offset:         224
        .size:           1
        .value_kind:     by_value
      - .offset:         228
        .size:           4
        .value_kind:     by_value
      - .offset:         232
        .size:           4
        .value_kind:     by_value
      - .offset:         240
        .size:           216
        .value_kind:     by_value
      - .offset:         456
        .size:           4
        .value_kind:     by_value
      - .offset:         464
        .size:           216
        .value_kind:     by_value
      - .offset:         680
        .size:           4
        .value_kind:     by_value
      - .address_space:  global
        .offset:         688
        .size:           8
        .value_kind:     global_buffer
      - .offset:         696
        .size:           4
        .value_kind:     hidden_block_count_x
      - .offset:         700
        .size:           4
        .value_kind:     hidden_block_count_y
      - .offset:         704
        .size:           4
        .value_kind:     hidden_block_count_z
      - .offset:         708
        .size:           2
        .value_kind:     hidden_group_size_x
      - .offset:         710
        .size:           2
        .value_kind:     hidden_group_size_y
      - .offset:         712
        .size:           2
        .value_kind:     hidden_group_size_z
      - .offset:         714
        .size:           2
        .value_kind:     hidden_remainder_x
      - .offset:         716
        .size:           2
        .value_kind:     hidden_remainder_y
      - .offset:         718
        .size:           2
        .value_kind:     hidden_remainder_z
      - .offset:         736
        .size:           8
        .value_kind:     hidden_global_offset_x
      - .offset:         744
        .size:           8
        .value_kind:     hidden_global_offset_y
      - .offset:         752
        .size:           8
        .value_kind:     hidden_global_offset_z
      - .offset:         760
        .size:           2
        .value_kind:     hidden_grid_dims
    .group_segment_fixed_size: 4112
    .kernarg_segment_align: 8
    .kernarg_segment_size: 952
    .language:       OpenCL C
    .language_version:
      - 2
      - 0
    .max_flat_workgroup_size: 1024
    .name:           _ZN2at6native6sbtopk10gatherTopKIhjLi2ELb0EEEvNS_4cuda6detail10TensorInfoIKT_T0_EES8_S8_bS8_S8_NS5_IS6_S8_EES8_NS5_IlS8_EES8_PS6_
    .private_segment_fixed_size: 0
    .sgpr_count:     107
    .sgpr_spill_count: 0
    .symbol:         _ZN2at6native6sbtopk10gatherTopKIhjLi2ELb0EEEvNS_4cuda6detail10TensorInfoIKT_T0_EES8_S8_bS8_S8_NS5_IS6_S8_EES8_NS5_IlS8_EES8_PS6_.kd
    .uniform_work_group_size: 1
    .uses_dynamic_stack: false
    .vgpr_count:     68
    .vgpr_spill_count: 0
    .wavefront_size: 32
    .workgroup_processor_mode: 1
  - .args:
      - .offset:         0
        .size:           216
        .value_kind:     by_value
      - .offset:         216
        .size:           4
        .value_kind:     by_value
      - .address_space:  global
        .offset:         224
        .size:           8
        .value_kind:     global_buffer
      - .offset:         232
        .size:           4
        .value_kind:     by_value
      - .offset:         236
        .size:           4
        .value_kind:     by_value
      - .offset:         240
        .size:           4
        .value_kind:     by_value
      - .offset:         244
        .size:           4
        .value_kind:     by_value
      - .offset:         248
        .size:           4
        .value_kind:     by_value
      - .offset:         252
        .size:           4
        .value_kind:     by_value
      - .address_space:  global
        .offset:         256
        .size:           8
        .value_kind:     global_buffer
      - .address_space:  global
        .offset:         264
        .size:           8
        .value_kind:     global_buffer
      - .offset:         272
        .size:           4
        .value_kind:     hidden_block_count_x
      - .offset:         276
        .size:           4
        .value_kind:     hidden_block_count_y
      - .offset:         280
        .size:           4
        .value_kind:     hidden_block_count_z
      - .offset:         284
        .size:           2
        .value_kind:     hidden_group_size_x
      - .offset:         286
        .size:           2
        .value_kind:     hidden_group_size_y
      - .offset:         288
        .size:           2
        .value_kind:     hidden_group_size_z
      - .offset:         290
        .size:           2
        .value_kind:     hidden_remainder_x
      - .offset:         292
        .size:           2
        .value_kind:     hidden_remainder_y
      - .offset:         294
        .size:           2
        .value_kind:     hidden_remainder_z
      - .offset:         312
        .size:           8
        .value_kind:     hidden_global_offset_x
      - .offset:         320
        .size:           8
        .value_kind:     hidden_global_offset_y
      - .offset:         328
        .size:           8
        .value_kind:     hidden_global_offset_z
      - .offset:         336
        .size:           2
        .value_kind:     hidden_grid_dims
    .group_segment_fixed_size: 1024
    .kernarg_segment_align: 8
    .kernarg_segment_size: 528
    .language:       OpenCL C
    .language_version:
      - 2
      - 0
    .max_flat_workgroup_size: 256
    .name:           _ZN2at6native6mbtopk23computeBlockDigitCountsIhjjLi3EEEvNS_4cuda6detail10TensorInfoIKT_T0_EEjPjjS8_iijT1_PSB_Ps
    .private_segment_fixed_size: 0
    .sgpr_count:     26
    .sgpr_spill_count: 0
    .symbol:         _ZN2at6native6mbtopk23computeBlockDigitCountsIhjjLi3EEEvNS_4cuda6detail10TensorInfoIKT_T0_EEjPjjS8_iijT1_PSB_Ps.kd
    .uniform_work_group_size: 1
    .uses_dynamic_stack: false
    .vgpr_count:     10
    .vgpr_spill_count: 0
    .wavefront_size: 32
    .workgroup_processor_mode: 1
  - .args:
      - .offset:         0
        .size:           216
        .value_kind:     by_value
      - .offset:         216
        .size:           4
        .value_kind:     by_value
      - .offset:         220
        .size:           4
        .value_kind:     by_value
      - .offset:         224
        .size:           1
        .value_kind:     by_value
      - .offset:         228
        .size:           4
        .value_kind:     by_value
      - .offset:         232
        .size:           4
        .value_kind:     by_value
      - .offset:         240
        .size:           216
        .value_kind:     by_value
      - .offset:         456
        .size:           4
        .value_kind:     by_value
      - .offset:         464
        .size:           216
        .value_kind:     by_value
      - .offset:         680
        .size:           4
        .value_kind:     by_value
      - .offset:         684
        .size:           4
        .value_kind:     by_value
      - .offset:         688
        .size:           4
        .value_kind:     by_value
      - .address_space:  global
        .offset:         696
        .size:           8
        .value_kind:     global_buffer
      - .address_space:  global
        .offset:         704
        .size:           8
        .value_kind:     global_buffer
      - .address_space:  global
        .offset:         712
        .size:           8
        .value_kind:     global_buffer
      - .offset:         720
        .size:           4
        .value_kind:     by_value
      - .offset:         728
        .size:           4
        .value_kind:     hidden_block_count_x
      - .offset:         732
        .size:           4
        .value_kind:     hidden_block_count_y
      - .offset:         736
        .size:           4
        .value_kind:     hidden_block_count_z
      - .offset:         740
        .size:           2
        .value_kind:     hidden_group_size_x
      - .offset:         742
        .size:           2
        .value_kind:     hidden_group_size_y
      - .offset:         744
        .size:           2
        .value_kind:     hidden_group_size_z
      - .offset:         746
        .size:           2
        .value_kind:     hidden_remainder_x
      - .offset:         748
        .size:           2
        .value_kind:     hidden_remainder_y
      - .offset:         750
        .size:           2
        .value_kind:     hidden_remainder_z
      - .offset:         768
        .size:           8
        .value_kind:     hidden_global_offset_x
      - .offset:         776
        .size:           8
        .value_kind:     hidden_global_offset_y
      - .offset:         784
        .size:           8
        .value_kind:     hidden_global_offset_z
      - .offset:         792
        .size:           2
        .value_kind:     hidden_grid_dims
    .group_segment_fixed_size: 1068
    .kernarg_segment_align: 8
    .kernarg_segment_size: 984
    .language:       OpenCL C
    .language_version:
      - 2
      - 0
    .max_flat_workgroup_size: 256
    .name:           _ZN2at6native6mbtopk10gatherTopKIhjLi3EEEvNS_4cuda6detail10TensorInfoIKT_T0_EES8_S8_bjS8_NS5_IS6_S8_EES8_NS5_IlS8_EES8_jjPS6_PjSD_j
    .private_segment_fixed_size: 0
    .sgpr_count:     58
    .sgpr_spill_count: 0
    .symbol:         _ZN2at6native6mbtopk10gatherTopKIhjLi3EEEvNS_4cuda6detail10TensorInfoIKT_T0_EES8_S8_bjS8_NS5_IS6_S8_EES8_NS5_IlS8_EES8_jjPS6_PjSD_j.kd
    .uniform_work_group_size: 1
    .uses_dynamic_stack: false
    .vgpr_count:     25
    .vgpr_spill_count: 0
    .wavefront_size: 32
    .workgroup_processor_mode: 1
  - .args:
      - .offset:         0
        .size:           216
        .value_kind:     by_value
      - .offset:         216
        .size:           4
        .value_kind:     by_value
      - .offset:         220
        .size:           4
        .value_kind:     by_value
      - .offset:         224
        .size:           1
        .value_kind:     by_value
      - .offset:         228
        .size:           4
        .value_kind:     by_value
      - .offset:         232
        .size:           4
        .value_kind:     by_value
      - .offset:         240
        .size:           216
        .value_kind:     by_value
      - .offset:         456
        .size:           4
        .value_kind:     by_value
      - .offset:         464
        .size:           216
        .value_kind:     by_value
      - .offset:         680
        .size:           4
        .value_kind:     by_value
      - .address_space:  global
        .offset:         688
        .size:           8
        .value_kind:     global_buffer
      - .offset:         696
        .size:           4
        .value_kind:     hidden_block_count_x
      - .offset:         700
        .size:           4
        .value_kind:     hidden_block_count_y
      - .offset:         704
        .size:           4
        .value_kind:     hidden_block_count_z
      - .offset:         708
        .size:           2
        .value_kind:     hidden_group_size_x
      - .offset:         710
        .size:           2
        .value_kind:     hidden_group_size_y
      - .offset:         712
        .size:           2
        .value_kind:     hidden_group_size_z
      - .offset:         714
        .size:           2
        .value_kind:     hidden_remainder_x
      - .offset:         716
        .size:           2
        .value_kind:     hidden_remainder_y
      - .offset:         718
        .size:           2
        .value_kind:     hidden_remainder_z
      - .offset:         736
        .size:           8
        .value_kind:     hidden_global_offset_x
      - .offset:         744
        .size:           8
        .value_kind:     hidden_global_offset_y
      - .offset:         752
        .size:           8
        .value_kind:     hidden_global_offset_z
      - .offset:         760
        .size:           2
        .value_kind:     hidden_grid_dims
    .group_segment_fixed_size: 4112
    .kernarg_segment_align: 8
    .kernarg_segment_size: 952
    .language:       OpenCL C
    .language_version:
      - 2
      - 0
    .max_flat_workgroup_size: 1024
    .name:           _ZN2at6native6sbtopk10gatherTopKIhjLi3ELb0EEEvNS_4cuda6detail10TensorInfoIKT_T0_EES8_S8_bS8_S8_NS5_IS6_S8_EES8_NS5_IlS8_EES8_PS6_
    .private_segment_fixed_size: 0
    .sgpr_count:     107
    .sgpr_spill_count: 2
    .symbol:         _ZN2at6native6sbtopk10gatherTopKIhjLi3ELb0EEEvNS_4cuda6detail10TensorInfoIKT_T0_EES8_S8_bS8_S8_NS5_IS6_S8_EES8_NS5_IlS8_EES8_PS6_.kd
    .uniform_work_group_size: 1
    .uses_dynamic_stack: false
    .vgpr_count:     69
    .vgpr_spill_count: 0
    .wavefront_size: 32
    .workgroup_processor_mode: 1
  - .args:
      - .offset:         0
        .size:           216
        .value_kind:     by_value
      - .offset:         216
        .size:           4
        .value_kind:     by_value
      - .address_space:  global
        .offset:         224
        .size:           8
        .value_kind:     global_buffer
      - .offset:         232
        .size:           4
        .value_kind:     by_value
      - .offset:         236
        .size:           4
        .value_kind:     by_value
      - .offset:         240
        .size:           4
        .value_kind:     by_value
      - .offset:         244
        .size:           4
        .value_kind:     by_value
      - .offset:         248
        .size:           4
        .value_kind:     by_value
      - .offset:         252
        .size:           4
        .value_kind:     by_value
      - .address_space:  global
        .offset:         256
        .size:           8
        .value_kind:     global_buffer
      - .address_space:  global
        .offset:         264
        .size:           8
        .value_kind:     global_buffer
      - .offset:         272
        .size:           4
        .value_kind:     hidden_block_count_x
      - .offset:         276
        .size:           4
        .value_kind:     hidden_block_count_y
      - .offset:         280
        .size:           4
        .value_kind:     hidden_block_count_z
      - .offset:         284
        .size:           2
        .value_kind:     hidden_group_size_x
      - .offset:         286
        .size:           2
        .value_kind:     hidden_group_size_y
      - .offset:         288
        .size:           2
        .value_kind:     hidden_group_size_z
      - .offset:         290
        .size:           2
        .value_kind:     hidden_remainder_x
      - .offset:         292
        .size:           2
        .value_kind:     hidden_remainder_y
      - .offset:         294
        .size:           2
        .value_kind:     hidden_remainder_z
      - .offset:         312
        .size:           8
        .value_kind:     hidden_global_offset_x
      - .offset:         320
        .size:           8
        .value_kind:     hidden_global_offset_y
      - .offset:         328
        .size:           8
        .value_kind:     hidden_global_offset_z
      - .offset:         336
        .size:           2
        .value_kind:     hidden_grid_dims
    .group_segment_fixed_size: 1024
    .kernarg_segment_align: 8
    .kernarg_segment_size: 528
    .language:       OpenCL C
    .language_version:
      - 2
      - 0
    .max_flat_workgroup_size: 256
    .name:           _ZN2at6native6mbtopk23computeBlockDigitCountsIhjjLin1EEEvNS_4cuda6detail10TensorInfoIKT_T0_EEjPjjS8_iijT1_PSB_Ps
    .private_segment_fixed_size: 0
    .sgpr_count:     26
    .sgpr_spill_count: 0
    .symbol:         _ZN2at6native6mbtopk23computeBlockDigitCountsIhjjLin1EEEvNS_4cuda6detail10TensorInfoIKT_T0_EEjPjjS8_iijT1_PSB_Ps.kd
    .uniform_work_group_size: 1
    .uses_dynamic_stack: false
    .vgpr_count:     10
    .vgpr_spill_count: 0
    .wavefront_size: 32
    .workgroup_processor_mode: 1
  - .args:
      - .offset:         0
        .size:           216
        .value_kind:     by_value
      - .offset:         216
        .size:           4
        .value_kind:     by_value
      - .offset:         220
        .size:           4
        .value_kind:     by_value
      - .offset:         224
        .size:           1
        .value_kind:     by_value
      - .offset:         228
        .size:           4
        .value_kind:     by_value
      - .offset:         232
        .size:           4
        .value_kind:     by_value
      - .offset:         240
        .size:           216
        .value_kind:     by_value
      - .offset:         456
        .size:           4
        .value_kind:     by_value
      - .offset:         464
        .size:           216
        .value_kind:     by_value
      - .offset:         680
        .size:           4
        .value_kind:     by_value
      - .offset:         684
        .size:           4
        .value_kind:     by_value
      - .offset:         688
        .size:           4
        .value_kind:     by_value
      - .address_space:  global
        .offset:         696
        .size:           8
        .value_kind:     global_buffer
      - .address_space:  global
        .offset:         704
        .size:           8
        .value_kind:     global_buffer
      - .address_space:  global
        .offset:         712
        .size:           8
        .value_kind:     global_buffer
      - .offset:         720
        .size:           4
        .value_kind:     by_value
      - .offset:         728
        .size:           4
        .value_kind:     hidden_block_count_x
      - .offset:         732
        .size:           4
        .value_kind:     hidden_block_count_y
      - .offset:         736
        .size:           4
        .value_kind:     hidden_block_count_z
      - .offset:         740
        .size:           2
        .value_kind:     hidden_group_size_x
      - .offset:         742
        .size:           2
        .value_kind:     hidden_group_size_y
      - .offset:         744
        .size:           2
        .value_kind:     hidden_group_size_z
      - .offset:         746
        .size:           2
        .value_kind:     hidden_remainder_x
      - .offset:         748
        .size:           2
        .value_kind:     hidden_remainder_y
      - .offset:         750
        .size:           2
        .value_kind:     hidden_remainder_z
      - .offset:         768
        .size:           8
        .value_kind:     hidden_global_offset_x
      - .offset:         776
        .size:           8
        .value_kind:     hidden_global_offset_y
      - .offset:         784
        .size:           8
        .value_kind:     hidden_global_offset_z
      - .offset:         792
        .size:           2
        .value_kind:     hidden_grid_dims
    .group_segment_fixed_size: 1068
    .kernarg_segment_align: 8
    .kernarg_segment_size: 984
    .language:       OpenCL C
    .language_version:
      - 2
      - 0
    .max_flat_workgroup_size: 256
    .name:           _ZN2at6native6mbtopk10gatherTopKIhjLin1EEEvNS_4cuda6detail10TensorInfoIKT_T0_EES8_S8_bjS8_NS5_IS6_S8_EES8_NS5_IlS8_EES8_jjPS6_PjSD_j
    .private_segment_fixed_size: 0
    .sgpr_count:     44
    .sgpr_spill_count: 0
    .symbol:         _ZN2at6native6mbtopk10gatherTopKIhjLin1EEEvNS_4cuda6detail10TensorInfoIKT_T0_EES8_S8_bjS8_NS5_IS6_S8_EES8_NS5_IlS8_EES8_jjPS6_PjSD_j.kd
    .uniform_work_group_size: 1
    .uses_dynamic_stack: false
    .vgpr_count:     25
    .vgpr_spill_count: 0
    .wavefront_size: 32
    .workgroup_processor_mode: 1
  - .args:
      - .offset:         0
        .size:           216
        .value_kind:     by_value
      - .offset:         216
        .size:           4
        .value_kind:     by_value
      - .offset:         220
        .size:           4
        .value_kind:     by_value
      - .offset:         224
        .size:           1
        .value_kind:     by_value
      - .offset:         228
        .size:           4
        .value_kind:     by_value
      - .offset:         232
        .size:           4
        .value_kind:     by_value
      - .offset:         240
        .size:           216
        .value_kind:     by_value
      - .offset:         456
        .size:           4
        .value_kind:     by_value
      - .offset:         464
        .size:           216
        .value_kind:     by_value
      - .offset:         680
        .size:           4
        .value_kind:     by_value
      - .address_space:  global
        .offset:         688
        .size:           8
        .value_kind:     global_buffer
      - .offset:         696
        .size:           4
        .value_kind:     hidden_block_count_x
      - .offset:         700
        .size:           4
        .value_kind:     hidden_block_count_y
      - .offset:         704
        .size:           4
        .value_kind:     hidden_block_count_z
      - .offset:         708
        .size:           2
        .value_kind:     hidden_group_size_x
      - .offset:         710
        .size:           2
        .value_kind:     hidden_group_size_y
      - .offset:         712
        .size:           2
        .value_kind:     hidden_group_size_z
      - .offset:         714
        .size:           2
        .value_kind:     hidden_remainder_x
      - .offset:         716
        .size:           2
        .value_kind:     hidden_remainder_y
      - .offset:         718
        .size:           2
        .value_kind:     hidden_remainder_z
      - .offset:         736
        .size:           8
        .value_kind:     hidden_global_offset_x
      - .offset:         744
        .size:           8
        .value_kind:     hidden_global_offset_y
      - .offset:         752
        .size:           8
        .value_kind:     hidden_global_offset_z
      - .offset:         760
        .size:           2
        .value_kind:     hidden_grid_dims
    .group_segment_fixed_size: 4112
    .kernarg_segment_align: 8
    .kernarg_segment_size: 952
    .language:       OpenCL C
    .language_version:
      - 2
      - 0
    .max_flat_workgroup_size: 1024
    .name:           _ZN2at6native6sbtopk10gatherTopKIhjLin1ELb0EEEvNS_4cuda6detail10TensorInfoIKT_T0_EES8_S8_bS8_S8_NS5_IS6_S8_EES8_NS5_IlS8_EES8_PS6_
    .private_segment_fixed_size: 0
    .sgpr_count:     100
    .sgpr_spill_count: 0
    .symbol:         _ZN2at6native6sbtopk10gatherTopKIhjLin1ELb0EEEvNS_4cuda6detail10TensorInfoIKT_T0_EES8_S8_bS8_S8_NS5_IS6_S8_EES8_NS5_IlS8_EES8_PS6_.kd
    .uniform_work_group_size: 1
    .uses_dynamic_stack: false
    .vgpr_count:     68
    .vgpr_spill_count: 0
    .wavefront_size: 32
    .workgroup_processor_mode: 1
  - .args:
      - .offset:         0
        .size:           216
        .value_kind:     by_value
      - .offset:         216
        .size:           4
        .value_kind:     by_value
      - .address_space:  global
        .offset:         224
        .size:           8
        .value_kind:     global_buffer
      - .offset:         232
        .size:           4
        .value_kind:     by_value
      - .offset:         236
        .size:           4
        .value_kind:     by_value
      - .offset:         240
        .size:           4
        .value_kind:     by_value
      - .offset:         244
        .size:           4
        .value_kind:     by_value
      - .offset:         248
        .size:           4
        .value_kind:     by_value
      - .offset:         252
        .size:           4
        .value_kind:     by_value
      - .address_space:  global
        .offset:         256
        .size:           8
        .value_kind:     global_buffer
      - .address_space:  global
        .offset:         264
        .size:           8
        .value_kind:     global_buffer
      - .offset:         272
        .size:           4
        .value_kind:     hidden_block_count_x
      - .offset:         276
        .size:           4
        .value_kind:     hidden_block_count_y
      - .offset:         280
        .size:           4
        .value_kind:     hidden_block_count_z
      - .offset:         284
        .size:           2
        .value_kind:     hidden_group_size_x
      - .offset:         286
        .size:           2
        .value_kind:     hidden_group_size_y
      - .offset:         288
        .size:           2
        .value_kind:     hidden_group_size_z
      - .offset:         290
        .size:           2
        .value_kind:     hidden_remainder_x
      - .offset:         292
        .size:           2
        .value_kind:     hidden_remainder_y
      - .offset:         294
        .size:           2
        .value_kind:     hidden_remainder_z
      - .offset:         312
        .size:           8
        .value_kind:     hidden_global_offset_x
      - .offset:         320
        .size:           8
        .value_kind:     hidden_global_offset_y
      - .offset:         328
        .size:           8
        .value_kind:     hidden_global_offset_z
      - .offset:         336
        .size:           2
        .value_kind:     hidden_grid_dims
    .group_segment_fixed_size: 1024
    .kernarg_segment_align: 8
    .kernarg_segment_size: 528
    .language:       OpenCL C
    .language_version:
      - 2
      - 0
    .max_flat_workgroup_size: 256
    .name:           _ZN2at6native6mbtopk23computeBlockDigitCountsIajjLi1EEEvNS_4cuda6detail10TensorInfoIKT_T0_EEjPjjS8_iijT1_PSB_Ps
    .private_segment_fixed_size: 0
    .sgpr_count:     20
    .sgpr_spill_count: 0
    .symbol:         _ZN2at6native6mbtopk23computeBlockDigitCountsIajjLi1EEEvNS_4cuda6detail10TensorInfoIKT_T0_EEjPjjS8_iijT1_PSB_Ps.kd
    .uniform_work_group_size: 1
    .uses_dynamic_stack: false
    .vgpr_count:     10
    .vgpr_spill_count: 0
    .wavefront_size: 32
    .workgroup_processor_mode: 1
  - .args:
      - .address_space:  global
        .offset:         0
        .size:           8
        .value_kind:     global_buffer
      - .address_space:  global
        .offset:         8
        .size:           8
        .value_kind:     global_buffer
      - .address_space:  global
        .offset:         16
        .size:           8
        .value_kind:     global_buffer
      - .offset:         24
        .size:           4
        .value_kind:     by_value
      - .offset:         28
        .size:           4
        .value_kind:     by_value
      - .offset:         32
        .size:           1
        .value_kind:     by_value
      - .address_space:  global
        .offset:         40
        .size:           8
        .value_kind:     global_buffer
      - .address_space:  global
        .offset:         48
        .size:           8
        .value_kind:     global_buffer
      - .address_space:  global
        .offset:         56
        .size:           8
        .value_kind:     global_buffer
      - .address_space:  global
        .offset:         64
        .size:           8
        .value_kind:     global_buffer
      - .address_space:  global
        .offset:         72
        .size:           8
        .value_kind:     global_buffer
      - .offset:         80
        .size:           4
        .value_kind:     by_value
      - .offset:         88
        .size:           4
        .value_kind:     hidden_block_count_x
      - .offset:         92
        .size:           4
        .value_kind:     hidden_block_count_y
      - .offset:         96
        .size:           4
        .value_kind:     hidden_block_count_z
      - .offset:         100
        .size:           2
        .value_kind:     hidden_group_size_x
      - .offset:         102
        .size:           2
        .value_kind:     hidden_group_size_y
      - .offset:         104
        .size:           2
        .value_kind:     hidden_group_size_z
      - .offset:         106
        .size:           2
        .value_kind:     hidden_remainder_x
      - .offset:         108
        .size:           2
        .value_kind:     hidden_remainder_y
      - .offset:         110
        .size:           2
        .value_kind:     hidden_remainder_z
      - .offset:         128
        .size:           8
        .value_kind:     hidden_global_offset_x
      - .offset:         136
        .size:           8
        .value_kind:     hidden_global_offset_y
      - .offset:         144
        .size:           8
        .value_kind:     hidden_global_offset_z
      - .offset:         152
        .size:           2
        .value_kind:     hidden_grid_dims
    .group_segment_fixed_size: 2116
    .kernarg_segment_align: 8
    .kernarg_segment_size: 344
    .language:       OpenCL C
    .language_version:
      - 2
      - 0
    .max_flat_workgroup_size: 256
    .name:           _ZN2at6native6mbtopk29computeBlockwiseWithinKCountsIjaEEvPT_PsPjjibS6_PT0_S6_S4_S6_j
    .private_segment_fixed_size: 0
    .sgpr_count:     28
    .sgpr_spill_count: 0
    .symbol:         _ZN2at6native6mbtopk29computeBlockwiseWithinKCountsIjaEEvPT_PsPjjibS6_PT0_S6_S4_S6_j.kd
    .uniform_work_group_size: 1
    .uses_dynamic_stack: false
    .vgpr_count:     15
    .vgpr_spill_count: 0
    .wavefront_size: 32
    .workgroup_processor_mode: 1
  - .args:
      - .offset:         0
        .size:           216
        .value_kind:     by_value
      - .offset:         216
        .size:           4
        .value_kind:     by_value
      - .offset:         220
        .size:           4
        .value_kind:     by_value
      - .offset:         224
        .size:           1
        .value_kind:     by_value
      - .offset:         228
        .size:           4
        .value_kind:     by_value
      - .offset:         232
        .size:           4
        .value_kind:     by_value
      - .offset:         240
        .size:           216
        .value_kind:     by_value
      - .offset:         456
        .size:           4
        .value_kind:     by_value
      - .offset:         464
        .size:           216
        .value_kind:     by_value
      - .offset:         680
        .size:           4
        .value_kind:     by_value
      - .offset:         684
        .size:           4
        .value_kind:     by_value
      - .offset:         688
        .size:           4
        .value_kind:     by_value
      - .address_space:  global
        .offset:         696
        .size:           8
        .value_kind:     global_buffer
      - .address_space:  global
        .offset:         704
        .size:           8
        .value_kind:     global_buffer
      - .address_space:  global
        .offset:         712
        .size:           8
        .value_kind:     global_buffer
      - .offset:         720
        .size:           4
        .value_kind:     by_value
      - .offset:         728
        .size:           4
        .value_kind:     hidden_block_count_x
      - .offset:         732
        .size:           4
        .value_kind:     hidden_block_count_y
      - .offset:         736
        .size:           4
        .value_kind:     hidden_block_count_z
      - .offset:         740
        .size:           2
        .value_kind:     hidden_group_size_x
      - .offset:         742
        .size:           2
        .value_kind:     hidden_group_size_y
      - .offset:         744
        .size:           2
        .value_kind:     hidden_group_size_z
      - .offset:         746
        .size:           2
        .value_kind:     hidden_remainder_x
      - .offset:         748
        .size:           2
        .value_kind:     hidden_remainder_y
      - .offset:         750
        .size:           2
        .value_kind:     hidden_remainder_z
      - .offset:         768
        .size:           8
        .value_kind:     hidden_global_offset_x
      - .offset:         776
        .size:           8
        .value_kind:     hidden_global_offset_y
      - .offset:         784
        .size:           8
        .value_kind:     hidden_global_offset_z
      - .offset:         792
        .size:           2
        .value_kind:     hidden_grid_dims
    .group_segment_fixed_size: 1068
    .kernarg_segment_align: 8
    .kernarg_segment_size: 984
    .language:       OpenCL C
    .language_version:
      - 2
      - 0
    .max_flat_workgroup_size: 256
    .name:           _ZN2at6native6mbtopk10gatherTopKIajLi1EEEvNS_4cuda6detail10TensorInfoIKT_T0_EES8_S8_bjS8_NS5_IS6_S8_EES8_NS5_IlS8_EES8_jjPS6_PjSD_j
    .private_segment_fixed_size: 0
    .sgpr_count:     37
    .sgpr_spill_count: 0
    .symbol:         _ZN2at6native6mbtopk10gatherTopKIajLi1EEEvNS_4cuda6detail10TensorInfoIKT_T0_EES8_S8_bjS8_NS5_IS6_S8_EES8_NS5_IlS8_EES8_jjPS6_PjSD_j.kd
    .uniform_work_group_size: 1
    .uses_dynamic_stack: false
    .vgpr_count:     27
    .vgpr_spill_count: 0
    .wavefront_size: 32
    .workgroup_processor_mode: 1
  - .args:
      - .offset:         0
        .size:           216
        .value_kind:     by_value
      - .offset:         216
        .size:           4
        .value_kind:     by_value
      - .offset:         220
        .size:           4
        .value_kind:     by_value
      - .offset:         224
        .size:           1
        .value_kind:     by_value
      - .offset:         228
        .size:           4
        .value_kind:     by_value
      - .offset:         232
        .size:           4
        .value_kind:     by_value
      - .offset:         240
        .size:           216
        .value_kind:     by_value
      - .offset:         456
        .size:           4
        .value_kind:     by_value
      - .offset:         464
        .size:           216
        .value_kind:     by_value
      - .offset:         680
        .size:           4
        .value_kind:     by_value
      - .address_space:  global
        .offset:         688
        .size:           8
        .value_kind:     global_buffer
      - .offset:         696
        .size:           4
        .value_kind:     hidden_block_count_x
      - .offset:         700
        .size:           4
        .value_kind:     hidden_block_count_y
      - .offset:         704
        .size:           4
        .value_kind:     hidden_block_count_z
      - .offset:         708
        .size:           2
        .value_kind:     hidden_group_size_x
      - .offset:         710
        .size:           2
        .value_kind:     hidden_group_size_y
      - .offset:         712
        .size:           2
        .value_kind:     hidden_group_size_z
      - .offset:         714
        .size:           2
        .value_kind:     hidden_remainder_x
      - .offset:         716
        .size:           2
        .value_kind:     hidden_remainder_y
      - .offset:         718
        .size:           2
        .value_kind:     hidden_remainder_z
      - .offset:         736
        .size:           8
        .value_kind:     hidden_global_offset_x
      - .offset:         744
        .size:           8
        .value_kind:     hidden_global_offset_y
      - .offset:         752
        .size:           8
        .value_kind:     hidden_global_offset_z
      - .offset:         760
        .size:           2
        .value_kind:     hidden_grid_dims
    .group_segment_fixed_size: 4112
    .kernarg_segment_align: 8
    .kernarg_segment_size: 952
    .language:       OpenCL C
    .language_version:
      - 2
      - 0
    .max_flat_workgroup_size: 1024
    .name:           _ZN2at6native6sbtopk10gatherTopKIajLi1ELb0EEEvNS_4cuda6detail10TensorInfoIKT_T0_EES8_S8_bS8_S8_NS5_IS6_S8_EES8_NS5_IlS8_EES8_PS6_
    .private_segment_fixed_size: 0
    .sgpr_count:     97
    .sgpr_spill_count: 0
    .symbol:         _ZN2at6native6sbtopk10gatherTopKIajLi1ELb0EEEvNS_4cuda6detail10TensorInfoIKT_T0_EES8_S8_bS8_S8_NS5_IS6_S8_EES8_NS5_IlS8_EES8_PS6_.kd
    .uniform_work_group_size: 1
    .uses_dynamic_stack: false
    .vgpr_count:     69
    .vgpr_spill_count: 0
    .wavefront_size: 32
    .workgroup_processor_mode: 1
  - .args:
      - .offset:         0
        .size:           216
        .value_kind:     by_value
      - .offset:         216
        .size:           4
        .value_kind:     by_value
      - .address_space:  global
        .offset:         224
        .size:           8
        .value_kind:     global_buffer
      - .offset:         232
        .size:           4
        .value_kind:     by_value
      - .offset:         236
        .size:           4
        .value_kind:     by_value
      - .offset:         240
        .size:           4
        .value_kind:     by_value
      - .offset:         244
        .size:           4
        .value_kind:     by_value
      - .offset:         248
        .size:           4
        .value_kind:     by_value
      - .offset:         252
        .size:           4
        .value_kind:     by_value
      - .address_space:  global
        .offset:         256
        .size:           8
        .value_kind:     global_buffer
      - .address_space:  global
        .offset:         264
        .size:           8
        .value_kind:     global_buffer
      - .offset:         272
        .size:           4
        .value_kind:     hidden_block_count_x
      - .offset:         276
        .size:           4
        .value_kind:     hidden_block_count_y
      - .offset:         280
        .size:           4
        .value_kind:     hidden_block_count_z
      - .offset:         284
        .size:           2
        .value_kind:     hidden_group_size_x
      - .offset:         286
        .size:           2
        .value_kind:     hidden_group_size_y
      - .offset:         288
        .size:           2
        .value_kind:     hidden_group_size_z
      - .offset:         290
        .size:           2
        .value_kind:     hidden_remainder_x
      - .offset:         292
        .size:           2
        .value_kind:     hidden_remainder_y
      - .offset:         294
        .size:           2
        .value_kind:     hidden_remainder_z
      - .offset:         312
        .size:           8
        .value_kind:     hidden_global_offset_x
      - .offset:         320
        .size:           8
        .value_kind:     hidden_global_offset_y
      - .offset:         328
        .size:           8
        .value_kind:     hidden_global_offset_z
      - .offset:         336
        .size:           2
        .value_kind:     hidden_grid_dims
    .group_segment_fixed_size: 1024
    .kernarg_segment_align: 8
    .kernarg_segment_size: 528
    .language:       OpenCL C
    .language_version:
      - 2
      - 0
    .max_flat_workgroup_size: 256
    .name:           _ZN2at6native6mbtopk23computeBlockDigitCountsIajjLi2EEEvNS_4cuda6detail10TensorInfoIKT_T0_EEjPjjS8_iijT1_PSB_Ps
    .private_segment_fixed_size: 0
    .sgpr_count:     24
    .sgpr_spill_count: 0
    .symbol:         _ZN2at6native6mbtopk23computeBlockDigitCountsIajjLi2EEEvNS_4cuda6detail10TensorInfoIKT_T0_EEjPjjS8_iijT1_PSB_Ps.kd
    .uniform_work_group_size: 1
    .uses_dynamic_stack: false
    .vgpr_count:     10
    .vgpr_spill_count: 0
    .wavefront_size: 32
    .workgroup_processor_mode: 1
  - .args:
      - .offset:         0
        .size:           216
        .value_kind:     by_value
      - .offset:         216
        .size:           4
        .value_kind:     by_value
      - .offset:         220
        .size:           4
        .value_kind:     by_value
      - .offset:         224
        .size:           1
        .value_kind:     by_value
      - .offset:         228
        .size:           4
        .value_kind:     by_value
      - .offset:         232
        .size:           4
        .value_kind:     by_value
      - .offset:         240
        .size:           216
        .value_kind:     by_value
      - .offset:         456
        .size:           4
        .value_kind:     by_value
      - .offset:         464
        .size:           216
        .value_kind:     by_value
      - .offset:         680
        .size:           4
        .value_kind:     by_value
      - .offset:         684
        .size:           4
        .value_kind:     by_value
      - .offset:         688
        .size:           4
        .value_kind:     by_value
      - .address_space:  global
        .offset:         696
        .size:           8
        .value_kind:     global_buffer
      - .address_space:  global
        .offset:         704
        .size:           8
        .value_kind:     global_buffer
      - .address_space:  global
        .offset:         712
        .size:           8
        .value_kind:     global_buffer
      - .offset:         720
        .size:           4
        .value_kind:     by_value
      - .offset:         728
        .size:           4
        .value_kind:     hidden_block_count_x
      - .offset:         732
        .size:           4
        .value_kind:     hidden_block_count_y
      - .offset:         736
        .size:           4
        .value_kind:     hidden_block_count_z
      - .offset:         740
        .size:           2
        .value_kind:     hidden_group_size_x
      - .offset:         742
        .size:           2
        .value_kind:     hidden_group_size_y
      - .offset:         744
        .size:           2
        .value_kind:     hidden_group_size_z
      - .offset:         746
        .size:           2
        .value_kind:     hidden_remainder_x
      - .offset:         748
        .size:           2
        .value_kind:     hidden_remainder_y
      - .offset:         750
        .size:           2
        .value_kind:     hidden_remainder_z
      - .offset:         768
        .size:           8
        .value_kind:     hidden_global_offset_x
      - .offset:         776
        .size:           8
        .value_kind:     hidden_global_offset_y
      - .offset:         784
        .size:           8
        .value_kind:     hidden_global_offset_z
      - .offset:         792
        .size:           2
        .value_kind:     hidden_grid_dims
    .group_segment_fixed_size: 1068
    .kernarg_segment_align: 8
    .kernarg_segment_size: 984
    .language:       OpenCL C
    .language_version:
      - 2
      - 0
    .max_flat_workgroup_size: 256
    .name:           _ZN2at6native6mbtopk10gatherTopKIajLi2EEEvNS_4cuda6detail10TensorInfoIKT_T0_EES8_S8_bjS8_NS5_IS6_S8_EES8_NS5_IlS8_EES8_jjPS6_PjSD_j
    .private_segment_fixed_size: 0
    .sgpr_count:     49
    .sgpr_spill_count: 0
    .symbol:         _ZN2at6native6mbtopk10gatherTopKIajLi2EEEvNS_4cuda6detail10TensorInfoIKT_T0_EES8_S8_bjS8_NS5_IS6_S8_EES8_NS5_IlS8_EES8_jjPS6_PjSD_j.kd
    .uniform_work_group_size: 1
    .uses_dynamic_stack: false
    .vgpr_count:     27
    .vgpr_spill_count: 0
    .wavefront_size: 32
    .workgroup_processor_mode: 1
  - .args:
      - .offset:         0
        .size:           216
        .value_kind:     by_value
      - .offset:         216
        .size:           4
        .value_kind:     by_value
      - .offset:         220
        .size:           4
        .value_kind:     by_value
      - .offset:         224
        .size:           1
        .value_kind:     by_value
      - .offset:         228
        .size:           4
        .value_kind:     by_value
      - .offset:         232
        .size:           4
        .value_kind:     by_value
      - .offset:         240
        .size:           216
        .value_kind:     by_value
      - .offset:         456
        .size:           4
        .value_kind:     by_value
      - .offset:         464
        .size:           216
        .value_kind:     by_value
      - .offset:         680
        .size:           4
        .value_kind:     by_value
      - .address_space:  global
        .offset:         688
        .size:           8
        .value_kind:     global_buffer
      - .offset:         696
        .size:           4
        .value_kind:     hidden_block_count_x
      - .offset:         700
        .size:           4
        .value_kind:     hidden_block_count_y
      - .offset:         704
        .size:           4
        .value_kind:     hidden_block_count_z
      - .offset:         708
        .size:           2
        .value_kind:     hidden_group_size_x
      - .offset:         710
        .size:           2
        .value_kind:     hidden_group_size_y
      - .offset:         712
        .size:           2
        .value_kind:     hidden_group_size_z
      - .offset:         714
        .size:           2
        .value_kind:     hidden_remainder_x
      - .offset:         716
        .size:           2
        .value_kind:     hidden_remainder_y
      - .offset:         718
        .size:           2
        .value_kind:     hidden_remainder_z
      - .offset:         736
        .size:           8
        .value_kind:     hidden_global_offset_x
      - .offset:         744
        .size:           8
        .value_kind:     hidden_global_offset_y
      - .offset:         752
        .size:           8
        .value_kind:     hidden_global_offset_z
      - .offset:         760
        .size:           2
        .value_kind:     hidden_grid_dims
    .group_segment_fixed_size: 4112
    .kernarg_segment_align: 8
    .kernarg_segment_size: 952
    .language:       OpenCL C
    .language_version:
      - 2
      - 0
    .max_flat_workgroup_size: 1024
    .name:           _ZN2at6native6sbtopk10gatherTopKIajLi2ELb0EEEvNS_4cuda6detail10TensorInfoIKT_T0_EES8_S8_bS8_S8_NS5_IS6_S8_EES8_NS5_IlS8_EES8_PS6_
    .private_segment_fixed_size: 0
    .sgpr_count:     107
    .sgpr_spill_count: 0
    .symbol:         _ZN2at6native6sbtopk10gatherTopKIajLi2ELb0EEEvNS_4cuda6detail10TensorInfoIKT_T0_EES8_S8_bS8_S8_NS5_IS6_S8_EES8_NS5_IlS8_EES8_PS6_.kd
    .uniform_work_group_size: 1
    .uses_dynamic_stack: false
    .vgpr_count:     69
    .vgpr_spill_count: 0
    .wavefront_size: 32
    .workgroup_processor_mode: 1
  - .args:
      - .offset:         0
        .size:           216
        .value_kind:     by_value
      - .offset:         216
        .size:           4
        .value_kind:     by_value
      - .address_space:  global
        .offset:         224
        .size:           8
        .value_kind:     global_buffer
      - .offset:         232
        .size:           4
        .value_kind:     by_value
      - .offset:         236
        .size:           4
        .value_kind:     by_value
      - .offset:         240
        .size:           4
        .value_kind:     by_value
      - .offset:         244
        .size:           4
        .value_kind:     by_value
      - .offset:         248
        .size:           4
        .value_kind:     by_value
      - .offset:         252
        .size:           4
        .value_kind:     by_value
      - .address_space:  global
        .offset:         256
        .size:           8
        .value_kind:     global_buffer
      - .address_space:  global
        .offset:         264
        .size:           8
        .value_kind:     global_buffer
      - .offset:         272
        .size:           4
        .value_kind:     hidden_block_count_x
      - .offset:         276
        .size:           4
        .value_kind:     hidden_block_count_y
      - .offset:         280
        .size:           4
        .value_kind:     hidden_block_count_z
      - .offset:         284
        .size:           2
        .value_kind:     hidden_group_size_x
      - .offset:         286
        .size:           2
        .value_kind:     hidden_group_size_y
      - .offset:         288
        .size:           2
        .value_kind:     hidden_group_size_z
      - .offset:         290
        .size:           2
        .value_kind:     hidden_remainder_x
      - .offset:         292
        .size:           2
        .value_kind:     hidden_remainder_y
      - .offset:         294
        .size:           2
        .value_kind:     hidden_remainder_z
      - .offset:         312
        .size:           8
        .value_kind:     hidden_global_offset_x
      - .offset:         320
        .size:           8
        .value_kind:     hidden_global_offset_y
      - .offset:         328
        .size:           8
        .value_kind:     hidden_global_offset_z
      - .offset:         336
        .size:           2
        .value_kind:     hidden_grid_dims
    .group_segment_fixed_size: 1024
    .kernarg_segment_align: 8
    .kernarg_segment_size: 528
    .language:       OpenCL C
    .language_version:
      - 2
      - 0
    .max_flat_workgroup_size: 256
    .name:           _ZN2at6native6mbtopk23computeBlockDigitCountsIajjLi3EEEvNS_4cuda6detail10TensorInfoIKT_T0_EEjPjjS8_iijT1_PSB_Ps
    .private_segment_fixed_size: 0
    .sgpr_count:     26
    .sgpr_spill_count: 0
    .symbol:         _ZN2at6native6mbtopk23computeBlockDigitCountsIajjLi3EEEvNS_4cuda6detail10TensorInfoIKT_T0_EEjPjjS8_iijT1_PSB_Ps.kd
    .uniform_work_group_size: 1
    .uses_dynamic_stack: false
    .vgpr_count:     10
    .vgpr_spill_count: 0
    .wavefront_size: 32
    .workgroup_processor_mode: 1
  - .args:
      - .offset:         0
        .size:           216
        .value_kind:     by_value
      - .offset:         216
        .size:           4
        .value_kind:     by_value
      - .offset:         220
        .size:           4
        .value_kind:     by_value
      - .offset:         224
        .size:           1
        .value_kind:     by_value
      - .offset:         228
        .size:           4
        .value_kind:     by_value
      - .offset:         232
        .size:           4
        .value_kind:     by_value
      - .offset:         240
        .size:           216
        .value_kind:     by_value
      - .offset:         456
        .size:           4
        .value_kind:     by_value
      - .offset:         464
        .size:           216
        .value_kind:     by_value
      - .offset:         680
        .size:           4
        .value_kind:     by_value
      - .offset:         684
        .size:           4
        .value_kind:     by_value
      - .offset:         688
        .size:           4
        .value_kind:     by_value
      - .address_space:  global
        .offset:         696
        .size:           8
        .value_kind:     global_buffer
      - .address_space:  global
        .offset:         704
        .size:           8
        .value_kind:     global_buffer
      - .address_space:  global
        .offset:         712
        .size:           8
        .value_kind:     global_buffer
      - .offset:         720
        .size:           4
        .value_kind:     by_value
      - .offset:         728
        .size:           4
        .value_kind:     hidden_block_count_x
      - .offset:         732
        .size:           4
        .value_kind:     hidden_block_count_y
      - .offset:         736
        .size:           4
        .value_kind:     hidden_block_count_z
      - .offset:         740
        .size:           2
        .value_kind:     hidden_group_size_x
      - .offset:         742
        .size:           2
        .value_kind:     hidden_group_size_y
      - .offset:         744
        .size:           2
        .value_kind:     hidden_group_size_z
      - .offset:         746
        .size:           2
        .value_kind:     hidden_remainder_x
      - .offset:         748
        .size:           2
        .value_kind:     hidden_remainder_y
      - .offset:         750
        .size:           2
        .value_kind:     hidden_remainder_z
      - .offset:         768
        .size:           8
        .value_kind:     hidden_global_offset_x
      - .offset:         776
        .size:           8
        .value_kind:     hidden_global_offset_y
      - .offset:         784
        .size:           8
        .value_kind:     hidden_global_offset_z
      - .offset:         792
        .size:           2
        .value_kind:     hidden_grid_dims
    .group_segment_fixed_size: 1068
    .kernarg_segment_align: 8
    .kernarg_segment_size: 984
    .language:       OpenCL C
    .language_version:
      - 2
      - 0
    .max_flat_workgroup_size: 256
    .name:           _ZN2at6native6mbtopk10gatherTopKIajLi3EEEvNS_4cuda6detail10TensorInfoIKT_T0_EES8_S8_bjS8_NS5_IS6_S8_EES8_NS5_IlS8_EES8_jjPS6_PjSD_j
    .private_segment_fixed_size: 0
    .sgpr_count:     58
    .sgpr_spill_count: 0
    .symbol:         _ZN2at6native6mbtopk10gatherTopKIajLi3EEEvNS_4cuda6detail10TensorInfoIKT_T0_EES8_S8_bjS8_NS5_IS6_S8_EES8_NS5_IlS8_EES8_jjPS6_PjSD_j.kd
    .uniform_work_group_size: 1
    .uses_dynamic_stack: false
    .vgpr_count:     27
    .vgpr_spill_count: 0
    .wavefront_size: 32
    .workgroup_processor_mode: 1
  - .args:
      - .offset:         0
        .size:           216
        .value_kind:     by_value
      - .offset:         216
        .size:           4
        .value_kind:     by_value
      - .offset:         220
        .size:           4
        .value_kind:     by_value
      - .offset:         224
        .size:           1
        .value_kind:     by_value
      - .offset:         228
        .size:           4
        .value_kind:     by_value
      - .offset:         232
        .size:           4
        .value_kind:     by_value
      - .offset:         240
        .size:           216
        .value_kind:     by_value
      - .offset:         456
        .size:           4
        .value_kind:     by_value
      - .offset:         464
        .size:           216
        .value_kind:     by_value
      - .offset:         680
        .size:           4
        .value_kind:     by_value
      - .address_space:  global
        .offset:         688
        .size:           8
        .value_kind:     global_buffer
      - .offset:         696
        .size:           4
        .value_kind:     hidden_block_count_x
      - .offset:         700
        .size:           4
        .value_kind:     hidden_block_count_y
      - .offset:         704
        .size:           4
        .value_kind:     hidden_block_count_z
      - .offset:         708
        .size:           2
        .value_kind:     hidden_group_size_x
      - .offset:         710
        .size:           2
        .value_kind:     hidden_group_size_y
      - .offset:         712
        .size:           2
        .value_kind:     hidden_group_size_z
      - .offset:         714
        .size:           2
        .value_kind:     hidden_remainder_x
      - .offset:         716
        .size:           2
        .value_kind:     hidden_remainder_y
      - .offset:         718
        .size:           2
        .value_kind:     hidden_remainder_z
      - .offset:         736
        .size:           8
        .value_kind:     hidden_global_offset_x
      - .offset:         744
        .size:           8
        .value_kind:     hidden_global_offset_y
      - .offset:         752
        .size:           8
        .value_kind:     hidden_global_offset_z
      - .offset:         760
        .size:           2
        .value_kind:     hidden_grid_dims
    .group_segment_fixed_size: 4112
    .kernarg_segment_align: 8
    .kernarg_segment_size: 952
    .language:       OpenCL C
    .language_version:
      - 2
      - 0
    .max_flat_workgroup_size: 1024
    .name:           _ZN2at6native6sbtopk10gatherTopKIajLi3ELb0EEEvNS_4cuda6detail10TensorInfoIKT_T0_EES8_S8_bS8_S8_NS5_IS6_S8_EES8_NS5_IlS8_EES8_PS6_
    .private_segment_fixed_size: 0
    .sgpr_count:     107
    .sgpr_spill_count: 2
    .symbol:         _ZN2at6native6sbtopk10gatherTopKIajLi3ELb0EEEvNS_4cuda6detail10TensorInfoIKT_T0_EES8_S8_bS8_S8_NS5_IS6_S8_EES8_NS5_IlS8_EES8_PS6_.kd
    .uniform_work_group_size: 1
    .uses_dynamic_stack: false
    .vgpr_count:     70
    .vgpr_spill_count: 0
    .wavefront_size: 32
    .workgroup_processor_mode: 1
  - .args:
      - .offset:         0
        .size:           216
        .value_kind:     by_value
      - .offset:         216
        .size:           4
        .value_kind:     by_value
      - .address_space:  global
        .offset:         224
        .size:           8
        .value_kind:     global_buffer
      - .offset:         232
        .size:           4
        .value_kind:     by_value
      - .offset:         236
        .size:           4
        .value_kind:     by_value
      - .offset:         240
        .size:           4
        .value_kind:     by_value
      - .offset:         244
        .size:           4
        .value_kind:     by_value
      - .offset:         248
        .size:           4
        .value_kind:     by_value
      - .offset:         252
        .size:           4
        .value_kind:     by_value
      - .address_space:  global
        .offset:         256
        .size:           8
        .value_kind:     global_buffer
      - .address_space:  global
        .offset:         264
        .size:           8
        .value_kind:     global_buffer
      - .offset:         272
        .size:           4
        .value_kind:     hidden_block_count_x
      - .offset:         276
        .size:           4
        .value_kind:     hidden_block_count_y
      - .offset:         280
        .size:           4
        .value_kind:     hidden_block_count_z
      - .offset:         284
        .size:           2
        .value_kind:     hidden_group_size_x
      - .offset:         286
        .size:           2
        .value_kind:     hidden_group_size_y
      - .offset:         288
        .size:           2
        .value_kind:     hidden_group_size_z
      - .offset:         290
        .size:           2
        .value_kind:     hidden_remainder_x
      - .offset:         292
        .size:           2
        .value_kind:     hidden_remainder_y
      - .offset:         294
        .size:           2
        .value_kind:     hidden_remainder_z
      - .offset:         312
        .size:           8
        .value_kind:     hidden_global_offset_x
      - .offset:         320
        .size:           8
        .value_kind:     hidden_global_offset_y
      - .offset:         328
        .size:           8
        .value_kind:     hidden_global_offset_z
      - .offset:         336
        .size:           2
        .value_kind:     hidden_grid_dims
    .group_segment_fixed_size: 1024
    .kernarg_segment_align: 8
    .kernarg_segment_size: 528
    .language:       OpenCL C
    .language_version:
      - 2
      - 0
    .max_flat_workgroup_size: 256
    .name:           _ZN2at6native6mbtopk23computeBlockDigitCountsIajjLin1EEEvNS_4cuda6detail10TensorInfoIKT_T0_EEjPjjS8_iijT1_PSB_Ps
    .private_segment_fixed_size: 0
    .sgpr_count:     26
    .sgpr_spill_count: 0
    .symbol:         _ZN2at6native6mbtopk23computeBlockDigitCountsIajjLin1EEEvNS_4cuda6detail10TensorInfoIKT_T0_EEjPjjS8_iijT1_PSB_Ps.kd
    .uniform_work_group_size: 1
    .uses_dynamic_stack: false
    .vgpr_count:     10
    .vgpr_spill_count: 0
    .wavefront_size: 32
    .workgroup_processor_mode: 1
  - .args:
      - .offset:         0
        .size:           216
        .value_kind:     by_value
      - .offset:         216
        .size:           4
        .value_kind:     by_value
      - .offset:         220
        .size:           4
        .value_kind:     by_value
      - .offset:         224
        .size:           1
        .value_kind:     by_value
      - .offset:         228
        .size:           4
        .value_kind:     by_value
      - .offset:         232
        .size:           4
        .value_kind:     by_value
      - .offset:         240
        .size:           216
        .value_kind:     by_value
      - .offset:         456
        .size:           4
        .value_kind:     by_value
      - .offset:         464
        .size:           216
        .value_kind:     by_value
      - .offset:         680
        .size:           4
        .value_kind:     by_value
      - .offset:         684
        .size:           4
        .value_kind:     by_value
      - .offset:         688
        .size:           4
        .value_kind:     by_value
      - .address_space:  global
        .offset:         696
        .size:           8
        .value_kind:     global_buffer
      - .address_space:  global
        .offset:         704
        .size:           8
        .value_kind:     global_buffer
      - .address_space:  global
        .offset:         712
        .size:           8
        .value_kind:     global_buffer
      - .offset:         720
        .size:           4
        .value_kind:     by_value
      - .offset:         728
        .size:           4
        .value_kind:     hidden_block_count_x
      - .offset:         732
        .size:           4
        .value_kind:     hidden_block_count_y
      - .offset:         736
        .size:           4
        .value_kind:     hidden_block_count_z
      - .offset:         740
        .size:           2
        .value_kind:     hidden_group_size_x
      - .offset:         742
        .size:           2
        .value_kind:     hidden_group_size_y
      - .offset:         744
        .size:           2
        .value_kind:     hidden_group_size_z
      - .offset:         746
        .size:           2
        .value_kind:     hidden_remainder_x
      - .offset:         748
        .size:           2
        .value_kind:     hidden_remainder_y
      - .offset:         750
        .size:           2
        .value_kind:     hidden_remainder_z
      - .offset:         768
        .size:           8
        .value_kind:     hidden_global_offset_x
      - .offset:         776
        .size:           8
        .value_kind:     hidden_global_offset_y
      - .offset:         784
        .size:           8
        .value_kind:     hidden_global_offset_z
      - .offset:         792
        .size:           2
        .value_kind:     hidden_grid_dims
    .group_segment_fixed_size: 1068
    .kernarg_segment_align: 8
    .kernarg_segment_size: 984
    .language:       OpenCL C
    .language_version:
      - 2
      - 0
    .max_flat_workgroup_size: 256
    .name:           _ZN2at6native6mbtopk10gatherTopKIajLin1EEEvNS_4cuda6detail10TensorInfoIKT_T0_EES8_S8_bjS8_NS5_IS6_S8_EES8_NS5_IlS8_EES8_jjPS6_PjSD_j
    .private_segment_fixed_size: 0
    .sgpr_count:     44
    .sgpr_spill_count: 0
    .symbol:         _ZN2at6native6mbtopk10gatherTopKIajLin1EEEvNS_4cuda6detail10TensorInfoIKT_T0_EES8_S8_bjS8_NS5_IS6_S8_EES8_NS5_IlS8_EES8_jjPS6_PjSD_j.kd
    .uniform_work_group_size: 1
    .uses_dynamic_stack: false
    .vgpr_count:     27
    .vgpr_spill_count: 0
    .wavefront_size: 32
    .workgroup_processor_mode: 1
  - .args:
      - .offset:         0
        .size:           216
        .value_kind:     by_value
      - .offset:         216
        .size:           4
        .value_kind:     by_value
      - .offset:         220
        .size:           4
        .value_kind:     by_value
      - .offset:         224
        .size:           1
        .value_kind:     by_value
      - .offset:         228
        .size:           4
        .value_kind:     by_value
      - .offset:         232
        .size:           4
        .value_kind:     by_value
      - .offset:         240
        .size:           216
        .value_kind:     by_value
      - .offset:         456
        .size:           4
        .value_kind:     by_value
      - .offset:         464
        .size:           216
        .value_kind:     by_value
      - .offset:         680
        .size:           4
        .value_kind:     by_value
      - .address_space:  global
        .offset:         688
        .size:           8
        .value_kind:     global_buffer
      - .offset:         696
        .size:           4
        .value_kind:     hidden_block_count_x
      - .offset:         700
        .size:           4
        .value_kind:     hidden_block_count_y
      - .offset:         704
        .size:           4
        .value_kind:     hidden_block_count_z
      - .offset:         708
        .size:           2
        .value_kind:     hidden_group_size_x
      - .offset:         710
        .size:           2
        .value_kind:     hidden_group_size_y
      - .offset:         712
        .size:           2
        .value_kind:     hidden_group_size_z
      - .offset:         714
        .size:           2
        .value_kind:     hidden_remainder_x
      - .offset:         716
        .size:           2
        .value_kind:     hidden_remainder_y
      - .offset:         718
        .size:           2
        .value_kind:     hidden_remainder_z
      - .offset:         736
        .size:           8
        .value_kind:     hidden_global_offset_x
      - .offset:         744
        .size:           8
        .value_kind:     hidden_global_offset_y
      - .offset:         752
        .size:           8
        .value_kind:     hidden_global_offset_z
      - .offset:         760
        .size:           2
        .value_kind:     hidden_grid_dims
    .group_segment_fixed_size: 4112
    .kernarg_segment_align: 8
    .kernarg_segment_size: 952
    .language:       OpenCL C
    .language_version:
      - 2
      - 0
    .max_flat_workgroup_size: 1024
    .name:           _ZN2at6native6sbtopk10gatherTopKIajLin1ELb0EEEvNS_4cuda6detail10TensorInfoIKT_T0_EES8_S8_bS8_S8_NS5_IS6_S8_EES8_NS5_IlS8_EES8_PS6_
    .private_segment_fixed_size: 0
    .sgpr_count:     100
    .sgpr_spill_count: 0
    .symbol:         _ZN2at6native6sbtopk10gatherTopKIajLin1ELb0EEEvNS_4cuda6detail10TensorInfoIKT_T0_EES8_S8_bS8_S8_NS5_IS6_S8_EES8_NS5_IlS8_EES8_PS6_.kd
    .uniform_work_group_size: 1
    .uses_dynamic_stack: false
    .vgpr_count:     69
    .vgpr_spill_count: 0
    .wavefront_size: 32
    .workgroup_processor_mode: 1
  - .args:
      - .offset:         0
        .size:           216
        .value_kind:     by_value
      - .offset:         216
        .size:           4
        .value_kind:     by_value
      - .address_space:  global
        .offset:         224
        .size:           8
        .value_kind:     global_buffer
      - .offset:         232
        .size:           4
        .value_kind:     by_value
      - .offset:         236
        .size:           4
        .value_kind:     by_value
      - .offset:         240
        .size:           4
        .value_kind:     by_value
      - .offset:         244
        .size:           4
        .value_kind:     by_value
      - .offset:         248
        .size:           4
        .value_kind:     by_value
      - .offset:         252
        .size:           4
        .value_kind:     by_value
      - .address_space:  global
        .offset:         256
        .size:           8
        .value_kind:     global_buffer
      - .address_space:  global
        .offset:         264
        .size:           8
        .value_kind:     global_buffer
      - .offset:         272
        .size:           4
        .value_kind:     hidden_block_count_x
      - .offset:         276
        .size:           4
        .value_kind:     hidden_block_count_y
      - .offset:         280
        .size:           4
        .value_kind:     hidden_block_count_z
      - .offset:         284
        .size:           2
        .value_kind:     hidden_group_size_x
      - .offset:         286
        .size:           2
        .value_kind:     hidden_group_size_y
      - .offset:         288
        .size:           2
        .value_kind:     hidden_group_size_z
      - .offset:         290
        .size:           2
        .value_kind:     hidden_remainder_x
      - .offset:         292
        .size:           2
        .value_kind:     hidden_remainder_y
      - .offset:         294
        .size:           2
        .value_kind:     hidden_remainder_z
      - .offset:         312
        .size:           8
        .value_kind:     hidden_global_offset_x
      - .offset:         320
        .size:           8
        .value_kind:     hidden_global_offset_y
      - .offset:         328
        .size:           8
        .value_kind:     hidden_global_offset_z
      - .offset:         336
        .size:           2
        .value_kind:     hidden_grid_dims
    .group_segment_fixed_size: 1024
    .kernarg_segment_align: 8
    .kernarg_segment_size: 528
    .language:       OpenCL C
    .language_version:
      - 2
      - 0
    .max_flat_workgroup_size: 256
    .name:           _ZN2at6native6mbtopk23computeBlockDigitCountsIijjLi1EEEvNS_4cuda6detail10TensorInfoIKT_T0_EEjPjjS8_iijT1_PSB_Ps
    .private_segment_fixed_size: 0
    .sgpr_count:     22
    .sgpr_spill_count: 0
    .symbol:         _ZN2at6native6mbtopk23computeBlockDigitCountsIijjLi1EEEvNS_4cuda6detail10TensorInfoIKT_T0_EEjPjjS8_iijT1_PSB_Ps.kd
    .uniform_work_group_size: 1
    .uses_dynamic_stack: false
    .vgpr_count:     12
    .vgpr_spill_count: 0
    .wavefront_size: 32
    .workgroup_processor_mode: 1
  - .args:
      - .address_space:  global
        .offset:         0
        .size:           8
        .value_kind:     global_buffer
      - .address_space:  global
        .offset:         8
        .size:           8
        .value_kind:     global_buffer
      - .address_space:  global
        .offset:         16
        .size:           8
        .value_kind:     global_buffer
      - .offset:         24
        .size:           4
        .value_kind:     by_value
      - .offset:         28
        .size:           4
        .value_kind:     by_value
      - .offset:         32
        .size:           1
        .value_kind:     by_value
      - .address_space:  global
        .offset:         40
        .size:           8
        .value_kind:     global_buffer
      - .address_space:  global
        .offset:         48
        .size:           8
        .value_kind:     global_buffer
      - .address_space:  global
        .offset:         56
        .size:           8
        .value_kind:     global_buffer
      - .address_space:  global
        .offset:         64
        .size:           8
        .value_kind:     global_buffer
      - .address_space:  global
        .offset:         72
        .size:           8
        .value_kind:     global_buffer
      - .offset:         80
        .size:           4
        .value_kind:     by_value
      - .offset:         88
        .size:           4
        .value_kind:     hidden_block_count_x
      - .offset:         92
        .size:           4
        .value_kind:     hidden_block_count_y
      - .offset:         96
        .size:           4
        .value_kind:     hidden_block_count_z
      - .offset:         100
        .size:           2
        .value_kind:     hidden_group_size_x
      - .offset:         102
        .size:           2
        .value_kind:     hidden_group_size_y
      - .offset:         104
        .size:           2
        .value_kind:     hidden_group_size_z
      - .offset:         106
        .size:           2
        .value_kind:     hidden_remainder_x
      - .offset:         108
        .size:           2
        .value_kind:     hidden_remainder_y
      - .offset:         110
        .size:           2
        .value_kind:     hidden_remainder_z
      - .offset:         128
        .size:           8
        .value_kind:     hidden_global_offset_x
      - .offset:         136
        .size:           8
        .value_kind:     hidden_global_offset_y
      - .offset:         144
        .size:           8
        .value_kind:     hidden_global_offset_z
      - .offset:         152
        .size:           2
        .value_kind:     hidden_grid_dims
    .group_segment_fixed_size: 2116
    .kernarg_segment_align: 8
    .kernarg_segment_size: 344
    .language:       OpenCL C
    .language_version:
      - 2
      - 0
    .max_flat_workgroup_size: 256
    .name:           _ZN2at6native6mbtopk29computeBlockwiseWithinKCountsIjiEEvPT_PsPjjibS6_PT0_S6_S4_S6_j
    .private_segment_fixed_size: 0
    .sgpr_count:     28
    .sgpr_spill_count: 0
    .symbol:         _ZN2at6native6mbtopk29computeBlockwiseWithinKCountsIjiEEvPT_PsPjjibS6_PT0_S6_S4_S6_j.kd
    .uniform_work_group_size: 1
    .uses_dynamic_stack: false
    .vgpr_count:     15
    .vgpr_spill_count: 0
    .wavefront_size: 32
    .workgroup_processor_mode: 1
  - .args:
      - .offset:         0
        .size:           216
        .value_kind:     by_value
      - .offset:         216
        .size:           4
        .value_kind:     by_value
      - .offset:         220
        .size:           4
        .value_kind:     by_value
      - .offset:         224
        .size:           1
        .value_kind:     by_value
      - .offset:         228
        .size:           4
        .value_kind:     by_value
      - .offset:         232
        .size:           4
        .value_kind:     by_value
      - .offset:         240
        .size:           216
        .value_kind:     by_value
      - .offset:         456
        .size:           4
        .value_kind:     by_value
      - .offset:         464
        .size:           216
        .value_kind:     by_value
      - .offset:         680
        .size:           4
        .value_kind:     by_value
      - .offset:         684
        .size:           4
        .value_kind:     by_value
      - .offset:         688
        .size:           4
        .value_kind:     by_value
      - .address_space:  global
        .offset:         696
        .size:           8
        .value_kind:     global_buffer
      - .address_space:  global
        .offset:         704
        .size:           8
        .value_kind:     global_buffer
      - .address_space:  global
        .offset:         712
        .size:           8
        .value_kind:     global_buffer
      - .offset:         720
        .size:           4
        .value_kind:     by_value
      - .offset:         728
        .size:           4
        .value_kind:     hidden_block_count_x
      - .offset:         732
        .size:           4
        .value_kind:     hidden_block_count_y
      - .offset:         736
        .size:           4
        .value_kind:     hidden_block_count_z
      - .offset:         740
        .size:           2
        .value_kind:     hidden_group_size_x
      - .offset:         742
        .size:           2
        .value_kind:     hidden_group_size_y
      - .offset:         744
        .size:           2
        .value_kind:     hidden_group_size_z
      - .offset:         746
        .size:           2
        .value_kind:     hidden_remainder_x
      - .offset:         748
        .size:           2
        .value_kind:     hidden_remainder_y
      - .offset:         750
        .size:           2
        .value_kind:     hidden_remainder_z
      - .offset:         768
        .size:           8
        .value_kind:     hidden_global_offset_x
      - .offset:         776
        .size:           8
        .value_kind:     hidden_global_offset_y
      - .offset:         784
        .size:           8
        .value_kind:     hidden_global_offset_z
      - .offset:         792
        .size:           2
        .value_kind:     hidden_grid_dims
    .group_segment_fixed_size: 1068
    .kernarg_segment_align: 8
    .kernarg_segment_size: 984
    .language:       OpenCL C
    .language_version:
      - 2
      - 0
    .max_flat_workgroup_size: 256
    .name:           _ZN2at6native6mbtopk10gatherTopKIijLi1EEEvNS_4cuda6detail10TensorInfoIKT_T0_EES8_S8_bjS8_NS5_IS6_S8_EES8_NS5_IlS8_EES8_jjPS6_PjSD_j
    .private_segment_fixed_size: 0
    .sgpr_count:     38
    .sgpr_spill_count: 0
    .symbol:         _ZN2at6native6mbtopk10gatherTopKIijLi1EEEvNS_4cuda6detail10TensorInfoIKT_T0_EES8_S8_bjS8_NS5_IS6_S8_EES8_NS5_IlS8_EES8_jjPS6_PjSD_j.kd
    .uniform_work_group_size: 1
    .uses_dynamic_stack: false
    .vgpr_count:     24
    .vgpr_spill_count: 0
    .wavefront_size: 32
    .workgroup_processor_mode: 1
  - .args:
      - .offset:         0
        .size:           216
        .value_kind:     by_value
      - .offset:         216
        .size:           4
        .value_kind:     by_value
      - .offset:         220
        .size:           4
        .value_kind:     by_value
      - .offset:         224
        .size:           1
        .value_kind:     by_value
      - .offset:         228
        .size:           4
        .value_kind:     by_value
      - .offset:         232
        .size:           4
        .value_kind:     by_value
      - .offset:         240
        .size:           216
        .value_kind:     by_value
      - .offset:         456
        .size:           4
        .value_kind:     by_value
      - .offset:         464
        .size:           216
        .value_kind:     by_value
      - .offset:         680
        .size:           4
        .value_kind:     by_value
      - .address_space:  global
        .offset:         688
        .size:           8
        .value_kind:     global_buffer
      - .offset:         696
        .size:           4
        .value_kind:     hidden_block_count_x
      - .offset:         700
        .size:           4
        .value_kind:     hidden_block_count_y
      - .offset:         704
        .size:           4
        .value_kind:     hidden_block_count_z
      - .offset:         708
        .size:           2
        .value_kind:     hidden_group_size_x
      - .offset:         710
        .size:           2
        .value_kind:     hidden_group_size_y
      - .offset:         712
        .size:           2
        .value_kind:     hidden_group_size_z
      - .offset:         714
        .size:           2
        .value_kind:     hidden_remainder_x
      - .offset:         716
        .size:           2
        .value_kind:     hidden_remainder_y
      - .offset:         718
        .size:           2
        .value_kind:     hidden_remainder_z
      - .offset:         736
        .size:           8
        .value_kind:     hidden_global_offset_x
      - .offset:         744
        .size:           8
        .value_kind:     hidden_global_offset_y
      - .offset:         752
        .size:           8
        .value_kind:     hidden_global_offset_z
      - .offset:         760
        .size:           2
        .value_kind:     hidden_grid_dims
    .group_segment_fixed_size: 4112
    .kernarg_segment_align: 8
    .kernarg_segment_size: 952
    .language:       OpenCL C
    .language_version:
      - 2
      - 0
    .max_flat_workgroup_size: 1024
    .name:           _ZN2at6native6sbtopk10gatherTopKIijLi1ELb0EEEvNS_4cuda6detail10TensorInfoIKT_T0_EES8_S8_bS8_S8_NS5_IS6_S8_EES8_NS5_IlS8_EES8_PS6_
    .private_segment_fixed_size: 0
    .sgpr_count:     91
    .sgpr_spill_count: 0
    .symbol:         _ZN2at6native6sbtopk10gatherTopKIijLi1ELb0EEEvNS_4cuda6detail10TensorInfoIKT_T0_EES8_S8_bS8_S8_NS5_IS6_S8_EES8_NS5_IlS8_EES8_PS6_.kd
    .uniform_work_group_size: 1
    .uses_dynamic_stack: false
    .vgpr_count:     43
    .vgpr_spill_count: 0
    .wavefront_size: 32
    .workgroup_processor_mode: 1
  - .args:
      - .offset:         0
        .size:           216
        .value_kind:     by_value
      - .offset:         216
        .size:           4
        .value_kind:     by_value
      - .address_space:  global
        .offset:         224
        .size:           8
        .value_kind:     global_buffer
      - .offset:         232
        .size:           4
        .value_kind:     by_value
      - .offset:         236
        .size:           4
        .value_kind:     by_value
      - .offset:         240
        .size:           4
        .value_kind:     by_value
      - .offset:         244
        .size:           4
        .value_kind:     by_value
      - .offset:         248
        .size:           4
        .value_kind:     by_value
      - .offset:         252
        .size:           4
        .value_kind:     by_value
      - .address_space:  global
        .offset:         256
        .size:           8
        .value_kind:     global_buffer
      - .address_space:  global
        .offset:         264
        .size:           8
        .value_kind:     global_buffer
      - .offset:         272
        .size:           4
        .value_kind:     hidden_block_count_x
      - .offset:         276
        .size:           4
        .value_kind:     hidden_block_count_y
      - .offset:         280
        .size:           4
        .value_kind:     hidden_block_count_z
      - .offset:         284
        .size:           2
        .value_kind:     hidden_group_size_x
      - .offset:         286
        .size:           2
        .value_kind:     hidden_group_size_y
      - .offset:         288
        .size:           2
        .value_kind:     hidden_group_size_z
      - .offset:         290
        .size:           2
        .value_kind:     hidden_remainder_x
      - .offset:         292
        .size:           2
        .value_kind:     hidden_remainder_y
      - .offset:         294
        .size:           2
        .value_kind:     hidden_remainder_z
      - .offset:         312
        .size:           8
        .value_kind:     hidden_global_offset_x
      - .offset:         320
        .size:           8
        .value_kind:     hidden_global_offset_y
      - .offset:         328
        .size:           8
        .value_kind:     hidden_global_offset_z
      - .offset:         336
        .size:           2
        .value_kind:     hidden_grid_dims
    .group_segment_fixed_size: 1024
    .kernarg_segment_align: 8
    .kernarg_segment_size: 528
    .language:       OpenCL C
    .language_version:
      - 2
      - 0
    .max_flat_workgroup_size: 256
    .name:           _ZN2at6native6mbtopk23computeBlockDigitCountsIijjLi2EEEvNS_4cuda6detail10TensorInfoIKT_T0_EEjPjjS8_iijT1_PSB_Ps
    .private_segment_fixed_size: 0
    .sgpr_count:     25
    .sgpr_spill_count: 0
    .symbol:         _ZN2at6native6mbtopk23computeBlockDigitCountsIijjLi2EEEvNS_4cuda6detail10TensorInfoIKT_T0_EEjPjjS8_iijT1_PSB_Ps.kd
    .uniform_work_group_size: 1
    .uses_dynamic_stack: false
    .vgpr_count:     12
    .vgpr_spill_count: 0
    .wavefront_size: 32
    .workgroup_processor_mode: 1
  - .args:
      - .offset:         0
        .size:           216
        .value_kind:     by_value
      - .offset:         216
        .size:           4
        .value_kind:     by_value
      - .offset:         220
        .size:           4
        .value_kind:     by_value
      - .offset:         224
        .size:           1
        .value_kind:     by_value
      - .offset:         228
        .size:           4
        .value_kind:     by_value
      - .offset:         232
        .size:           4
        .value_kind:     by_value
      - .offset:         240
        .size:           216
        .value_kind:     by_value
      - .offset:         456
        .size:           4
        .value_kind:     by_value
      - .offset:         464
        .size:           216
        .value_kind:     by_value
      - .offset:         680
        .size:           4
        .value_kind:     by_value
      - .offset:         684
        .size:           4
        .value_kind:     by_value
      - .offset:         688
        .size:           4
        .value_kind:     by_value
      - .address_space:  global
        .offset:         696
        .size:           8
        .value_kind:     global_buffer
      - .address_space:  global
        .offset:         704
        .size:           8
        .value_kind:     global_buffer
      - .address_space:  global
        .offset:         712
        .size:           8
        .value_kind:     global_buffer
      - .offset:         720
        .size:           4
        .value_kind:     by_value
      - .offset:         728
        .size:           4
        .value_kind:     hidden_block_count_x
      - .offset:         732
        .size:           4
        .value_kind:     hidden_block_count_y
      - .offset:         736
        .size:           4
        .value_kind:     hidden_block_count_z
      - .offset:         740
        .size:           2
        .value_kind:     hidden_group_size_x
      - .offset:         742
        .size:           2
        .value_kind:     hidden_group_size_y
      - .offset:         744
        .size:           2
        .value_kind:     hidden_group_size_z
      - .offset:         746
        .size:           2
        .value_kind:     hidden_remainder_x
      - .offset:         748
        .size:           2
        .value_kind:     hidden_remainder_y
      - .offset:         750
        .size:           2
        .value_kind:     hidden_remainder_z
      - .offset:         768
        .size:           8
        .value_kind:     hidden_global_offset_x
      - .offset:         776
        .size:           8
        .value_kind:     hidden_global_offset_y
      - .offset:         784
        .size:           8
        .value_kind:     hidden_global_offset_z
      - .offset:         792
        .size:           2
        .value_kind:     hidden_grid_dims
    .group_segment_fixed_size: 1068
    .kernarg_segment_align: 8
    .kernarg_segment_size: 984
    .language:       OpenCL C
    .language_version:
      - 2
      - 0
    .max_flat_workgroup_size: 256
    .name:           _ZN2at6native6mbtopk10gatherTopKIijLi2EEEvNS_4cuda6detail10TensorInfoIKT_T0_EES8_S8_bjS8_NS5_IS6_S8_EES8_NS5_IlS8_EES8_jjPS6_PjSD_j
    .private_segment_fixed_size: 0
    .sgpr_count:     50
    .sgpr_spill_count: 0
    .symbol:         _ZN2at6native6mbtopk10gatherTopKIijLi2EEEvNS_4cuda6detail10TensorInfoIKT_T0_EES8_S8_bjS8_NS5_IS6_S8_EES8_NS5_IlS8_EES8_jjPS6_PjSD_j.kd
    .uniform_work_group_size: 1
    .uses_dynamic_stack: false
    .vgpr_count:     24
    .vgpr_spill_count: 0
    .wavefront_size: 32
    .workgroup_processor_mode: 1
  - .args:
      - .offset:         0
        .size:           216
        .value_kind:     by_value
      - .offset:         216
        .size:           4
        .value_kind:     by_value
      - .offset:         220
        .size:           4
        .value_kind:     by_value
      - .offset:         224
        .size:           1
        .value_kind:     by_value
      - .offset:         228
        .size:           4
        .value_kind:     by_value
      - .offset:         232
        .size:           4
        .value_kind:     by_value
      - .offset:         240
        .size:           216
        .value_kind:     by_value
      - .offset:         456
        .size:           4
        .value_kind:     by_value
      - .offset:         464
        .size:           216
        .value_kind:     by_value
      - .offset:         680
        .size:           4
        .value_kind:     by_value
      - .address_space:  global
        .offset:         688
        .size:           8
        .value_kind:     global_buffer
      - .offset:         696
        .size:           4
        .value_kind:     hidden_block_count_x
      - .offset:         700
        .size:           4
        .value_kind:     hidden_block_count_y
      - .offset:         704
        .size:           4
        .value_kind:     hidden_block_count_z
      - .offset:         708
        .size:           2
        .value_kind:     hidden_group_size_x
      - .offset:         710
        .size:           2
        .value_kind:     hidden_group_size_y
      - .offset:         712
        .size:           2
        .value_kind:     hidden_group_size_z
      - .offset:         714
        .size:           2
        .value_kind:     hidden_remainder_x
      - .offset:         716
        .size:           2
        .value_kind:     hidden_remainder_y
      - .offset:         718
        .size:           2
        .value_kind:     hidden_remainder_z
      - .offset:         736
        .size:           8
        .value_kind:     hidden_global_offset_x
      - .offset:         744
        .size:           8
        .value_kind:     hidden_global_offset_y
      - .offset:         752
        .size:           8
        .value_kind:     hidden_global_offset_z
      - .offset:         760
        .size:           2
        .value_kind:     hidden_grid_dims
    .group_segment_fixed_size: 4112
    .kernarg_segment_align: 8
    .kernarg_segment_size: 952
    .language:       OpenCL C
    .language_version:
      - 2
      - 0
    .max_flat_workgroup_size: 1024
    .name:           _ZN2at6native6sbtopk10gatherTopKIijLi2ELb0EEEvNS_4cuda6detail10TensorInfoIKT_T0_EES8_S8_bS8_S8_NS5_IS6_S8_EES8_NS5_IlS8_EES8_PS6_
    .private_segment_fixed_size: 0
    .sgpr_count:     97
    .sgpr_spill_count: 0
    .symbol:         _ZN2at6native6sbtopk10gatherTopKIijLi2ELb0EEEvNS_4cuda6detail10TensorInfoIKT_T0_EES8_S8_bS8_S8_NS5_IS6_S8_EES8_NS5_IlS8_EES8_PS6_.kd
    .uniform_work_group_size: 1
    .uses_dynamic_stack: false
    .vgpr_count:     43
    .vgpr_spill_count: 0
    .wavefront_size: 32
    .workgroup_processor_mode: 1
  - .args:
      - .offset:         0
        .size:           216
        .value_kind:     by_value
      - .offset:         216
        .size:           4
        .value_kind:     by_value
      - .address_space:  global
        .offset:         224
        .size:           8
        .value_kind:     global_buffer
      - .offset:         232
        .size:           4
        .value_kind:     by_value
      - .offset:         236
        .size:           4
        .value_kind:     by_value
      - .offset:         240
        .size:           4
        .value_kind:     by_value
      - .offset:         244
        .size:           4
        .value_kind:     by_value
      - .offset:         248
        .size:           4
        .value_kind:     by_value
      - .offset:         252
        .size:           4
        .value_kind:     by_value
      - .address_space:  global
        .offset:         256
        .size:           8
        .value_kind:     global_buffer
      - .address_space:  global
        .offset:         264
        .size:           8
        .value_kind:     global_buffer
      - .offset:         272
        .size:           4
        .value_kind:     hidden_block_count_x
      - .offset:         276
        .size:           4
        .value_kind:     hidden_block_count_y
      - .offset:         280
        .size:           4
        .value_kind:     hidden_block_count_z
      - .offset:         284
        .size:           2
        .value_kind:     hidden_group_size_x
      - .offset:         286
        .size:           2
        .value_kind:     hidden_group_size_y
      - .offset:         288
        .size:           2
        .value_kind:     hidden_group_size_z
      - .offset:         290
        .size:           2
        .value_kind:     hidden_remainder_x
      - .offset:         292
        .size:           2
        .value_kind:     hidden_remainder_y
      - .offset:         294
        .size:           2
        .value_kind:     hidden_remainder_z
      - .offset:         312
        .size:           8
        .value_kind:     hidden_global_offset_x
      - .offset:         320
        .size:           8
        .value_kind:     hidden_global_offset_y
      - .offset:         328
        .size:           8
        .value_kind:     hidden_global_offset_z
      - .offset:         336
        .size:           2
        .value_kind:     hidden_grid_dims
    .group_segment_fixed_size: 1024
    .kernarg_segment_align: 8
    .kernarg_segment_size: 528
    .language:       OpenCL C
    .language_version:
      - 2
      - 0
    .max_flat_workgroup_size: 256
    .name:           _ZN2at6native6mbtopk23computeBlockDigitCountsIijjLi3EEEvNS_4cuda6detail10TensorInfoIKT_T0_EEjPjjS8_iijT1_PSB_Ps
    .private_segment_fixed_size: 0
    .sgpr_count:     28
    .sgpr_spill_count: 0
    .symbol:         _ZN2at6native6mbtopk23computeBlockDigitCountsIijjLi3EEEvNS_4cuda6detail10TensorInfoIKT_T0_EEjPjjS8_iijT1_PSB_Ps.kd
    .uniform_work_group_size: 1
    .uses_dynamic_stack: false
    .vgpr_count:     12
    .vgpr_spill_count: 0
    .wavefront_size: 32
    .workgroup_processor_mode: 1
  - .args:
      - .offset:         0
        .size:           216
        .value_kind:     by_value
      - .offset:         216
        .size:           4
        .value_kind:     by_value
      - .offset:         220
        .size:           4
        .value_kind:     by_value
      - .offset:         224
        .size:           1
        .value_kind:     by_value
      - .offset:         228
        .size:           4
        .value_kind:     by_value
      - .offset:         232
        .size:           4
        .value_kind:     by_value
      - .offset:         240
        .size:           216
        .value_kind:     by_value
      - .offset:         456
        .size:           4
        .value_kind:     by_value
      - .offset:         464
        .size:           216
        .value_kind:     by_value
      - .offset:         680
        .size:           4
        .value_kind:     by_value
      - .offset:         684
        .size:           4
        .value_kind:     by_value
      - .offset:         688
        .size:           4
        .value_kind:     by_value
      - .address_space:  global
        .offset:         696
        .size:           8
        .value_kind:     global_buffer
      - .address_space:  global
        .offset:         704
        .size:           8
        .value_kind:     global_buffer
      - .address_space:  global
        .offset:         712
        .size:           8
        .value_kind:     global_buffer
      - .offset:         720
        .size:           4
        .value_kind:     by_value
      - .offset:         728
        .size:           4
        .value_kind:     hidden_block_count_x
      - .offset:         732
        .size:           4
        .value_kind:     hidden_block_count_y
      - .offset:         736
        .size:           4
        .value_kind:     hidden_block_count_z
      - .offset:         740
        .size:           2
        .value_kind:     hidden_group_size_x
      - .offset:         742
        .size:           2
        .value_kind:     hidden_group_size_y
      - .offset:         744
        .size:           2
        .value_kind:     hidden_group_size_z
      - .offset:         746
        .size:           2
        .value_kind:     hidden_remainder_x
      - .offset:         748
        .size:           2
        .value_kind:     hidden_remainder_y
      - .offset:         750
        .size:           2
        .value_kind:     hidden_remainder_z
      - .offset:         768
        .size:           8
        .value_kind:     hidden_global_offset_x
      - .offset:         776
        .size:           8
        .value_kind:     hidden_global_offset_y
      - .offset:         784
        .size:           8
        .value_kind:     hidden_global_offset_z
      - .offset:         792
        .size:           2
        .value_kind:     hidden_grid_dims
    .group_segment_fixed_size: 1068
    .kernarg_segment_align: 8
    .kernarg_segment_size: 984
    .language:       OpenCL C
    .language_version:
      - 2
      - 0
    .max_flat_workgroup_size: 256
    .name:           _ZN2at6native6mbtopk10gatherTopKIijLi3EEEvNS_4cuda6detail10TensorInfoIKT_T0_EES8_S8_bjS8_NS5_IS6_S8_EES8_NS5_IlS8_EES8_jjPS6_PjSD_j
    .private_segment_fixed_size: 0
    .sgpr_count:     59
    .sgpr_spill_count: 0
    .symbol:         _ZN2at6native6mbtopk10gatherTopKIijLi3EEEvNS_4cuda6detail10TensorInfoIKT_T0_EES8_S8_bjS8_NS5_IS6_S8_EES8_NS5_IlS8_EES8_jjPS6_PjSD_j.kd
    .uniform_work_group_size: 1
    .uses_dynamic_stack: false
    .vgpr_count:     24
    .vgpr_spill_count: 0
    .wavefront_size: 32
    .workgroup_processor_mode: 1
  - .args:
      - .offset:         0
        .size:           216
        .value_kind:     by_value
      - .offset:         216
        .size:           4
        .value_kind:     by_value
      - .offset:         220
        .size:           4
        .value_kind:     by_value
      - .offset:         224
        .size:           1
        .value_kind:     by_value
      - .offset:         228
        .size:           4
        .value_kind:     by_value
      - .offset:         232
        .size:           4
        .value_kind:     by_value
      - .offset:         240
        .size:           216
        .value_kind:     by_value
      - .offset:         456
        .size:           4
        .value_kind:     by_value
      - .offset:         464
        .size:           216
        .value_kind:     by_value
      - .offset:         680
        .size:           4
        .value_kind:     by_value
      - .address_space:  global
        .offset:         688
        .size:           8
        .value_kind:     global_buffer
      - .offset:         696
        .size:           4
        .value_kind:     hidden_block_count_x
      - .offset:         700
        .size:           4
        .value_kind:     hidden_block_count_y
      - .offset:         704
        .size:           4
        .value_kind:     hidden_block_count_z
      - .offset:         708
        .size:           2
        .value_kind:     hidden_group_size_x
      - .offset:         710
        .size:           2
        .value_kind:     hidden_group_size_y
      - .offset:         712
        .size:           2
        .value_kind:     hidden_group_size_z
      - .offset:         714
        .size:           2
        .value_kind:     hidden_remainder_x
      - .offset:         716
        .size:           2
        .value_kind:     hidden_remainder_y
      - .offset:         718
        .size:           2
        .value_kind:     hidden_remainder_z
      - .offset:         736
        .size:           8
        .value_kind:     hidden_global_offset_x
      - .offset:         744
        .size:           8
        .value_kind:     hidden_global_offset_y
      - .offset:         752
        .size:           8
        .value_kind:     hidden_global_offset_z
      - .offset:         760
        .size:           2
        .value_kind:     hidden_grid_dims
    .group_segment_fixed_size: 4112
    .kernarg_segment_align: 8
    .kernarg_segment_size: 952
    .language:       OpenCL C
    .language_version:
      - 2
      - 0
    .max_flat_workgroup_size: 1024
    .name:           _ZN2at6native6sbtopk10gatherTopKIijLi3ELb0EEEvNS_4cuda6detail10TensorInfoIKT_T0_EES8_S8_bS8_S8_NS5_IS6_S8_EES8_NS5_IlS8_EES8_PS6_
    .private_segment_fixed_size: 0
    .sgpr_count:     107
    .sgpr_spill_count: 0
    .symbol:         _ZN2at6native6sbtopk10gatherTopKIijLi3ELb0EEEvNS_4cuda6detail10TensorInfoIKT_T0_EES8_S8_bS8_S8_NS5_IS6_S8_EES8_NS5_IlS8_EES8_PS6_.kd
    .uniform_work_group_size: 1
    .uses_dynamic_stack: false
    .vgpr_count:     43
    .vgpr_spill_count: 0
    .wavefront_size: 32
    .workgroup_processor_mode: 1
  - .args:
      - .offset:         0
        .size:           216
        .value_kind:     by_value
      - .offset:         216
        .size:           4
        .value_kind:     by_value
      - .address_space:  global
        .offset:         224
        .size:           8
        .value_kind:     global_buffer
      - .offset:         232
        .size:           4
        .value_kind:     by_value
      - .offset:         236
        .size:           4
        .value_kind:     by_value
      - .offset:         240
        .size:           4
        .value_kind:     by_value
      - .offset:         244
        .size:           4
        .value_kind:     by_value
      - .offset:         248
        .size:           4
        .value_kind:     by_value
      - .offset:         252
        .size:           4
        .value_kind:     by_value
      - .address_space:  global
        .offset:         256
        .size:           8
        .value_kind:     global_buffer
      - .address_space:  global
        .offset:         264
        .size:           8
        .value_kind:     global_buffer
      - .offset:         272
        .size:           4
        .value_kind:     hidden_block_count_x
      - .offset:         276
        .size:           4
        .value_kind:     hidden_block_count_y
      - .offset:         280
        .size:           4
        .value_kind:     hidden_block_count_z
      - .offset:         284
        .size:           2
        .value_kind:     hidden_group_size_x
      - .offset:         286
        .size:           2
        .value_kind:     hidden_group_size_y
      - .offset:         288
        .size:           2
        .value_kind:     hidden_group_size_z
      - .offset:         290
        .size:           2
        .value_kind:     hidden_remainder_x
      - .offset:         292
        .size:           2
        .value_kind:     hidden_remainder_y
      - .offset:         294
        .size:           2
        .value_kind:     hidden_remainder_z
      - .offset:         312
        .size:           8
        .value_kind:     hidden_global_offset_x
      - .offset:         320
        .size:           8
        .value_kind:     hidden_global_offset_y
      - .offset:         328
        .size:           8
        .value_kind:     hidden_global_offset_z
      - .offset:         336
        .size:           2
        .value_kind:     hidden_grid_dims
    .group_segment_fixed_size: 1024
    .kernarg_segment_align: 8
    .kernarg_segment_size: 528
    .language:       OpenCL C
    .language_version:
      - 2
      - 0
    .max_flat_workgroup_size: 256
    .name:           _ZN2at6native6mbtopk23computeBlockDigitCountsIijjLin1EEEvNS_4cuda6detail10TensorInfoIKT_T0_EEjPjjS8_iijT1_PSB_Ps
    .private_segment_fixed_size: 0
    .sgpr_count:     26
    .sgpr_spill_count: 0
    .symbol:         _ZN2at6native6mbtopk23computeBlockDigitCountsIijjLin1EEEvNS_4cuda6detail10TensorInfoIKT_T0_EEjPjjS8_iijT1_PSB_Ps.kd
    .uniform_work_group_size: 1
    .uses_dynamic_stack: false
    .vgpr_count:     12
    .vgpr_spill_count: 0
    .wavefront_size: 32
    .workgroup_processor_mode: 1
  - .args:
      - .offset:         0
        .size:           216
        .value_kind:     by_value
      - .offset:         216
        .size:           4
        .value_kind:     by_value
      - .offset:         220
        .size:           4
        .value_kind:     by_value
      - .offset:         224
        .size:           1
        .value_kind:     by_value
      - .offset:         228
        .size:           4
        .value_kind:     by_value
      - .offset:         232
        .size:           4
        .value_kind:     by_value
      - .offset:         240
        .size:           216
        .value_kind:     by_value
      - .offset:         456
        .size:           4
        .value_kind:     by_value
      - .offset:         464
        .size:           216
        .value_kind:     by_value
      - .offset:         680
        .size:           4
        .value_kind:     by_value
      - .offset:         684
        .size:           4
        .value_kind:     by_value
      - .offset:         688
        .size:           4
        .value_kind:     by_value
      - .address_space:  global
        .offset:         696
        .size:           8
        .value_kind:     global_buffer
      - .address_space:  global
        .offset:         704
        .size:           8
        .value_kind:     global_buffer
      - .address_space:  global
        .offset:         712
        .size:           8
        .value_kind:     global_buffer
      - .offset:         720
        .size:           4
        .value_kind:     by_value
      - .offset:         728
        .size:           4
        .value_kind:     hidden_block_count_x
      - .offset:         732
        .size:           4
        .value_kind:     hidden_block_count_y
      - .offset:         736
        .size:           4
        .value_kind:     hidden_block_count_z
      - .offset:         740
        .size:           2
        .value_kind:     hidden_group_size_x
      - .offset:         742
        .size:           2
        .value_kind:     hidden_group_size_y
      - .offset:         744
        .size:           2
        .value_kind:     hidden_group_size_z
      - .offset:         746
        .size:           2
        .value_kind:     hidden_remainder_x
      - .offset:         748
        .size:           2
        .value_kind:     hidden_remainder_y
      - .offset:         750
        .size:           2
        .value_kind:     hidden_remainder_z
      - .offset:         768
        .size:           8
        .value_kind:     hidden_global_offset_x
      - .offset:         776
        .size:           8
        .value_kind:     hidden_global_offset_y
      - .offset:         784
        .size:           8
        .value_kind:     hidden_global_offset_z
      - .offset:         792
        .size:           2
        .value_kind:     hidden_grid_dims
    .group_segment_fixed_size: 1068
    .kernarg_segment_align: 8
    .kernarg_segment_size: 984
    .language:       OpenCL C
    .language_version:
      - 2
      - 0
    .max_flat_workgroup_size: 256
    .name:           _ZN2at6native6mbtopk10gatherTopKIijLin1EEEvNS_4cuda6detail10TensorInfoIKT_T0_EES8_S8_bjS8_NS5_IS6_S8_EES8_NS5_IlS8_EES8_jjPS6_PjSD_j
    .private_segment_fixed_size: 0
    .sgpr_count:     45
    .sgpr_spill_count: 0
    .symbol:         _ZN2at6native6mbtopk10gatherTopKIijLin1EEEvNS_4cuda6detail10TensorInfoIKT_T0_EES8_S8_bjS8_NS5_IS6_S8_EES8_NS5_IlS8_EES8_jjPS6_PjSD_j.kd
    .uniform_work_group_size: 1
    .uses_dynamic_stack: false
    .vgpr_count:     24
    .vgpr_spill_count: 0
    .wavefront_size: 32
    .workgroup_processor_mode: 1
  - .args:
      - .offset:         0
        .size:           216
        .value_kind:     by_value
      - .offset:         216
        .size:           4
        .value_kind:     by_value
      - .offset:         220
        .size:           4
        .value_kind:     by_value
      - .offset:         224
        .size:           1
        .value_kind:     by_value
      - .offset:         228
        .size:           4
        .value_kind:     by_value
      - .offset:         232
        .size:           4
        .value_kind:     by_value
      - .offset:         240
        .size:           216
        .value_kind:     by_value
      - .offset:         456
        .size:           4
        .value_kind:     by_value
      - .offset:         464
        .size:           216
        .value_kind:     by_value
      - .offset:         680
        .size:           4
        .value_kind:     by_value
      - .address_space:  global
        .offset:         688
        .size:           8
        .value_kind:     global_buffer
      - .offset:         696
        .size:           4
        .value_kind:     hidden_block_count_x
      - .offset:         700
        .size:           4
        .value_kind:     hidden_block_count_y
      - .offset:         704
        .size:           4
        .value_kind:     hidden_block_count_z
      - .offset:         708
        .size:           2
        .value_kind:     hidden_group_size_x
      - .offset:         710
        .size:           2
        .value_kind:     hidden_group_size_y
      - .offset:         712
        .size:           2
        .value_kind:     hidden_group_size_z
      - .offset:         714
        .size:           2
        .value_kind:     hidden_remainder_x
      - .offset:         716
        .size:           2
        .value_kind:     hidden_remainder_y
      - .offset:         718
        .size:           2
        .value_kind:     hidden_remainder_z
      - .offset:         736
        .size:           8
        .value_kind:     hidden_global_offset_x
      - .offset:         744
        .size:           8
        .value_kind:     hidden_global_offset_y
      - .offset:         752
        .size:           8
        .value_kind:     hidden_global_offset_z
      - .offset:         760
        .size:           2
        .value_kind:     hidden_grid_dims
    .group_segment_fixed_size: 4112
    .kernarg_segment_align: 8
    .kernarg_segment_size: 952
    .language:       OpenCL C
    .language_version:
      - 2
      - 0
    .max_flat_workgroup_size: 1024
    .name:           _ZN2at6native6sbtopk10gatherTopKIijLin1ELb0EEEvNS_4cuda6detail10TensorInfoIKT_T0_EES8_S8_bS8_S8_NS5_IS6_S8_EES8_NS5_IlS8_EES8_PS6_
    .private_segment_fixed_size: 0
    .sgpr_count:     94
    .sgpr_spill_count: 0
    .symbol:         _ZN2at6native6sbtopk10gatherTopKIijLin1ELb0EEEvNS_4cuda6detail10TensorInfoIKT_T0_EES8_S8_bS8_S8_NS5_IS6_S8_EES8_NS5_IlS8_EES8_PS6_.kd
    .uniform_work_group_size: 1
    .uses_dynamic_stack: false
    .vgpr_count:     43
    .vgpr_spill_count: 0
    .wavefront_size: 32
    .workgroup_processor_mode: 1
  - .args:
      - .offset:         0
        .size:           216
        .value_kind:     by_value
      - .offset:         216
        .size:           4
        .value_kind:     by_value
      - .address_space:  global
        .offset:         224
        .size:           8
        .value_kind:     global_buffer
      - .offset:         232
        .size:           4
        .value_kind:     by_value
      - .offset:         236
        .size:           4
        .value_kind:     by_value
      - .offset:         240
        .size:           4
        .value_kind:     by_value
      - .offset:         244
        .size:           4
        .value_kind:     by_value
      - .offset:         248
        .size:           4
        .value_kind:     by_value
      - .offset:         256
        .size:           8
        .value_kind:     by_value
      - .address_space:  global
        .offset:         264
        .size:           8
        .value_kind:     global_buffer
      - .address_space:  global
        .offset:         272
        .size:           8
        .value_kind:     global_buffer
      - .offset:         280
        .size:           4
        .value_kind:     hidden_block_count_x
      - .offset:         284
        .size:           4
        .value_kind:     hidden_block_count_y
      - .offset:         288
        .size:           4
        .value_kind:     hidden_block_count_z
      - .offset:         292
        .size:           2
        .value_kind:     hidden_group_size_x
      - .offset:         294
        .size:           2
        .value_kind:     hidden_group_size_y
      - .offset:         296
        .size:           2
        .value_kind:     hidden_group_size_z
      - .offset:         298
        .size:           2
        .value_kind:     hidden_remainder_x
      - .offset:         300
        .size:           2
        .value_kind:     hidden_remainder_y
      - .offset:         302
        .size:           2
        .value_kind:     hidden_remainder_z
      - .offset:         320
        .size:           8
        .value_kind:     hidden_global_offset_x
      - .offset:         328
        .size:           8
        .value_kind:     hidden_global_offset_y
      - .offset:         336
        .size:           8
        .value_kind:     hidden_global_offset_z
      - .offset:         344
        .size:           2
        .value_kind:     hidden_grid_dims
    .group_segment_fixed_size: 1024
    .kernarg_segment_align: 8
    .kernarg_segment_size: 536
    .language:       OpenCL C
    .language_version:
      - 2
      - 0
    .max_flat_workgroup_size: 256
    .name:           _ZN2at6native6mbtopk23computeBlockDigitCountsIljmLi1EEEvNS_4cuda6detail10TensorInfoIKT_T0_EEjPjjS8_iijT1_PSB_Ps
    .private_segment_fixed_size: 0
    .sgpr_count:     24
    .sgpr_spill_count: 0
    .symbol:         _ZN2at6native6mbtopk23computeBlockDigitCountsIljmLi1EEEvNS_4cuda6detail10TensorInfoIKT_T0_EEjPjjS8_iijT1_PSB_Ps.kd
    .uniform_work_group_size: 1
    .uses_dynamic_stack: false
    .vgpr_count:     15
    .vgpr_spill_count: 0
    .wavefront_size: 32
    .workgroup_processor_mode: 1
  - .args:
      - .address_space:  global
        .offset:         0
        .size:           8
        .value_kind:     global_buffer
      - .address_space:  global
        .offset:         8
        .size:           8
        .value_kind:     global_buffer
      - .address_space:  global
        .offset:         16
        .size:           8
        .value_kind:     global_buffer
      - .offset:         24
        .size:           4
        .value_kind:     by_value
      - .offset:         28
        .size:           4
        .value_kind:     by_value
      - .offset:         32
        .size:           1
        .value_kind:     by_value
      - .address_space:  global
        .offset:         40
        .size:           8
        .value_kind:     global_buffer
      - .address_space:  global
        .offset:         48
        .size:           8
        .value_kind:     global_buffer
      - .address_space:  global
        .offset:         56
        .size:           8
        .value_kind:     global_buffer
      - .address_space:  global
        .offset:         64
        .size:           8
        .value_kind:     global_buffer
      - .address_space:  global
        .offset:         72
        .size:           8
        .value_kind:     global_buffer
      - .offset:         80
        .size:           4
        .value_kind:     by_value
      - .offset:         88
        .size:           4
        .value_kind:     hidden_block_count_x
      - .offset:         92
        .size:           4
        .value_kind:     hidden_block_count_y
      - .offset:         96
        .size:           4
        .value_kind:     hidden_block_count_z
      - .offset:         100
        .size:           2
        .value_kind:     hidden_group_size_x
      - .offset:         102
        .size:           2
        .value_kind:     hidden_group_size_y
      - .offset:         104
        .size:           2
        .value_kind:     hidden_group_size_z
      - .offset:         106
        .size:           2
        .value_kind:     hidden_remainder_x
      - .offset:         108
        .size:           2
        .value_kind:     hidden_remainder_y
      - .offset:         110
        .size:           2
        .value_kind:     hidden_remainder_z
      - .offset:         128
        .size:           8
        .value_kind:     hidden_global_offset_x
      - .offset:         136
        .size:           8
        .value_kind:     hidden_global_offset_y
      - .offset:         144
        .size:           8
        .value_kind:     hidden_global_offset_z
      - .offset:         152
        .size:           2
        .value_kind:     hidden_grid_dims
    .group_segment_fixed_size: 2120
    .kernarg_segment_align: 8
    .kernarg_segment_size: 344
    .language:       OpenCL C
    .language_version:
      - 2
      - 0
    .max_flat_workgroup_size: 256
    .name:           _ZN2at6native6mbtopk29computeBlockwiseWithinKCountsImlEEvPT_PsPjjibS6_PT0_S6_S4_S6_j
    .private_segment_fixed_size: 0
    .sgpr_count:     31
    .sgpr_spill_count: 0
    .symbol:         _ZN2at6native6mbtopk29computeBlockwiseWithinKCountsImlEEvPT_PsPjjibS6_PT0_S6_S4_S6_j.kd
    .uniform_work_group_size: 1
    .uses_dynamic_stack: false
    .vgpr_count:     16
    .vgpr_spill_count: 0
    .wavefront_size: 32
    .workgroup_processor_mode: 1
  - .args:
      - .offset:         0
        .size:           216
        .value_kind:     by_value
      - .offset:         216
        .size:           4
        .value_kind:     by_value
      - .offset:         220
        .size:           4
        .value_kind:     by_value
      - .offset:         224
        .size:           1
        .value_kind:     by_value
      - .offset:         228
        .size:           4
        .value_kind:     by_value
      - .offset:         232
        .size:           4
        .value_kind:     by_value
      - .offset:         240
        .size:           216
        .value_kind:     by_value
      - .offset:         456
        .size:           4
        .value_kind:     by_value
      - .offset:         464
        .size:           216
        .value_kind:     by_value
      - .offset:         680
        .size:           4
        .value_kind:     by_value
      - .offset:         684
        .size:           4
        .value_kind:     by_value
      - .offset:         688
        .size:           4
        .value_kind:     by_value
      - .address_space:  global
        .offset:         696
        .size:           8
        .value_kind:     global_buffer
      - .address_space:  global
        .offset:         704
        .size:           8
        .value_kind:     global_buffer
      - .address_space:  global
        .offset:         712
        .size:           8
        .value_kind:     global_buffer
      - .offset:         720
        .size:           4
        .value_kind:     by_value
      - .offset:         728
        .size:           4
        .value_kind:     hidden_block_count_x
      - .offset:         732
        .size:           4
        .value_kind:     hidden_block_count_y
      - .offset:         736
        .size:           4
        .value_kind:     hidden_block_count_z
      - .offset:         740
        .size:           2
        .value_kind:     hidden_group_size_x
      - .offset:         742
        .size:           2
        .value_kind:     hidden_group_size_y
      - .offset:         744
        .size:           2
        .value_kind:     hidden_group_size_z
      - .offset:         746
        .size:           2
        .value_kind:     hidden_remainder_x
      - .offset:         748
        .size:           2
        .value_kind:     hidden_remainder_y
      - .offset:         750
        .size:           2
        .value_kind:     hidden_remainder_z
      - .offset:         768
        .size:           8
        .value_kind:     hidden_global_offset_x
      - .offset:         776
        .size:           8
        .value_kind:     hidden_global_offset_y
      - .offset:         784
        .size:           8
        .value_kind:     hidden_global_offset_z
      - .offset:         792
        .size:           2
        .value_kind:     hidden_grid_dims
    .group_segment_fixed_size: 1068
    .kernarg_segment_align: 8
    .kernarg_segment_size: 984
    .language:       OpenCL C
    .language_version:
      - 2
      - 0
    .max_flat_workgroup_size: 256
    .name:           _ZN2at6native6mbtopk10gatherTopKIljLi1EEEvNS_4cuda6detail10TensorInfoIKT_T0_EES8_S8_bjS8_NS5_IS6_S8_EES8_NS5_IlS8_EES8_jjPS6_PjSD_j
    .private_segment_fixed_size: 0
    .sgpr_count:     39
    .sgpr_spill_count: 0
    .symbol:         _ZN2at6native6mbtopk10gatherTopKIljLi1EEEvNS_4cuda6detail10TensorInfoIKT_T0_EES8_S8_bjS8_NS5_IS6_S8_EES8_NS5_IlS8_EES8_jjPS6_PjSD_j.kd
    .uniform_work_group_size: 1
    .uses_dynamic_stack: false
    .vgpr_count:     25
    .vgpr_spill_count: 0
    .wavefront_size: 32
    .workgroup_processor_mode: 1
  - .args:
      - .offset:         0
        .size:           216
        .value_kind:     by_value
      - .offset:         216
        .size:           4
        .value_kind:     by_value
      - .offset:         220
        .size:           4
        .value_kind:     by_value
      - .offset:         224
        .size:           1
        .value_kind:     by_value
      - .offset:         228
        .size:           4
        .value_kind:     by_value
      - .offset:         232
        .size:           4
        .value_kind:     by_value
      - .offset:         240
        .size:           216
        .value_kind:     by_value
      - .offset:         456
        .size:           4
        .value_kind:     by_value
      - .offset:         464
        .size:           216
        .value_kind:     by_value
      - .offset:         680
        .size:           4
        .value_kind:     by_value
      - .address_space:  global
        .offset:         688
        .size:           8
        .value_kind:     global_buffer
      - .offset:         696
        .size:           4
        .value_kind:     hidden_block_count_x
      - .offset:         700
        .size:           4
        .value_kind:     hidden_block_count_y
      - .offset:         704
        .size:           4
        .value_kind:     hidden_block_count_z
      - .offset:         708
        .size:           2
        .value_kind:     hidden_group_size_x
      - .offset:         710
        .size:           2
        .value_kind:     hidden_group_size_y
      - .offset:         712
        .size:           2
        .value_kind:     hidden_group_size_z
      - .offset:         714
        .size:           2
        .value_kind:     hidden_remainder_x
      - .offset:         716
        .size:           2
        .value_kind:     hidden_remainder_y
      - .offset:         718
        .size:           2
        .value_kind:     hidden_remainder_z
      - .offset:         736
        .size:           8
        .value_kind:     hidden_global_offset_x
      - .offset:         744
        .size:           8
        .value_kind:     hidden_global_offset_y
      - .offset:         752
        .size:           8
        .value_kind:     hidden_global_offset_z
      - .offset:         760
        .size:           2
        .value_kind:     hidden_grid_dims
    .group_segment_fixed_size: 4112
    .kernarg_segment_align: 8
    .kernarg_segment_size: 952
    .language:       OpenCL C
    .language_version:
      - 2
      - 0
    .max_flat_workgroup_size: 1024
    .name:           _ZN2at6native6sbtopk10gatherTopKIljLi1ELb0EEEvNS_4cuda6detail10TensorInfoIKT_T0_EES8_S8_bS8_S8_NS5_IS6_S8_EES8_NS5_IlS8_EES8_PS6_
    .private_segment_fixed_size: 0
    .sgpr_count:     94
    .sgpr_spill_count: 0
    .symbol:         _ZN2at6native6sbtopk10gatherTopKIljLi1ELb0EEEvNS_4cuda6detail10TensorInfoIKT_T0_EES8_S8_bS8_S8_NS5_IS6_S8_EES8_NS5_IlS8_EES8_PS6_.kd
    .uniform_work_group_size: 1
    .uses_dynamic_stack: false
    .vgpr_count:     54
    .vgpr_spill_count: 0
    .wavefront_size: 32
    .workgroup_processor_mode: 1
  - .args:
      - .offset:         0
        .size:           216
        .value_kind:     by_value
      - .offset:         216
        .size:           4
        .value_kind:     by_value
      - .address_space:  global
        .offset:         224
        .size:           8
        .value_kind:     global_buffer
      - .offset:         232
        .size:           4
        .value_kind:     by_value
      - .offset:         236
        .size:           4
        .value_kind:     by_value
      - .offset:         240
        .size:           4
        .value_kind:     by_value
      - .offset:         244
        .size:           4
        .value_kind:     by_value
      - .offset:         248
        .size:           4
        .value_kind:     by_value
      - .offset:         256
        .size:           8
        .value_kind:     by_value
      - .address_space:  global
        .offset:         264
        .size:           8
        .value_kind:     global_buffer
      - .address_space:  global
        .offset:         272
        .size:           8
        .value_kind:     global_buffer
      - .offset:         280
        .size:           4
        .value_kind:     hidden_block_count_x
      - .offset:         284
        .size:           4
        .value_kind:     hidden_block_count_y
      - .offset:         288
        .size:           4
        .value_kind:     hidden_block_count_z
      - .offset:         292
        .size:           2
        .value_kind:     hidden_group_size_x
      - .offset:         294
        .size:           2
        .value_kind:     hidden_group_size_y
      - .offset:         296
        .size:           2
        .value_kind:     hidden_group_size_z
      - .offset:         298
        .size:           2
        .value_kind:     hidden_remainder_x
      - .offset:         300
        .size:           2
        .value_kind:     hidden_remainder_y
      - .offset:         302
        .size:           2
        .value_kind:     hidden_remainder_z
      - .offset:         320
        .size:           8
        .value_kind:     hidden_global_offset_x
      - .offset:         328
        .size:           8
        .value_kind:     hidden_global_offset_y
      - .offset:         336
        .size:           8
        .value_kind:     hidden_global_offset_z
      - .offset:         344
        .size:           2
        .value_kind:     hidden_grid_dims
    .group_segment_fixed_size: 1024
    .kernarg_segment_align: 8
    .kernarg_segment_size: 536
    .language:       OpenCL C
    .language_version:
      - 2
      - 0
    .max_flat_workgroup_size: 256
    .name:           _ZN2at6native6mbtopk23computeBlockDigitCountsIljmLi2EEEvNS_4cuda6detail10TensorInfoIKT_T0_EEjPjjS8_iijT1_PSB_Ps
    .private_segment_fixed_size: 0
    .sgpr_count:     27
    .sgpr_spill_count: 0
    .symbol:         _ZN2at6native6mbtopk23computeBlockDigitCountsIljmLi2EEEvNS_4cuda6detail10TensorInfoIKT_T0_EEjPjjS8_iijT1_PSB_Ps.kd
    .uniform_work_group_size: 1
    .uses_dynamic_stack: false
    .vgpr_count:     15
    .vgpr_spill_count: 0
    .wavefront_size: 32
    .workgroup_processor_mode: 1
  - .args:
      - .offset:         0
        .size:           216
        .value_kind:     by_value
      - .offset:         216
        .size:           4
        .value_kind:     by_value
      - .offset:         220
        .size:           4
        .value_kind:     by_value
      - .offset:         224
        .size:           1
        .value_kind:     by_value
      - .offset:         228
        .size:           4
        .value_kind:     by_value
      - .offset:         232
        .size:           4
        .value_kind:     by_value
      - .offset:         240
        .size:           216
        .value_kind:     by_value
      - .offset:         456
        .size:           4
        .value_kind:     by_value
      - .offset:         464
        .size:           216
        .value_kind:     by_value
      - .offset:         680
        .size:           4
        .value_kind:     by_value
      - .offset:         684
        .size:           4
        .value_kind:     by_value
      - .offset:         688
        .size:           4
        .value_kind:     by_value
      - .address_space:  global
        .offset:         696
        .size:           8
        .value_kind:     global_buffer
      - .address_space:  global
        .offset:         704
        .size:           8
        .value_kind:     global_buffer
      - .address_space:  global
        .offset:         712
        .size:           8
        .value_kind:     global_buffer
      - .offset:         720
        .size:           4
        .value_kind:     by_value
      - .offset:         728
        .size:           4
        .value_kind:     hidden_block_count_x
      - .offset:         732
        .size:           4
        .value_kind:     hidden_block_count_y
      - .offset:         736
        .size:           4
        .value_kind:     hidden_block_count_z
      - .offset:         740
        .size:           2
        .value_kind:     hidden_group_size_x
      - .offset:         742
        .size:           2
        .value_kind:     hidden_group_size_y
      - .offset:         744
        .size:           2
        .value_kind:     hidden_group_size_z
      - .offset:         746
        .size:           2
        .value_kind:     hidden_remainder_x
      - .offset:         748
        .size:           2
        .value_kind:     hidden_remainder_y
      - .offset:         750
        .size:           2
        .value_kind:     hidden_remainder_z
      - .offset:         768
        .size:           8
        .value_kind:     hidden_global_offset_x
      - .offset:         776
        .size:           8
        .value_kind:     hidden_global_offset_y
      - .offset:         784
        .size:           8
        .value_kind:     hidden_global_offset_z
      - .offset:         792
        .size:           2
        .value_kind:     hidden_grid_dims
    .group_segment_fixed_size: 1068
    .kernarg_segment_align: 8
    .kernarg_segment_size: 984
    .language:       OpenCL C
    .language_version:
      - 2
      - 0
    .max_flat_workgroup_size: 256
    .name:           _ZN2at6native6mbtopk10gatherTopKIljLi2EEEvNS_4cuda6detail10TensorInfoIKT_T0_EES8_S8_bjS8_NS5_IS6_S8_EES8_NS5_IlS8_EES8_jjPS6_PjSD_j
    .private_segment_fixed_size: 0
    .sgpr_count:     51
    .sgpr_spill_count: 0
    .symbol:         _ZN2at6native6mbtopk10gatherTopKIljLi2EEEvNS_4cuda6detail10TensorInfoIKT_T0_EES8_S8_bjS8_NS5_IS6_S8_EES8_NS5_IlS8_EES8_jjPS6_PjSD_j.kd
    .uniform_work_group_size: 1
    .uses_dynamic_stack: false
    .vgpr_count:     25
    .vgpr_spill_count: 0
    .wavefront_size: 32
    .workgroup_processor_mode: 1
  - .args:
      - .offset:         0
        .size:           216
        .value_kind:     by_value
      - .offset:         216
        .size:           4
        .value_kind:     by_value
      - .offset:         220
        .size:           4
        .value_kind:     by_value
      - .offset:         224
        .size:           1
        .value_kind:     by_value
      - .offset:         228
        .size:           4
        .value_kind:     by_value
      - .offset:         232
        .size:           4
        .value_kind:     by_value
      - .offset:         240
        .size:           216
        .value_kind:     by_value
      - .offset:         456
        .size:           4
        .value_kind:     by_value
      - .offset:         464
        .size:           216
        .value_kind:     by_value
      - .offset:         680
        .size:           4
        .value_kind:     by_value
      - .address_space:  global
        .offset:         688
        .size:           8
        .value_kind:     global_buffer
      - .offset:         696
        .size:           4
        .value_kind:     hidden_block_count_x
      - .offset:         700
        .size:           4
        .value_kind:     hidden_block_count_y
      - .offset:         704
        .size:           4
        .value_kind:     hidden_block_count_z
      - .offset:         708
        .size:           2
        .value_kind:     hidden_group_size_x
      - .offset:         710
        .size:           2
        .value_kind:     hidden_group_size_y
      - .offset:         712
        .size:           2
        .value_kind:     hidden_group_size_z
      - .offset:         714
        .size:           2
        .value_kind:     hidden_remainder_x
      - .offset:         716
        .size:           2
        .value_kind:     hidden_remainder_y
      - .offset:         718
        .size:           2
        .value_kind:     hidden_remainder_z
      - .offset:         736
        .size:           8
        .value_kind:     hidden_global_offset_x
      - .offset:         744
        .size:           8
        .value_kind:     hidden_global_offset_y
      - .offset:         752
        .size:           8
        .value_kind:     hidden_global_offset_z
      - .offset:         760
        .size:           2
        .value_kind:     hidden_grid_dims
    .group_segment_fixed_size: 4112
    .kernarg_segment_align: 8
    .kernarg_segment_size: 952
    .language:       OpenCL C
    .language_version:
      - 2
      - 0
    .max_flat_workgroup_size: 1024
    .name:           _ZN2at6native6sbtopk10gatherTopKIljLi2ELb0EEEvNS_4cuda6detail10TensorInfoIKT_T0_EES8_S8_bS8_S8_NS5_IS6_S8_EES8_NS5_IlS8_EES8_PS6_
    .private_segment_fixed_size: 0
    .sgpr_count:     100
    .sgpr_spill_count: 0
    .symbol:         _ZN2at6native6sbtopk10gatherTopKIljLi2ELb0EEEvNS_4cuda6detail10TensorInfoIKT_T0_EES8_S8_bS8_S8_NS5_IS6_S8_EES8_NS5_IlS8_EES8_PS6_.kd
    .uniform_work_group_size: 1
    .uses_dynamic_stack: false
    .vgpr_count:     54
    .vgpr_spill_count: 0
    .wavefront_size: 32
    .workgroup_processor_mode: 1
  - .args:
      - .offset:         0
        .size:           216
        .value_kind:     by_value
      - .offset:         216
        .size:           4
        .value_kind:     by_value
      - .address_space:  global
        .offset:         224
        .size:           8
        .value_kind:     global_buffer
      - .offset:         232
        .size:           4
        .value_kind:     by_value
      - .offset:         236
        .size:           4
        .value_kind:     by_value
      - .offset:         240
        .size:           4
        .value_kind:     by_value
      - .offset:         244
        .size:           4
        .value_kind:     by_value
      - .offset:         248
        .size:           4
        .value_kind:     by_value
      - .offset:         256
        .size:           8
        .value_kind:     by_value
      - .address_space:  global
        .offset:         264
        .size:           8
        .value_kind:     global_buffer
      - .address_space:  global
        .offset:         272
        .size:           8
        .value_kind:     global_buffer
      - .offset:         280
        .size:           4
        .value_kind:     hidden_block_count_x
      - .offset:         284
        .size:           4
        .value_kind:     hidden_block_count_y
      - .offset:         288
        .size:           4
        .value_kind:     hidden_block_count_z
      - .offset:         292
        .size:           2
        .value_kind:     hidden_group_size_x
      - .offset:         294
        .size:           2
        .value_kind:     hidden_group_size_y
      - .offset:         296
        .size:           2
        .value_kind:     hidden_group_size_z
      - .offset:         298
        .size:           2
        .value_kind:     hidden_remainder_x
      - .offset:         300
        .size:           2
        .value_kind:     hidden_remainder_y
      - .offset:         302
        .size:           2
        .value_kind:     hidden_remainder_z
      - .offset:         320
        .size:           8
        .value_kind:     hidden_global_offset_x
      - .offset:         328
        .size:           8
        .value_kind:     hidden_global_offset_y
      - .offset:         336
        .size:           8
        .value_kind:     hidden_global_offset_z
      - .offset:         344
        .size:           2
        .value_kind:     hidden_grid_dims
    .group_segment_fixed_size: 1024
    .kernarg_segment_align: 8
    .kernarg_segment_size: 536
    .language:       OpenCL C
    .language_version:
      - 2
      - 0
    .max_flat_workgroup_size: 256
    .name:           _ZN2at6native6mbtopk23computeBlockDigitCountsIljmLi3EEEvNS_4cuda6detail10TensorInfoIKT_T0_EEjPjjS8_iijT1_PSB_Ps
    .private_segment_fixed_size: 0
    .sgpr_count:     30
    .sgpr_spill_count: 0
    .symbol:         _ZN2at6native6mbtopk23computeBlockDigitCountsIljmLi3EEEvNS_4cuda6detail10TensorInfoIKT_T0_EEjPjjS8_iijT1_PSB_Ps.kd
    .uniform_work_group_size: 1
    .uses_dynamic_stack: false
    .vgpr_count:     15
    .vgpr_spill_count: 0
    .wavefront_size: 32
    .workgroup_processor_mode: 1
  - .args:
      - .offset:         0
        .size:           216
        .value_kind:     by_value
      - .offset:         216
        .size:           4
        .value_kind:     by_value
      - .offset:         220
        .size:           4
        .value_kind:     by_value
      - .offset:         224
        .size:           1
        .value_kind:     by_value
      - .offset:         228
        .size:           4
        .value_kind:     by_value
      - .offset:         232
        .size:           4
        .value_kind:     by_value
      - .offset:         240
        .size:           216
        .value_kind:     by_value
      - .offset:         456
        .size:           4
        .value_kind:     by_value
      - .offset:         464
        .size:           216
        .value_kind:     by_value
      - .offset:         680
        .size:           4
        .value_kind:     by_value
      - .offset:         684
        .size:           4
        .value_kind:     by_value
      - .offset:         688
        .size:           4
        .value_kind:     by_value
      - .address_space:  global
        .offset:         696
        .size:           8
        .value_kind:     global_buffer
      - .address_space:  global
        .offset:         704
        .size:           8
        .value_kind:     global_buffer
      - .address_space:  global
        .offset:         712
        .size:           8
        .value_kind:     global_buffer
      - .offset:         720
        .size:           4
        .value_kind:     by_value
      - .offset:         728
        .size:           4
        .value_kind:     hidden_block_count_x
      - .offset:         732
        .size:           4
        .value_kind:     hidden_block_count_y
      - .offset:         736
        .size:           4
        .value_kind:     hidden_block_count_z
      - .offset:         740
        .size:           2
        .value_kind:     hidden_group_size_x
      - .offset:         742
        .size:           2
        .value_kind:     hidden_group_size_y
      - .offset:         744
        .size:           2
        .value_kind:     hidden_group_size_z
      - .offset:         746
        .size:           2
        .value_kind:     hidden_remainder_x
      - .offset:         748
        .size:           2
        .value_kind:     hidden_remainder_y
      - .offset:         750
        .size:           2
        .value_kind:     hidden_remainder_z
      - .offset:         768
        .size:           8
        .value_kind:     hidden_global_offset_x
      - .offset:         776
        .size:           8
        .value_kind:     hidden_global_offset_y
      - .offset:         784
        .size:           8
        .value_kind:     hidden_global_offset_z
      - .offset:         792
        .size:           2
        .value_kind:     hidden_grid_dims
    .group_segment_fixed_size: 1068
    .kernarg_segment_align: 8
    .kernarg_segment_size: 984
    .language:       OpenCL C
    .language_version:
      - 2
      - 0
    .max_flat_workgroup_size: 256
    .name:           _ZN2at6native6mbtopk10gatherTopKIljLi3EEEvNS_4cuda6detail10TensorInfoIKT_T0_EES8_S8_bjS8_NS5_IS6_S8_EES8_NS5_IlS8_EES8_jjPS6_PjSD_j
    .private_segment_fixed_size: 0
    .sgpr_count:     60
    .sgpr_spill_count: 0
    .symbol:         _ZN2at6native6mbtopk10gatherTopKIljLi3EEEvNS_4cuda6detail10TensorInfoIKT_T0_EES8_S8_bjS8_NS5_IS6_S8_EES8_NS5_IlS8_EES8_jjPS6_PjSD_j.kd
    .uniform_work_group_size: 1
    .uses_dynamic_stack: false
    .vgpr_count:     25
    .vgpr_spill_count: 0
    .wavefront_size: 32
    .workgroup_processor_mode: 1
  - .args:
      - .offset:         0
        .size:           216
        .value_kind:     by_value
      - .offset:         216
        .size:           4
        .value_kind:     by_value
      - .offset:         220
        .size:           4
        .value_kind:     by_value
      - .offset:         224
        .size:           1
        .value_kind:     by_value
      - .offset:         228
        .size:           4
        .value_kind:     by_value
      - .offset:         232
        .size:           4
        .value_kind:     by_value
      - .offset:         240
        .size:           216
        .value_kind:     by_value
      - .offset:         456
        .size:           4
        .value_kind:     by_value
      - .offset:         464
        .size:           216
        .value_kind:     by_value
      - .offset:         680
        .size:           4
        .value_kind:     by_value
      - .address_space:  global
        .offset:         688
        .size:           8
        .value_kind:     global_buffer
      - .offset:         696
        .size:           4
        .value_kind:     hidden_block_count_x
      - .offset:         700
        .size:           4
        .value_kind:     hidden_block_count_y
      - .offset:         704
        .size:           4
        .value_kind:     hidden_block_count_z
      - .offset:         708
        .size:           2
        .value_kind:     hidden_group_size_x
      - .offset:         710
        .size:           2
        .value_kind:     hidden_group_size_y
      - .offset:         712
        .size:           2
        .value_kind:     hidden_group_size_z
      - .offset:         714
        .size:           2
        .value_kind:     hidden_remainder_x
      - .offset:         716
        .size:           2
        .value_kind:     hidden_remainder_y
      - .offset:         718
        .size:           2
        .value_kind:     hidden_remainder_z
      - .offset:         736
        .size:           8
        .value_kind:     hidden_global_offset_x
      - .offset:         744
        .size:           8
        .value_kind:     hidden_global_offset_y
      - .offset:         752
        .size:           8
        .value_kind:     hidden_global_offset_z
      - .offset:         760
        .size:           2
        .value_kind:     hidden_grid_dims
    .group_segment_fixed_size: 4112
    .kernarg_segment_align: 8
    .kernarg_segment_size: 952
    .language:       OpenCL C
    .language_version:
      - 2
      - 0
    .max_flat_workgroup_size: 1024
    .name:           _ZN2at6native6sbtopk10gatherTopKIljLi3ELb0EEEvNS_4cuda6detail10TensorInfoIKT_T0_EES8_S8_bS8_S8_NS5_IS6_S8_EES8_NS5_IlS8_EES8_PS6_
    .private_segment_fixed_size: 0
    .sgpr_count:     107
    .sgpr_spill_count: 0
    .symbol:         _ZN2at6native6sbtopk10gatherTopKIljLi3ELb0EEEvNS_4cuda6detail10TensorInfoIKT_T0_EES8_S8_bS8_S8_NS5_IS6_S8_EES8_NS5_IlS8_EES8_PS6_.kd
    .uniform_work_group_size: 1
    .uses_dynamic_stack: false
    .vgpr_count:     54
    .vgpr_spill_count: 0
    .wavefront_size: 32
    .workgroup_processor_mode: 1
  - .args:
      - .offset:         0
        .size:           216
        .value_kind:     by_value
      - .offset:         216
        .size:           4
        .value_kind:     by_value
      - .address_space:  global
        .offset:         224
        .size:           8
        .value_kind:     global_buffer
      - .offset:         232
        .size:           4
        .value_kind:     by_value
      - .offset:         236
        .size:           4
        .value_kind:     by_value
      - .offset:         240
        .size:           4
        .value_kind:     by_value
      - .offset:         244
        .size:           4
        .value_kind:     by_value
      - .offset:         248
        .size:           4
        .value_kind:     by_value
      - .offset:         256
        .size:           8
        .value_kind:     by_value
      - .address_space:  global
        .offset:         264
        .size:           8
        .value_kind:     global_buffer
      - .address_space:  global
        .offset:         272
        .size:           8
        .value_kind:     global_buffer
      - .offset:         280
        .size:           4
        .value_kind:     hidden_block_count_x
      - .offset:         284
        .size:           4
        .value_kind:     hidden_block_count_y
      - .offset:         288
        .size:           4
        .value_kind:     hidden_block_count_z
      - .offset:         292
        .size:           2
        .value_kind:     hidden_group_size_x
      - .offset:         294
        .size:           2
        .value_kind:     hidden_group_size_y
      - .offset:         296
        .size:           2
        .value_kind:     hidden_group_size_z
      - .offset:         298
        .size:           2
        .value_kind:     hidden_remainder_x
      - .offset:         300
        .size:           2
        .value_kind:     hidden_remainder_y
      - .offset:         302
        .size:           2
        .value_kind:     hidden_remainder_z
      - .offset:         320
        .size:           8
        .value_kind:     hidden_global_offset_x
      - .offset:         328
        .size:           8
        .value_kind:     hidden_global_offset_y
      - .offset:         336
        .size:           8
        .value_kind:     hidden_global_offset_z
      - .offset:         344
        .size:           2
        .value_kind:     hidden_grid_dims
    .group_segment_fixed_size: 1024
    .kernarg_segment_align: 8
    .kernarg_segment_size: 536
    .language:       OpenCL C
    .language_version:
      - 2
      - 0
    .max_flat_workgroup_size: 256
    .name:           _ZN2at6native6mbtopk23computeBlockDigitCountsIljmLin1EEEvNS_4cuda6detail10TensorInfoIKT_T0_EEjPjjS8_iijT1_PSB_Ps
    .private_segment_fixed_size: 0
    .sgpr_count:     27
    .sgpr_spill_count: 0
    .symbol:         _ZN2at6native6mbtopk23computeBlockDigitCountsIljmLin1EEEvNS_4cuda6detail10TensorInfoIKT_T0_EEjPjjS8_iijT1_PSB_Ps.kd
    .uniform_work_group_size: 1
    .uses_dynamic_stack: false
    .vgpr_count:     15
    .vgpr_spill_count: 0
    .wavefront_size: 32
    .workgroup_processor_mode: 1
  - .args:
      - .offset:         0
        .size:           216
        .value_kind:     by_value
      - .offset:         216
        .size:           4
        .value_kind:     by_value
      - .offset:         220
        .size:           4
        .value_kind:     by_value
      - .offset:         224
        .size:           1
        .value_kind:     by_value
      - .offset:         228
        .size:           4
        .value_kind:     by_value
      - .offset:         232
        .size:           4
        .value_kind:     by_value
      - .offset:         240
        .size:           216
        .value_kind:     by_value
      - .offset:         456
        .size:           4
        .value_kind:     by_value
      - .offset:         464
        .size:           216
        .value_kind:     by_value
      - .offset:         680
        .size:           4
        .value_kind:     by_value
      - .offset:         684
        .size:           4
        .value_kind:     by_value
      - .offset:         688
        .size:           4
        .value_kind:     by_value
      - .address_space:  global
        .offset:         696
        .size:           8
        .value_kind:     global_buffer
      - .address_space:  global
        .offset:         704
        .size:           8
        .value_kind:     global_buffer
      - .address_space:  global
        .offset:         712
        .size:           8
        .value_kind:     global_buffer
      - .offset:         720
        .size:           4
        .value_kind:     by_value
      - .offset:         728
        .size:           4
        .value_kind:     hidden_block_count_x
      - .offset:         732
        .size:           4
        .value_kind:     hidden_block_count_y
      - .offset:         736
        .size:           4
        .value_kind:     hidden_block_count_z
      - .offset:         740
        .size:           2
        .value_kind:     hidden_group_size_x
      - .offset:         742
        .size:           2
        .value_kind:     hidden_group_size_y
      - .offset:         744
        .size:           2
        .value_kind:     hidden_group_size_z
      - .offset:         746
        .size:           2
        .value_kind:     hidden_remainder_x
      - .offset:         748
        .size:           2
        .value_kind:     hidden_remainder_y
      - .offset:         750
        .size:           2
        .value_kind:     hidden_remainder_z
      - .offset:         768
        .size:           8
        .value_kind:     hidden_global_offset_x
      - .offset:         776
        .size:           8
        .value_kind:     hidden_global_offset_y
      - .offset:         784
        .size:           8
        .value_kind:     hidden_global_offset_z
      - .offset:         792
        .size:           2
        .value_kind:     hidden_grid_dims
    .group_segment_fixed_size: 1068
    .kernarg_segment_align: 8
    .kernarg_segment_size: 984
    .language:       OpenCL C
    .language_version:
      - 2
      - 0
    .max_flat_workgroup_size: 256
    .name:           _ZN2at6native6mbtopk10gatherTopKIljLin1EEEvNS_4cuda6detail10TensorInfoIKT_T0_EES8_S8_bjS8_NS5_IS6_S8_EES8_NS5_IlS8_EES8_jjPS6_PjSD_j
    .private_segment_fixed_size: 0
    .sgpr_count:     46
    .sgpr_spill_count: 0
    .symbol:         _ZN2at6native6mbtopk10gatherTopKIljLin1EEEvNS_4cuda6detail10TensorInfoIKT_T0_EES8_S8_bjS8_NS5_IS6_S8_EES8_NS5_IlS8_EES8_jjPS6_PjSD_j.kd
    .uniform_work_group_size: 1
    .uses_dynamic_stack: false
    .vgpr_count:     25
    .vgpr_spill_count: 0
    .wavefront_size: 32
    .workgroup_processor_mode: 1
  - .args:
      - .offset:         0
        .size:           216
        .value_kind:     by_value
      - .offset:         216
        .size:           4
        .value_kind:     by_value
      - .offset:         220
        .size:           4
        .value_kind:     by_value
      - .offset:         224
        .size:           1
        .value_kind:     by_value
      - .offset:         228
        .size:           4
        .value_kind:     by_value
      - .offset:         232
        .size:           4
        .value_kind:     by_value
      - .offset:         240
        .size:           216
        .value_kind:     by_value
      - .offset:         456
        .size:           4
        .value_kind:     by_value
      - .offset:         464
        .size:           216
        .value_kind:     by_value
      - .offset:         680
        .size:           4
        .value_kind:     by_value
      - .address_space:  global
        .offset:         688
        .size:           8
        .value_kind:     global_buffer
      - .offset:         696
        .size:           4
        .value_kind:     hidden_block_count_x
      - .offset:         700
        .size:           4
        .value_kind:     hidden_block_count_y
      - .offset:         704
        .size:           4
        .value_kind:     hidden_block_count_z
      - .offset:         708
        .size:           2
        .value_kind:     hidden_group_size_x
      - .offset:         710
        .size:           2
        .value_kind:     hidden_group_size_y
      - .offset:         712
        .size:           2
        .value_kind:     hidden_group_size_z
      - .offset:         714
        .size:           2
        .value_kind:     hidden_remainder_x
      - .offset:         716
        .size:           2
        .value_kind:     hidden_remainder_y
      - .offset:         718
        .size:           2
        .value_kind:     hidden_remainder_z
      - .offset:         736
        .size:           8
        .value_kind:     hidden_global_offset_x
      - .offset:         744
        .size:           8
        .value_kind:     hidden_global_offset_y
      - .offset:         752
        .size:           8
        .value_kind:     hidden_global_offset_z
      - .offset:         760
        .size:           2
        .value_kind:     hidden_grid_dims
    .group_segment_fixed_size: 4112
    .kernarg_segment_align: 8
    .kernarg_segment_size: 952
    .language:       OpenCL C
    .language_version:
      - 2
      - 0
    .max_flat_workgroup_size: 1024
    .name:           _ZN2at6native6sbtopk10gatherTopKIljLin1ELb0EEEvNS_4cuda6detail10TensorInfoIKT_T0_EES8_S8_bS8_S8_NS5_IS6_S8_EES8_NS5_IlS8_EES8_PS6_
    .private_segment_fixed_size: 0
    .sgpr_count:     97
    .sgpr_spill_count: 0
    .symbol:         _ZN2at6native6sbtopk10gatherTopKIljLin1ELb0EEEvNS_4cuda6detail10TensorInfoIKT_T0_EES8_S8_bS8_S8_NS5_IS6_S8_EES8_NS5_IlS8_EES8_PS6_.kd
    .uniform_work_group_size: 1
    .uses_dynamic_stack: false
    .vgpr_count:     54
    .vgpr_spill_count: 0
    .wavefront_size: 32
    .workgroup_processor_mode: 1
  - .args:
      - .offset:         0
        .size:           216
        .value_kind:     by_value
      - .offset:         216
        .size:           4
        .value_kind:     by_value
      - .address_space:  global
        .offset:         224
        .size:           8
        .value_kind:     global_buffer
      - .offset:         232
        .size:           4
        .value_kind:     by_value
      - .offset:         236
        .size:           4
        .value_kind:     by_value
      - .offset:         240
        .size:           4
        .value_kind:     by_value
      - .offset:         244
        .size:           4
        .value_kind:     by_value
      - .offset:         248
        .size:           4
        .value_kind:     by_value
      - .offset:         252
        .size:           4
        .value_kind:     by_value
      - .address_space:  global
        .offset:         256
        .size:           8
        .value_kind:     global_buffer
      - .address_space:  global
        .offset:         264
        .size:           8
        .value_kind:     global_buffer
      - .offset:         272
        .size:           4
        .value_kind:     hidden_block_count_x
      - .offset:         276
        .size:           4
        .value_kind:     hidden_block_count_y
      - .offset:         280
        .size:           4
        .value_kind:     hidden_block_count_z
      - .offset:         284
        .size:           2
        .value_kind:     hidden_group_size_x
      - .offset:         286
        .size:           2
        .value_kind:     hidden_group_size_y
      - .offset:         288
        .size:           2
        .value_kind:     hidden_group_size_z
      - .offset:         290
        .size:           2
        .value_kind:     hidden_remainder_x
      - .offset:         292
        .size:           2
        .value_kind:     hidden_remainder_y
      - .offset:         294
        .size:           2
        .value_kind:     hidden_remainder_z
      - .offset:         312
        .size:           8
        .value_kind:     hidden_global_offset_x
      - .offset:         320
        .size:           8
        .value_kind:     hidden_global_offset_y
      - .offset:         328
        .size:           8
        .value_kind:     hidden_global_offset_z
      - .offset:         336
        .size:           2
        .value_kind:     hidden_grid_dims
    .group_segment_fixed_size: 1024
    .kernarg_segment_align: 8
    .kernarg_segment_size: 528
    .language:       OpenCL C
    .language_version:
      - 2
      - 0
    .max_flat_workgroup_size: 256
    .name:           _ZN2at6native6mbtopk23computeBlockDigitCountsIsjjLi1EEEvNS_4cuda6detail10TensorInfoIKT_T0_EEjPjjS8_iijT1_PSB_Ps
    .private_segment_fixed_size: 0
    .sgpr_count:     22
    .sgpr_spill_count: 0
    .symbol:         _ZN2at6native6mbtopk23computeBlockDigitCountsIsjjLi1EEEvNS_4cuda6detail10TensorInfoIKT_T0_EEjPjjS8_iijT1_PSB_Ps.kd
    .uniform_work_group_size: 1
    .uses_dynamic_stack: false
    .vgpr_count:     12
    .vgpr_spill_count: 0
    .wavefront_size: 32
    .workgroup_processor_mode: 1
  - .args:
      - .address_space:  global
        .offset:         0
        .size:           8
        .value_kind:     global_buffer
      - .address_space:  global
        .offset:         8
        .size:           8
        .value_kind:     global_buffer
      - .address_space:  global
        .offset:         16
        .size:           8
        .value_kind:     global_buffer
      - .offset:         24
        .size:           4
        .value_kind:     by_value
      - .offset:         28
        .size:           4
        .value_kind:     by_value
      - .offset:         32
        .size:           1
        .value_kind:     by_value
      - .address_space:  global
        .offset:         40
        .size:           8
        .value_kind:     global_buffer
      - .address_space:  global
        .offset:         48
        .size:           8
        .value_kind:     global_buffer
      - .address_space:  global
        .offset:         56
        .size:           8
        .value_kind:     global_buffer
      - .address_space:  global
        .offset:         64
        .size:           8
        .value_kind:     global_buffer
      - .address_space:  global
        .offset:         72
        .size:           8
        .value_kind:     global_buffer
      - .offset:         80
        .size:           4
        .value_kind:     by_value
      - .offset:         88
        .size:           4
        .value_kind:     hidden_block_count_x
      - .offset:         92
        .size:           4
        .value_kind:     hidden_block_count_y
      - .offset:         96
        .size:           4
        .value_kind:     hidden_block_count_z
      - .offset:         100
        .size:           2
        .value_kind:     hidden_group_size_x
      - .offset:         102
        .size:           2
        .value_kind:     hidden_group_size_y
      - .offset:         104
        .size:           2
        .value_kind:     hidden_group_size_z
      - .offset:         106
        .size:           2
        .value_kind:     hidden_remainder_x
      - .offset:         108
        .size:           2
        .value_kind:     hidden_remainder_y
      - .offset:         110
        .size:           2
        .value_kind:     hidden_remainder_z
      - .offset:         128
        .size:           8
        .value_kind:     hidden_global_offset_x
      - .offset:         136
        .size:           8
        .value_kind:     hidden_global_offset_y
      - .offset:         144
        .size:           8
        .value_kind:     hidden_global_offset_z
      - .offset:         152
        .size:           2
        .value_kind:     hidden_grid_dims
    .group_segment_fixed_size: 2116
    .kernarg_segment_align: 8
    .kernarg_segment_size: 344
    .language:       OpenCL C
    .language_version:
      - 2
      - 0
    .max_flat_workgroup_size: 256
    .name:           _ZN2at6native6mbtopk29computeBlockwiseWithinKCountsIjsEEvPT_PsPjjibS6_PT0_S6_S4_S6_j
    .private_segment_fixed_size: 0
    .sgpr_count:     29
    .sgpr_spill_count: 0
    .symbol:         _ZN2at6native6mbtopk29computeBlockwiseWithinKCountsIjsEEvPT_PsPjjibS6_PT0_S6_S4_S6_j.kd
    .uniform_work_group_size: 1
    .uses_dynamic_stack: false
    .vgpr_count:     15
    .vgpr_spill_count: 0
    .wavefront_size: 32
    .workgroup_processor_mode: 1
  - .args:
      - .offset:         0
        .size:           216
        .value_kind:     by_value
      - .offset:         216
        .size:           4
        .value_kind:     by_value
      - .offset:         220
        .size:           4
        .value_kind:     by_value
      - .offset:         224
        .size:           1
        .value_kind:     by_value
      - .offset:         228
        .size:           4
        .value_kind:     by_value
      - .offset:         232
        .size:           4
        .value_kind:     by_value
      - .offset:         240
        .size:           216
        .value_kind:     by_value
      - .offset:         456
        .size:           4
        .value_kind:     by_value
      - .offset:         464
        .size:           216
        .value_kind:     by_value
      - .offset:         680
        .size:           4
        .value_kind:     by_value
      - .offset:         684
        .size:           4
        .value_kind:     by_value
      - .offset:         688
        .size:           4
        .value_kind:     by_value
      - .address_space:  global
        .offset:         696
        .size:           8
        .value_kind:     global_buffer
      - .address_space:  global
        .offset:         704
        .size:           8
        .value_kind:     global_buffer
      - .address_space:  global
        .offset:         712
        .size:           8
        .value_kind:     global_buffer
      - .offset:         720
        .size:           4
        .value_kind:     by_value
      - .offset:         728
        .size:           4
        .value_kind:     hidden_block_count_x
      - .offset:         732
        .size:           4
        .value_kind:     hidden_block_count_y
      - .offset:         736
        .size:           4
        .value_kind:     hidden_block_count_z
      - .offset:         740
        .size:           2
        .value_kind:     hidden_group_size_x
      - .offset:         742
        .size:           2
        .value_kind:     hidden_group_size_y
      - .offset:         744
        .size:           2
        .value_kind:     hidden_group_size_z
      - .offset:         746
        .size:           2
        .value_kind:     hidden_remainder_x
      - .offset:         748
        .size:           2
        .value_kind:     hidden_remainder_y
      - .offset:         750
        .size:           2
        .value_kind:     hidden_remainder_z
      - .offset:         768
        .size:           8
        .value_kind:     hidden_global_offset_x
      - .offset:         776
        .size:           8
        .value_kind:     hidden_global_offset_y
      - .offset:         784
        .size:           8
        .value_kind:     hidden_global_offset_z
      - .offset:         792
        .size:           2
        .value_kind:     hidden_grid_dims
    .group_segment_fixed_size: 1068
    .kernarg_segment_align: 8
    .kernarg_segment_size: 984
    .language:       OpenCL C
    .language_version:
      - 2
      - 0
    .max_flat_workgroup_size: 256
    .name:           _ZN2at6native6mbtopk10gatherTopKIsjLi1EEEvNS_4cuda6detail10TensorInfoIKT_T0_EES8_S8_bjS8_NS5_IS6_S8_EES8_NS5_IlS8_EES8_jjPS6_PjSD_j
    .private_segment_fixed_size: 0
    .sgpr_count:     37
    .sgpr_spill_count: 0
    .symbol:         _ZN2at6native6mbtopk10gatherTopKIsjLi1EEEvNS_4cuda6detail10TensorInfoIKT_T0_EES8_S8_bjS8_NS5_IS6_S8_EES8_NS5_IlS8_EES8_jjPS6_PjSD_j.kd
    .uniform_work_group_size: 1
    .uses_dynamic_stack: false
    .vgpr_count:     27
    .vgpr_spill_count: 0
    .wavefront_size: 32
    .workgroup_processor_mode: 1
  - .args:
      - .offset:         0
        .size:           216
        .value_kind:     by_value
      - .offset:         216
        .size:           4
        .value_kind:     by_value
      - .offset:         220
        .size:           4
        .value_kind:     by_value
      - .offset:         224
        .size:           1
        .value_kind:     by_value
      - .offset:         228
        .size:           4
        .value_kind:     by_value
      - .offset:         232
        .size:           4
        .value_kind:     by_value
      - .offset:         240
        .size:           216
        .value_kind:     by_value
      - .offset:         456
        .size:           4
        .value_kind:     by_value
      - .offset:         464
        .size:           216
        .value_kind:     by_value
      - .offset:         680
        .size:           4
        .value_kind:     by_value
      - .address_space:  global
        .offset:         688
        .size:           8
        .value_kind:     global_buffer
      - .offset:         696
        .size:           4
        .value_kind:     hidden_block_count_x
      - .offset:         700
        .size:           4
        .value_kind:     hidden_block_count_y
      - .offset:         704
        .size:           4
        .value_kind:     hidden_block_count_z
      - .offset:         708
        .size:           2
        .value_kind:     hidden_group_size_x
      - .offset:         710
        .size:           2
        .value_kind:     hidden_group_size_y
      - .offset:         712
        .size:           2
        .value_kind:     hidden_group_size_z
      - .offset:         714
        .size:           2
        .value_kind:     hidden_remainder_x
      - .offset:         716
        .size:           2
        .value_kind:     hidden_remainder_y
      - .offset:         718
        .size:           2
        .value_kind:     hidden_remainder_z
      - .offset:         736
        .size:           8
        .value_kind:     hidden_global_offset_x
      - .offset:         744
        .size:           8
        .value_kind:     hidden_global_offset_y
      - .offset:         752
        .size:           8
        .value_kind:     hidden_global_offset_z
      - .offset:         760
        .size:           2
        .value_kind:     hidden_grid_dims
    .group_segment_fixed_size: 4112
    .kernarg_segment_align: 8
    .kernarg_segment_size: 952
    .language:       OpenCL C
    .language_version:
      - 2
      - 0
    .max_flat_workgroup_size: 1024
    .name:           _ZN2at6native6sbtopk10gatherTopKIsjLi1ELb0EEEvNS_4cuda6detail10TensorInfoIKT_T0_EES8_S8_bS8_S8_NS5_IS6_S8_EES8_NS5_IlS8_EES8_PS6_
    .private_segment_fixed_size: 0
    .sgpr_count:     97
    .sgpr_spill_count: 0
    .symbol:         _ZN2at6native6sbtopk10gatherTopKIsjLi1ELb0EEEvNS_4cuda6detail10TensorInfoIKT_T0_EES8_S8_bS8_S8_NS5_IS6_S8_EES8_NS5_IlS8_EES8_PS6_.kd
    .uniform_work_group_size: 1
    .uses_dynamic_stack: false
    .vgpr_count:     61
    .vgpr_spill_count: 0
    .wavefront_size: 32
    .workgroup_processor_mode: 1
  - .args:
      - .offset:         0
        .size:           216
        .value_kind:     by_value
      - .offset:         216
        .size:           4
        .value_kind:     by_value
      - .address_space:  global
        .offset:         224
        .size:           8
        .value_kind:     global_buffer
      - .offset:         232
        .size:           4
        .value_kind:     by_value
      - .offset:         236
        .size:           4
        .value_kind:     by_value
      - .offset:         240
        .size:           4
        .value_kind:     by_value
      - .offset:         244
        .size:           4
        .value_kind:     by_value
      - .offset:         248
        .size:           4
        .value_kind:     by_value
      - .offset:         252
        .size:           4
        .value_kind:     by_value
      - .address_space:  global
        .offset:         256
        .size:           8
        .value_kind:     global_buffer
      - .address_space:  global
        .offset:         264
        .size:           8
        .value_kind:     global_buffer
      - .offset:         272
        .size:           4
        .value_kind:     hidden_block_count_x
      - .offset:         276
        .size:           4
        .value_kind:     hidden_block_count_y
      - .offset:         280
        .size:           4
        .value_kind:     hidden_block_count_z
      - .offset:         284
        .size:           2
        .value_kind:     hidden_group_size_x
      - .offset:         286
        .size:           2
        .value_kind:     hidden_group_size_y
      - .offset:         288
        .size:           2
        .value_kind:     hidden_group_size_z
      - .offset:         290
        .size:           2
        .value_kind:     hidden_remainder_x
      - .offset:         292
        .size:           2
        .value_kind:     hidden_remainder_y
      - .offset:         294
        .size:           2
        .value_kind:     hidden_remainder_z
      - .offset:         312
        .size:           8
        .value_kind:     hidden_global_offset_x
      - .offset:         320
        .size:           8
        .value_kind:     hidden_global_offset_y
      - .offset:         328
        .size:           8
        .value_kind:     hidden_global_offset_z
      - .offset:         336
        .size:           2
        .value_kind:     hidden_grid_dims
    .group_segment_fixed_size: 1024
    .kernarg_segment_align: 8
    .kernarg_segment_size: 528
    .language:       OpenCL C
    .language_version:
      - 2
      - 0
    .max_flat_workgroup_size: 256
    .name:           _ZN2at6native6mbtopk23computeBlockDigitCountsIsjjLi2EEEvNS_4cuda6detail10TensorInfoIKT_T0_EEjPjjS8_iijT1_PSB_Ps
    .private_segment_fixed_size: 0
    .sgpr_count:     25
    .sgpr_spill_count: 0
    .symbol:         _ZN2at6native6mbtopk23computeBlockDigitCountsIsjjLi2EEEvNS_4cuda6detail10TensorInfoIKT_T0_EEjPjjS8_iijT1_PSB_Ps.kd
    .uniform_work_group_size: 1
    .uses_dynamic_stack: false
    .vgpr_count:     12
    .vgpr_spill_count: 0
    .wavefront_size: 32
    .workgroup_processor_mode: 1
  - .args:
      - .offset:         0
        .size:           216
        .value_kind:     by_value
      - .offset:         216
        .size:           4
        .value_kind:     by_value
      - .offset:         220
        .size:           4
        .value_kind:     by_value
      - .offset:         224
        .size:           1
        .value_kind:     by_value
      - .offset:         228
        .size:           4
        .value_kind:     by_value
      - .offset:         232
        .size:           4
        .value_kind:     by_value
      - .offset:         240
        .size:           216
        .value_kind:     by_value
      - .offset:         456
        .size:           4
        .value_kind:     by_value
      - .offset:         464
        .size:           216
        .value_kind:     by_value
      - .offset:         680
        .size:           4
        .value_kind:     by_value
      - .offset:         684
        .size:           4
        .value_kind:     by_value
      - .offset:         688
        .size:           4
        .value_kind:     by_value
      - .address_space:  global
        .offset:         696
        .size:           8
        .value_kind:     global_buffer
      - .address_space:  global
        .offset:         704
        .size:           8
        .value_kind:     global_buffer
      - .address_space:  global
        .offset:         712
        .size:           8
        .value_kind:     global_buffer
      - .offset:         720
        .size:           4
        .value_kind:     by_value
      - .offset:         728
        .size:           4
        .value_kind:     hidden_block_count_x
      - .offset:         732
        .size:           4
        .value_kind:     hidden_block_count_y
      - .offset:         736
        .size:           4
        .value_kind:     hidden_block_count_z
      - .offset:         740
        .size:           2
        .value_kind:     hidden_group_size_x
      - .offset:         742
        .size:           2
        .value_kind:     hidden_group_size_y
      - .offset:         744
        .size:           2
        .value_kind:     hidden_group_size_z
      - .offset:         746
        .size:           2
        .value_kind:     hidden_remainder_x
      - .offset:         748
        .size:           2
        .value_kind:     hidden_remainder_y
      - .offset:         750
        .size:           2
        .value_kind:     hidden_remainder_z
      - .offset:         768
        .size:           8
        .value_kind:     hidden_global_offset_x
      - .offset:         776
        .size:           8
        .value_kind:     hidden_global_offset_y
      - .offset:         784
        .size:           8
        .value_kind:     hidden_global_offset_z
      - .offset:         792
        .size:           2
        .value_kind:     hidden_grid_dims
    .group_segment_fixed_size: 1068
    .kernarg_segment_align: 8
    .kernarg_segment_size: 984
    .language:       OpenCL C
    .language_version:
      - 2
      - 0
    .max_flat_workgroup_size: 256
    .name:           _ZN2at6native6mbtopk10gatherTopKIsjLi2EEEvNS_4cuda6detail10TensorInfoIKT_T0_EES8_S8_bjS8_NS5_IS6_S8_EES8_NS5_IlS8_EES8_jjPS6_PjSD_j
    .private_segment_fixed_size: 0
    .sgpr_count:     49
    .sgpr_spill_count: 0
    .symbol:         _ZN2at6native6mbtopk10gatherTopKIsjLi2EEEvNS_4cuda6detail10TensorInfoIKT_T0_EES8_S8_bjS8_NS5_IS6_S8_EES8_NS5_IlS8_EES8_jjPS6_PjSD_j.kd
    .uniform_work_group_size: 1
    .uses_dynamic_stack: false
    .vgpr_count:     27
    .vgpr_spill_count: 0
    .wavefront_size: 32
    .workgroup_processor_mode: 1
  - .args:
      - .offset:         0
        .size:           216
        .value_kind:     by_value
      - .offset:         216
        .size:           4
        .value_kind:     by_value
      - .offset:         220
        .size:           4
        .value_kind:     by_value
      - .offset:         224
        .size:           1
        .value_kind:     by_value
      - .offset:         228
        .size:           4
        .value_kind:     by_value
      - .offset:         232
        .size:           4
        .value_kind:     by_value
      - .offset:         240
        .size:           216
        .value_kind:     by_value
      - .offset:         456
        .size:           4
        .value_kind:     by_value
      - .offset:         464
        .size:           216
        .value_kind:     by_value
      - .offset:         680
        .size:           4
        .value_kind:     by_value
      - .address_space:  global
        .offset:         688
        .size:           8
        .value_kind:     global_buffer
      - .offset:         696
        .size:           4
        .value_kind:     hidden_block_count_x
      - .offset:         700
        .size:           4
        .value_kind:     hidden_block_count_y
      - .offset:         704
        .size:           4
        .value_kind:     hidden_block_count_z
      - .offset:         708
        .size:           2
        .value_kind:     hidden_group_size_x
      - .offset:         710
        .size:           2
        .value_kind:     hidden_group_size_y
      - .offset:         712
        .size:           2
        .value_kind:     hidden_group_size_z
      - .offset:         714
        .size:           2
        .value_kind:     hidden_remainder_x
      - .offset:         716
        .size:           2
        .value_kind:     hidden_remainder_y
      - .offset:         718
        .size:           2
        .value_kind:     hidden_remainder_z
      - .offset:         736
        .size:           8
        .value_kind:     hidden_global_offset_x
      - .offset:         744
        .size:           8
        .value_kind:     hidden_global_offset_y
      - .offset:         752
        .size:           8
        .value_kind:     hidden_global_offset_z
      - .offset:         760
        .size:           2
        .value_kind:     hidden_grid_dims
    .group_segment_fixed_size: 4112
    .kernarg_segment_align: 8
    .kernarg_segment_size: 952
    .language:       OpenCL C
    .language_version:
      - 2
      - 0
    .max_flat_workgroup_size: 1024
    .name:           _ZN2at6native6sbtopk10gatherTopKIsjLi2ELb0EEEvNS_4cuda6detail10TensorInfoIKT_T0_EES8_S8_bS8_S8_NS5_IS6_S8_EES8_NS5_IlS8_EES8_PS6_
    .private_segment_fixed_size: 0
    .sgpr_count:     107
    .sgpr_spill_count: 0
    .symbol:         _ZN2at6native6sbtopk10gatherTopKIsjLi2ELb0EEEvNS_4cuda6detail10TensorInfoIKT_T0_EES8_S8_bS8_S8_NS5_IS6_S8_EES8_NS5_IlS8_EES8_PS6_.kd
    .uniform_work_group_size: 1
    .uses_dynamic_stack: false
    .vgpr_count:     61
    .vgpr_spill_count: 0
    .wavefront_size: 32
    .workgroup_processor_mode: 1
  - .args:
      - .offset:         0
        .size:           216
        .value_kind:     by_value
      - .offset:         216
        .size:           4
        .value_kind:     by_value
      - .address_space:  global
        .offset:         224
        .size:           8
        .value_kind:     global_buffer
      - .offset:         232
        .size:           4
        .value_kind:     by_value
      - .offset:         236
        .size:           4
        .value_kind:     by_value
      - .offset:         240
        .size:           4
        .value_kind:     by_value
      - .offset:         244
        .size:           4
        .value_kind:     by_value
      - .offset:         248
        .size:           4
        .value_kind:     by_value
      - .offset:         252
        .size:           4
        .value_kind:     by_value
      - .address_space:  global
        .offset:         256
        .size:           8
        .value_kind:     global_buffer
      - .address_space:  global
        .offset:         264
        .size:           8
        .value_kind:     global_buffer
      - .offset:         272
        .size:           4
        .value_kind:     hidden_block_count_x
      - .offset:         276
        .size:           4
        .value_kind:     hidden_block_count_y
      - .offset:         280
        .size:           4
        .value_kind:     hidden_block_count_z
      - .offset:         284
        .size:           2
        .value_kind:     hidden_group_size_x
      - .offset:         286
        .size:           2
        .value_kind:     hidden_group_size_y
      - .offset:         288
        .size:           2
        .value_kind:     hidden_group_size_z
      - .offset:         290
        .size:           2
        .value_kind:     hidden_remainder_x
      - .offset:         292
        .size:           2
        .value_kind:     hidden_remainder_y
      - .offset:         294
        .size:           2
        .value_kind:     hidden_remainder_z
      - .offset:         312
        .size:           8
        .value_kind:     hidden_global_offset_x
      - .offset:         320
        .size:           8
        .value_kind:     hidden_global_offset_y
      - .offset:         328
        .size:           8
        .value_kind:     hidden_global_offset_z
      - .offset:         336
        .size:           2
        .value_kind:     hidden_grid_dims
    .group_segment_fixed_size: 1024
    .kernarg_segment_align: 8
    .kernarg_segment_size: 528
    .language:       OpenCL C
    .language_version:
      - 2
      - 0
    .max_flat_workgroup_size: 256
    .name:           _ZN2at6native6mbtopk23computeBlockDigitCountsIsjjLi3EEEvNS_4cuda6detail10TensorInfoIKT_T0_EEjPjjS8_iijT1_PSB_Ps
    .private_segment_fixed_size: 0
    .sgpr_count:     28
    .sgpr_spill_count: 0
    .symbol:         _ZN2at6native6mbtopk23computeBlockDigitCountsIsjjLi3EEEvNS_4cuda6detail10TensorInfoIKT_T0_EEjPjjS8_iijT1_PSB_Ps.kd
    .uniform_work_group_size: 1
    .uses_dynamic_stack: false
    .vgpr_count:     12
    .vgpr_spill_count: 0
    .wavefront_size: 32
    .workgroup_processor_mode: 1
  - .args:
      - .offset:         0
        .size:           216
        .value_kind:     by_value
      - .offset:         216
        .size:           4
        .value_kind:     by_value
      - .offset:         220
        .size:           4
        .value_kind:     by_value
      - .offset:         224
        .size:           1
        .value_kind:     by_value
      - .offset:         228
        .size:           4
        .value_kind:     by_value
      - .offset:         232
        .size:           4
        .value_kind:     by_value
      - .offset:         240
        .size:           216
        .value_kind:     by_value
      - .offset:         456
        .size:           4
        .value_kind:     by_value
      - .offset:         464
        .size:           216
        .value_kind:     by_value
      - .offset:         680
        .size:           4
        .value_kind:     by_value
      - .offset:         684
        .size:           4
        .value_kind:     by_value
      - .offset:         688
        .size:           4
        .value_kind:     by_value
      - .address_space:  global
        .offset:         696
        .size:           8
        .value_kind:     global_buffer
      - .address_space:  global
        .offset:         704
        .size:           8
        .value_kind:     global_buffer
      - .address_space:  global
        .offset:         712
        .size:           8
        .value_kind:     global_buffer
      - .offset:         720
        .size:           4
        .value_kind:     by_value
      - .offset:         728
        .size:           4
        .value_kind:     hidden_block_count_x
      - .offset:         732
        .size:           4
        .value_kind:     hidden_block_count_y
      - .offset:         736
        .size:           4
        .value_kind:     hidden_block_count_z
      - .offset:         740
        .size:           2
        .value_kind:     hidden_group_size_x
      - .offset:         742
        .size:           2
        .value_kind:     hidden_group_size_y
      - .offset:         744
        .size:           2
        .value_kind:     hidden_group_size_z
      - .offset:         746
        .size:           2
        .value_kind:     hidden_remainder_x
      - .offset:         748
        .size:           2
        .value_kind:     hidden_remainder_y
      - .offset:         750
        .size:           2
        .value_kind:     hidden_remainder_z
      - .offset:         768
        .size:           8
        .value_kind:     hidden_global_offset_x
      - .offset:         776
        .size:           8
        .value_kind:     hidden_global_offset_y
      - .offset:         784
        .size:           8
        .value_kind:     hidden_global_offset_z
      - .offset:         792
        .size:           2
        .value_kind:     hidden_grid_dims
    .group_segment_fixed_size: 1068
    .kernarg_segment_align: 8
    .kernarg_segment_size: 984
    .language:       OpenCL C
    .language_version:
      - 2
      - 0
    .max_flat_workgroup_size: 256
    .name:           _ZN2at6native6mbtopk10gatherTopKIsjLi3EEEvNS_4cuda6detail10TensorInfoIKT_T0_EES8_S8_bjS8_NS5_IS6_S8_EES8_NS5_IlS8_EES8_jjPS6_PjSD_j
    .private_segment_fixed_size: 0
    .sgpr_count:     58
    .sgpr_spill_count: 0
    .symbol:         _ZN2at6native6mbtopk10gatherTopKIsjLi3EEEvNS_4cuda6detail10TensorInfoIKT_T0_EES8_S8_bjS8_NS5_IS6_S8_EES8_NS5_IlS8_EES8_jjPS6_PjSD_j.kd
    .uniform_work_group_size: 1
    .uses_dynamic_stack: false
    .vgpr_count:     27
    .vgpr_spill_count: 0
    .wavefront_size: 32
    .workgroup_processor_mode: 1
  - .args:
      - .offset:         0
        .size:           216
        .value_kind:     by_value
      - .offset:         216
        .size:           4
        .value_kind:     by_value
      - .offset:         220
        .size:           4
        .value_kind:     by_value
      - .offset:         224
        .size:           1
        .value_kind:     by_value
      - .offset:         228
        .size:           4
        .value_kind:     by_value
      - .offset:         232
        .size:           4
        .value_kind:     by_value
      - .offset:         240
        .size:           216
        .value_kind:     by_value
      - .offset:         456
        .size:           4
        .value_kind:     by_value
      - .offset:         464
        .size:           216
        .value_kind:     by_value
      - .offset:         680
        .size:           4
        .value_kind:     by_value
      - .address_space:  global
        .offset:         688
        .size:           8
        .value_kind:     global_buffer
      - .offset:         696
        .size:           4
        .value_kind:     hidden_block_count_x
      - .offset:         700
        .size:           4
        .value_kind:     hidden_block_count_y
      - .offset:         704
        .size:           4
        .value_kind:     hidden_block_count_z
      - .offset:         708
        .size:           2
        .value_kind:     hidden_group_size_x
      - .offset:         710
        .size:           2
        .value_kind:     hidden_group_size_y
      - .offset:         712
        .size:           2
        .value_kind:     hidden_group_size_z
      - .offset:         714
        .size:           2
        .value_kind:     hidden_remainder_x
      - .offset:         716
        .size:           2
        .value_kind:     hidden_remainder_y
      - .offset:         718
        .size:           2
        .value_kind:     hidden_remainder_z
      - .offset:         736
        .size:           8
        .value_kind:     hidden_global_offset_x
      - .offset:         744
        .size:           8
        .value_kind:     hidden_global_offset_y
      - .offset:         752
        .size:           8
        .value_kind:     hidden_global_offset_z
      - .offset:         760
        .size:           2
        .value_kind:     hidden_grid_dims
    .group_segment_fixed_size: 4112
    .kernarg_segment_align: 8
    .kernarg_segment_size: 952
    .language:       OpenCL C
    .language_version:
      - 2
      - 0
    .max_flat_workgroup_size: 1024
    .name:           _ZN2at6native6sbtopk10gatherTopKIsjLi3ELb0EEEvNS_4cuda6detail10TensorInfoIKT_T0_EES8_S8_bS8_S8_NS5_IS6_S8_EES8_NS5_IlS8_EES8_PS6_
    .private_segment_fixed_size: 0
    .sgpr_count:     107
    .sgpr_spill_count: 2
    .symbol:         _ZN2at6native6sbtopk10gatherTopKIsjLi3ELb0EEEvNS_4cuda6detail10TensorInfoIKT_T0_EES8_S8_bS8_S8_NS5_IS6_S8_EES8_NS5_IlS8_EES8_PS6_.kd
    .uniform_work_group_size: 1
    .uses_dynamic_stack: false
    .vgpr_count:     62
    .vgpr_spill_count: 0
    .wavefront_size: 32
    .workgroup_processor_mode: 1
  - .args:
      - .offset:         0
        .size:           216
        .value_kind:     by_value
      - .offset:         216
        .size:           4
        .value_kind:     by_value
      - .address_space:  global
        .offset:         224
        .size:           8
        .value_kind:     global_buffer
      - .offset:         232
        .size:           4
        .value_kind:     by_value
      - .offset:         236
        .size:           4
        .value_kind:     by_value
      - .offset:         240
        .size:           4
        .value_kind:     by_value
      - .offset:         244
        .size:           4
        .value_kind:     by_value
      - .offset:         248
        .size:           4
        .value_kind:     by_value
      - .offset:         252
        .size:           4
        .value_kind:     by_value
      - .address_space:  global
        .offset:         256
        .size:           8
        .value_kind:     global_buffer
      - .address_space:  global
        .offset:         264
        .size:           8
        .value_kind:     global_buffer
      - .offset:         272
        .size:           4
        .value_kind:     hidden_block_count_x
      - .offset:         276
        .size:           4
        .value_kind:     hidden_block_count_y
      - .offset:         280
        .size:           4
        .value_kind:     hidden_block_count_z
      - .offset:         284
        .size:           2
        .value_kind:     hidden_group_size_x
      - .offset:         286
        .size:           2
        .value_kind:     hidden_group_size_y
      - .offset:         288
        .size:           2
        .value_kind:     hidden_group_size_z
      - .offset:         290
        .size:           2
        .value_kind:     hidden_remainder_x
      - .offset:         292
        .size:           2
        .value_kind:     hidden_remainder_y
      - .offset:         294
        .size:           2
        .value_kind:     hidden_remainder_z
      - .offset:         312
        .size:           8
        .value_kind:     hidden_global_offset_x
      - .offset:         320
        .size:           8
        .value_kind:     hidden_global_offset_y
      - .offset:         328
        .size:           8
        .value_kind:     hidden_global_offset_z
      - .offset:         336
        .size:           2
        .value_kind:     hidden_grid_dims
    .group_segment_fixed_size: 1024
    .kernarg_segment_align: 8
    .kernarg_segment_size: 528
    .language:       OpenCL C
    .language_version:
      - 2
      - 0
    .max_flat_workgroup_size: 256
    .name:           _ZN2at6native6mbtopk23computeBlockDigitCountsIsjjLin1EEEvNS_4cuda6detail10TensorInfoIKT_T0_EEjPjjS8_iijT1_PSB_Ps
    .private_segment_fixed_size: 0
    .sgpr_count:     26
    .sgpr_spill_count: 0
    .symbol:         _ZN2at6native6mbtopk23computeBlockDigitCountsIsjjLin1EEEvNS_4cuda6detail10TensorInfoIKT_T0_EEjPjjS8_iijT1_PSB_Ps.kd
    .uniform_work_group_size: 1
    .uses_dynamic_stack: false
    .vgpr_count:     12
    .vgpr_spill_count: 0
    .wavefront_size: 32
    .workgroup_processor_mode: 1
  - .args:
      - .offset:         0
        .size:           216
        .value_kind:     by_value
      - .offset:         216
        .size:           4
        .value_kind:     by_value
      - .offset:         220
        .size:           4
        .value_kind:     by_value
      - .offset:         224
        .size:           1
        .value_kind:     by_value
      - .offset:         228
        .size:           4
        .value_kind:     by_value
      - .offset:         232
        .size:           4
        .value_kind:     by_value
      - .offset:         240
        .size:           216
        .value_kind:     by_value
      - .offset:         456
        .size:           4
        .value_kind:     by_value
      - .offset:         464
        .size:           216
        .value_kind:     by_value
      - .offset:         680
        .size:           4
        .value_kind:     by_value
      - .offset:         684
        .size:           4
        .value_kind:     by_value
      - .offset:         688
        .size:           4
        .value_kind:     by_value
      - .address_space:  global
        .offset:         696
        .size:           8
        .value_kind:     global_buffer
      - .address_space:  global
        .offset:         704
        .size:           8
        .value_kind:     global_buffer
      - .address_space:  global
        .offset:         712
        .size:           8
        .value_kind:     global_buffer
      - .offset:         720
        .size:           4
        .value_kind:     by_value
      - .offset:         728
        .size:           4
        .value_kind:     hidden_block_count_x
      - .offset:         732
        .size:           4
        .value_kind:     hidden_block_count_y
      - .offset:         736
        .size:           4
        .value_kind:     hidden_block_count_z
      - .offset:         740
        .size:           2
        .value_kind:     hidden_group_size_x
      - .offset:         742
        .size:           2
        .value_kind:     hidden_group_size_y
      - .offset:         744
        .size:           2
        .value_kind:     hidden_group_size_z
      - .offset:         746
        .size:           2
        .value_kind:     hidden_remainder_x
      - .offset:         748
        .size:           2
        .value_kind:     hidden_remainder_y
      - .offset:         750
        .size:           2
        .value_kind:     hidden_remainder_z
      - .offset:         768
        .size:           8
        .value_kind:     hidden_global_offset_x
      - .offset:         776
        .size:           8
        .value_kind:     hidden_global_offset_y
      - .offset:         784
        .size:           8
        .value_kind:     hidden_global_offset_z
      - .offset:         792
        .size:           2
        .value_kind:     hidden_grid_dims
    .group_segment_fixed_size: 1068
    .kernarg_segment_align: 8
    .kernarg_segment_size: 984
    .language:       OpenCL C
    .language_version:
      - 2
      - 0
    .max_flat_workgroup_size: 256
    .name:           _ZN2at6native6mbtopk10gatherTopKIsjLin1EEEvNS_4cuda6detail10TensorInfoIKT_T0_EES8_S8_bjS8_NS5_IS6_S8_EES8_NS5_IlS8_EES8_jjPS6_PjSD_j
    .private_segment_fixed_size: 0
    .sgpr_count:     44
    .sgpr_spill_count: 0
    .symbol:         _ZN2at6native6mbtopk10gatherTopKIsjLin1EEEvNS_4cuda6detail10TensorInfoIKT_T0_EES8_S8_bjS8_NS5_IS6_S8_EES8_NS5_IlS8_EES8_jjPS6_PjSD_j.kd
    .uniform_work_group_size: 1
    .uses_dynamic_stack: false
    .vgpr_count:     27
    .vgpr_spill_count: 0
    .wavefront_size: 32
    .workgroup_processor_mode: 1
  - .args:
      - .offset:         0
        .size:           216
        .value_kind:     by_value
      - .offset:         216
        .size:           4
        .value_kind:     by_value
      - .offset:         220
        .size:           4
        .value_kind:     by_value
      - .offset:         224
        .size:           1
        .value_kind:     by_value
      - .offset:         228
        .size:           4
        .value_kind:     by_value
      - .offset:         232
        .size:           4
        .value_kind:     by_value
      - .offset:         240
        .size:           216
        .value_kind:     by_value
      - .offset:         456
        .size:           4
        .value_kind:     by_value
      - .offset:         464
        .size:           216
        .value_kind:     by_value
      - .offset:         680
        .size:           4
        .value_kind:     by_value
      - .address_space:  global
        .offset:         688
        .size:           8
        .value_kind:     global_buffer
      - .offset:         696
        .size:           4
        .value_kind:     hidden_block_count_x
      - .offset:         700
        .size:           4
        .value_kind:     hidden_block_count_y
      - .offset:         704
        .size:           4
        .value_kind:     hidden_block_count_z
      - .offset:         708
        .size:           2
        .value_kind:     hidden_group_size_x
      - .offset:         710
        .size:           2
        .value_kind:     hidden_group_size_y
      - .offset:         712
        .size:           2
        .value_kind:     hidden_group_size_z
      - .offset:         714
        .size:           2
        .value_kind:     hidden_remainder_x
      - .offset:         716
        .size:           2
        .value_kind:     hidden_remainder_y
      - .offset:         718
        .size:           2
        .value_kind:     hidden_remainder_z
      - .offset:         736
        .size:           8
        .value_kind:     hidden_global_offset_x
      - .offset:         744
        .size:           8
        .value_kind:     hidden_global_offset_y
      - .offset:         752
        .size:           8
        .value_kind:     hidden_global_offset_z
      - .offset:         760
        .size:           2
        .value_kind:     hidden_grid_dims
    .group_segment_fixed_size: 4112
    .kernarg_segment_align: 8
    .kernarg_segment_size: 952
    .language:       OpenCL C
    .language_version:
      - 2
      - 0
    .max_flat_workgroup_size: 1024
    .name:           _ZN2at6native6sbtopk10gatherTopKIsjLin1ELb0EEEvNS_4cuda6detail10TensorInfoIKT_T0_EES8_S8_bS8_S8_NS5_IS6_S8_EES8_NS5_IlS8_EES8_PS6_
    .private_segment_fixed_size: 0
    .sgpr_count:     100
    .sgpr_spill_count: 0
    .symbol:         _ZN2at6native6sbtopk10gatherTopKIsjLin1ELb0EEEvNS_4cuda6detail10TensorInfoIKT_T0_EES8_S8_bS8_S8_NS5_IS6_S8_EES8_NS5_IlS8_EES8_PS6_.kd
    .uniform_work_group_size: 1
    .uses_dynamic_stack: false
    .vgpr_count:     61
    .vgpr_spill_count: 0
    .wavefront_size: 32
    .workgroup_processor_mode: 1
  - .args:
      - .offset:         0
        .size:           216
        .value_kind:     by_value
      - .offset:         216
        .size:           4
        .value_kind:     by_value
      - .address_space:  global
        .offset:         224
        .size:           8
        .value_kind:     global_buffer
      - .offset:         232
        .size:           4
        .value_kind:     by_value
      - .offset:         236
        .size:           4
        .value_kind:     by_value
      - .offset:         240
        .size:           4
        .value_kind:     by_value
      - .offset:         244
        .size:           4
        .value_kind:     by_value
      - .offset:         248
        .size:           4
        .value_kind:     by_value
      - .offset:         256
        .size:           8
        .value_kind:     by_value
      - .address_space:  global
        .offset:         264
        .size:           8
        .value_kind:     global_buffer
      - .address_space:  global
        .offset:         272
        .size:           8
        .value_kind:     global_buffer
      - .offset:         280
        .size:           4
        .value_kind:     hidden_block_count_x
      - .offset:         284
        .size:           4
        .value_kind:     hidden_block_count_y
      - .offset:         288
        .size:           4
        .value_kind:     hidden_block_count_z
      - .offset:         292
        .size:           2
        .value_kind:     hidden_group_size_x
      - .offset:         294
        .size:           2
        .value_kind:     hidden_group_size_y
      - .offset:         296
        .size:           2
        .value_kind:     hidden_group_size_z
      - .offset:         298
        .size:           2
        .value_kind:     hidden_remainder_x
      - .offset:         300
        .size:           2
        .value_kind:     hidden_remainder_y
      - .offset:         302
        .size:           2
        .value_kind:     hidden_remainder_z
      - .offset:         320
        .size:           8
        .value_kind:     hidden_global_offset_x
      - .offset:         328
        .size:           8
        .value_kind:     hidden_global_offset_y
      - .offset:         336
        .size:           8
        .value_kind:     hidden_global_offset_z
      - .offset:         344
        .size:           2
        .value_kind:     hidden_grid_dims
    .group_segment_fixed_size: 1024
    .kernarg_segment_align: 8
    .kernarg_segment_size: 536
    .language:       OpenCL C
    .language_version:
      - 2
      - 0
    .max_flat_workgroup_size: 256
    .name:           _ZN2at6native6mbtopk23computeBlockDigitCountsIdjmLi1EEEvNS_4cuda6detail10TensorInfoIKT_T0_EEjPjjS8_iijT1_PSB_Ps
    .private_segment_fixed_size: 0
    .sgpr_count:     22
    .sgpr_spill_count: 0
    .symbol:         _ZN2at6native6mbtopk23computeBlockDigitCountsIdjmLi1EEEvNS_4cuda6detail10TensorInfoIKT_T0_EEjPjjS8_iijT1_PSB_Ps.kd
    .uniform_work_group_size: 1
    .uses_dynamic_stack: false
    .vgpr_count:     14
    .vgpr_spill_count: 0
    .wavefront_size: 32
    .workgroup_processor_mode: 1
  - .args:
      - .address_space:  global
        .offset:         0
        .size:           8
        .value_kind:     global_buffer
      - .address_space:  global
        .offset:         8
        .size:           8
        .value_kind:     global_buffer
      - .address_space:  global
        .offset:         16
        .size:           8
        .value_kind:     global_buffer
      - .offset:         24
        .size:           4
        .value_kind:     by_value
      - .offset:         28
        .size:           4
        .value_kind:     by_value
      - .offset:         32
        .size:           1
        .value_kind:     by_value
      - .address_space:  global
        .offset:         40
        .size:           8
        .value_kind:     global_buffer
      - .address_space:  global
        .offset:         48
        .size:           8
        .value_kind:     global_buffer
      - .address_space:  global
        .offset:         56
        .size:           8
        .value_kind:     global_buffer
      - .address_space:  global
        .offset:         64
        .size:           8
        .value_kind:     global_buffer
      - .address_space:  global
        .offset:         72
        .size:           8
        .value_kind:     global_buffer
      - .offset:         80
        .size:           4
        .value_kind:     by_value
      - .offset:         88
        .size:           4
        .value_kind:     hidden_block_count_x
      - .offset:         92
        .size:           4
        .value_kind:     hidden_block_count_y
      - .offset:         96
        .size:           4
        .value_kind:     hidden_block_count_z
      - .offset:         100
        .size:           2
        .value_kind:     hidden_group_size_x
      - .offset:         102
        .size:           2
        .value_kind:     hidden_group_size_y
      - .offset:         104
        .size:           2
        .value_kind:     hidden_group_size_z
      - .offset:         106
        .size:           2
        .value_kind:     hidden_remainder_x
      - .offset:         108
        .size:           2
        .value_kind:     hidden_remainder_y
      - .offset:         110
        .size:           2
        .value_kind:     hidden_remainder_z
      - .offset:         128
        .size:           8
        .value_kind:     hidden_global_offset_x
      - .offset:         136
        .size:           8
        .value_kind:     hidden_global_offset_y
      - .offset:         144
        .size:           8
        .value_kind:     hidden_global_offset_z
      - .offset:         152
        .size:           2
        .value_kind:     hidden_grid_dims
    .group_segment_fixed_size: 2120
    .kernarg_segment_align: 8
    .kernarg_segment_size: 344
    .language:       OpenCL C
    .language_version:
      - 2
      - 0
    .max_flat_workgroup_size: 256
    .name:           _ZN2at6native6mbtopk29computeBlockwiseWithinKCountsImdEEvPT_PsPjjibS6_PT0_S6_S4_S6_j
    .private_segment_fixed_size: 0
    .sgpr_count:     31
    .sgpr_spill_count: 0
    .symbol:         _ZN2at6native6mbtopk29computeBlockwiseWithinKCountsImdEEvPT_PsPjjibS6_PT0_S6_S4_S6_j.kd
    .uniform_work_group_size: 1
    .uses_dynamic_stack: false
    .vgpr_count:     16
    .vgpr_spill_count: 0
    .wavefront_size: 32
    .workgroup_processor_mode: 1
  - .args:
      - .offset:         0
        .size:           216
        .value_kind:     by_value
      - .offset:         216
        .size:           4
        .value_kind:     by_value
      - .offset:         220
        .size:           4
        .value_kind:     by_value
      - .offset:         224
        .size:           1
        .value_kind:     by_value
      - .offset:         228
        .size:           4
        .value_kind:     by_value
      - .offset:         232
        .size:           4
        .value_kind:     by_value
      - .offset:         240
        .size:           216
        .value_kind:     by_value
      - .offset:         456
        .size:           4
        .value_kind:     by_value
      - .offset:         464
        .size:           216
        .value_kind:     by_value
      - .offset:         680
        .size:           4
        .value_kind:     by_value
      - .offset:         684
        .size:           4
        .value_kind:     by_value
      - .offset:         688
        .size:           4
        .value_kind:     by_value
      - .address_space:  global
        .offset:         696
        .size:           8
        .value_kind:     global_buffer
      - .address_space:  global
        .offset:         704
        .size:           8
        .value_kind:     global_buffer
      - .address_space:  global
        .offset:         712
        .size:           8
        .value_kind:     global_buffer
      - .offset:         720
        .size:           4
        .value_kind:     by_value
      - .offset:         728
        .size:           4
        .value_kind:     hidden_block_count_x
      - .offset:         732
        .size:           4
        .value_kind:     hidden_block_count_y
      - .offset:         736
        .size:           4
        .value_kind:     hidden_block_count_z
      - .offset:         740
        .size:           2
        .value_kind:     hidden_group_size_x
      - .offset:         742
        .size:           2
        .value_kind:     hidden_group_size_y
      - .offset:         744
        .size:           2
        .value_kind:     hidden_group_size_z
      - .offset:         746
        .size:           2
        .value_kind:     hidden_remainder_x
      - .offset:         748
        .size:           2
        .value_kind:     hidden_remainder_y
      - .offset:         750
        .size:           2
        .value_kind:     hidden_remainder_z
      - .offset:         768
        .size:           8
        .value_kind:     hidden_global_offset_x
      - .offset:         776
        .size:           8
        .value_kind:     hidden_global_offset_y
      - .offset:         784
        .size:           8
        .value_kind:     hidden_global_offset_z
      - .offset:         792
        .size:           2
        .value_kind:     hidden_grid_dims
    .group_segment_fixed_size: 1068
    .kernarg_segment_align: 8
    .kernarg_segment_size: 984
    .language:       OpenCL C
    .language_version:
      - 2
      - 0
    .max_flat_workgroup_size: 256
    .name:           _ZN2at6native6mbtopk10gatherTopKIdjLi1EEEvNS_4cuda6detail10TensorInfoIKT_T0_EES8_S8_bjS8_NS5_IS6_S8_EES8_NS5_IlS8_EES8_jjPS6_PjSD_j
    .private_segment_fixed_size: 0
    .sgpr_count:     39
    .sgpr_spill_count: 0
    .symbol:         _ZN2at6native6mbtopk10gatherTopKIdjLi1EEEvNS_4cuda6detail10TensorInfoIKT_T0_EES8_S8_bjS8_NS5_IS6_S8_EES8_NS5_IlS8_EES8_jjPS6_PjSD_j.kd
    .uniform_work_group_size: 1
    .uses_dynamic_stack: false
    .vgpr_count:     25
    .vgpr_spill_count: 0
    .wavefront_size: 32
    .workgroup_processor_mode: 1
  - .args:
      - .offset:         0
        .size:           216
        .value_kind:     by_value
      - .offset:         216
        .size:           4
        .value_kind:     by_value
      - .offset:         220
        .size:           4
        .value_kind:     by_value
      - .offset:         224
        .size:           1
        .value_kind:     by_value
      - .offset:         228
        .size:           4
        .value_kind:     by_value
      - .offset:         232
        .size:           4
        .value_kind:     by_value
      - .offset:         240
        .size:           216
        .value_kind:     by_value
      - .offset:         456
        .size:           4
        .value_kind:     by_value
      - .offset:         464
        .size:           216
        .value_kind:     by_value
      - .offset:         680
        .size:           4
        .value_kind:     by_value
      - .address_space:  global
        .offset:         688
        .size:           8
        .value_kind:     global_buffer
      - .offset:         696
        .size:           4
        .value_kind:     hidden_block_count_x
      - .offset:         700
        .size:           4
        .value_kind:     hidden_block_count_y
      - .offset:         704
        .size:           4
        .value_kind:     hidden_block_count_z
      - .offset:         708
        .size:           2
        .value_kind:     hidden_group_size_x
      - .offset:         710
        .size:           2
        .value_kind:     hidden_group_size_y
      - .offset:         712
        .size:           2
        .value_kind:     hidden_group_size_z
      - .offset:         714
        .size:           2
        .value_kind:     hidden_remainder_x
      - .offset:         716
        .size:           2
        .value_kind:     hidden_remainder_y
      - .offset:         718
        .size:           2
        .value_kind:     hidden_remainder_z
      - .offset:         736
        .size:           8
        .value_kind:     hidden_global_offset_x
      - .offset:         744
        .size:           8
        .value_kind:     hidden_global_offset_y
      - .offset:         752
        .size:           8
        .value_kind:     hidden_global_offset_z
      - .offset:         760
        .size:           2
        .value_kind:     hidden_grid_dims
    .group_segment_fixed_size: 4112
    .kernarg_segment_align: 8
    .kernarg_segment_size: 952
    .language:       OpenCL C
    .language_version:
      - 2
      - 0
    .max_flat_workgroup_size: 1024
    .name:           _ZN2at6native6sbtopk10gatherTopKIdjLi1ELb0EEEvNS_4cuda6detail10TensorInfoIKT_T0_EES8_S8_bS8_S8_NS5_IS6_S8_EES8_NS5_IlS8_EES8_PS6_
    .private_segment_fixed_size: 0
    .sgpr_count:     94
    .sgpr_spill_count: 0
    .symbol:         _ZN2at6native6sbtopk10gatherTopKIdjLi1ELb0EEEvNS_4cuda6detail10TensorInfoIKT_T0_EES8_S8_bS8_S8_NS5_IS6_S8_EES8_NS5_IlS8_EES8_PS6_.kd
    .uniform_work_group_size: 1
    .uses_dynamic_stack: false
    .vgpr_count:     55
    .vgpr_spill_count: 0
    .wavefront_size: 32
    .workgroup_processor_mode: 1
  - .args:
      - .offset:         0
        .size:           216
        .value_kind:     by_value
      - .offset:         216
        .size:           4
        .value_kind:     by_value
      - .address_space:  global
        .offset:         224
        .size:           8
        .value_kind:     global_buffer
      - .offset:         232
        .size:           4
        .value_kind:     by_value
      - .offset:         236
        .size:           4
        .value_kind:     by_value
      - .offset:         240
        .size:           4
        .value_kind:     by_value
      - .offset:         244
        .size:           4
        .value_kind:     by_value
      - .offset:         248
        .size:           4
        .value_kind:     by_value
      - .offset:         256
        .size:           8
        .value_kind:     by_value
      - .address_space:  global
        .offset:         264
        .size:           8
        .value_kind:     global_buffer
      - .address_space:  global
        .offset:         272
        .size:           8
        .value_kind:     global_buffer
      - .offset:         280
        .size:           4
        .value_kind:     hidden_block_count_x
      - .offset:         284
        .size:           4
        .value_kind:     hidden_block_count_y
      - .offset:         288
        .size:           4
        .value_kind:     hidden_block_count_z
      - .offset:         292
        .size:           2
        .value_kind:     hidden_group_size_x
      - .offset:         294
        .size:           2
        .value_kind:     hidden_group_size_y
      - .offset:         296
        .size:           2
        .value_kind:     hidden_group_size_z
      - .offset:         298
        .size:           2
        .value_kind:     hidden_remainder_x
      - .offset:         300
        .size:           2
        .value_kind:     hidden_remainder_y
      - .offset:         302
        .size:           2
        .value_kind:     hidden_remainder_z
      - .offset:         320
        .size:           8
        .value_kind:     hidden_global_offset_x
      - .offset:         328
        .size:           8
        .value_kind:     hidden_global_offset_y
      - .offset:         336
        .size:           8
        .value_kind:     hidden_global_offset_z
      - .offset:         344
        .size:           2
        .value_kind:     hidden_grid_dims
    .group_segment_fixed_size: 1024
    .kernarg_segment_align: 8
    .kernarg_segment_size: 536
    .language:       OpenCL C
    .language_version:
      - 2
      - 0
    .max_flat_workgroup_size: 256
    .name:           _ZN2at6native6mbtopk23computeBlockDigitCountsIdjmLi2EEEvNS_4cuda6detail10TensorInfoIKT_T0_EEjPjjS8_iijT1_PSB_Ps
    .private_segment_fixed_size: 0
    .sgpr_count:     27
    .sgpr_spill_count: 0
    .symbol:         _ZN2at6native6mbtopk23computeBlockDigitCountsIdjmLi2EEEvNS_4cuda6detail10TensorInfoIKT_T0_EEjPjjS8_iijT1_PSB_Ps.kd
    .uniform_work_group_size: 1
    .uses_dynamic_stack: false
    .vgpr_count:     14
    .vgpr_spill_count: 0
    .wavefront_size: 32
    .workgroup_processor_mode: 1
  - .args:
      - .offset:         0
        .size:           216
        .value_kind:     by_value
      - .offset:         216
        .size:           4
        .value_kind:     by_value
      - .offset:         220
        .size:           4
        .value_kind:     by_value
      - .offset:         224
        .size:           1
        .value_kind:     by_value
      - .offset:         228
        .size:           4
        .value_kind:     by_value
      - .offset:         232
        .size:           4
        .value_kind:     by_value
      - .offset:         240
        .size:           216
        .value_kind:     by_value
      - .offset:         456
        .size:           4
        .value_kind:     by_value
      - .offset:         464
        .size:           216
        .value_kind:     by_value
      - .offset:         680
        .size:           4
        .value_kind:     by_value
      - .offset:         684
        .size:           4
        .value_kind:     by_value
      - .offset:         688
        .size:           4
        .value_kind:     by_value
      - .address_space:  global
        .offset:         696
        .size:           8
        .value_kind:     global_buffer
      - .address_space:  global
        .offset:         704
        .size:           8
        .value_kind:     global_buffer
      - .address_space:  global
        .offset:         712
        .size:           8
        .value_kind:     global_buffer
      - .offset:         720
        .size:           4
        .value_kind:     by_value
      - .offset:         728
        .size:           4
        .value_kind:     hidden_block_count_x
      - .offset:         732
        .size:           4
        .value_kind:     hidden_block_count_y
      - .offset:         736
        .size:           4
        .value_kind:     hidden_block_count_z
      - .offset:         740
        .size:           2
        .value_kind:     hidden_group_size_x
      - .offset:         742
        .size:           2
        .value_kind:     hidden_group_size_y
      - .offset:         744
        .size:           2
        .value_kind:     hidden_group_size_z
      - .offset:         746
        .size:           2
        .value_kind:     hidden_remainder_x
      - .offset:         748
        .size:           2
        .value_kind:     hidden_remainder_y
      - .offset:         750
        .size:           2
        .value_kind:     hidden_remainder_z
      - .offset:         768
        .size:           8
        .value_kind:     hidden_global_offset_x
      - .offset:         776
        .size:           8
        .value_kind:     hidden_global_offset_y
      - .offset:         784
        .size:           8
        .value_kind:     hidden_global_offset_z
      - .offset:         792
        .size:           2
        .value_kind:     hidden_grid_dims
    .group_segment_fixed_size: 1068
    .kernarg_segment_align: 8
    .kernarg_segment_size: 984
    .language:       OpenCL C
    .language_version:
      - 2
      - 0
    .max_flat_workgroup_size: 256
    .name:           _ZN2at6native6mbtopk10gatherTopKIdjLi2EEEvNS_4cuda6detail10TensorInfoIKT_T0_EES8_S8_bjS8_NS5_IS6_S8_EES8_NS5_IlS8_EES8_jjPS6_PjSD_j
    .private_segment_fixed_size: 0
    .sgpr_count:     51
    .sgpr_spill_count: 0
    .symbol:         _ZN2at6native6mbtopk10gatherTopKIdjLi2EEEvNS_4cuda6detail10TensorInfoIKT_T0_EES8_S8_bjS8_NS5_IS6_S8_EES8_NS5_IlS8_EES8_jjPS6_PjSD_j.kd
    .uniform_work_group_size: 1
    .uses_dynamic_stack: false
    .vgpr_count:     25
    .vgpr_spill_count: 0
    .wavefront_size: 32
    .workgroup_processor_mode: 1
  - .args:
      - .offset:         0
        .size:           216
        .value_kind:     by_value
      - .offset:         216
        .size:           4
        .value_kind:     by_value
      - .offset:         220
        .size:           4
        .value_kind:     by_value
      - .offset:         224
        .size:           1
        .value_kind:     by_value
      - .offset:         228
        .size:           4
        .value_kind:     by_value
      - .offset:         232
        .size:           4
        .value_kind:     by_value
      - .offset:         240
        .size:           216
        .value_kind:     by_value
      - .offset:         456
        .size:           4
        .value_kind:     by_value
      - .offset:         464
        .size:           216
        .value_kind:     by_value
      - .offset:         680
        .size:           4
        .value_kind:     by_value
      - .address_space:  global
        .offset:         688
        .size:           8
        .value_kind:     global_buffer
      - .offset:         696
        .size:           4
        .value_kind:     hidden_block_count_x
      - .offset:         700
        .size:           4
        .value_kind:     hidden_block_count_y
      - .offset:         704
        .size:           4
        .value_kind:     hidden_block_count_z
      - .offset:         708
        .size:           2
        .value_kind:     hidden_group_size_x
      - .offset:         710
        .size:           2
        .value_kind:     hidden_group_size_y
      - .offset:         712
        .size:           2
        .value_kind:     hidden_group_size_z
      - .offset:         714
        .size:           2
        .value_kind:     hidden_remainder_x
      - .offset:         716
        .size:           2
        .value_kind:     hidden_remainder_y
      - .offset:         718
        .size:           2
        .value_kind:     hidden_remainder_z
      - .offset:         736
        .size:           8
        .value_kind:     hidden_global_offset_x
      - .offset:         744
        .size:           8
        .value_kind:     hidden_global_offset_y
      - .offset:         752
        .size:           8
        .value_kind:     hidden_global_offset_z
      - .offset:         760
        .size:           2
        .value_kind:     hidden_grid_dims
    .group_segment_fixed_size: 4112
    .kernarg_segment_align: 8
    .kernarg_segment_size: 952
    .language:       OpenCL C
    .language_version:
      - 2
      - 0
    .max_flat_workgroup_size: 1024
    .name:           _ZN2at6native6sbtopk10gatherTopKIdjLi2ELb0EEEvNS_4cuda6detail10TensorInfoIKT_T0_EES8_S8_bS8_S8_NS5_IS6_S8_EES8_NS5_IlS8_EES8_PS6_
    .private_segment_fixed_size: 0
    .sgpr_count:     100
    .sgpr_spill_count: 0
    .symbol:         _ZN2at6native6sbtopk10gatherTopKIdjLi2ELb0EEEvNS_4cuda6detail10TensorInfoIKT_T0_EES8_S8_bS8_S8_NS5_IS6_S8_EES8_NS5_IlS8_EES8_PS6_.kd
    .uniform_work_group_size: 1
    .uses_dynamic_stack: false
    .vgpr_count:     55
    .vgpr_spill_count: 0
    .wavefront_size: 32
    .workgroup_processor_mode: 1
  - .args:
      - .offset:         0
        .size:           216
        .value_kind:     by_value
      - .offset:         216
        .size:           4
        .value_kind:     by_value
      - .address_space:  global
        .offset:         224
        .size:           8
        .value_kind:     global_buffer
      - .offset:         232
        .size:           4
        .value_kind:     by_value
      - .offset:         236
        .size:           4
        .value_kind:     by_value
      - .offset:         240
        .size:           4
        .value_kind:     by_value
      - .offset:         244
        .size:           4
        .value_kind:     by_value
      - .offset:         248
        .size:           4
        .value_kind:     by_value
      - .offset:         256
        .size:           8
        .value_kind:     by_value
      - .address_space:  global
        .offset:         264
        .size:           8
        .value_kind:     global_buffer
      - .address_space:  global
        .offset:         272
        .size:           8
        .value_kind:     global_buffer
      - .offset:         280
        .size:           4
        .value_kind:     hidden_block_count_x
      - .offset:         284
        .size:           4
        .value_kind:     hidden_block_count_y
      - .offset:         288
        .size:           4
        .value_kind:     hidden_block_count_z
      - .offset:         292
        .size:           2
        .value_kind:     hidden_group_size_x
      - .offset:         294
        .size:           2
        .value_kind:     hidden_group_size_y
      - .offset:         296
        .size:           2
        .value_kind:     hidden_group_size_z
      - .offset:         298
        .size:           2
        .value_kind:     hidden_remainder_x
      - .offset:         300
        .size:           2
        .value_kind:     hidden_remainder_y
      - .offset:         302
        .size:           2
        .value_kind:     hidden_remainder_z
      - .offset:         320
        .size:           8
        .value_kind:     hidden_global_offset_x
      - .offset:         328
        .size:           8
        .value_kind:     hidden_global_offset_y
      - .offset:         336
        .size:           8
        .value_kind:     hidden_global_offset_z
      - .offset:         344
        .size:           2
        .value_kind:     hidden_grid_dims
    .group_segment_fixed_size: 1024
    .kernarg_segment_align: 8
    .kernarg_segment_size: 536
    .language:       OpenCL C
    .language_version:
      - 2
      - 0
    .max_flat_workgroup_size: 256
    .name:           _ZN2at6native6mbtopk23computeBlockDigitCountsIdjmLi3EEEvNS_4cuda6detail10TensorInfoIKT_T0_EEjPjjS8_iijT1_PSB_Ps
    .private_segment_fixed_size: 0
    .sgpr_count:     29
    .sgpr_spill_count: 0
    .symbol:         _ZN2at6native6mbtopk23computeBlockDigitCountsIdjmLi3EEEvNS_4cuda6detail10TensorInfoIKT_T0_EEjPjjS8_iijT1_PSB_Ps.kd
    .uniform_work_group_size: 1
    .uses_dynamic_stack: false
    .vgpr_count:     14
    .vgpr_spill_count: 0
    .wavefront_size: 32
    .workgroup_processor_mode: 1
  - .args:
      - .offset:         0
        .size:           216
        .value_kind:     by_value
      - .offset:         216
        .size:           4
        .value_kind:     by_value
      - .offset:         220
        .size:           4
        .value_kind:     by_value
      - .offset:         224
        .size:           1
        .value_kind:     by_value
      - .offset:         228
        .size:           4
        .value_kind:     by_value
      - .offset:         232
        .size:           4
        .value_kind:     by_value
      - .offset:         240
        .size:           216
        .value_kind:     by_value
      - .offset:         456
        .size:           4
        .value_kind:     by_value
      - .offset:         464
        .size:           216
        .value_kind:     by_value
      - .offset:         680
        .size:           4
        .value_kind:     by_value
      - .offset:         684
        .size:           4
        .value_kind:     by_value
      - .offset:         688
        .size:           4
        .value_kind:     by_value
      - .address_space:  global
        .offset:         696
        .size:           8
        .value_kind:     global_buffer
      - .address_space:  global
        .offset:         704
        .size:           8
        .value_kind:     global_buffer
      - .address_space:  global
        .offset:         712
        .size:           8
        .value_kind:     global_buffer
      - .offset:         720
        .size:           4
        .value_kind:     by_value
      - .offset:         728
        .size:           4
        .value_kind:     hidden_block_count_x
      - .offset:         732
        .size:           4
        .value_kind:     hidden_block_count_y
      - .offset:         736
        .size:           4
        .value_kind:     hidden_block_count_z
      - .offset:         740
        .size:           2
        .value_kind:     hidden_group_size_x
      - .offset:         742
        .size:           2
        .value_kind:     hidden_group_size_y
      - .offset:         744
        .size:           2
        .value_kind:     hidden_group_size_z
      - .offset:         746
        .size:           2
        .value_kind:     hidden_remainder_x
      - .offset:         748
        .size:           2
        .value_kind:     hidden_remainder_y
      - .offset:         750
        .size:           2
        .value_kind:     hidden_remainder_z
      - .offset:         768
        .size:           8
        .value_kind:     hidden_global_offset_x
      - .offset:         776
        .size:           8
        .value_kind:     hidden_global_offset_y
      - .offset:         784
        .size:           8
        .value_kind:     hidden_global_offset_z
      - .offset:         792
        .size:           2
        .value_kind:     hidden_grid_dims
    .group_segment_fixed_size: 1068
    .kernarg_segment_align: 8
    .kernarg_segment_size: 984
    .language:       OpenCL C
    .language_version:
      - 2
      - 0
    .max_flat_workgroup_size: 256
    .name:           _ZN2at6native6mbtopk10gatherTopKIdjLi3EEEvNS_4cuda6detail10TensorInfoIKT_T0_EES8_S8_bjS8_NS5_IS6_S8_EES8_NS5_IlS8_EES8_jjPS6_PjSD_j
    .private_segment_fixed_size: 0
    .sgpr_count:     60
    .sgpr_spill_count: 0
    .symbol:         _ZN2at6native6mbtopk10gatherTopKIdjLi3EEEvNS_4cuda6detail10TensorInfoIKT_T0_EES8_S8_bjS8_NS5_IS6_S8_EES8_NS5_IlS8_EES8_jjPS6_PjSD_j.kd
    .uniform_work_group_size: 1
    .uses_dynamic_stack: false
    .vgpr_count:     25
    .vgpr_spill_count: 0
    .wavefront_size: 32
    .workgroup_processor_mode: 1
  - .args:
      - .offset:         0
        .size:           216
        .value_kind:     by_value
      - .offset:         216
        .size:           4
        .value_kind:     by_value
      - .offset:         220
        .size:           4
        .value_kind:     by_value
      - .offset:         224
        .size:           1
        .value_kind:     by_value
      - .offset:         228
        .size:           4
        .value_kind:     by_value
      - .offset:         232
        .size:           4
        .value_kind:     by_value
      - .offset:         240
        .size:           216
        .value_kind:     by_value
      - .offset:         456
        .size:           4
        .value_kind:     by_value
      - .offset:         464
        .size:           216
        .value_kind:     by_value
      - .offset:         680
        .size:           4
        .value_kind:     by_value
      - .address_space:  global
        .offset:         688
        .size:           8
        .value_kind:     global_buffer
      - .offset:         696
        .size:           4
        .value_kind:     hidden_block_count_x
      - .offset:         700
        .size:           4
        .value_kind:     hidden_block_count_y
      - .offset:         704
        .size:           4
        .value_kind:     hidden_block_count_z
      - .offset:         708
        .size:           2
        .value_kind:     hidden_group_size_x
      - .offset:         710
        .size:           2
        .value_kind:     hidden_group_size_y
      - .offset:         712
        .size:           2
        .value_kind:     hidden_group_size_z
      - .offset:         714
        .size:           2
        .value_kind:     hidden_remainder_x
      - .offset:         716
        .size:           2
        .value_kind:     hidden_remainder_y
      - .offset:         718
        .size:           2
        .value_kind:     hidden_remainder_z
      - .offset:         736
        .size:           8
        .value_kind:     hidden_global_offset_x
      - .offset:         744
        .size:           8
        .value_kind:     hidden_global_offset_y
      - .offset:         752
        .size:           8
        .value_kind:     hidden_global_offset_z
      - .offset:         760
        .size:           2
        .value_kind:     hidden_grid_dims
    .group_segment_fixed_size: 4112
    .kernarg_segment_align: 8
    .kernarg_segment_size: 952
    .language:       OpenCL C
    .language_version:
      - 2
      - 0
    .max_flat_workgroup_size: 1024
    .name:           _ZN2at6native6sbtopk10gatherTopKIdjLi3ELb0EEEvNS_4cuda6detail10TensorInfoIKT_T0_EES8_S8_bS8_S8_NS5_IS6_S8_EES8_NS5_IlS8_EES8_PS6_
    .private_segment_fixed_size: 0
    .sgpr_count:     107
    .sgpr_spill_count: 0
    .symbol:         _ZN2at6native6sbtopk10gatherTopKIdjLi3ELb0EEEvNS_4cuda6detail10TensorInfoIKT_T0_EES8_S8_bS8_S8_NS5_IS6_S8_EES8_NS5_IlS8_EES8_PS6_.kd
    .uniform_work_group_size: 1
    .uses_dynamic_stack: false
    .vgpr_count:     55
    .vgpr_spill_count: 0
    .wavefront_size: 32
    .workgroup_processor_mode: 1
  - .args:
      - .offset:         0
        .size:           216
        .value_kind:     by_value
      - .offset:         216
        .size:           4
        .value_kind:     by_value
      - .address_space:  global
        .offset:         224
        .size:           8
        .value_kind:     global_buffer
      - .offset:         232
        .size:           4
        .value_kind:     by_value
      - .offset:         236
        .size:           4
        .value_kind:     by_value
      - .offset:         240
        .size:           4
        .value_kind:     by_value
      - .offset:         244
        .size:           4
        .value_kind:     by_value
      - .offset:         248
        .size:           4
        .value_kind:     by_value
      - .offset:         256
        .size:           8
        .value_kind:     by_value
      - .address_space:  global
        .offset:         264
        .size:           8
        .value_kind:     global_buffer
      - .address_space:  global
        .offset:         272
        .size:           8
        .value_kind:     global_buffer
      - .offset:         280
        .size:           4
        .value_kind:     hidden_block_count_x
      - .offset:         284
        .size:           4
        .value_kind:     hidden_block_count_y
      - .offset:         288
        .size:           4
        .value_kind:     hidden_block_count_z
      - .offset:         292
        .size:           2
        .value_kind:     hidden_group_size_x
      - .offset:         294
        .size:           2
        .value_kind:     hidden_group_size_y
      - .offset:         296
        .size:           2
        .value_kind:     hidden_group_size_z
      - .offset:         298
        .size:           2
        .value_kind:     hidden_remainder_x
      - .offset:         300
        .size:           2
        .value_kind:     hidden_remainder_y
      - .offset:         302
        .size:           2
        .value_kind:     hidden_remainder_z
      - .offset:         320
        .size:           8
        .value_kind:     hidden_global_offset_x
      - .offset:         328
        .size:           8
        .value_kind:     hidden_global_offset_y
      - .offset:         336
        .size:           8
        .value_kind:     hidden_global_offset_z
      - .offset:         344
        .size:           2
        .value_kind:     hidden_grid_dims
    .group_segment_fixed_size: 1024
    .kernarg_segment_align: 8
    .kernarg_segment_size: 536
    .language:       OpenCL C
    .language_version:
      - 2
      - 0
    .max_flat_workgroup_size: 256
    .name:           _ZN2at6native6mbtopk23computeBlockDigitCountsIdjmLin1EEEvNS_4cuda6detail10TensorInfoIKT_T0_EEjPjjS8_iijT1_PSB_Ps
    .private_segment_fixed_size: 0
    .sgpr_count:     27
    .sgpr_spill_count: 0
    .symbol:         _ZN2at6native6mbtopk23computeBlockDigitCountsIdjmLin1EEEvNS_4cuda6detail10TensorInfoIKT_T0_EEjPjjS8_iijT1_PSB_Ps.kd
    .uniform_work_group_size: 1
    .uses_dynamic_stack: false
    .vgpr_count:     14
    .vgpr_spill_count: 0
    .wavefront_size: 32
    .workgroup_processor_mode: 1
  - .args:
      - .offset:         0
        .size:           216
        .value_kind:     by_value
      - .offset:         216
        .size:           4
        .value_kind:     by_value
      - .offset:         220
        .size:           4
        .value_kind:     by_value
      - .offset:         224
        .size:           1
        .value_kind:     by_value
      - .offset:         228
        .size:           4
        .value_kind:     by_value
      - .offset:         232
        .size:           4
        .value_kind:     by_value
      - .offset:         240
        .size:           216
        .value_kind:     by_value
      - .offset:         456
        .size:           4
        .value_kind:     by_value
      - .offset:         464
        .size:           216
        .value_kind:     by_value
      - .offset:         680
        .size:           4
        .value_kind:     by_value
      - .offset:         684
        .size:           4
        .value_kind:     by_value
      - .offset:         688
        .size:           4
        .value_kind:     by_value
      - .address_space:  global
        .offset:         696
        .size:           8
        .value_kind:     global_buffer
      - .address_space:  global
        .offset:         704
        .size:           8
        .value_kind:     global_buffer
      - .address_space:  global
        .offset:         712
        .size:           8
        .value_kind:     global_buffer
      - .offset:         720
        .size:           4
        .value_kind:     by_value
      - .offset:         728
        .size:           4
        .value_kind:     hidden_block_count_x
      - .offset:         732
        .size:           4
        .value_kind:     hidden_block_count_y
      - .offset:         736
        .size:           4
        .value_kind:     hidden_block_count_z
      - .offset:         740
        .size:           2
        .value_kind:     hidden_group_size_x
      - .offset:         742
        .size:           2
        .value_kind:     hidden_group_size_y
      - .offset:         744
        .size:           2
        .value_kind:     hidden_group_size_z
      - .offset:         746
        .size:           2
        .value_kind:     hidden_remainder_x
      - .offset:         748
        .size:           2
        .value_kind:     hidden_remainder_y
      - .offset:         750
        .size:           2
        .value_kind:     hidden_remainder_z
      - .offset:         768
        .size:           8
        .value_kind:     hidden_global_offset_x
      - .offset:         776
        .size:           8
        .value_kind:     hidden_global_offset_y
      - .offset:         784
        .size:           8
        .value_kind:     hidden_global_offset_z
      - .offset:         792
        .size:           2
        .value_kind:     hidden_grid_dims
    .group_segment_fixed_size: 1068
    .kernarg_segment_align: 8
    .kernarg_segment_size: 984
    .language:       OpenCL C
    .language_version:
      - 2
      - 0
    .max_flat_workgroup_size: 256
    .name:           _ZN2at6native6mbtopk10gatherTopKIdjLin1EEEvNS_4cuda6detail10TensorInfoIKT_T0_EES8_S8_bjS8_NS5_IS6_S8_EES8_NS5_IlS8_EES8_jjPS6_PjSD_j
    .private_segment_fixed_size: 0
    .sgpr_count:     46
    .sgpr_spill_count: 0
    .symbol:         _ZN2at6native6mbtopk10gatherTopKIdjLin1EEEvNS_4cuda6detail10TensorInfoIKT_T0_EES8_S8_bjS8_NS5_IS6_S8_EES8_NS5_IlS8_EES8_jjPS6_PjSD_j.kd
    .uniform_work_group_size: 1
    .uses_dynamic_stack: false
    .vgpr_count:     25
    .vgpr_spill_count: 0
    .wavefront_size: 32
    .workgroup_processor_mode: 1
  - .args:
      - .offset:         0
        .size:           216
        .value_kind:     by_value
      - .offset:         216
        .size:           4
        .value_kind:     by_value
      - .offset:         220
        .size:           4
        .value_kind:     by_value
      - .offset:         224
        .size:           1
        .value_kind:     by_value
      - .offset:         228
        .size:           4
        .value_kind:     by_value
      - .offset:         232
        .size:           4
        .value_kind:     by_value
      - .offset:         240
        .size:           216
        .value_kind:     by_value
      - .offset:         456
        .size:           4
        .value_kind:     by_value
      - .offset:         464
        .size:           216
        .value_kind:     by_value
      - .offset:         680
        .size:           4
        .value_kind:     by_value
      - .address_space:  global
        .offset:         688
        .size:           8
        .value_kind:     global_buffer
      - .offset:         696
        .size:           4
        .value_kind:     hidden_block_count_x
      - .offset:         700
        .size:           4
        .value_kind:     hidden_block_count_y
      - .offset:         704
        .size:           4
        .value_kind:     hidden_block_count_z
      - .offset:         708
        .size:           2
        .value_kind:     hidden_group_size_x
      - .offset:         710
        .size:           2
        .value_kind:     hidden_group_size_y
      - .offset:         712
        .size:           2
        .value_kind:     hidden_group_size_z
      - .offset:         714
        .size:           2
        .value_kind:     hidden_remainder_x
      - .offset:         716
        .size:           2
        .value_kind:     hidden_remainder_y
      - .offset:         718
        .size:           2
        .value_kind:     hidden_remainder_z
      - .offset:         736
        .size:           8
        .value_kind:     hidden_global_offset_x
      - .offset:         744
        .size:           8
        .value_kind:     hidden_global_offset_y
      - .offset:         752
        .size:           8
        .value_kind:     hidden_global_offset_z
      - .offset:         760
        .size:           2
        .value_kind:     hidden_grid_dims
    .group_segment_fixed_size: 4112
    .kernarg_segment_align: 8
    .kernarg_segment_size: 952
    .language:       OpenCL C
    .language_version:
      - 2
      - 0
    .max_flat_workgroup_size: 1024
    .name:           _ZN2at6native6sbtopk10gatherTopKIdjLin1ELb0EEEvNS_4cuda6detail10TensorInfoIKT_T0_EES8_S8_bS8_S8_NS5_IS6_S8_EES8_NS5_IlS8_EES8_PS6_
    .private_segment_fixed_size: 0
    .sgpr_count:     97
    .sgpr_spill_count: 0
    .symbol:         _ZN2at6native6sbtopk10gatherTopKIdjLin1ELb0EEEvNS_4cuda6detail10TensorInfoIKT_T0_EES8_S8_bS8_S8_NS5_IS6_S8_EES8_NS5_IlS8_EES8_PS6_.kd
    .uniform_work_group_size: 1
    .uses_dynamic_stack: false
    .vgpr_count:     55
    .vgpr_spill_count: 0
    .wavefront_size: 32
    .workgroup_processor_mode: 1
  - .args:
      - .offset:         0
        .size:           216
        .value_kind:     by_value
      - .offset:         216
        .size:           4
        .value_kind:     by_value
      - .address_space:  global
        .offset:         224
        .size:           8
        .value_kind:     global_buffer
      - .offset:         232
        .size:           4
        .value_kind:     by_value
      - .offset:         236
        .size:           4
        .value_kind:     by_value
      - .offset:         240
        .size:           4
        .value_kind:     by_value
      - .offset:         244
        .size:           4
        .value_kind:     by_value
      - .offset:         248
        .size:           4
        .value_kind:     by_value
      - .offset:         252
        .size:           4
        .value_kind:     by_value
      - .address_space:  global
        .offset:         256
        .size:           8
        .value_kind:     global_buffer
      - .address_space:  global
        .offset:         264
        .size:           8
        .value_kind:     global_buffer
      - .offset:         272
        .size:           4
        .value_kind:     hidden_block_count_x
      - .offset:         276
        .size:           4
        .value_kind:     hidden_block_count_y
      - .offset:         280
        .size:           4
        .value_kind:     hidden_block_count_z
      - .offset:         284
        .size:           2
        .value_kind:     hidden_group_size_x
      - .offset:         286
        .size:           2
        .value_kind:     hidden_group_size_y
      - .offset:         288
        .size:           2
        .value_kind:     hidden_group_size_z
      - .offset:         290
        .size:           2
        .value_kind:     hidden_remainder_x
      - .offset:         292
        .size:           2
        .value_kind:     hidden_remainder_y
      - .offset:         294
        .size:           2
        .value_kind:     hidden_remainder_z
      - .offset:         312
        .size:           8
        .value_kind:     hidden_global_offset_x
      - .offset:         320
        .size:           8
        .value_kind:     hidden_global_offset_y
      - .offset:         328
        .size:           8
        .value_kind:     hidden_global_offset_z
      - .offset:         336
        .size:           2
        .value_kind:     hidden_grid_dims
    .group_segment_fixed_size: 1024
    .kernarg_segment_align: 8
    .kernarg_segment_size: 528
    .language:       OpenCL C
    .language_version:
      - 2
      - 0
    .max_flat_workgroup_size: 256
    .name:           _ZN2at6native6mbtopk23computeBlockDigitCountsIfjjLi1EEEvNS_4cuda6detail10TensorInfoIKT_T0_EEjPjjS8_iijT1_PSB_Ps
    .private_segment_fixed_size: 0
    .sgpr_count:     22
    .sgpr_spill_count: 0
    .symbol:         _ZN2at6native6mbtopk23computeBlockDigitCountsIfjjLi1EEEvNS_4cuda6detail10TensorInfoIKT_T0_EEjPjjS8_iijT1_PSB_Ps.kd
    .uniform_work_group_size: 1
    .uses_dynamic_stack: false
    .vgpr_count:     12
    .vgpr_spill_count: 0
    .wavefront_size: 32
    .workgroup_processor_mode: 1
  - .args:
      - .address_space:  global
        .offset:         0
        .size:           8
        .value_kind:     global_buffer
      - .address_space:  global
        .offset:         8
        .size:           8
        .value_kind:     global_buffer
      - .address_space:  global
        .offset:         16
        .size:           8
        .value_kind:     global_buffer
      - .offset:         24
        .size:           4
        .value_kind:     by_value
      - .offset:         28
        .size:           4
        .value_kind:     by_value
      - .offset:         32
        .size:           1
        .value_kind:     by_value
      - .address_space:  global
        .offset:         40
        .size:           8
        .value_kind:     global_buffer
      - .address_space:  global
        .offset:         48
        .size:           8
        .value_kind:     global_buffer
      - .address_space:  global
        .offset:         56
        .size:           8
        .value_kind:     global_buffer
      - .address_space:  global
        .offset:         64
        .size:           8
        .value_kind:     global_buffer
      - .address_space:  global
        .offset:         72
        .size:           8
        .value_kind:     global_buffer
      - .offset:         80
        .size:           4
        .value_kind:     by_value
      - .offset:         88
        .size:           4
        .value_kind:     hidden_block_count_x
      - .offset:         92
        .size:           4
        .value_kind:     hidden_block_count_y
      - .offset:         96
        .size:           4
        .value_kind:     hidden_block_count_z
      - .offset:         100
        .size:           2
        .value_kind:     hidden_group_size_x
      - .offset:         102
        .size:           2
        .value_kind:     hidden_group_size_y
      - .offset:         104
        .size:           2
        .value_kind:     hidden_group_size_z
      - .offset:         106
        .size:           2
        .value_kind:     hidden_remainder_x
      - .offset:         108
        .size:           2
        .value_kind:     hidden_remainder_y
      - .offset:         110
        .size:           2
        .value_kind:     hidden_remainder_z
      - .offset:         128
        .size:           8
        .value_kind:     hidden_global_offset_x
      - .offset:         136
        .size:           8
        .value_kind:     hidden_global_offset_y
      - .offset:         144
        .size:           8
        .value_kind:     hidden_global_offset_z
      - .offset:         152
        .size:           2
        .value_kind:     hidden_grid_dims
    .group_segment_fixed_size: 2116
    .kernarg_segment_align: 8
    .kernarg_segment_size: 344
    .language:       OpenCL C
    .language_version:
      - 2
      - 0
    .max_flat_workgroup_size: 256
    .name:           _ZN2at6native6mbtopk29computeBlockwiseWithinKCountsIjfEEvPT_PsPjjibS6_PT0_S6_S4_S6_j
    .private_segment_fixed_size: 0
    .sgpr_count:     28
    .sgpr_spill_count: 0
    .symbol:         _ZN2at6native6mbtopk29computeBlockwiseWithinKCountsIjfEEvPT_PsPjjibS6_PT0_S6_S4_S6_j.kd
    .uniform_work_group_size: 1
    .uses_dynamic_stack: false
    .vgpr_count:     15
    .vgpr_spill_count: 0
    .wavefront_size: 32
    .workgroup_processor_mode: 1
  - .args:
      - .offset:         0
        .size:           216
        .value_kind:     by_value
      - .offset:         216
        .size:           4
        .value_kind:     by_value
      - .offset:         220
        .size:           4
        .value_kind:     by_value
      - .offset:         224
        .size:           1
        .value_kind:     by_value
      - .offset:         228
        .size:           4
        .value_kind:     by_value
      - .offset:         232
        .size:           4
        .value_kind:     by_value
      - .offset:         240
        .size:           216
        .value_kind:     by_value
      - .offset:         456
        .size:           4
        .value_kind:     by_value
      - .offset:         464
        .size:           216
        .value_kind:     by_value
      - .offset:         680
        .size:           4
        .value_kind:     by_value
      - .offset:         684
        .size:           4
        .value_kind:     by_value
      - .offset:         688
        .size:           4
        .value_kind:     by_value
      - .address_space:  global
        .offset:         696
        .size:           8
        .value_kind:     global_buffer
      - .address_space:  global
        .offset:         704
        .size:           8
        .value_kind:     global_buffer
      - .address_space:  global
        .offset:         712
        .size:           8
        .value_kind:     global_buffer
      - .offset:         720
        .size:           4
        .value_kind:     by_value
      - .offset:         728
        .size:           4
        .value_kind:     hidden_block_count_x
      - .offset:         732
        .size:           4
        .value_kind:     hidden_block_count_y
      - .offset:         736
        .size:           4
        .value_kind:     hidden_block_count_z
      - .offset:         740
        .size:           2
        .value_kind:     hidden_group_size_x
      - .offset:         742
        .size:           2
        .value_kind:     hidden_group_size_y
      - .offset:         744
        .size:           2
        .value_kind:     hidden_group_size_z
      - .offset:         746
        .size:           2
        .value_kind:     hidden_remainder_x
      - .offset:         748
        .size:           2
        .value_kind:     hidden_remainder_y
      - .offset:         750
        .size:           2
        .value_kind:     hidden_remainder_z
      - .offset:         768
        .size:           8
        .value_kind:     hidden_global_offset_x
      - .offset:         776
        .size:           8
        .value_kind:     hidden_global_offset_y
      - .offset:         784
        .size:           8
        .value_kind:     hidden_global_offset_z
      - .offset:         792
        .size:           2
        .value_kind:     hidden_grid_dims
    .group_segment_fixed_size: 1068
    .kernarg_segment_align: 8
    .kernarg_segment_size: 984
    .language:       OpenCL C
    .language_version:
      - 2
      - 0
    .max_flat_workgroup_size: 256
    .name:           _ZN2at6native6mbtopk10gatherTopKIfjLi1EEEvNS_4cuda6detail10TensorInfoIKT_T0_EES8_S8_bjS8_NS5_IS6_S8_EES8_NS5_IlS8_EES8_jjPS6_PjSD_j
    .private_segment_fixed_size: 0
    .sgpr_count:     38
    .sgpr_spill_count: 0
    .symbol:         _ZN2at6native6mbtopk10gatherTopKIfjLi1EEEvNS_4cuda6detail10TensorInfoIKT_T0_EES8_S8_bjS8_NS5_IS6_S8_EES8_NS5_IlS8_EES8_jjPS6_PjSD_j.kd
    .uniform_work_group_size: 1
    .uses_dynamic_stack: false
    .vgpr_count:     24
    .vgpr_spill_count: 0
    .wavefront_size: 32
    .workgroup_processor_mode: 1
  - .args:
      - .offset:         0
        .size:           216
        .value_kind:     by_value
      - .offset:         216
        .size:           4
        .value_kind:     by_value
      - .offset:         220
        .size:           4
        .value_kind:     by_value
      - .offset:         224
        .size:           1
        .value_kind:     by_value
      - .offset:         228
        .size:           4
        .value_kind:     by_value
      - .offset:         232
        .size:           4
        .value_kind:     by_value
      - .offset:         240
        .size:           216
        .value_kind:     by_value
      - .offset:         456
        .size:           4
        .value_kind:     by_value
      - .offset:         464
        .size:           216
        .value_kind:     by_value
      - .offset:         680
        .size:           4
        .value_kind:     by_value
      - .address_space:  global
        .offset:         688
        .size:           8
        .value_kind:     global_buffer
      - .offset:         696
        .size:           4
        .value_kind:     hidden_block_count_x
      - .offset:         700
        .size:           4
        .value_kind:     hidden_block_count_y
      - .offset:         704
        .size:           4
        .value_kind:     hidden_block_count_z
      - .offset:         708
        .size:           2
        .value_kind:     hidden_group_size_x
      - .offset:         710
        .size:           2
        .value_kind:     hidden_group_size_y
      - .offset:         712
        .size:           2
        .value_kind:     hidden_group_size_z
      - .offset:         714
        .size:           2
        .value_kind:     hidden_remainder_x
      - .offset:         716
        .size:           2
        .value_kind:     hidden_remainder_y
      - .offset:         718
        .size:           2
        .value_kind:     hidden_remainder_z
      - .offset:         736
        .size:           8
        .value_kind:     hidden_global_offset_x
      - .offset:         744
        .size:           8
        .value_kind:     hidden_global_offset_y
      - .offset:         752
        .size:           8
        .value_kind:     hidden_global_offset_z
      - .offset:         760
        .size:           2
        .value_kind:     hidden_grid_dims
    .group_segment_fixed_size: 4112
    .kernarg_segment_align: 8
    .kernarg_segment_size: 952
    .language:       OpenCL C
    .language_version:
      - 2
      - 0
    .max_flat_workgroup_size: 1024
    .name:           _ZN2at6native6sbtopk10gatherTopKIfjLi1ELb0EEEvNS_4cuda6detail10TensorInfoIKT_T0_EES8_S8_bS8_S8_NS5_IS6_S8_EES8_NS5_IlS8_EES8_PS6_
    .private_segment_fixed_size: 0
    .sgpr_count:     91
    .sgpr_spill_count: 0
    .symbol:         _ZN2at6native6sbtopk10gatherTopKIfjLi1ELb0EEEvNS_4cuda6detail10TensorInfoIKT_T0_EES8_S8_bS8_S8_NS5_IS6_S8_EES8_NS5_IlS8_EES8_PS6_.kd
    .uniform_work_group_size: 1
    .uses_dynamic_stack: false
    .vgpr_count:     43
    .vgpr_spill_count: 0
    .wavefront_size: 32
    .workgroup_processor_mode: 1
  - .args:
      - .offset:         0
        .size:           216
        .value_kind:     by_value
      - .offset:         216
        .size:           4
        .value_kind:     by_value
      - .address_space:  global
        .offset:         224
        .size:           8
        .value_kind:     global_buffer
      - .offset:         232
        .size:           4
        .value_kind:     by_value
      - .offset:         236
        .size:           4
        .value_kind:     by_value
      - .offset:         240
        .size:           4
        .value_kind:     by_value
      - .offset:         244
        .size:           4
        .value_kind:     by_value
      - .offset:         248
        .size:           4
        .value_kind:     by_value
      - .offset:         252
        .size:           4
        .value_kind:     by_value
      - .address_space:  global
        .offset:         256
        .size:           8
        .value_kind:     global_buffer
      - .address_space:  global
        .offset:         264
        .size:           8
        .value_kind:     global_buffer
      - .offset:         272
        .size:           4
        .value_kind:     hidden_block_count_x
      - .offset:         276
        .size:           4
        .value_kind:     hidden_block_count_y
      - .offset:         280
        .size:           4
        .value_kind:     hidden_block_count_z
      - .offset:         284
        .size:           2
        .value_kind:     hidden_group_size_x
      - .offset:         286
        .size:           2
        .value_kind:     hidden_group_size_y
      - .offset:         288
        .size:           2
        .value_kind:     hidden_group_size_z
      - .offset:         290
        .size:           2
        .value_kind:     hidden_remainder_x
      - .offset:         292
        .size:           2
        .value_kind:     hidden_remainder_y
      - .offset:         294
        .size:           2
        .value_kind:     hidden_remainder_z
      - .offset:         312
        .size:           8
        .value_kind:     hidden_global_offset_x
      - .offset:         320
        .size:           8
        .value_kind:     hidden_global_offset_y
      - .offset:         328
        .size:           8
        .value_kind:     hidden_global_offset_z
      - .offset:         336
        .size:           2
        .value_kind:     hidden_grid_dims
    .group_segment_fixed_size: 1024
    .kernarg_segment_align: 8
    .kernarg_segment_size: 528
    .language:       OpenCL C
    .language_version:
      - 2
      - 0
    .max_flat_workgroup_size: 256
    .name:           _ZN2at6native6mbtopk23computeBlockDigitCountsIfjjLi2EEEvNS_4cuda6detail10TensorInfoIKT_T0_EEjPjjS8_iijT1_PSB_Ps
    .private_segment_fixed_size: 0
    .sgpr_count:     25
    .sgpr_spill_count: 0
    .symbol:         _ZN2at6native6mbtopk23computeBlockDigitCountsIfjjLi2EEEvNS_4cuda6detail10TensorInfoIKT_T0_EEjPjjS8_iijT1_PSB_Ps.kd
    .uniform_work_group_size: 1
    .uses_dynamic_stack: false
    .vgpr_count:     12
    .vgpr_spill_count: 0
    .wavefront_size: 32
    .workgroup_processor_mode: 1
  - .args:
      - .offset:         0
        .size:           216
        .value_kind:     by_value
      - .offset:         216
        .size:           4
        .value_kind:     by_value
      - .offset:         220
        .size:           4
        .value_kind:     by_value
      - .offset:         224
        .size:           1
        .value_kind:     by_value
      - .offset:         228
        .size:           4
        .value_kind:     by_value
      - .offset:         232
        .size:           4
        .value_kind:     by_value
      - .offset:         240
        .size:           216
        .value_kind:     by_value
      - .offset:         456
        .size:           4
        .value_kind:     by_value
      - .offset:         464
        .size:           216
        .value_kind:     by_value
      - .offset:         680
        .size:           4
        .value_kind:     by_value
      - .offset:         684
        .size:           4
        .value_kind:     by_value
      - .offset:         688
        .size:           4
        .value_kind:     by_value
      - .address_space:  global
        .offset:         696
        .size:           8
        .value_kind:     global_buffer
      - .address_space:  global
        .offset:         704
        .size:           8
        .value_kind:     global_buffer
      - .address_space:  global
        .offset:         712
        .size:           8
        .value_kind:     global_buffer
      - .offset:         720
        .size:           4
        .value_kind:     by_value
      - .offset:         728
        .size:           4
        .value_kind:     hidden_block_count_x
      - .offset:         732
        .size:           4
        .value_kind:     hidden_block_count_y
      - .offset:         736
        .size:           4
        .value_kind:     hidden_block_count_z
      - .offset:         740
        .size:           2
        .value_kind:     hidden_group_size_x
      - .offset:         742
        .size:           2
        .value_kind:     hidden_group_size_y
      - .offset:         744
        .size:           2
        .value_kind:     hidden_group_size_z
      - .offset:         746
        .size:           2
        .value_kind:     hidden_remainder_x
      - .offset:         748
        .size:           2
        .value_kind:     hidden_remainder_y
      - .offset:         750
        .size:           2
        .value_kind:     hidden_remainder_z
      - .offset:         768
        .size:           8
        .value_kind:     hidden_global_offset_x
      - .offset:         776
        .size:           8
        .value_kind:     hidden_global_offset_y
      - .offset:         784
        .size:           8
        .value_kind:     hidden_global_offset_z
      - .offset:         792
        .size:           2
        .value_kind:     hidden_grid_dims
    .group_segment_fixed_size: 1068
    .kernarg_segment_align: 8
    .kernarg_segment_size: 984
    .language:       OpenCL C
    .language_version:
      - 2
      - 0
    .max_flat_workgroup_size: 256
    .name:           _ZN2at6native6mbtopk10gatherTopKIfjLi2EEEvNS_4cuda6detail10TensorInfoIKT_T0_EES8_S8_bjS8_NS5_IS6_S8_EES8_NS5_IlS8_EES8_jjPS6_PjSD_j
    .private_segment_fixed_size: 0
    .sgpr_count:     50
    .sgpr_spill_count: 0
    .symbol:         _ZN2at6native6mbtopk10gatherTopKIfjLi2EEEvNS_4cuda6detail10TensorInfoIKT_T0_EES8_S8_bjS8_NS5_IS6_S8_EES8_NS5_IlS8_EES8_jjPS6_PjSD_j.kd
    .uniform_work_group_size: 1
    .uses_dynamic_stack: false
    .vgpr_count:     24
    .vgpr_spill_count: 0
    .wavefront_size: 32
    .workgroup_processor_mode: 1
  - .args:
      - .offset:         0
        .size:           216
        .value_kind:     by_value
      - .offset:         216
        .size:           4
        .value_kind:     by_value
      - .offset:         220
        .size:           4
        .value_kind:     by_value
      - .offset:         224
        .size:           1
        .value_kind:     by_value
      - .offset:         228
        .size:           4
        .value_kind:     by_value
      - .offset:         232
        .size:           4
        .value_kind:     by_value
      - .offset:         240
        .size:           216
        .value_kind:     by_value
      - .offset:         456
        .size:           4
        .value_kind:     by_value
      - .offset:         464
        .size:           216
        .value_kind:     by_value
      - .offset:         680
        .size:           4
        .value_kind:     by_value
      - .address_space:  global
        .offset:         688
        .size:           8
        .value_kind:     global_buffer
      - .offset:         696
        .size:           4
        .value_kind:     hidden_block_count_x
      - .offset:         700
        .size:           4
        .value_kind:     hidden_block_count_y
      - .offset:         704
        .size:           4
        .value_kind:     hidden_block_count_z
      - .offset:         708
        .size:           2
        .value_kind:     hidden_group_size_x
      - .offset:         710
        .size:           2
        .value_kind:     hidden_group_size_y
      - .offset:         712
        .size:           2
        .value_kind:     hidden_group_size_z
      - .offset:         714
        .size:           2
        .value_kind:     hidden_remainder_x
      - .offset:         716
        .size:           2
        .value_kind:     hidden_remainder_y
      - .offset:         718
        .size:           2
        .value_kind:     hidden_remainder_z
      - .offset:         736
        .size:           8
        .value_kind:     hidden_global_offset_x
      - .offset:         744
        .size:           8
        .value_kind:     hidden_global_offset_y
      - .offset:         752
        .size:           8
        .value_kind:     hidden_global_offset_z
      - .offset:         760
        .size:           2
        .value_kind:     hidden_grid_dims
    .group_segment_fixed_size: 4112
    .kernarg_segment_align: 8
    .kernarg_segment_size: 952
    .language:       OpenCL C
    .language_version:
      - 2
      - 0
    .max_flat_workgroup_size: 1024
    .name:           _ZN2at6native6sbtopk10gatherTopKIfjLi2ELb0EEEvNS_4cuda6detail10TensorInfoIKT_T0_EES8_S8_bS8_S8_NS5_IS6_S8_EES8_NS5_IlS8_EES8_PS6_
    .private_segment_fixed_size: 0
    .sgpr_count:     97
    .sgpr_spill_count: 0
    .symbol:         _ZN2at6native6sbtopk10gatherTopKIfjLi2ELb0EEEvNS_4cuda6detail10TensorInfoIKT_T0_EES8_S8_bS8_S8_NS5_IS6_S8_EES8_NS5_IlS8_EES8_PS6_.kd
    .uniform_work_group_size: 1
    .uses_dynamic_stack: false
    .vgpr_count:     43
    .vgpr_spill_count: 0
    .wavefront_size: 32
    .workgroup_processor_mode: 1
  - .args:
      - .offset:         0
        .size:           216
        .value_kind:     by_value
      - .offset:         216
        .size:           4
        .value_kind:     by_value
      - .address_space:  global
        .offset:         224
        .size:           8
        .value_kind:     global_buffer
      - .offset:         232
        .size:           4
        .value_kind:     by_value
      - .offset:         236
        .size:           4
        .value_kind:     by_value
      - .offset:         240
        .size:           4
        .value_kind:     by_value
      - .offset:         244
        .size:           4
        .value_kind:     by_value
      - .offset:         248
        .size:           4
        .value_kind:     by_value
      - .offset:         252
        .size:           4
        .value_kind:     by_value
      - .address_space:  global
        .offset:         256
        .size:           8
        .value_kind:     global_buffer
      - .address_space:  global
        .offset:         264
        .size:           8
        .value_kind:     global_buffer
      - .offset:         272
        .size:           4
        .value_kind:     hidden_block_count_x
      - .offset:         276
        .size:           4
        .value_kind:     hidden_block_count_y
      - .offset:         280
        .size:           4
        .value_kind:     hidden_block_count_z
      - .offset:         284
        .size:           2
        .value_kind:     hidden_group_size_x
      - .offset:         286
        .size:           2
        .value_kind:     hidden_group_size_y
      - .offset:         288
        .size:           2
        .value_kind:     hidden_group_size_z
      - .offset:         290
        .size:           2
        .value_kind:     hidden_remainder_x
      - .offset:         292
        .size:           2
        .value_kind:     hidden_remainder_y
      - .offset:         294
        .size:           2
        .value_kind:     hidden_remainder_z
      - .offset:         312
        .size:           8
        .value_kind:     hidden_global_offset_x
      - .offset:         320
        .size:           8
        .value_kind:     hidden_global_offset_y
      - .offset:         328
        .size:           8
        .value_kind:     hidden_global_offset_z
      - .offset:         336
        .size:           2
        .value_kind:     hidden_grid_dims
    .group_segment_fixed_size: 1024
    .kernarg_segment_align: 8
    .kernarg_segment_size: 528
    .language:       OpenCL C
    .language_version:
      - 2
      - 0
    .max_flat_workgroup_size: 256
    .name:           _ZN2at6native6mbtopk23computeBlockDigitCountsIfjjLi3EEEvNS_4cuda6detail10TensorInfoIKT_T0_EEjPjjS8_iijT1_PSB_Ps
    .private_segment_fixed_size: 0
    .sgpr_count:     28
    .sgpr_spill_count: 0
    .symbol:         _ZN2at6native6mbtopk23computeBlockDigitCountsIfjjLi3EEEvNS_4cuda6detail10TensorInfoIKT_T0_EEjPjjS8_iijT1_PSB_Ps.kd
    .uniform_work_group_size: 1
    .uses_dynamic_stack: false
    .vgpr_count:     12
    .vgpr_spill_count: 0
    .wavefront_size: 32
    .workgroup_processor_mode: 1
  - .args:
      - .offset:         0
        .size:           216
        .value_kind:     by_value
      - .offset:         216
        .size:           4
        .value_kind:     by_value
      - .offset:         220
        .size:           4
        .value_kind:     by_value
      - .offset:         224
        .size:           1
        .value_kind:     by_value
      - .offset:         228
        .size:           4
        .value_kind:     by_value
      - .offset:         232
        .size:           4
        .value_kind:     by_value
      - .offset:         240
        .size:           216
        .value_kind:     by_value
      - .offset:         456
        .size:           4
        .value_kind:     by_value
      - .offset:         464
        .size:           216
        .value_kind:     by_value
      - .offset:         680
        .size:           4
        .value_kind:     by_value
      - .offset:         684
        .size:           4
        .value_kind:     by_value
      - .offset:         688
        .size:           4
        .value_kind:     by_value
      - .address_space:  global
        .offset:         696
        .size:           8
        .value_kind:     global_buffer
      - .address_space:  global
        .offset:         704
        .size:           8
        .value_kind:     global_buffer
      - .address_space:  global
        .offset:         712
        .size:           8
        .value_kind:     global_buffer
      - .offset:         720
        .size:           4
        .value_kind:     by_value
      - .offset:         728
        .size:           4
        .value_kind:     hidden_block_count_x
      - .offset:         732
        .size:           4
        .value_kind:     hidden_block_count_y
      - .offset:         736
        .size:           4
        .value_kind:     hidden_block_count_z
      - .offset:         740
        .size:           2
        .value_kind:     hidden_group_size_x
      - .offset:         742
        .size:           2
        .value_kind:     hidden_group_size_y
      - .offset:         744
        .size:           2
        .value_kind:     hidden_group_size_z
      - .offset:         746
        .size:           2
        .value_kind:     hidden_remainder_x
      - .offset:         748
        .size:           2
        .value_kind:     hidden_remainder_y
      - .offset:         750
        .size:           2
        .value_kind:     hidden_remainder_z
      - .offset:         768
        .size:           8
        .value_kind:     hidden_global_offset_x
      - .offset:         776
        .size:           8
        .value_kind:     hidden_global_offset_y
      - .offset:         784
        .size:           8
        .value_kind:     hidden_global_offset_z
      - .offset:         792
        .size:           2
        .value_kind:     hidden_grid_dims
    .group_segment_fixed_size: 1068
    .kernarg_segment_align: 8
    .kernarg_segment_size: 984
    .language:       OpenCL C
    .language_version:
      - 2
      - 0
    .max_flat_workgroup_size: 256
    .name:           _ZN2at6native6mbtopk10gatherTopKIfjLi3EEEvNS_4cuda6detail10TensorInfoIKT_T0_EES8_S8_bjS8_NS5_IS6_S8_EES8_NS5_IlS8_EES8_jjPS6_PjSD_j
    .private_segment_fixed_size: 0
    .sgpr_count:     59
    .sgpr_spill_count: 0
    .symbol:         _ZN2at6native6mbtopk10gatherTopKIfjLi3EEEvNS_4cuda6detail10TensorInfoIKT_T0_EES8_S8_bjS8_NS5_IS6_S8_EES8_NS5_IlS8_EES8_jjPS6_PjSD_j.kd
    .uniform_work_group_size: 1
    .uses_dynamic_stack: false
    .vgpr_count:     24
    .vgpr_spill_count: 0
    .wavefront_size: 32
    .workgroup_processor_mode: 1
  - .args:
      - .offset:         0
        .size:           216
        .value_kind:     by_value
      - .offset:         216
        .size:           4
        .value_kind:     by_value
      - .offset:         220
        .size:           4
        .value_kind:     by_value
      - .offset:         224
        .size:           1
        .value_kind:     by_value
      - .offset:         228
        .size:           4
        .value_kind:     by_value
      - .offset:         232
        .size:           4
        .value_kind:     by_value
      - .offset:         240
        .size:           216
        .value_kind:     by_value
      - .offset:         456
        .size:           4
        .value_kind:     by_value
      - .offset:         464
        .size:           216
        .value_kind:     by_value
      - .offset:         680
        .size:           4
        .value_kind:     by_value
      - .address_space:  global
        .offset:         688
        .size:           8
        .value_kind:     global_buffer
      - .offset:         696
        .size:           4
        .value_kind:     hidden_block_count_x
      - .offset:         700
        .size:           4
        .value_kind:     hidden_block_count_y
      - .offset:         704
        .size:           4
        .value_kind:     hidden_block_count_z
      - .offset:         708
        .size:           2
        .value_kind:     hidden_group_size_x
      - .offset:         710
        .size:           2
        .value_kind:     hidden_group_size_y
      - .offset:         712
        .size:           2
        .value_kind:     hidden_group_size_z
      - .offset:         714
        .size:           2
        .value_kind:     hidden_remainder_x
      - .offset:         716
        .size:           2
        .value_kind:     hidden_remainder_y
      - .offset:         718
        .size:           2
        .value_kind:     hidden_remainder_z
      - .offset:         736
        .size:           8
        .value_kind:     hidden_global_offset_x
      - .offset:         744
        .size:           8
        .value_kind:     hidden_global_offset_y
      - .offset:         752
        .size:           8
        .value_kind:     hidden_global_offset_z
      - .offset:         760
        .size:           2
        .value_kind:     hidden_grid_dims
    .group_segment_fixed_size: 4112
    .kernarg_segment_align: 8
    .kernarg_segment_size: 952
    .language:       OpenCL C
    .language_version:
      - 2
      - 0
    .max_flat_workgroup_size: 1024
    .name:           _ZN2at6native6sbtopk10gatherTopKIfjLi3ELb0EEEvNS_4cuda6detail10TensorInfoIKT_T0_EES8_S8_bS8_S8_NS5_IS6_S8_EES8_NS5_IlS8_EES8_PS6_
    .private_segment_fixed_size: 0
    .sgpr_count:     107
    .sgpr_spill_count: 0
    .symbol:         _ZN2at6native6sbtopk10gatherTopKIfjLi3ELb0EEEvNS_4cuda6detail10TensorInfoIKT_T0_EES8_S8_bS8_S8_NS5_IS6_S8_EES8_NS5_IlS8_EES8_PS6_.kd
    .uniform_work_group_size: 1
    .uses_dynamic_stack: false
    .vgpr_count:     43
    .vgpr_spill_count: 0
    .wavefront_size: 32
    .workgroup_processor_mode: 1
  - .args:
      - .offset:         0
        .size:           216
        .value_kind:     by_value
      - .offset:         216
        .size:           4
        .value_kind:     by_value
      - .address_space:  global
        .offset:         224
        .size:           8
        .value_kind:     global_buffer
      - .offset:         232
        .size:           4
        .value_kind:     by_value
      - .offset:         236
        .size:           4
        .value_kind:     by_value
      - .offset:         240
        .size:           4
        .value_kind:     by_value
      - .offset:         244
        .size:           4
        .value_kind:     by_value
      - .offset:         248
        .size:           4
        .value_kind:     by_value
      - .offset:         252
        .size:           4
        .value_kind:     by_value
      - .address_space:  global
        .offset:         256
        .size:           8
        .value_kind:     global_buffer
      - .address_space:  global
        .offset:         264
        .size:           8
        .value_kind:     global_buffer
      - .offset:         272
        .size:           4
        .value_kind:     hidden_block_count_x
      - .offset:         276
        .size:           4
        .value_kind:     hidden_block_count_y
      - .offset:         280
        .size:           4
        .value_kind:     hidden_block_count_z
      - .offset:         284
        .size:           2
        .value_kind:     hidden_group_size_x
      - .offset:         286
        .size:           2
        .value_kind:     hidden_group_size_y
      - .offset:         288
        .size:           2
        .value_kind:     hidden_group_size_z
      - .offset:         290
        .size:           2
        .value_kind:     hidden_remainder_x
      - .offset:         292
        .size:           2
        .value_kind:     hidden_remainder_y
      - .offset:         294
        .size:           2
        .value_kind:     hidden_remainder_z
      - .offset:         312
        .size:           8
        .value_kind:     hidden_global_offset_x
      - .offset:         320
        .size:           8
        .value_kind:     hidden_global_offset_y
      - .offset:         328
        .size:           8
        .value_kind:     hidden_global_offset_z
      - .offset:         336
        .size:           2
        .value_kind:     hidden_grid_dims
    .group_segment_fixed_size: 1024
    .kernarg_segment_align: 8
    .kernarg_segment_size: 528
    .language:       OpenCL C
    .language_version:
      - 2
      - 0
    .max_flat_workgroup_size: 256
    .name:           _ZN2at6native6mbtopk23computeBlockDigitCountsIfjjLin1EEEvNS_4cuda6detail10TensorInfoIKT_T0_EEjPjjS8_iijT1_PSB_Ps
    .private_segment_fixed_size: 0
    .sgpr_count:     26
    .sgpr_spill_count: 0
    .symbol:         _ZN2at6native6mbtopk23computeBlockDigitCountsIfjjLin1EEEvNS_4cuda6detail10TensorInfoIKT_T0_EEjPjjS8_iijT1_PSB_Ps.kd
    .uniform_work_group_size: 1
    .uses_dynamic_stack: false
    .vgpr_count:     12
    .vgpr_spill_count: 0
    .wavefront_size: 32
    .workgroup_processor_mode: 1
  - .args:
      - .offset:         0
        .size:           216
        .value_kind:     by_value
      - .offset:         216
        .size:           4
        .value_kind:     by_value
      - .offset:         220
        .size:           4
        .value_kind:     by_value
      - .offset:         224
        .size:           1
        .value_kind:     by_value
      - .offset:         228
        .size:           4
        .value_kind:     by_value
      - .offset:         232
        .size:           4
        .value_kind:     by_value
      - .offset:         240
        .size:           216
        .value_kind:     by_value
      - .offset:         456
        .size:           4
        .value_kind:     by_value
      - .offset:         464
        .size:           216
        .value_kind:     by_value
      - .offset:         680
        .size:           4
        .value_kind:     by_value
      - .offset:         684
        .size:           4
        .value_kind:     by_value
      - .offset:         688
        .size:           4
        .value_kind:     by_value
      - .address_space:  global
        .offset:         696
        .size:           8
        .value_kind:     global_buffer
      - .address_space:  global
        .offset:         704
        .size:           8
        .value_kind:     global_buffer
      - .address_space:  global
        .offset:         712
        .size:           8
        .value_kind:     global_buffer
      - .offset:         720
        .size:           4
        .value_kind:     by_value
      - .offset:         728
        .size:           4
        .value_kind:     hidden_block_count_x
      - .offset:         732
        .size:           4
        .value_kind:     hidden_block_count_y
      - .offset:         736
        .size:           4
        .value_kind:     hidden_block_count_z
      - .offset:         740
        .size:           2
        .value_kind:     hidden_group_size_x
      - .offset:         742
        .size:           2
        .value_kind:     hidden_group_size_y
      - .offset:         744
        .size:           2
        .value_kind:     hidden_group_size_z
      - .offset:         746
        .size:           2
        .value_kind:     hidden_remainder_x
      - .offset:         748
        .size:           2
        .value_kind:     hidden_remainder_y
      - .offset:         750
        .size:           2
        .value_kind:     hidden_remainder_z
      - .offset:         768
        .size:           8
        .value_kind:     hidden_global_offset_x
      - .offset:         776
        .size:           8
        .value_kind:     hidden_global_offset_y
      - .offset:         784
        .size:           8
        .value_kind:     hidden_global_offset_z
      - .offset:         792
        .size:           2
        .value_kind:     hidden_grid_dims
    .group_segment_fixed_size: 1068
    .kernarg_segment_align: 8
    .kernarg_segment_size: 984
    .language:       OpenCL C
    .language_version:
      - 2
      - 0
    .max_flat_workgroup_size: 256
    .name:           _ZN2at6native6mbtopk10gatherTopKIfjLin1EEEvNS_4cuda6detail10TensorInfoIKT_T0_EES8_S8_bjS8_NS5_IS6_S8_EES8_NS5_IlS8_EES8_jjPS6_PjSD_j
    .private_segment_fixed_size: 0
    .sgpr_count:     45
    .sgpr_spill_count: 0
    .symbol:         _ZN2at6native6mbtopk10gatherTopKIfjLin1EEEvNS_4cuda6detail10TensorInfoIKT_T0_EES8_S8_bjS8_NS5_IS6_S8_EES8_NS5_IlS8_EES8_jjPS6_PjSD_j.kd
    .uniform_work_group_size: 1
    .uses_dynamic_stack: false
    .vgpr_count:     24
    .vgpr_spill_count: 0
    .wavefront_size: 32
    .workgroup_processor_mode: 1
  - .args:
      - .offset:         0
        .size:           216
        .value_kind:     by_value
      - .offset:         216
        .size:           4
        .value_kind:     by_value
      - .offset:         220
        .size:           4
        .value_kind:     by_value
      - .offset:         224
        .size:           1
        .value_kind:     by_value
      - .offset:         228
        .size:           4
        .value_kind:     by_value
      - .offset:         232
        .size:           4
        .value_kind:     by_value
      - .offset:         240
        .size:           216
        .value_kind:     by_value
      - .offset:         456
        .size:           4
        .value_kind:     by_value
      - .offset:         464
        .size:           216
        .value_kind:     by_value
      - .offset:         680
        .size:           4
        .value_kind:     by_value
      - .address_space:  global
        .offset:         688
        .size:           8
        .value_kind:     global_buffer
      - .offset:         696
        .size:           4
        .value_kind:     hidden_block_count_x
      - .offset:         700
        .size:           4
        .value_kind:     hidden_block_count_y
      - .offset:         704
        .size:           4
        .value_kind:     hidden_block_count_z
      - .offset:         708
        .size:           2
        .value_kind:     hidden_group_size_x
      - .offset:         710
        .size:           2
        .value_kind:     hidden_group_size_y
      - .offset:         712
        .size:           2
        .value_kind:     hidden_group_size_z
      - .offset:         714
        .size:           2
        .value_kind:     hidden_remainder_x
      - .offset:         716
        .size:           2
        .value_kind:     hidden_remainder_y
      - .offset:         718
        .size:           2
        .value_kind:     hidden_remainder_z
      - .offset:         736
        .size:           8
        .value_kind:     hidden_global_offset_x
      - .offset:         744
        .size:           8
        .value_kind:     hidden_global_offset_y
      - .offset:         752
        .size:           8
        .value_kind:     hidden_global_offset_z
      - .offset:         760
        .size:           2
        .value_kind:     hidden_grid_dims
    .group_segment_fixed_size: 4112
    .kernarg_segment_align: 8
    .kernarg_segment_size: 952
    .language:       OpenCL C
    .language_version:
      - 2
      - 0
    .max_flat_workgroup_size: 1024
    .name:           _ZN2at6native6sbtopk10gatherTopKIfjLin1ELb0EEEvNS_4cuda6detail10TensorInfoIKT_T0_EES8_S8_bS8_S8_NS5_IS6_S8_EES8_NS5_IlS8_EES8_PS6_
    .private_segment_fixed_size: 0
    .sgpr_count:     94
    .sgpr_spill_count: 0
    .symbol:         _ZN2at6native6sbtopk10gatherTopKIfjLin1ELb0EEEvNS_4cuda6detail10TensorInfoIKT_T0_EES8_S8_bS8_S8_NS5_IS6_S8_EES8_NS5_IlS8_EES8_PS6_.kd
    .uniform_work_group_size: 1
    .uses_dynamic_stack: false
    .vgpr_count:     43
    .vgpr_spill_count: 0
    .wavefront_size: 32
    .workgroup_processor_mode: 1
  - .args:
      - .offset:         0
        .size:           216
        .value_kind:     by_value
      - .offset:         216
        .size:           4
        .value_kind:     by_value
      - .address_space:  global
        .offset:         224
        .size:           8
        .value_kind:     global_buffer
      - .offset:         232
        .size:           4
        .value_kind:     by_value
      - .offset:         236
        .size:           4
        .value_kind:     by_value
      - .offset:         240
        .size:           4
        .value_kind:     by_value
      - .offset:         244
        .size:           4
        .value_kind:     by_value
      - .offset:         248
        .size:           4
        .value_kind:     by_value
      - .offset:         252
        .size:           4
        .value_kind:     by_value
      - .address_space:  global
        .offset:         256
        .size:           8
        .value_kind:     global_buffer
      - .address_space:  global
        .offset:         264
        .size:           8
        .value_kind:     global_buffer
      - .offset:         272
        .size:           4
        .value_kind:     hidden_block_count_x
      - .offset:         276
        .size:           4
        .value_kind:     hidden_block_count_y
      - .offset:         280
        .size:           4
        .value_kind:     hidden_block_count_z
      - .offset:         284
        .size:           2
        .value_kind:     hidden_group_size_x
      - .offset:         286
        .size:           2
        .value_kind:     hidden_group_size_y
      - .offset:         288
        .size:           2
        .value_kind:     hidden_group_size_z
      - .offset:         290
        .size:           2
        .value_kind:     hidden_remainder_x
      - .offset:         292
        .size:           2
        .value_kind:     hidden_remainder_y
      - .offset:         294
        .size:           2
        .value_kind:     hidden_remainder_z
      - .offset:         312
        .size:           8
        .value_kind:     hidden_global_offset_x
      - .offset:         320
        .size:           8
        .value_kind:     hidden_global_offset_y
      - .offset:         328
        .size:           8
        .value_kind:     hidden_global_offset_z
      - .offset:         336
        .size:           2
        .value_kind:     hidden_grid_dims
    .group_segment_fixed_size: 1024
    .kernarg_segment_align: 8
    .kernarg_segment_size: 528
    .language:       OpenCL C
    .language_version:
      - 2
      - 0
    .max_flat_workgroup_size: 256
    .name:           _ZN2at6native6mbtopk23computeBlockDigitCountsIN3c104HalfEjjLi1EEEvNS_4cuda6detail10TensorInfoIKT_T0_EEjPjjSA_iijT1_PSD_Ps
    .private_segment_fixed_size: 0
    .sgpr_count:     22
    .sgpr_spill_count: 0
    .symbol:         _ZN2at6native6mbtopk23computeBlockDigitCountsIN3c104HalfEjjLi1EEEvNS_4cuda6detail10TensorInfoIKT_T0_EEjPjjSA_iijT1_PSD_Ps.kd
    .uniform_work_group_size: 1
    .uses_dynamic_stack: false
    .vgpr_count:     13
    .vgpr_spill_count: 0
    .wavefront_size: 32
    .workgroup_processor_mode: 1
  - .args:
      - .address_space:  global
        .offset:         0
        .size:           8
        .value_kind:     global_buffer
      - .address_space:  global
        .offset:         8
        .size:           8
        .value_kind:     global_buffer
      - .address_space:  global
        .offset:         16
        .size:           8
        .value_kind:     global_buffer
      - .offset:         24
        .size:           4
        .value_kind:     by_value
      - .offset:         28
        .size:           4
        .value_kind:     by_value
      - .offset:         32
        .size:           1
        .value_kind:     by_value
      - .address_space:  global
        .offset:         40
        .size:           8
        .value_kind:     global_buffer
      - .address_space:  global
        .offset:         48
        .size:           8
        .value_kind:     global_buffer
      - .address_space:  global
        .offset:         56
        .size:           8
        .value_kind:     global_buffer
      - .address_space:  global
        .offset:         64
        .size:           8
        .value_kind:     global_buffer
      - .address_space:  global
        .offset:         72
        .size:           8
        .value_kind:     global_buffer
      - .offset:         80
        .size:           4
        .value_kind:     by_value
      - .offset:         88
        .size:           4
        .value_kind:     hidden_block_count_x
      - .offset:         92
        .size:           4
        .value_kind:     hidden_block_count_y
      - .offset:         96
        .size:           4
        .value_kind:     hidden_block_count_z
      - .offset:         100
        .size:           2
        .value_kind:     hidden_group_size_x
      - .offset:         102
        .size:           2
        .value_kind:     hidden_group_size_y
      - .offset:         104
        .size:           2
        .value_kind:     hidden_group_size_z
      - .offset:         106
        .size:           2
        .value_kind:     hidden_remainder_x
      - .offset:         108
        .size:           2
        .value_kind:     hidden_remainder_y
      - .offset:         110
        .size:           2
        .value_kind:     hidden_remainder_z
      - .offset:         128
        .size:           8
        .value_kind:     hidden_global_offset_x
      - .offset:         136
        .size:           8
        .value_kind:     hidden_global_offset_y
      - .offset:         144
        .size:           8
        .value_kind:     hidden_global_offset_z
      - .offset:         152
        .size:           2
        .value_kind:     hidden_grid_dims
    .group_segment_fixed_size: 2116
    .kernarg_segment_align: 8
    .kernarg_segment_size: 344
    .language:       OpenCL C
    .language_version:
      - 2
      - 0
    .max_flat_workgroup_size: 256
    .name:           _ZN2at6native6mbtopk29computeBlockwiseWithinKCountsIjN3c104HalfEEEvPT_PsPjjibS8_PT0_S8_S6_S8_j
    .private_segment_fixed_size: 0
    .sgpr_count:     29
    .sgpr_spill_count: 0
    .symbol:         _ZN2at6native6mbtopk29computeBlockwiseWithinKCountsIjN3c104HalfEEEvPT_PsPjjibS8_PT0_S8_S6_S8_j.kd
    .uniform_work_group_size: 1
    .uses_dynamic_stack: false
    .vgpr_count:     15
    .vgpr_spill_count: 0
    .wavefront_size: 32
    .workgroup_processor_mode: 1
  - .args:
      - .offset:         0
        .size:           216
        .value_kind:     by_value
      - .offset:         216
        .size:           4
        .value_kind:     by_value
      - .offset:         220
        .size:           4
        .value_kind:     by_value
      - .offset:         224
        .size:           1
        .value_kind:     by_value
      - .offset:         228
        .size:           4
        .value_kind:     by_value
      - .offset:         232
        .size:           4
        .value_kind:     by_value
      - .offset:         240
        .size:           216
        .value_kind:     by_value
      - .offset:         456
        .size:           4
        .value_kind:     by_value
      - .offset:         464
        .size:           216
        .value_kind:     by_value
      - .offset:         680
        .size:           4
        .value_kind:     by_value
      - .offset:         684
        .size:           4
        .value_kind:     by_value
      - .offset:         688
        .size:           4
        .value_kind:     by_value
      - .address_space:  global
        .offset:         696
        .size:           8
        .value_kind:     global_buffer
      - .address_space:  global
        .offset:         704
        .size:           8
        .value_kind:     global_buffer
      - .address_space:  global
        .offset:         712
        .size:           8
        .value_kind:     global_buffer
      - .offset:         720
        .size:           4
        .value_kind:     by_value
      - .offset:         728
        .size:           4
        .value_kind:     hidden_block_count_x
      - .offset:         732
        .size:           4
        .value_kind:     hidden_block_count_y
      - .offset:         736
        .size:           4
        .value_kind:     hidden_block_count_z
      - .offset:         740
        .size:           2
        .value_kind:     hidden_group_size_x
      - .offset:         742
        .size:           2
        .value_kind:     hidden_group_size_y
      - .offset:         744
        .size:           2
        .value_kind:     hidden_group_size_z
      - .offset:         746
        .size:           2
        .value_kind:     hidden_remainder_x
      - .offset:         748
        .size:           2
        .value_kind:     hidden_remainder_y
      - .offset:         750
        .size:           2
        .value_kind:     hidden_remainder_z
      - .offset:         768
        .size:           8
        .value_kind:     hidden_global_offset_x
      - .offset:         776
        .size:           8
        .value_kind:     hidden_global_offset_y
      - .offset:         784
        .size:           8
        .value_kind:     hidden_global_offset_z
      - .offset:         792
        .size:           2
        .value_kind:     hidden_grid_dims
    .group_segment_fixed_size: 1068
    .kernarg_segment_align: 8
    .kernarg_segment_size: 984
    .language:       OpenCL C
    .language_version:
      - 2
      - 0
    .max_flat_workgroup_size: 256
    .name:           _ZN2at6native6mbtopk10gatherTopKIN3c104HalfEjLi1EEEvNS_4cuda6detail10TensorInfoIKT_T0_EESA_SA_bjSA_NS7_IS8_SA_EESA_NS7_IlSA_EESA_jjPS8_PjSF_j
    .private_segment_fixed_size: 0
    .sgpr_count:     38
    .sgpr_spill_count: 0
    .symbol:         _ZN2at6native6mbtopk10gatherTopKIN3c104HalfEjLi1EEEvNS_4cuda6detail10TensorInfoIKT_T0_EESA_SA_bjSA_NS7_IS8_SA_EESA_NS7_IlSA_EESA_jjPS8_PjSF_j.kd
    .uniform_work_group_size: 1
    .uses_dynamic_stack: false
    .vgpr_count:     25
    .vgpr_spill_count: 0
    .wavefront_size: 32
    .workgroup_processor_mode: 1
  - .args:
      - .offset:         0
        .size:           216
        .value_kind:     by_value
      - .offset:         216
        .size:           4
        .value_kind:     by_value
      - .offset:         220
        .size:           4
        .value_kind:     by_value
      - .offset:         224
        .size:           1
        .value_kind:     by_value
      - .offset:         228
        .size:           4
        .value_kind:     by_value
      - .offset:         232
        .size:           4
        .value_kind:     by_value
      - .offset:         240
        .size:           216
        .value_kind:     by_value
      - .offset:         456
        .size:           4
        .value_kind:     by_value
      - .offset:         464
        .size:           216
        .value_kind:     by_value
      - .offset:         680
        .size:           4
        .value_kind:     by_value
      - .address_space:  global
        .offset:         688
        .size:           8
        .value_kind:     global_buffer
      - .offset:         696
        .size:           4
        .value_kind:     hidden_block_count_x
      - .offset:         700
        .size:           4
        .value_kind:     hidden_block_count_y
      - .offset:         704
        .size:           4
        .value_kind:     hidden_block_count_z
      - .offset:         708
        .size:           2
        .value_kind:     hidden_group_size_x
      - .offset:         710
        .size:           2
        .value_kind:     hidden_group_size_y
      - .offset:         712
        .size:           2
        .value_kind:     hidden_group_size_z
      - .offset:         714
        .size:           2
        .value_kind:     hidden_remainder_x
      - .offset:         716
        .size:           2
        .value_kind:     hidden_remainder_y
      - .offset:         718
        .size:           2
        .value_kind:     hidden_remainder_z
      - .offset:         736
        .size:           8
        .value_kind:     hidden_global_offset_x
      - .offset:         744
        .size:           8
        .value_kind:     hidden_global_offset_y
      - .offset:         752
        .size:           8
        .value_kind:     hidden_global_offset_z
      - .offset:         760
        .size:           2
        .value_kind:     hidden_grid_dims
    .group_segment_fixed_size: 4112
    .kernarg_segment_align: 8
    .kernarg_segment_size: 952
    .language:       OpenCL C
    .language_version:
      - 2
      - 0
    .max_flat_workgroup_size: 1024
    .name:           _ZN2at6native6sbtopk10gatherTopKIN3c104HalfEjLi1ELb0EEEvNS_4cuda6detail10TensorInfoIKT_T0_EESA_SA_bSA_SA_NS7_IS8_SA_EESA_NS7_IlSA_EESA_PS8_
    .private_segment_fixed_size: 0
    .sgpr_count:     98
    .sgpr_spill_count: 0
    .symbol:         _ZN2at6native6sbtopk10gatherTopKIN3c104HalfEjLi1ELb0EEEvNS_4cuda6detail10TensorInfoIKT_T0_EESA_SA_bSA_SA_NS7_IS8_SA_EESA_NS7_IlSA_EESA_PS8_.kd
    .uniform_work_group_size: 1
    .uses_dynamic_stack: false
    .vgpr_count:     62
    .vgpr_spill_count: 0
    .wavefront_size: 32
    .workgroup_processor_mode: 1
  - .args:
      - .offset:         0
        .size:           216
        .value_kind:     by_value
      - .offset:         216
        .size:           4
        .value_kind:     by_value
      - .address_space:  global
        .offset:         224
        .size:           8
        .value_kind:     global_buffer
      - .offset:         232
        .size:           4
        .value_kind:     by_value
      - .offset:         236
        .size:           4
        .value_kind:     by_value
      - .offset:         240
        .size:           4
        .value_kind:     by_value
      - .offset:         244
        .size:           4
        .value_kind:     by_value
      - .offset:         248
        .size:           4
        .value_kind:     by_value
      - .offset:         252
        .size:           4
        .value_kind:     by_value
      - .address_space:  global
        .offset:         256
        .size:           8
        .value_kind:     global_buffer
      - .address_space:  global
        .offset:         264
        .size:           8
        .value_kind:     global_buffer
      - .offset:         272
        .size:           4
        .value_kind:     hidden_block_count_x
      - .offset:         276
        .size:           4
        .value_kind:     hidden_block_count_y
      - .offset:         280
        .size:           4
        .value_kind:     hidden_block_count_z
      - .offset:         284
        .size:           2
        .value_kind:     hidden_group_size_x
      - .offset:         286
        .size:           2
        .value_kind:     hidden_group_size_y
      - .offset:         288
        .size:           2
        .value_kind:     hidden_group_size_z
      - .offset:         290
        .size:           2
        .value_kind:     hidden_remainder_x
      - .offset:         292
        .size:           2
        .value_kind:     hidden_remainder_y
      - .offset:         294
        .size:           2
        .value_kind:     hidden_remainder_z
      - .offset:         312
        .size:           8
        .value_kind:     hidden_global_offset_x
      - .offset:         320
        .size:           8
        .value_kind:     hidden_global_offset_y
      - .offset:         328
        .size:           8
        .value_kind:     hidden_global_offset_z
      - .offset:         336
        .size:           2
        .value_kind:     hidden_grid_dims
    .group_segment_fixed_size: 1024
    .kernarg_segment_align: 8
    .kernarg_segment_size: 528
    .language:       OpenCL C
    .language_version:
      - 2
      - 0
    .max_flat_workgroup_size: 256
    .name:           _ZN2at6native6mbtopk23computeBlockDigitCountsIN3c104HalfEjjLi2EEEvNS_4cuda6detail10TensorInfoIKT_T0_EEjPjjSA_iijT1_PSD_Ps
    .private_segment_fixed_size: 0
    .sgpr_count:     25
    .sgpr_spill_count: 0
    .symbol:         _ZN2at6native6mbtopk23computeBlockDigitCountsIN3c104HalfEjjLi2EEEvNS_4cuda6detail10TensorInfoIKT_T0_EEjPjjSA_iijT1_PSD_Ps.kd
    .uniform_work_group_size: 1
    .uses_dynamic_stack: false
    .vgpr_count:     13
    .vgpr_spill_count: 0
    .wavefront_size: 32
    .workgroup_processor_mode: 1
  - .args:
      - .offset:         0
        .size:           216
        .value_kind:     by_value
      - .offset:         216
        .size:           4
        .value_kind:     by_value
      - .offset:         220
        .size:           4
        .value_kind:     by_value
      - .offset:         224
        .size:           1
        .value_kind:     by_value
      - .offset:         228
        .size:           4
        .value_kind:     by_value
      - .offset:         232
        .size:           4
        .value_kind:     by_value
      - .offset:         240
        .size:           216
        .value_kind:     by_value
      - .offset:         456
        .size:           4
        .value_kind:     by_value
      - .offset:         464
        .size:           216
        .value_kind:     by_value
      - .offset:         680
        .size:           4
        .value_kind:     by_value
      - .offset:         684
        .size:           4
        .value_kind:     by_value
      - .offset:         688
        .size:           4
        .value_kind:     by_value
      - .address_space:  global
        .offset:         696
        .size:           8
        .value_kind:     global_buffer
      - .address_space:  global
        .offset:         704
        .size:           8
        .value_kind:     global_buffer
      - .address_space:  global
        .offset:         712
        .size:           8
        .value_kind:     global_buffer
      - .offset:         720
        .size:           4
        .value_kind:     by_value
      - .offset:         728
        .size:           4
        .value_kind:     hidden_block_count_x
      - .offset:         732
        .size:           4
        .value_kind:     hidden_block_count_y
      - .offset:         736
        .size:           4
        .value_kind:     hidden_block_count_z
      - .offset:         740
        .size:           2
        .value_kind:     hidden_group_size_x
      - .offset:         742
        .size:           2
        .value_kind:     hidden_group_size_y
      - .offset:         744
        .size:           2
        .value_kind:     hidden_group_size_z
      - .offset:         746
        .size:           2
        .value_kind:     hidden_remainder_x
      - .offset:         748
        .size:           2
        .value_kind:     hidden_remainder_y
      - .offset:         750
        .size:           2
        .value_kind:     hidden_remainder_z
      - .offset:         768
        .size:           8
        .value_kind:     hidden_global_offset_x
      - .offset:         776
        .size:           8
        .value_kind:     hidden_global_offset_y
      - .offset:         784
        .size:           8
        .value_kind:     hidden_global_offset_z
      - .offset:         792
        .size:           2
        .value_kind:     hidden_grid_dims
    .group_segment_fixed_size: 1068
    .kernarg_segment_align: 8
    .kernarg_segment_size: 984
    .language:       OpenCL C
    .language_version:
      - 2
      - 0
    .max_flat_workgroup_size: 256
    .name:           _ZN2at6native6mbtopk10gatherTopKIN3c104HalfEjLi2EEEvNS_4cuda6detail10TensorInfoIKT_T0_EESA_SA_bjSA_NS7_IS8_SA_EESA_NS7_IlSA_EESA_jjPS8_PjSF_j
    .private_segment_fixed_size: 0
    .sgpr_count:     50
    .sgpr_spill_count: 0
    .symbol:         _ZN2at6native6mbtopk10gatherTopKIN3c104HalfEjLi2EEEvNS_4cuda6detail10TensorInfoIKT_T0_EESA_SA_bjSA_NS7_IS8_SA_EESA_NS7_IlSA_EESA_jjPS8_PjSF_j.kd
    .uniform_work_group_size: 1
    .uses_dynamic_stack: false
    .vgpr_count:     25
    .vgpr_spill_count: 0
    .wavefront_size: 32
    .workgroup_processor_mode: 1
  - .args:
      - .offset:         0
        .size:           216
        .value_kind:     by_value
      - .offset:         216
        .size:           4
        .value_kind:     by_value
      - .offset:         220
        .size:           4
        .value_kind:     by_value
      - .offset:         224
        .size:           1
        .value_kind:     by_value
      - .offset:         228
        .size:           4
        .value_kind:     by_value
      - .offset:         232
        .size:           4
        .value_kind:     by_value
      - .offset:         240
        .size:           216
        .value_kind:     by_value
      - .offset:         456
        .size:           4
        .value_kind:     by_value
      - .offset:         464
        .size:           216
        .value_kind:     by_value
      - .offset:         680
        .size:           4
        .value_kind:     by_value
      - .address_space:  global
        .offset:         688
        .size:           8
        .value_kind:     global_buffer
      - .offset:         696
        .size:           4
        .value_kind:     hidden_block_count_x
      - .offset:         700
        .size:           4
        .value_kind:     hidden_block_count_y
      - .offset:         704
        .size:           4
        .value_kind:     hidden_block_count_z
      - .offset:         708
        .size:           2
        .value_kind:     hidden_group_size_x
      - .offset:         710
        .size:           2
        .value_kind:     hidden_group_size_y
      - .offset:         712
        .size:           2
        .value_kind:     hidden_group_size_z
      - .offset:         714
        .size:           2
        .value_kind:     hidden_remainder_x
      - .offset:         716
        .size:           2
        .value_kind:     hidden_remainder_y
      - .offset:         718
        .size:           2
        .value_kind:     hidden_remainder_z
      - .offset:         736
        .size:           8
        .value_kind:     hidden_global_offset_x
      - .offset:         744
        .size:           8
        .value_kind:     hidden_global_offset_y
      - .offset:         752
        .size:           8
        .value_kind:     hidden_global_offset_z
      - .offset:         760
        .size:           2
        .value_kind:     hidden_grid_dims
    .group_segment_fixed_size: 4112
    .kernarg_segment_align: 8
    .kernarg_segment_size: 952
    .language:       OpenCL C
    .language_version:
      - 2
      - 0
    .max_flat_workgroup_size: 1024
    .name:           _ZN2at6native6sbtopk10gatherTopKIN3c104HalfEjLi2ELb0EEEvNS_4cuda6detail10TensorInfoIKT_T0_EESA_SA_bSA_SA_NS7_IS8_SA_EESA_NS7_IlSA_EESA_PS8_
    .private_segment_fixed_size: 0
    .sgpr_count:     107
    .sgpr_spill_count: 0
    .symbol:         _ZN2at6native6sbtopk10gatherTopKIN3c104HalfEjLi2ELb0EEEvNS_4cuda6detail10TensorInfoIKT_T0_EESA_SA_bSA_SA_NS7_IS8_SA_EESA_NS7_IlSA_EESA_PS8_.kd
    .uniform_work_group_size: 1
    .uses_dynamic_stack: false
    .vgpr_count:     62
    .vgpr_spill_count: 0
    .wavefront_size: 32
    .workgroup_processor_mode: 1
  - .args:
      - .offset:         0
        .size:           216
        .value_kind:     by_value
      - .offset:         216
        .size:           4
        .value_kind:     by_value
      - .address_space:  global
        .offset:         224
        .size:           8
        .value_kind:     global_buffer
      - .offset:         232
        .size:           4
        .value_kind:     by_value
      - .offset:         236
        .size:           4
        .value_kind:     by_value
      - .offset:         240
        .size:           4
        .value_kind:     by_value
      - .offset:         244
        .size:           4
        .value_kind:     by_value
      - .offset:         248
        .size:           4
        .value_kind:     by_value
      - .offset:         252
        .size:           4
        .value_kind:     by_value
      - .address_space:  global
        .offset:         256
        .size:           8
        .value_kind:     global_buffer
      - .address_space:  global
        .offset:         264
        .size:           8
        .value_kind:     global_buffer
      - .offset:         272
        .size:           4
        .value_kind:     hidden_block_count_x
      - .offset:         276
        .size:           4
        .value_kind:     hidden_block_count_y
      - .offset:         280
        .size:           4
        .value_kind:     hidden_block_count_z
      - .offset:         284
        .size:           2
        .value_kind:     hidden_group_size_x
      - .offset:         286
        .size:           2
        .value_kind:     hidden_group_size_y
      - .offset:         288
        .size:           2
        .value_kind:     hidden_group_size_z
      - .offset:         290
        .size:           2
        .value_kind:     hidden_remainder_x
      - .offset:         292
        .size:           2
        .value_kind:     hidden_remainder_y
      - .offset:         294
        .size:           2
        .value_kind:     hidden_remainder_z
      - .offset:         312
        .size:           8
        .value_kind:     hidden_global_offset_x
      - .offset:         320
        .size:           8
        .value_kind:     hidden_global_offset_y
      - .offset:         328
        .size:           8
        .value_kind:     hidden_global_offset_z
      - .offset:         336
        .size:           2
        .value_kind:     hidden_grid_dims
    .group_segment_fixed_size: 1024
    .kernarg_segment_align: 8
    .kernarg_segment_size: 528
    .language:       OpenCL C
    .language_version:
      - 2
      - 0
    .max_flat_workgroup_size: 256
    .name:           _ZN2at6native6mbtopk23computeBlockDigitCountsIN3c104HalfEjjLi3EEEvNS_4cuda6detail10TensorInfoIKT_T0_EEjPjjSA_iijT1_PSD_Ps
    .private_segment_fixed_size: 0
    .sgpr_count:     28
    .sgpr_spill_count: 0
    .symbol:         _ZN2at6native6mbtopk23computeBlockDigitCountsIN3c104HalfEjjLi3EEEvNS_4cuda6detail10TensorInfoIKT_T0_EEjPjjSA_iijT1_PSD_Ps.kd
    .uniform_work_group_size: 1
    .uses_dynamic_stack: false
    .vgpr_count:     13
    .vgpr_spill_count: 0
    .wavefront_size: 32
    .workgroup_processor_mode: 1
  - .args:
      - .offset:         0
        .size:           216
        .value_kind:     by_value
      - .offset:         216
        .size:           4
        .value_kind:     by_value
      - .offset:         220
        .size:           4
        .value_kind:     by_value
      - .offset:         224
        .size:           1
        .value_kind:     by_value
      - .offset:         228
        .size:           4
        .value_kind:     by_value
      - .offset:         232
        .size:           4
        .value_kind:     by_value
      - .offset:         240
        .size:           216
        .value_kind:     by_value
      - .offset:         456
        .size:           4
        .value_kind:     by_value
      - .offset:         464
        .size:           216
        .value_kind:     by_value
      - .offset:         680
        .size:           4
        .value_kind:     by_value
      - .offset:         684
        .size:           4
        .value_kind:     by_value
      - .offset:         688
        .size:           4
        .value_kind:     by_value
      - .address_space:  global
        .offset:         696
        .size:           8
        .value_kind:     global_buffer
      - .address_space:  global
        .offset:         704
        .size:           8
        .value_kind:     global_buffer
      - .address_space:  global
        .offset:         712
        .size:           8
        .value_kind:     global_buffer
      - .offset:         720
        .size:           4
        .value_kind:     by_value
      - .offset:         728
        .size:           4
        .value_kind:     hidden_block_count_x
      - .offset:         732
        .size:           4
        .value_kind:     hidden_block_count_y
      - .offset:         736
        .size:           4
        .value_kind:     hidden_block_count_z
      - .offset:         740
        .size:           2
        .value_kind:     hidden_group_size_x
      - .offset:         742
        .size:           2
        .value_kind:     hidden_group_size_y
      - .offset:         744
        .size:           2
        .value_kind:     hidden_group_size_z
      - .offset:         746
        .size:           2
        .value_kind:     hidden_remainder_x
      - .offset:         748
        .size:           2
        .value_kind:     hidden_remainder_y
      - .offset:         750
        .size:           2
        .value_kind:     hidden_remainder_z
      - .offset:         768
        .size:           8
        .value_kind:     hidden_global_offset_x
      - .offset:         776
        .size:           8
        .value_kind:     hidden_global_offset_y
      - .offset:         784
        .size:           8
        .value_kind:     hidden_global_offset_z
      - .offset:         792
        .size:           2
        .value_kind:     hidden_grid_dims
    .group_segment_fixed_size: 1068
    .kernarg_segment_align: 8
    .kernarg_segment_size: 984
    .language:       OpenCL C
    .language_version:
      - 2
      - 0
    .max_flat_workgroup_size: 256
    .name:           _ZN2at6native6mbtopk10gatherTopKIN3c104HalfEjLi3EEEvNS_4cuda6detail10TensorInfoIKT_T0_EESA_SA_bjSA_NS7_IS8_SA_EESA_NS7_IlSA_EESA_jjPS8_PjSF_j
    .private_segment_fixed_size: 0
    .sgpr_count:     59
    .sgpr_spill_count: 0
    .symbol:         _ZN2at6native6mbtopk10gatherTopKIN3c104HalfEjLi3EEEvNS_4cuda6detail10TensorInfoIKT_T0_EESA_SA_bjSA_NS7_IS8_SA_EESA_NS7_IlSA_EESA_jjPS8_PjSF_j.kd
    .uniform_work_group_size: 1
    .uses_dynamic_stack: false
    .vgpr_count:     25
    .vgpr_spill_count: 0
    .wavefront_size: 32
    .workgroup_processor_mode: 1
  - .args:
      - .offset:         0
        .size:           216
        .value_kind:     by_value
      - .offset:         216
        .size:           4
        .value_kind:     by_value
      - .offset:         220
        .size:           4
        .value_kind:     by_value
      - .offset:         224
        .size:           1
        .value_kind:     by_value
      - .offset:         228
        .size:           4
        .value_kind:     by_value
      - .offset:         232
        .size:           4
        .value_kind:     by_value
      - .offset:         240
        .size:           216
        .value_kind:     by_value
      - .offset:         456
        .size:           4
        .value_kind:     by_value
      - .offset:         464
        .size:           216
        .value_kind:     by_value
      - .offset:         680
        .size:           4
        .value_kind:     by_value
      - .address_space:  global
        .offset:         688
        .size:           8
        .value_kind:     global_buffer
      - .offset:         696
        .size:           4
        .value_kind:     hidden_block_count_x
      - .offset:         700
        .size:           4
        .value_kind:     hidden_block_count_y
      - .offset:         704
        .size:           4
        .value_kind:     hidden_block_count_z
      - .offset:         708
        .size:           2
        .value_kind:     hidden_group_size_x
      - .offset:         710
        .size:           2
        .value_kind:     hidden_group_size_y
      - .offset:         712
        .size:           2
        .value_kind:     hidden_group_size_z
      - .offset:         714
        .size:           2
        .value_kind:     hidden_remainder_x
      - .offset:         716
        .size:           2
        .value_kind:     hidden_remainder_y
      - .offset:         718
        .size:           2
        .value_kind:     hidden_remainder_z
      - .offset:         736
        .size:           8
        .value_kind:     hidden_global_offset_x
      - .offset:         744
        .size:           8
        .value_kind:     hidden_global_offset_y
      - .offset:         752
        .size:           8
        .value_kind:     hidden_global_offset_z
      - .offset:         760
        .size:           2
        .value_kind:     hidden_grid_dims
    .group_segment_fixed_size: 4112
    .kernarg_segment_align: 8
    .kernarg_segment_size: 952
    .language:       OpenCL C
    .language_version:
      - 2
      - 0
    .max_flat_workgroup_size: 1024
    .name:           _ZN2at6native6sbtopk10gatherTopKIN3c104HalfEjLi3ELb0EEEvNS_4cuda6detail10TensorInfoIKT_T0_EESA_SA_bSA_SA_NS7_IS8_SA_EESA_NS7_IlSA_EESA_PS8_
    .private_segment_fixed_size: 0
    .sgpr_count:     107
    .sgpr_spill_count: 2
    .symbol:         _ZN2at6native6sbtopk10gatherTopKIN3c104HalfEjLi3ELb0EEEvNS_4cuda6detail10TensorInfoIKT_T0_EESA_SA_bSA_SA_NS7_IS8_SA_EESA_NS7_IlSA_EESA_PS8_.kd
    .uniform_work_group_size: 1
    .uses_dynamic_stack: false
    .vgpr_count:     63
    .vgpr_spill_count: 0
    .wavefront_size: 32
    .workgroup_processor_mode: 1
  - .args:
      - .offset:         0
        .size:           216
        .value_kind:     by_value
      - .offset:         216
        .size:           4
        .value_kind:     by_value
      - .address_space:  global
        .offset:         224
        .size:           8
        .value_kind:     global_buffer
      - .offset:         232
        .size:           4
        .value_kind:     by_value
      - .offset:         236
        .size:           4
        .value_kind:     by_value
      - .offset:         240
        .size:           4
        .value_kind:     by_value
      - .offset:         244
        .size:           4
        .value_kind:     by_value
      - .offset:         248
        .size:           4
        .value_kind:     by_value
      - .offset:         252
        .size:           4
        .value_kind:     by_value
      - .address_space:  global
        .offset:         256
        .size:           8
        .value_kind:     global_buffer
      - .address_space:  global
        .offset:         264
        .size:           8
        .value_kind:     global_buffer
      - .offset:         272
        .size:           4
        .value_kind:     hidden_block_count_x
      - .offset:         276
        .size:           4
        .value_kind:     hidden_block_count_y
      - .offset:         280
        .size:           4
        .value_kind:     hidden_block_count_z
      - .offset:         284
        .size:           2
        .value_kind:     hidden_group_size_x
      - .offset:         286
        .size:           2
        .value_kind:     hidden_group_size_y
      - .offset:         288
        .size:           2
        .value_kind:     hidden_group_size_z
      - .offset:         290
        .size:           2
        .value_kind:     hidden_remainder_x
      - .offset:         292
        .size:           2
        .value_kind:     hidden_remainder_y
      - .offset:         294
        .size:           2
        .value_kind:     hidden_remainder_z
      - .offset:         312
        .size:           8
        .value_kind:     hidden_global_offset_x
      - .offset:         320
        .size:           8
        .value_kind:     hidden_global_offset_y
      - .offset:         328
        .size:           8
        .value_kind:     hidden_global_offset_z
      - .offset:         336
        .size:           2
        .value_kind:     hidden_grid_dims
    .group_segment_fixed_size: 1024
    .kernarg_segment_align: 8
    .kernarg_segment_size: 528
    .language:       OpenCL C
    .language_version:
      - 2
      - 0
    .max_flat_workgroup_size: 256
    .name:           _ZN2at6native6mbtopk23computeBlockDigitCountsIN3c104HalfEjjLin1EEEvNS_4cuda6detail10TensorInfoIKT_T0_EEjPjjSA_iijT1_PSD_Ps
    .private_segment_fixed_size: 0
    .sgpr_count:     26
    .sgpr_spill_count: 0
    .symbol:         _ZN2at6native6mbtopk23computeBlockDigitCountsIN3c104HalfEjjLin1EEEvNS_4cuda6detail10TensorInfoIKT_T0_EEjPjjSA_iijT1_PSD_Ps.kd
    .uniform_work_group_size: 1
    .uses_dynamic_stack: false
    .vgpr_count:     13
    .vgpr_spill_count: 0
    .wavefront_size: 32
    .workgroup_processor_mode: 1
  - .args:
      - .offset:         0
        .size:           216
        .value_kind:     by_value
      - .offset:         216
        .size:           4
        .value_kind:     by_value
      - .offset:         220
        .size:           4
        .value_kind:     by_value
      - .offset:         224
        .size:           1
        .value_kind:     by_value
      - .offset:         228
        .size:           4
        .value_kind:     by_value
      - .offset:         232
        .size:           4
        .value_kind:     by_value
      - .offset:         240
        .size:           216
        .value_kind:     by_value
      - .offset:         456
        .size:           4
        .value_kind:     by_value
      - .offset:         464
        .size:           216
        .value_kind:     by_value
      - .offset:         680
        .size:           4
        .value_kind:     by_value
      - .offset:         684
        .size:           4
        .value_kind:     by_value
      - .offset:         688
        .size:           4
        .value_kind:     by_value
      - .address_space:  global
        .offset:         696
        .size:           8
        .value_kind:     global_buffer
      - .address_space:  global
        .offset:         704
        .size:           8
        .value_kind:     global_buffer
      - .address_space:  global
        .offset:         712
        .size:           8
        .value_kind:     global_buffer
      - .offset:         720
        .size:           4
        .value_kind:     by_value
      - .offset:         728
        .size:           4
        .value_kind:     hidden_block_count_x
      - .offset:         732
        .size:           4
        .value_kind:     hidden_block_count_y
      - .offset:         736
        .size:           4
        .value_kind:     hidden_block_count_z
      - .offset:         740
        .size:           2
        .value_kind:     hidden_group_size_x
      - .offset:         742
        .size:           2
        .value_kind:     hidden_group_size_y
      - .offset:         744
        .size:           2
        .value_kind:     hidden_group_size_z
      - .offset:         746
        .size:           2
        .value_kind:     hidden_remainder_x
      - .offset:         748
        .size:           2
        .value_kind:     hidden_remainder_y
      - .offset:         750
        .size:           2
        .value_kind:     hidden_remainder_z
      - .offset:         768
        .size:           8
        .value_kind:     hidden_global_offset_x
      - .offset:         776
        .size:           8
        .value_kind:     hidden_global_offset_y
      - .offset:         784
        .size:           8
        .value_kind:     hidden_global_offset_z
      - .offset:         792
        .size:           2
        .value_kind:     hidden_grid_dims
    .group_segment_fixed_size: 1068
    .kernarg_segment_align: 8
    .kernarg_segment_size: 984
    .language:       OpenCL C
    .language_version:
      - 2
      - 0
    .max_flat_workgroup_size: 256
    .name:           _ZN2at6native6mbtopk10gatherTopKIN3c104HalfEjLin1EEEvNS_4cuda6detail10TensorInfoIKT_T0_EESA_SA_bjSA_NS7_IS8_SA_EESA_NS7_IlSA_EESA_jjPS8_PjSF_j
    .private_segment_fixed_size: 0
    .sgpr_count:     45
    .sgpr_spill_count: 0
    .symbol:         _ZN2at6native6mbtopk10gatherTopKIN3c104HalfEjLin1EEEvNS_4cuda6detail10TensorInfoIKT_T0_EESA_SA_bjSA_NS7_IS8_SA_EESA_NS7_IlSA_EESA_jjPS8_PjSF_j.kd
    .uniform_work_group_size: 1
    .uses_dynamic_stack: false
    .vgpr_count:     25
    .vgpr_spill_count: 0
    .wavefront_size: 32
    .workgroup_processor_mode: 1
  - .args:
      - .offset:         0
        .size:           216
        .value_kind:     by_value
      - .offset:         216
        .size:           4
        .value_kind:     by_value
      - .offset:         220
        .size:           4
        .value_kind:     by_value
      - .offset:         224
        .size:           1
        .value_kind:     by_value
      - .offset:         228
        .size:           4
        .value_kind:     by_value
      - .offset:         232
        .size:           4
        .value_kind:     by_value
      - .offset:         240
        .size:           216
        .value_kind:     by_value
      - .offset:         456
        .size:           4
        .value_kind:     by_value
      - .offset:         464
        .size:           216
        .value_kind:     by_value
      - .offset:         680
        .size:           4
        .value_kind:     by_value
      - .address_space:  global
        .offset:         688
        .size:           8
        .value_kind:     global_buffer
      - .offset:         696
        .size:           4
        .value_kind:     hidden_block_count_x
      - .offset:         700
        .size:           4
        .value_kind:     hidden_block_count_y
      - .offset:         704
        .size:           4
        .value_kind:     hidden_block_count_z
      - .offset:         708
        .size:           2
        .value_kind:     hidden_group_size_x
      - .offset:         710
        .size:           2
        .value_kind:     hidden_group_size_y
      - .offset:         712
        .size:           2
        .value_kind:     hidden_group_size_z
      - .offset:         714
        .size:           2
        .value_kind:     hidden_remainder_x
      - .offset:         716
        .size:           2
        .value_kind:     hidden_remainder_y
      - .offset:         718
        .size:           2
        .value_kind:     hidden_remainder_z
      - .offset:         736
        .size:           8
        .value_kind:     hidden_global_offset_x
      - .offset:         744
        .size:           8
        .value_kind:     hidden_global_offset_y
      - .offset:         752
        .size:           8
        .value_kind:     hidden_global_offset_z
      - .offset:         760
        .size:           2
        .value_kind:     hidden_grid_dims
    .group_segment_fixed_size: 4112
    .kernarg_segment_align: 8
    .kernarg_segment_size: 952
    .language:       OpenCL C
    .language_version:
      - 2
      - 0
    .max_flat_workgroup_size: 1024
    .name:           _ZN2at6native6sbtopk10gatherTopKIN3c104HalfEjLin1ELb0EEEvNS_4cuda6detail10TensorInfoIKT_T0_EESA_SA_bSA_SA_NS7_IS8_SA_EESA_NS7_IlSA_EESA_PS8_
    .private_segment_fixed_size: 0
    .sgpr_count:     101
    .sgpr_spill_count: 0
    .symbol:         _ZN2at6native6sbtopk10gatherTopKIN3c104HalfEjLin1ELb0EEEvNS_4cuda6detail10TensorInfoIKT_T0_EESA_SA_bSA_SA_NS7_IS8_SA_EESA_NS7_IlSA_EESA_PS8_.kd
    .uniform_work_group_size: 1
    .uses_dynamic_stack: false
    .vgpr_count:     62
    .vgpr_spill_count: 0
    .wavefront_size: 32
    .workgroup_processor_mode: 1
  - .args:
      - .offset:         0
        .size:           216
        .value_kind:     by_value
      - .offset:         216
        .size:           4
        .value_kind:     by_value
      - .address_space:  global
        .offset:         224
        .size:           8
        .value_kind:     global_buffer
      - .offset:         232
        .size:           4
        .value_kind:     by_value
      - .offset:         236
        .size:           4
        .value_kind:     by_value
      - .offset:         240
        .size:           4
        .value_kind:     by_value
      - .offset:         244
        .size:           4
        .value_kind:     by_value
      - .offset:         248
        .size:           4
        .value_kind:     by_value
      - .offset:         252
        .size:           4
        .value_kind:     by_value
      - .address_space:  global
        .offset:         256
        .size:           8
        .value_kind:     global_buffer
      - .address_space:  global
        .offset:         264
        .size:           8
        .value_kind:     global_buffer
      - .offset:         272
        .size:           4
        .value_kind:     hidden_block_count_x
      - .offset:         276
        .size:           4
        .value_kind:     hidden_block_count_y
      - .offset:         280
        .size:           4
        .value_kind:     hidden_block_count_z
      - .offset:         284
        .size:           2
        .value_kind:     hidden_group_size_x
      - .offset:         286
        .size:           2
        .value_kind:     hidden_group_size_y
      - .offset:         288
        .size:           2
        .value_kind:     hidden_group_size_z
      - .offset:         290
        .size:           2
        .value_kind:     hidden_remainder_x
      - .offset:         292
        .size:           2
        .value_kind:     hidden_remainder_y
      - .offset:         294
        .size:           2
        .value_kind:     hidden_remainder_z
      - .offset:         312
        .size:           8
        .value_kind:     hidden_global_offset_x
      - .offset:         320
        .size:           8
        .value_kind:     hidden_global_offset_y
      - .offset:         328
        .size:           8
        .value_kind:     hidden_global_offset_z
      - .offset:         336
        .size:           2
        .value_kind:     hidden_grid_dims
    .group_segment_fixed_size: 1024
    .kernarg_segment_align: 8
    .kernarg_segment_size: 528
    .language:       OpenCL C
    .language_version:
      - 2
      - 0
    .max_flat_workgroup_size: 256
    .name:           _ZN2at6native6mbtopk23computeBlockDigitCountsIN3c108BFloat16EjjLi1EEEvNS_4cuda6detail10TensorInfoIKT_T0_EEjPjjSA_iijT1_PSD_Ps
    .private_segment_fixed_size: 0
    .sgpr_count:     22
    .sgpr_spill_count: 0
    .symbol:         _ZN2at6native6mbtopk23computeBlockDigitCountsIN3c108BFloat16EjjLi1EEEvNS_4cuda6detail10TensorInfoIKT_T0_EEjPjjSA_iijT1_PSD_Ps.kd
    .uniform_work_group_size: 1
    .uses_dynamic_stack: false
    .vgpr_count:     13
    .vgpr_spill_count: 0
    .wavefront_size: 32
    .workgroup_processor_mode: 1
  - .args:
      - .address_space:  global
        .offset:         0
        .size:           8
        .value_kind:     global_buffer
      - .address_space:  global
        .offset:         8
        .size:           8
        .value_kind:     global_buffer
      - .address_space:  global
        .offset:         16
        .size:           8
        .value_kind:     global_buffer
      - .offset:         24
        .size:           4
        .value_kind:     by_value
      - .offset:         28
        .size:           4
        .value_kind:     by_value
      - .offset:         32
        .size:           1
        .value_kind:     by_value
      - .address_space:  global
        .offset:         40
        .size:           8
        .value_kind:     global_buffer
      - .address_space:  global
        .offset:         48
        .size:           8
        .value_kind:     global_buffer
      - .address_space:  global
        .offset:         56
        .size:           8
        .value_kind:     global_buffer
      - .address_space:  global
        .offset:         64
        .size:           8
        .value_kind:     global_buffer
      - .address_space:  global
        .offset:         72
        .size:           8
        .value_kind:     global_buffer
      - .offset:         80
        .size:           4
        .value_kind:     by_value
      - .offset:         88
        .size:           4
        .value_kind:     hidden_block_count_x
      - .offset:         92
        .size:           4
        .value_kind:     hidden_block_count_y
      - .offset:         96
        .size:           4
        .value_kind:     hidden_block_count_z
      - .offset:         100
        .size:           2
        .value_kind:     hidden_group_size_x
      - .offset:         102
        .size:           2
        .value_kind:     hidden_group_size_y
      - .offset:         104
        .size:           2
        .value_kind:     hidden_group_size_z
      - .offset:         106
        .size:           2
        .value_kind:     hidden_remainder_x
      - .offset:         108
        .size:           2
        .value_kind:     hidden_remainder_y
      - .offset:         110
        .size:           2
        .value_kind:     hidden_remainder_z
      - .offset:         128
        .size:           8
        .value_kind:     hidden_global_offset_x
      - .offset:         136
        .size:           8
        .value_kind:     hidden_global_offset_y
      - .offset:         144
        .size:           8
        .value_kind:     hidden_global_offset_z
      - .offset:         152
        .size:           2
        .value_kind:     hidden_grid_dims
    .group_segment_fixed_size: 2116
    .kernarg_segment_align: 8
    .kernarg_segment_size: 344
    .language:       OpenCL C
    .language_version:
      - 2
      - 0
    .max_flat_workgroup_size: 256
    .name:           _ZN2at6native6mbtopk29computeBlockwiseWithinKCountsIjN3c108BFloat16EEEvPT_PsPjjibS8_PT0_S8_S6_S8_j
    .private_segment_fixed_size: 0
    .sgpr_count:     29
    .sgpr_spill_count: 0
    .symbol:         _ZN2at6native6mbtopk29computeBlockwiseWithinKCountsIjN3c108BFloat16EEEvPT_PsPjjibS8_PT0_S8_S6_S8_j.kd
    .uniform_work_group_size: 1
    .uses_dynamic_stack: false
    .vgpr_count:     15
    .vgpr_spill_count: 0
    .wavefront_size: 32
    .workgroup_processor_mode: 1
  - .args:
      - .offset:         0
        .size:           216
        .value_kind:     by_value
      - .offset:         216
        .size:           4
        .value_kind:     by_value
      - .offset:         220
        .size:           4
        .value_kind:     by_value
      - .offset:         224
        .size:           1
        .value_kind:     by_value
      - .offset:         228
        .size:           4
        .value_kind:     by_value
      - .offset:         232
        .size:           4
        .value_kind:     by_value
      - .offset:         240
        .size:           216
        .value_kind:     by_value
      - .offset:         456
        .size:           4
        .value_kind:     by_value
      - .offset:         464
        .size:           216
        .value_kind:     by_value
      - .offset:         680
        .size:           4
        .value_kind:     by_value
      - .offset:         684
        .size:           4
        .value_kind:     by_value
      - .offset:         688
        .size:           4
        .value_kind:     by_value
      - .address_space:  global
        .offset:         696
        .size:           8
        .value_kind:     global_buffer
      - .address_space:  global
        .offset:         704
        .size:           8
        .value_kind:     global_buffer
      - .address_space:  global
        .offset:         712
        .size:           8
        .value_kind:     global_buffer
      - .offset:         720
        .size:           4
        .value_kind:     by_value
      - .offset:         728
        .size:           4
        .value_kind:     hidden_block_count_x
      - .offset:         732
        .size:           4
        .value_kind:     hidden_block_count_y
      - .offset:         736
        .size:           4
        .value_kind:     hidden_block_count_z
      - .offset:         740
        .size:           2
        .value_kind:     hidden_group_size_x
      - .offset:         742
        .size:           2
        .value_kind:     hidden_group_size_y
      - .offset:         744
        .size:           2
        .value_kind:     hidden_group_size_z
      - .offset:         746
        .size:           2
        .value_kind:     hidden_remainder_x
      - .offset:         748
        .size:           2
        .value_kind:     hidden_remainder_y
      - .offset:         750
        .size:           2
        .value_kind:     hidden_remainder_z
      - .offset:         768
        .size:           8
        .value_kind:     hidden_global_offset_x
      - .offset:         776
        .size:           8
        .value_kind:     hidden_global_offset_y
      - .offset:         784
        .size:           8
        .value_kind:     hidden_global_offset_z
      - .offset:         792
        .size:           2
        .value_kind:     hidden_grid_dims
    .group_segment_fixed_size: 1068
    .kernarg_segment_align: 8
    .kernarg_segment_size: 984
    .language:       OpenCL C
    .language_version:
      - 2
      - 0
    .max_flat_workgroup_size: 256
    .name:           _ZN2at6native6mbtopk10gatherTopKIN3c108BFloat16EjLi1EEEvNS_4cuda6detail10TensorInfoIKT_T0_EESA_SA_bjSA_NS7_IS8_SA_EESA_NS7_IlSA_EESA_jjPS8_PjSF_j
    .private_segment_fixed_size: 0
    .sgpr_count:     38
    .sgpr_spill_count: 0
    .symbol:         _ZN2at6native6mbtopk10gatherTopKIN3c108BFloat16EjLi1EEEvNS_4cuda6detail10TensorInfoIKT_T0_EESA_SA_bjSA_NS7_IS8_SA_EESA_NS7_IlSA_EESA_jjPS8_PjSF_j.kd
    .uniform_work_group_size: 1
    .uses_dynamic_stack: false
    .vgpr_count:     25
    .vgpr_spill_count: 0
    .wavefront_size: 32
    .workgroup_processor_mode: 1
  - .args:
      - .offset:         0
        .size:           216
        .value_kind:     by_value
      - .offset:         216
        .size:           4
        .value_kind:     by_value
      - .offset:         220
        .size:           4
        .value_kind:     by_value
      - .offset:         224
        .size:           1
        .value_kind:     by_value
      - .offset:         228
        .size:           4
        .value_kind:     by_value
      - .offset:         232
        .size:           4
        .value_kind:     by_value
      - .offset:         240
        .size:           216
        .value_kind:     by_value
      - .offset:         456
        .size:           4
        .value_kind:     by_value
      - .offset:         464
        .size:           216
        .value_kind:     by_value
      - .offset:         680
        .size:           4
        .value_kind:     by_value
      - .address_space:  global
        .offset:         688
        .size:           8
        .value_kind:     global_buffer
      - .offset:         696
        .size:           4
        .value_kind:     hidden_block_count_x
      - .offset:         700
        .size:           4
        .value_kind:     hidden_block_count_y
      - .offset:         704
        .size:           4
        .value_kind:     hidden_block_count_z
      - .offset:         708
        .size:           2
        .value_kind:     hidden_group_size_x
      - .offset:         710
        .size:           2
        .value_kind:     hidden_group_size_y
      - .offset:         712
        .size:           2
        .value_kind:     hidden_group_size_z
      - .offset:         714
        .size:           2
        .value_kind:     hidden_remainder_x
      - .offset:         716
        .size:           2
        .value_kind:     hidden_remainder_y
      - .offset:         718
        .size:           2
        .value_kind:     hidden_remainder_z
      - .offset:         736
        .size:           8
        .value_kind:     hidden_global_offset_x
      - .offset:         744
        .size:           8
        .value_kind:     hidden_global_offset_y
      - .offset:         752
        .size:           8
        .value_kind:     hidden_global_offset_z
      - .offset:         760
        .size:           2
        .value_kind:     hidden_grid_dims
    .group_segment_fixed_size: 4112
    .kernarg_segment_align: 8
    .kernarg_segment_size: 952
    .language:       OpenCL C
    .language_version:
      - 2
      - 0
    .max_flat_workgroup_size: 1024
    .name:           _ZN2at6native6sbtopk10gatherTopKIN3c108BFloat16EjLi1ELb0EEEvNS_4cuda6detail10TensorInfoIKT_T0_EESA_SA_bSA_SA_NS7_IS8_SA_EESA_NS7_IlSA_EESA_PS8_
    .private_segment_fixed_size: 0
    .sgpr_count:     98
    .sgpr_spill_count: 0
    .symbol:         _ZN2at6native6sbtopk10gatherTopKIN3c108BFloat16EjLi1ELb0EEEvNS_4cuda6detail10TensorInfoIKT_T0_EESA_SA_bSA_SA_NS7_IS8_SA_EESA_NS7_IlSA_EESA_PS8_.kd
    .uniform_work_group_size: 1
    .uses_dynamic_stack: false
    .vgpr_count:     62
    .vgpr_spill_count: 0
    .wavefront_size: 32
    .workgroup_processor_mode: 1
  - .args:
      - .offset:         0
        .size:           216
        .value_kind:     by_value
      - .offset:         216
        .size:           4
        .value_kind:     by_value
      - .address_space:  global
        .offset:         224
        .size:           8
        .value_kind:     global_buffer
      - .offset:         232
        .size:           4
        .value_kind:     by_value
      - .offset:         236
        .size:           4
        .value_kind:     by_value
      - .offset:         240
        .size:           4
        .value_kind:     by_value
      - .offset:         244
        .size:           4
        .value_kind:     by_value
      - .offset:         248
        .size:           4
        .value_kind:     by_value
      - .offset:         252
        .size:           4
        .value_kind:     by_value
      - .address_space:  global
        .offset:         256
        .size:           8
        .value_kind:     global_buffer
      - .address_space:  global
        .offset:         264
        .size:           8
        .value_kind:     global_buffer
      - .offset:         272
        .size:           4
        .value_kind:     hidden_block_count_x
      - .offset:         276
        .size:           4
        .value_kind:     hidden_block_count_y
      - .offset:         280
        .size:           4
        .value_kind:     hidden_block_count_z
      - .offset:         284
        .size:           2
        .value_kind:     hidden_group_size_x
      - .offset:         286
        .size:           2
        .value_kind:     hidden_group_size_y
      - .offset:         288
        .size:           2
        .value_kind:     hidden_group_size_z
      - .offset:         290
        .size:           2
        .value_kind:     hidden_remainder_x
      - .offset:         292
        .size:           2
        .value_kind:     hidden_remainder_y
      - .offset:         294
        .size:           2
        .value_kind:     hidden_remainder_z
      - .offset:         312
        .size:           8
        .value_kind:     hidden_global_offset_x
      - .offset:         320
        .size:           8
        .value_kind:     hidden_global_offset_y
      - .offset:         328
        .size:           8
        .value_kind:     hidden_global_offset_z
      - .offset:         336
        .size:           2
        .value_kind:     hidden_grid_dims
    .group_segment_fixed_size: 1024
    .kernarg_segment_align: 8
    .kernarg_segment_size: 528
    .language:       OpenCL C
    .language_version:
      - 2
      - 0
    .max_flat_workgroup_size: 256
    .name:           _ZN2at6native6mbtopk23computeBlockDigitCountsIN3c108BFloat16EjjLi2EEEvNS_4cuda6detail10TensorInfoIKT_T0_EEjPjjSA_iijT1_PSD_Ps
    .private_segment_fixed_size: 0
    .sgpr_count:     25
    .sgpr_spill_count: 0
    .symbol:         _ZN2at6native6mbtopk23computeBlockDigitCountsIN3c108BFloat16EjjLi2EEEvNS_4cuda6detail10TensorInfoIKT_T0_EEjPjjSA_iijT1_PSD_Ps.kd
    .uniform_work_group_size: 1
    .uses_dynamic_stack: false
    .vgpr_count:     13
    .vgpr_spill_count: 0
    .wavefront_size: 32
    .workgroup_processor_mode: 1
  - .args:
      - .offset:         0
        .size:           216
        .value_kind:     by_value
      - .offset:         216
        .size:           4
        .value_kind:     by_value
      - .offset:         220
        .size:           4
        .value_kind:     by_value
      - .offset:         224
        .size:           1
        .value_kind:     by_value
      - .offset:         228
        .size:           4
        .value_kind:     by_value
      - .offset:         232
        .size:           4
        .value_kind:     by_value
      - .offset:         240
        .size:           216
        .value_kind:     by_value
      - .offset:         456
        .size:           4
        .value_kind:     by_value
      - .offset:         464
        .size:           216
        .value_kind:     by_value
      - .offset:         680
        .size:           4
        .value_kind:     by_value
      - .offset:         684
        .size:           4
        .value_kind:     by_value
      - .offset:         688
        .size:           4
        .value_kind:     by_value
      - .address_space:  global
        .offset:         696
        .size:           8
        .value_kind:     global_buffer
      - .address_space:  global
        .offset:         704
        .size:           8
        .value_kind:     global_buffer
      - .address_space:  global
        .offset:         712
        .size:           8
        .value_kind:     global_buffer
      - .offset:         720
        .size:           4
        .value_kind:     by_value
      - .offset:         728
        .size:           4
        .value_kind:     hidden_block_count_x
      - .offset:         732
        .size:           4
        .value_kind:     hidden_block_count_y
      - .offset:         736
        .size:           4
        .value_kind:     hidden_block_count_z
      - .offset:         740
        .size:           2
        .value_kind:     hidden_group_size_x
      - .offset:         742
        .size:           2
        .value_kind:     hidden_group_size_y
      - .offset:         744
        .size:           2
        .value_kind:     hidden_group_size_z
      - .offset:         746
        .size:           2
        .value_kind:     hidden_remainder_x
      - .offset:         748
        .size:           2
        .value_kind:     hidden_remainder_y
      - .offset:         750
        .size:           2
        .value_kind:     hidden_remainder_z
      - .offset:         768
        .size:           8
        .value_kind:     hidden_global_offset_x
      - .offset:         776
        .size:           8
        .value_kind:     hidden_global_offset_y
      - .offset:         784
        .size:           8
        .value_kind:     hidden_global_offset_z
      - .offset:         792
        .size:           2
        .value_kind:     hidden_grid_dims
    .group_segment_fixed_size: 1068
    .kernarg_segment_align: 8
    .kernarg_segment_size: 984
    .language:       OpenCL C
    .language_version:
      - 2
      - 0
    .max_flat_workgroup_size: 256
    .name:           _ZN2at6native6mbtopk10gatherTopKIN3c108BFloat16EjLi2EEEvNS_4cuda6detail10TensorInfoIKT_T0_EESA_SA_bjSA_NS7_IS8_SA_EESA_NS7_IlSA_EESA_jjPS8_PjSF_j
    .private_segment_fixed_size: 0
    .sgpr_count:     50
    .sgpr_spill_count: 0
    .symbol:         _ZN2at6native6mbtopk10gatherTopKIN3c108BFloat16EjLi2EEEvNS_4cuda6detail10TensorInfoIKT_T0_EESA_SA_bjSA_NS7_IS8_SA_EESA_NS7_IlSA_EESA_jjPS8_PjSF_j.kd
    .uniform_work_group_size: 1
    .uses_dynamic_stack: false
    .vgpr_count:     25
    .vgpr_spill_count: 0
    .wavefront_size: 32
    .workgroup_processor_mode: 1
  - .args:
      - .offset:         0
        .size:           216
        .value_kind:     by_value
      - .offset:         216
        .size:           4
        .value_kind:     by_value
      - .offset:         220
        .size:           4
        .value_kind:     by_value
      - .offset:         224
        .size:           1
        .value_kind:     by_value
      - .offset:         228
        .size:           4
        .value_kind:     by_value
      - .offset:         232
        .size:           4
        .value_kind:     by_value
      - .offset:         240
        .size:           216
        .value_kind:     by_value
      - .offset:         456
        .size:           4
        .value_kind:     by_value
      - .offset:         464
        .size:           216
        .value_kind:     by_value
      - .offset:         680
        .size:           4
        .value_kind:     by_value
      - .address_space:  global
        .offset:         688
        .size:           8
        .value_kind:     global_buffer
      - .offset:         696
        .size:           4
        .value_kind:     hidden_block_count_x
      - .offset:         700
        .size:           4
        .value_kind:     hidden_block_count_y
      - .offset:         704
        .size:           4
        .value_kind:     hidden_block_count_z
      - .offset:         708
        .size:           2
        .value_kind:     hidden_group_size_x
      - .offset:         710
        .size:           2
        .value_kind:     hidden_group_size_y
      - .offset:         712
        .size:           2
        .value_kind:     hidden_group_size_z
      - .offset:         714
        .size:           2
        .value_kind:     hidden_remainder_x
      - .offset:         716
        .size:           2
        .value_kind:     hidden_remainder_y
      - .offset:         718
        .size:           2
        .value_kind:     hidden_remainder_z
      - .offset:         736
        .size:           8
        .value_kind:     hidden_global_offset_x
      - .offset:         744
        .size:           8
        .value_kind:     hidden_global_offset_y
      - .offset:         752
        .size:           8
        .value_kind:     hidden_global_offset_z
      - .offset:         760
        .size:           2
        .value_kind:     hidden_grid_dims
    .group_segment_fixed_size: 4112
    .kernarg_segment_align: 8
    .kernarg_segment_size: 952
    .language:       OpenCL C
    .language_version:
      - 2
      - 0
    .max_flat_workgroup_size: 1024
    .name:           _ZN2at6native6sbtopk10gatherTopKIN3c108BFloat16EjLi2ELb0EEEvNS_4cuda6detail10TensorInfoIKT_T0_EESA_SA_bSA_SA_NS7_IS8_SA_EESA_NS7_IlSA_EESA_PS8_
    .private_segment_fixed_size: 0
    .sgpr_count:     107
    .sgpr_spill_count: 0
    .symbol:         _ZN2at6native6sbtopk10gatherTopKIN3c108BFloat16EjLi2ELb0EEEvNS_4cuda6detail10TensorInfoIKT_T0_EESA_SA_bSA_SA_NS7_IS8_SA_EESA_NS7_IlSA_EESA_PS8_.kd
    .uniform_work_group_size: 1
    .uses_dynamic_stack: false
    .vgpr_count:     62
    .vgpr_spill_count: 0
    .wavefront_size: 32
    .workgroup_processor_mode: 1
  - .args:
      - .offset:         0
        .size:           216
        .value_kind:     by_value
      - .offset:         216
        .size:           4
        .value_kind:     by_value
      - .address_space:  global
        .offset:         224
        .size:           8
        .value_kind:     global_buffer
      - .offset:         232
        .size:           4
        .value_kind:     by_value
      - .offset:         236
        .size:           4
        .value_kind:     by_value
      - .offset:         240
        .size:           4
        .value_kind:     by_value
      - .offset:         244
        .size:           4
        .value_kind:     by_value
      - .offset:         248
        .size:           4
        .value_kind:     by_value
      - .offset:         252
        .size:           4
        .value_kind:     by_value
      - .address_space:  global
        .offset:         256
        .size:           8
        .value_kind:     global_buffer
      - .address_space:  global
        .offset:         264
        .size:           8
        .value_kind:     global_buffer
      - .offset:         272
        .size:           4
        .value_kind:     hidden_block_count_x
      - .offset:         276
        .size:           4
        .value_kind:     hidden_block_count_y
      - .offset:         280
        .size:           4
        .value_kind:     hidden_block_count_z
      - .offset:         284
        .size:           2
        .value_kind:     hidden_group_size_x
      - .offset:         286
        .size:           2
        .value_kind:     hidden_group_size_y
      - .offset:         288
        .size:           2
        .value_kind:     hidden_group_size_z
      - .offset:         290
        .size:           2
        .value_kind:     hidden_remainder_x
      - .offset:         292
        .size:           2
        .value_kind:     hidden_remainder_y
      - .offset:         294
        .size:           2
        .value_kind:     hidden_remainder_z
      - .offset:         312
        .size:           8
        .value_kind:     hidden_global_offset_x
      - .offset:         320
        .size:           8
        .value_kind:     hidden_global_offset_y
      - .offset:         328
        .size:           8
        .value_kind:     hidden_global_offset_z
      - .offset:         336
        .size:           2
        .value_kind:     hidden_grid_dims
    .group_segment_fixed_size: 1024
    .kernarg_segment_align: 8
    .kernarg_segment_size: 528
    .language:       OpenCL C
    .language_version:
      - 2
      - 0
    .max_flat_workgroup_size: 256
    .name:           _ZN2at6native6mbtopk23computeBlockDigitCountsIN3c108BFloat16EjjLi3EEEvNS_4cuda6detail10TensorInfoIKT_T0_EEjPjjSA_iijT1_PSD_Ps
    .private_segment_fixed_size: 0
    .sgpr_count:     28
    .sgpr_spill_count: 0
    .symbol:         _ZN2at6native6mbtopk23computeBlockDigitCountsIN3c108BFloat16EjjLi3EEEvNS_4cuda6detail10TensorInfoIKT_T0_EEjPjjSA_iijT1_PSD_Ps.kd
    .uniform_work_group_size: 1
    .uses_dynamic_stack: false
    .vgpr_count:     13
    .vgpr_spill_count: 0
    .wavefront_size: 32
    .workgroup_processor_mode: 1
  - .args:
      - .offset:         0
        .size:           216
        .value_kind:     by_value
      - .offset:         216
        .size:           4
        .value_kind:     by_value
      - .offset:         220
        .size:           4
        .value_kind:     by_value
      - .offset:         224
        .size:           1
        .value_kind:     by_value
      - .offset:         228
        .size:           4
        .value_kind:     by_value
      - .offset:         232
        .size:           4
        .value_kind:     by_value
      - .offset:         240
        .size:           216
        .value_kind:     by_value
      - .offset:         456
        .size:           4
        .value_kind:     by_value
      - .offset:         464
        .size:           216
        .value_kind:     by_value
      - .offset:         680
        .size:           4
        .value_kind:     by_value
      - .offset:         684
        .size:           4
        .value_kind:     by_value
      - .offset:         688
        .size:           4
        .value_kind:     by_value
      - .address_space:  global
        .offset:         696
        .size:           8
        .value_kind:     global_buffer
      - .address_space:  global
        .offset:         704
        .size:           8
        .value_kind:     global_buffer
      - .address_space:  global
        .offset:         712
        .size:           8
        .value_kind:     global_buffer
      - .offset:         720
        .size:           4
        .value_kind:     by_value
      - .offset:         728
        .size:           4
        .value_kind:     hidden_block_count_x
      - .offset:         732
        .size:           4
        .value_kind:     hidden_block_count_y
      - .offset:         736
        .size:           4
        .value_kind:     hidden_block_count_z
      - .offset:         740
        .size:           2
        .value_kind:     hidden_group_size_x
      - .offset:         742
        .size:           2
        .value_kind:     hidden_group_size_y
      - .offset:         744
        .size:           2
        .value_kind:     hidden_group_size_z
      - .offset:         746
        .size:           2
        .value_kind:     hidden_remainder_x
      - .offset:         748
        .size:           2
        .value_kind:     hidden_remainder_y
      - .offset:         750
        .size:           2
        .value_kind:     hidden_remainder_z
      - .offset:         768
        .size:           8
        .value_kind:     hidden_global_offset_x
      - .offset:         776
        .size:           8
        .value_kind:     hidden_global_offset_y
      - .offset:         784
        .size:           8
        .value_kind:     hidden_global_offset_z
      - .offset:         792
        .size:           2
        .value_kind:     hidden_grid_dims
    .group_segment_fixed_size: 1068
    .kernarg_segment_align: 8
    .kernarg_segment_size: 984
    .language:       OpenCL C
    .language_version:
      - 2
      - 0
    .max_flat_workgroup_size: 256
    .name:           _ZN2at6native6mbtopk10gatherTopKIN3c108BFloat16EjLi3EEEvNS_4cuda6detail10TensorInfoIKT_T0_EESA_SA_bjSA_NS7_IS8_SA_EESA_NS7_IlSA_EESA_jjPS8_PjSF_j
    .private_segment_fixed_size: 0
    .sgpr_count:     59
    .sgpr_spill_count: 0
    .symbol:         _ZN2at6native6mbtopk10gatherTopKIN3c108BFloat16EjLi3EEEvNS_4cuda6detail10TensorInfoIKT_T0_EESA_SA_bjSA_NS7_IS8_SA_EESA_NS7_IlSA_EESA_jjPS8_PjSF_j.kd
    .uniform_work_group_size: 1
    .uses_dynamic_stack: false
    .vgpr_count:     25
    .vgpr_spill_count: 0
    .wavefront_size: 32
    .workgroup_processor_mode: 1
  - .args:
      - .offset:         0
        .size:           216
        .value_kind:     by_value
      - .offset:         216
        .size:           4
        .value_kind:     by_value
      - .offset:         220
        .size:           4
        .value_kind:     by_value
      - .offset:         224
        .size:           1
        .value_kind:     by_value
      - .offset:         228
        .size:           4
        .value_kind:     by_value
      - .offset:         232
        .size:           4
        .value_kind:     by_value
      - .offset:         240
        .size:           216
        .value_kind:     by_value
      - .offset:         456
        .size:           4
        .value_kind:     by_value
      - .offset:         464
        .size:           216
        .value_kind:     by_value
      - .offset:         680
        .size:           4
        .value_kind:     by_value
      - .address_space:  global
        .offset:         688
        .size:           8
        .value_kind:     global_buffer
      - .offset:         696
        .size:           4
        .value_kind:     hidden_block_count_x
      - .offset:         700
        .size:           4
        .value_kind:     hidden_block_count_y
      - .offset:         704
        .size:           4
        .value_kind:     hidden_block_count_z
      - .offset:         708
        .size:           2
        .value_kind:     hidden_group_size_x
      - .offset:         710
        .size:           2
        .value_kind:     hidden_group_size_y
      - .offset:         712
        .size:           2
        .value_kind:     hidden_group_size_z
      - .offset:         714
        .size:           2
        .value_kind:     hidden_remainder_x
      - .offset:         716
        .size:           2
        .value_kind:     hidden_remainder_y
      - .offset:         718
        .size:           2
        .value_kind:     hidden_remainder_z
      - .offset:         736
        .size:           8
        .value_kind:     hidden_global_offset_x
      - .offset:         744
        .size:           8
        .value_kind:     hidden_global_offset_y
      - .offset:         752
        .size:           8
        .value_kind:     hidden_global_offset_z
      - .offset:         760
        .size:           2
        .value_kind:     hidden_grid_dims
    .group_segment_fixed_size: 4112
    .kernarg_segment_align: 8
    .kernarg_segment_size: 952
    .language:       OpenCL C
    .language_version:
      - 2
      - 0
    .max_flat_workgroup_size: 1024
    .name:           _ZN2at6native6sbtopk10gatherTopKIN3c108BFloat16EjLi3ELb0EEEvNS_4cuda6detail10TensorInfoIKT_T0_EESA_SA_bSA_SA_NS7_IS8_SA_EESA_NS7_IlSA_EESA_PS8_
    .private_segment_fixed_size: 0
    .sgpr_count:     107
    .sgpr_spill_count: 6
    .symbol:         _ZN2at6native6sbtopk10gatherTopKIN3c108BFloat16EjLi3ELb0EEEvNS_4cuda6detail10TensorInfoIKT_T0_EESA_SA_bSA_SA_NS7_IS8_SA_EESA_NS7_IlSA_EESA_PS8_.kd
    .uniform_work_group_size: 1
    .uses_dynamic_stack: false
    .vgpr_count:     63
    .vgpr_spill_count: 0
    .wavefront_size: 32
    .workgroup_processor_mode: 1
  - .args:
      - .offset:         0
        .size:           216
        .value_kind:     by_value
      - .offset:         216
        .size:           4
        .value_kind:     by_value
      - .address_space:  global
        .offset:         224
        .size:           8
        .value_kind:     global_buffer
      - .offset:         232
        .size:           4
        .value_kind:     by_value
      - .offset:         236
        .size:           4
        .value_kind:     by_value
      - .offset:         240
        .size:           4
        .value_kind:     by_value
      - .offset:         244
        .size:           4
        .value_kind:     by_value
      - .offset:         248
        .size:           4
        .value_kind:     by_value
      - .offset:         252
        .size:           4
        .value_kind:     by_value
      - .address_space:  global
        .offset:         256
        .size:           8
        .value_kind:     global_buffer
      - .address_space:  global
        .offset:         264
        .size:           8
        .value_kind:     global_buffer
      - .offset:         272
        .size:           4
        .value_kind:     hidden_block_count_x
      - .offset:         276
        .size:           4
        .value_kind:     hidden_block_count_y
      - .offset:         280
        .size:           4
        .value_kind:     hidden_block_count_z
      - .offset:         284
        .size:           2
        .value_kind:     hidden_group_size_x
      - .offset:         286
        .size:           2
        .value_kind:     hidden_group_size_y
      - .offset:         288
        .size:           2
        .value_kind:     hidden_group_size_z
      - .offset:         290
        .size:           2
        .value_kind:     hidden_remainder_x
      - .offset:         292
        .size:           2
        .value_kind:     hidden_remainder_y
      - .offset:         294
        .size:           2
        .value_kind:     hidden_remainder_z
      - .offset:         312
        .size:           8
        .value_kind:     hidden_global_offset_x
      - .offset:         320
        .size:           8
        .value_kind:     hidden_global_offset_y
      - .offset:         328
        .size:           8
        .value_kind:     hidden_global_offset_z
      - .offset:         336
        .size:           2
        .value_kind:     hidden_grid_dims
    .group_segment_fixed_size: 1024
    .kernarg_segment_align: 8
    .kernarg_segment_size: 528
    .language:       OpenCL C
    .language_version:
      - 2
      - 0
    .max_flat_workgroup_size: 256
    .name:           _ZN2at6native6mbtopk23computeBlockDigitCountsIN3c108BFloat16EjjLin1EEEvNS_4cuda6detail10TensorInfoIKT_T0_EEjPjjSA_iijT1_PSD_Ps
    .private_segment_fixed_size: 0
    .sgpr_count:     26
    .sgpr_spill_count: 0
    .symbol:         _ZN2at6native6mbtopk23computeBlockDigitCountsIN3c108BFloat16EjjLin1EEEvNS_4cuda6detail10TensorInfoIKT_T0_EEjPjjSA_iijT1_PSD_Ps.kd
    .uniform_work_group_size: 1
    .uses_dynamic_stack: false
    .vgpr_count:     13
    .vgpr_spill_count: 0
    .wavefront_size: 32
    .workgroup_processor_mode: 1
  - .args:
      - .offset:         0
        .size:           216
        .value_kind:     by_value
      - .offset:         216
        .size:           4
        .value_kind:     by_value
      - .offset:         220
        .size:           4
        .value_kind:     by_value
      - .offset:         224
        .size:           1
        .value_kind:     by_value
      - .offset:         228
        .size:           4
        .value_kind:     by_value
      - .offset:         232
        .size:           4
        .value_kind:     by_value
      - .offset:         240
        .size:           216
        .value_kind:     by_value
      - .offset:         456
        .size:           4
        .value_kind:     by_value
      - .offset:         464
        .size:           216
        .value_kind:     by_value
      - .offset:         680
        .size:           4
        .value_kind:     by_value
      - .offset:         684
        .size:           4
        .value_kind:     by_value
      - .offset:         688
        .size:           4
        .value_kind:     by_value
      - .address_space:  global
        .offset:         696
        .size:           8
        .value_kind:     global_buffer
      - .address_space:  global
        .offset:         704
        .size:           8
        .value_kind:     global_buffer
      - .address_space:  global
        .offset:         712
        .size:           8
        .value_kind:     global_buffer
      - .offset:         720
        .size:           4
        .value_kind:     by_value
      - .offset:         728
        .size:           4
        .value_kind:     hidden_block_count_x
      - .offset:         732
        .size:           4
        .value_kind:     hidden_block_count_y
      - .offset:         736
        .size:           4
        .value_kind:     hidden_block_count_z
      - .offset:         740
        .size:           2
        .value_kind:     hidden_group_size_x
      - .offset:         742
        .size:           2
        .value_kind:     hidden_group_size_y
      - .offset:         744
        .size:           2
        .value_kind:     hidden_group_size_z
      - .offset:         746
        .size:           2
        .value_kind:     hidden_remainder_x
      - .offset:         748
        .size:           2
        .value_kind:     hidden_remainder_y
      - .offset:         750
        .size:           2
        .value_kind:     hidden_remainder_z
      - .offset:         768
        .size:           8
        .value_kind:     hidden_global_offset_x
      - .offset:         776
        .size:           8
        .value_kind:     hidden_global_offset_y
      - .offset:         784
        .size:           8
        .value_kind:     hidden_global_offset_z
      - .offset:         792
        .size:           2
        .value_kind:     hidden_grid_dims
    .group_segment_fixed_size: 1068
    .kernarg_segment_align: 8
    .kernarg_segment_size: 984
    .language:       OpenCL C
    .language_version:
      - 2
      - 0
    .max_flat_workgroup_size: 256
    .name:           _ZN2at6native6mbtopk10gatherTopKIN3c108BFloat16EjLin1EEEvNS_4cuda6detail10TensorInfoIKT_T0_EESA_SA_bjSA_NS7_IS8_SA_EESA_NS7_IlSA_EESA_jjPS8_PjSF_j
    .private_segment_fixed_size: 0
    .sgpr_count:     45
    .sgpr_spill_count: 0
    .symbol:         _ZN2at6native6mbtopk10gatherTopKIN3c108BFloat16EjLin1EEEvNS_4cuda6detail10TensorInfoIKT_T0_EESA_SA_bjSA_NS7_IS8_SA_EESA_NS7_IlSA_EESA_jjPS8_PjSF_j.kd
    .uniform_work_group_size: 1
    .uses_dynamic_stack: false
    .vgpr_count:     25
    .vgpr_spill_count: 0
    .wavefront_size: 32
    .workgroup_processor_mode: 1
  - .args:
      - .offset:         0
        .size:           216
        .value_kind:     by_value
      - .offset:         216
        .size:           4
        .value_kind:     by_value
      - .offset:         220
        .size:           4
        .value_kind:     by_value
      - .offset:         224
        .size:           1
        .value_kind:     by_value
      - .offset:         228
        .size:           4
        .value_kind:     by_value
      - .offset:         232
        .size:           4
        .value_kind:     by_value
      - .offset:         240
        .size:           216
        .value_kind:     by_value
      - .offset:         456
        .size:           4
        .value_kind:     by_value
      - .offset:         464
        .size:           216
        .value_kind:     by_value
      - .offset:         680
        .size:           4
        .value_kind:     by_value
      - .address_space:  global
        .offset:         688
        .size:           8
        .value_kind:     global_buffer
      - .offset:         696
        .size:           4
        .value_kind:     hidden_block_count_x
      - .offset:         700
        .size:           4
        .value_kind:     hidden_block_count_y
      - .offset:         704
        .size:           4
        .value_kind:     hidden_block_count_z
      - .offset:         708
        .size:           2
        .value_kind:     hidden_group_size_x
      - .offset:         710
        .size:           2
        .value_kind:     hidden_group_size_y
      - .offset:         712
        .size:           2
        .value_kind:     hidden_group_size_z
      - .offset:         714
        .size:           2
        .value_kind:     hidden_remainder_x
      - .offset:         716
        .size:           2
        .value_kind:     hidden_remainder_y
      - .offset:         718
        .size:           2
        .value_kind:     hidden_remainder_z
      - .offset:         736
        .size:           8
        .value_kind:     hidden_global_offset_x
      - .offset:         744
        .size:           8
        .value_kind:     hidden_global_offset_y
      - .offset:         752
        .size:           8
        .value_kind:     hidden_global_offset_z
      - .offset:         760
        .size:           2
        .value_kind:     hidden_grid_dims
    .group_segment_fixed_size: 4112
    .kernarg_segment_align: 8
    .kernarg_segment_size: 952
    .language:       OpenCL C
    .language_version:
      - 2
      - 0
    .max_flat_workgroup_size: 1024
    .name:           _ZN2at6native6sbtopk10gatherTopKIN3c108BFloat16EjLin1ELb0EEEvNS_4cuda6detail10TensorInfoIKT_T0_EESA_SA_bSA_SA_NS7_IS8_SA_EESA_NS7_IlSA_EESA_PS8_
    .private_segment_fixed_size: 0
    .sgpr_count:     101
    .sgpr_spill_count: 0
    .symbol:         _ZN2at6native6sbtopk10gatherTopKIN3c108BFloat16EjLin1ELb0EEEvNS_4cuda6detail10TensorInfoIKT_T0_EESA_SA_bSA_SA_NS7_IS8_SA_EESA_NS7_IlSA_EESA_PS8_.kd
    .uniform_work_group_size: 1
    .uses_dynamic_stack: false
    .vgpr_count:     62
    .vgpr_spill_count: 0
    .wavefront_size: 32
    .workgroup_processor_mode: 1
  - .args:
      - .offset:         0
        .size:           416
        .value_kind:     by_value
      - .offset:         416
        .size:           4
        .value_kind:     by_value
      - .address_space:  global
        .offset:         424
        .size:           8
        .value_kind:     global_buffer
      - .offset:         432
        .size:           4
        .value_kind:     by_value
      - .offset:         440
        .size:           8
        .value_kind:     by_value
      - .offset:         448
        .size:           4
        .value_kind:     by_value
      - .offset:         452
        .size:           4
        .value_kind:     by_value
      - .offset:         456
        .size:           4
        .value_kind:     by_value
      - .offset:         460
        .size:           4
        .value_kind:     by_value
      - .address_space:  global
        .offset:         464
        .size:           8
        .value_kind:     global_buffer
      - .address_space:  global
        .offset:         472
        .size:           8
        .value_kind:     global_buffer
      - .offset:         480
        .size:           4
        .value_kind:     hidden_block_count_x
      - .offset:         484
        .size:           4
        .value_kind:     hidden_block_count_y
      - .offset:         488
        .size:           4
        .value_kind:     hidden_block_count_z
      - .offset:         492
        .size:           2
        .value_kind:     hidden_group_size_x
      - .offset:         494
        .size:           2
        .value_kind:     hidden_group_size_y
      - .offset:         496
        .size:           2
        .value_kind:     hidden_group_size_z
      - .offset:         498
        .size:           2
        .value_kind:     hidden_remainder_x
      - .offset:         500
        .size:           2
        .value_kind:     hidden_remainder_y
      - .offset:         502
        .size:           2
        .value_kind:     hidden_remainder_z
      - .offset:         520
        .size:           8
        .value_kind:     hidden_global_offset_x
      - .offset:         528
        .size:           8
        .value_kind:     hidden_global_offset_y
      - .offset:         536
        .size:           8
        .value_kind:     hidden_global_offset_z
      - .offset:         544
        .size:           2
        .value_kind:     hidden_grid_dims
    .group_segment_fixed_size: 1024
    .kernarg_segment_align: 8
    .kernarg_segment_size: 736
    .language:       OpenCL C
    .language_version:
      - 2
      - 0
    .max_flat_workgroup_size: 256
    .name:           _ZN2at6native6mbtopk23computeBlockDigitCountsIhmjLi1EEEvNS_4cuda6detail10TensorInfoIKT_T0_EEjPjjS8_iijT1_PSB_Ps
    .private_segment_fixed_size: 0
    .sgpr_count:     22
    .sgpr_spill_count: 0
    .symbol:         _ZN2at6native6mbtopk23computeBlockDigitCountsIhmjLi1EEEvNS_4cuda6detail10TensorInfoIKT_T0_EEjPjjS8_iijT1_PSB_Ps.kd
    .uniform_work_group_size: 1
    .uses_dynamic_stack: false
    .vgpr_count:     8
    .vgpr_spill_count: 0
    .wavefront_size: 32
    .workgroup_processor_mode: 1
  - .args:
      - .offset:         0
        .size:           416
        .value_kind:     by_value
      - .offset:         416
        .size:           8
        .value_kind:     by_value
      - .offset:         424
        .size:           8
        .value_kind:     by_value
      - .offset:         432
        .size:           1
        .value_kind:     by_value
      - .offset:         436
        .size:           4
        .value_kind:     by_value
      - .offset:         440
        .size:           8
        .value_kind:     by_value
      - .offset:         448
        .size:           416
        .value_kind:     by_value
      - .offset:         864
        .size:           8
        .value_kind:     by_value
      - .offset:         872
        .size:           416
        .value_kind:     by_value
      - .offset:         1288
        .size:           8
        .value_kind:     by_value
      - .offset:         1296
        .size:           4
        .value_kind:     by_value
      - .offset:         1300
        .size:           4
        .value_kind:     by_value
      - .address_space:  global
        .offset:         1304
        .size:           8
        .value_kind:     global_buffer
      - .address_space:  global
        .offset:         1312
        .size:           8
        .value_kind:     global_buffer
      - .address_space:  global
        .offset:         1320
        .size:           8
        .value_kind:     global_buffer
      - .offset:         1328
        .size:           4
        .value_kind:     by_value
      - .offset:         1336
        .size:           4
        .value_kind:     hidden_block_count_x
      - .offset:         1340
        .size:           4
        .value_kind:     hidden_block_count_y
      - .offset:         1344
        .size:           4
        .value_kind:     hidden_block_count_z
      - .offset:         1348
        .size:           2
        .value_kind:     hidden_group_size_x
      - .offset:         1350
        .size:           2
        .value_kind:     hidden_group_size_y
      - .offset:         1352
        .size:           2
        .value_kind:     hidden_group_size_z
      - .offset:         1354
        .size:           2
        .value_kind:     hidden_remainder_x
      - .offset:         1356
        .size:           2
        .value_kind:     hidden_remainder_y
      - .offset:         1358
        .size:           2
        .value_kind:     hidden_remainder_z
      - .offset:         1376
        .size:           8
        .value_kind:     hidden_global_offset_x
      - .offset:         1384
        .size:           8
        .value_kind:     hidden_global_offset_y
      - .offset:         1392
        .size:           8
        .value_kind:     hidden_global_offset_z
      - .offset:         1400
        .size:           2
        .value_kind:     hidden_grid_dims
    .group_segment_fixed_size: 1068
    .kernarg_segment_align: 8
    .kernarg_segment_size: 1592
    .language:       OpenCL C
    .language_version:
      - 2
      - 0
    .max_flat_workgroup_size: 256
    .name:           _ZN2at6native6mbtopk10gatherTopKIhmLi1EEEvNS_4cuda6detail10TensorInfoIKT_T0_EES8_S8_bjS8_NS5_IS6_S8_EES8_NS5_IlS8_EES8_jjPS6_PjSD_j
    .private_segment_fixed_size: 0
    .sgpr_count:     43
    .sgpr_spill_count: 0
    .symbol:         _ZN2at6native6mbtopk10gatherTopKIhmLi1EEEvNS_4cuda6detail10TensorInfoIKT_T0_EES8_S8_bjS8_NS5_IS6_S8_EES8_NS5_IlS8_EES8_jjPS6_PjSD_j.kd
    .uniform_work_group_size: 1
    .uses_dynamic_stack: false
    .vgpr_count:     25
    .vgpr_spill_count: 0
    .wavefront_size: 32
    .workgroup_processor_mode: 1
  - .args:
      - .offset:         0
        .size:           416
        .value_kind:     by_value
      - .offset:         416
        .size:           8
        .value_kind:     by_value
      - .offset:         424
        .size:           8
        .value_kind:     by_value
      - .offset:         432
        .size:           1
        .value_kind:     by_value
      - .offset:         440
        .size:           8
        .value_kind:     by_value
      - .offset:         448
        .size:           8
        .value_kind:     by_value
      - .offset:         456
        .size:           416
        .value_kind:     by_value
      - .offset:         872
        .size:           8
        .value_kind:     by_value
      - .offset:         880
        .size:           416
        .value_kind:     by_value
      - .offset:         1296
        .size:           8
        .value_kind:     by_value
      - .address_space:  global
        .offset:         1304
        .size:           8
        .value_kind:     global_buffer
      - .offset:         1312
        .size:           4
        .value_kind:     hidden_block_count_x
      - .offset:         1316
        .size:           4
        .value_kind:     hidden_block_count_y
      - .offset:         1320
        .size:           4
        .value_kind:     hidden_block_count_z
      - .offset:         1324
        .size:           2
        .value_kind:     hidden_group_size_x
      - .offset:         1326
        .size:           2
        .value_kind:     hidden_group_size_y
      - .offset:         1328
        .size:           2
        .value_kind:     hidden_group_size_z
      - .offset:         1330
        .size:           2
        .value_kind:     hidden_remainder_x
      - .offset:         1332
        .size:           2
        .value_kind:     hidden_remainder_y
      - .offset:         1334
        .size:           2
        .value_kind:     hidden_remainder_z
      - .offset:         1352
        .size:           8
        .value_kind:     hidden_global_offset_x
      - .offset:         1360
        .size:           8
        .value_kind:     hidden_global_offset_y
      - .offset:         1368
        .size:           8
        .value_kind:     hidden_global_offset_z
      - .offset:         1376
        .size:           2
        .value_kind:     hidden_grid_dims
    .group_segment_fixed_size: 5152
    .kernarg_segment_align: 8
    .kernarg_segment_size: 1568
    .language:       OpenCL C
    .language_version:
      - 2
      - 0
    .max_flat_workgroup_size: 1024
    .name:           _ZN2at6native6sbtopk10gatherTopKIhmLi1ELb0EEEvNS_4cuda6detail10TensorInfoIKT_T0_EES8_S8_bS8_S8_NS5_IS6_S8_EES8_NS5_IlS8_EES8_PS6_
    .private_segment_fixed_size: 0
    .sgpr_count:     107
    .sgpr_spill_count: 8
    .symbol:         _ZN2at6native6sbtopk10gatherTopKIhmLi1ELb0EEEvNS_4cuda6detail10TensorInfoIKT_T0_EES8_S8_bS8_S8_NS5_IS6_S8_EES8_NS5_IlS8_EES8_PS6_.kd
    .uniform_work_group_size: 1
    .uses_dynamic_stack: false
    .vgpr_count:     58
    .vgpr_spill_count: 0
    .wavefront_size: 32
    .workgroup_processor_mode: 1
  - .args:
      - .offset:         0
        .size:           416
        .value_kind:     by_value
      - .offset:         416
        .size:           4
        .value_kind:     by_value
      - .address_space:  global
        .offset:         424
        .size:           8
        .value_kind:     global_buffer
      - .offset:         432
        .size:           4
        .value_kind:     by_value
      - .offset:         440
        .size:           8
        .value_kind:     by_value
      - .offset:         448
        .size:           4
        .value_kind:     by_value
      - .offset:         452
        .size:           4
        .value_kind:     by_value
      - .offset:         456
        .size:           4
        .value_kind:     by_value
      - .offset:         460
        .size:           4
        .value_kind:     by_value
      - .address_space:  global
        .offset:         464
        .size:           8
        .value_kind:     global_buffer
      - .address_space:  global
        .offset:         472
        .size:           8
        .value_kind:     global_buffer
      - .offset:         480
        .size:           4
        .value_kind:     hidden_block_count_x
      - .offset:         484
        .size:           4
        .value_kind:     hidden_block_count_y
      - .offset:         488
        .size:           4
        .value_kind:     hidden_block_count_z
      - .offset:         492
        .size:           2
        .value_kind:     hidden_group_size_x
      - .offset:         494
        .size:           2
        .value_kind:     hidden_group_size_y
      - .offset:         496
        .size:           2
        .value_kind:     hidden_group_size_z
      - .offset:         498
        .size:           2
        .value_kind:     hidden_remainder_x
      - .offset:         500
        .size:           2
        .value_kind:     hidden_remainder_y
      - .offset:         502
        .size:           2
        .value_kind:     hidden_remainder_z
      - .offset:         520
        .size:           8
        .value_kind:     hidden_global_offset_x
      - .offset:         528
        .size:           8
        .value_kind:     hidden_global_offset_y
      - .offset:         536
        .size:           8
        .value_kind:     hidden_global_offset_z
      - .offset:         544
        .size:           2
        .value_kind:     hidden_grid_dims
    .group_segment_fixed_size: 1024
    .kernarg_segment_align: 8
    .kernarg_segment_size: 736
    .language:       OpenCL C
    .language_version:
      - 2
      - 0
    .max_flat_workgroup_size: 256
    .name:           _ZN2at6native6mbtopk23computeBlockDigitCountsIhmjLi2EEEvNS_4cuda6detail10TensorInfoIKT_T0_EEjPjjS8_iijT1_PSB_Ps
    .private_segment_fixed_size: 0
    .sgpr_count:     28
    .sgpr_spill_count: 0
    .symbol:         _ZN2at6native6mbtopk23computeBlockDigitCountsIhmjLi2EEEvNS_4cuda6detail10TensorInfoIKT_T0_EEjPjjS8_iijT1_PSB_Ps.kd
    .uniform_work_group_size: 1
    .uses_dynamic_stack: false
    .vgpr_count:     8
    .vgpr_spill_count: 0
    .wavefront_size: 32
    .workgroup_processor_mode: 1
  - .args:
      - .offset:         0
        .size:           416
        .value_kind:     by_value
      - .offset:         416
        .size:           8
        .value_kind:     by_value
      - .offset:         424
        .size:           8
        .value_kind:     by_value
      - .offset:         432
        .size:           1
        .value_kind:     by_value
      - .offset:         436
        .size:           4
        .value_kind:     by_value
      - .offset:         440
        .size:           8
        .value_kind:     by_value
      - .offset:         448
        .size:           416
        .value_kind:     by_value
      - .offset:         864
        .size:           8
        .value_kind:     by_value
      - .offset:         872
        .size:           416
        .value_kind:     by_value
      - .offset:         1288
        .size:           8
        .value_kind:     by_value
      - .offset:         1296
        .size:           4
        .value_kind:     by_value
      - .offset:         1300
        .size:           4
        .value_kind:     by_value
      - .address_space:  global
        .offset:         1304
        .size:           8
        .value_kind:     global_buffer
      - .address_space:  global
        .offset:         1312
        .size:           8
        .value_kind:     global_buffer
      - .address_space:  global
        .offset:         1320
        .size:           8
        .value_kind:     global_buffer
      - .offset:         1328
        .size:           4
        .value_kind:     by_value
      - .offset:         1336
        .size:           4
        .value_kind:     hidden_block_count_x
      - .offset:         1340
        .size:           4
        .value_kind:     hidden_block_count_y
      - .offset:         1344
        .size:           4
        .value_kind:     hidden_block_count_z
      - .offset:         1348
        .size:           2
        .value_kind:     hidden_group_size_x
      - .offset:         1350
        .size:           2
        .value_kind:     hidden_group_size_y
      - .offset:         1352
        .size:           2
        .value_kind:     hidden_group_size_z
      - .offset:         1354
        .size:           2
        .value_kind:     hidden_remainder_x
      - .offset:         1356
        .size:           2
        .value_kind:     hidden_remainder_y
      - .offset:         1358
        .size:           2
        .value_kind:     hidden_remainder_z
      - .offset:         1376
        .size:           8
        .value_kind:     hidden_global_offset_x
      - .offset:         1384
        .size:           8
        .value_kind:     hidden_global_offset_y
      - .offset:         1392
        .size:           8
        .value_kind:     hidden_global_offset_z
      - .offset:         1400
        .size:           2
        .value_kind:     hidden_grid_dims
    .group_segment_fixed_size: 1068
    .kernarg_segment_align: 8
    .kernarg_segment_size: 1592
    .language:       OpenCL C
    .language_version:
      - 2
      - 0
    .max_flat_workgroup_size: 256
    .name:           _ZN2at6native6mbtopk10gatherTopKIhmLi2EEEvNS_4cuda6detail10TensorInfoIKT_T0_EES8_S8_bjS8_NS5_IS6_S8_EES8_NS5_IlS8_EES8_jjPS6_PjSD_j
    .private_segment_fixed_size: 0
    .sgpr_count:     53
    .sgpr_spill_count: 0
    .symbol:         _ZN2at6native6mbtopk10gatherTopKIhmLi2EEEvNS_4cuda6detail10TensorInfoIKT_T0_EES8_S8_bjS8_NS5_IS6_S8_EES8_NS5_IlS8_EES8_jjPS6_PjSD_j.kd
    .uniform_work_group_size: 1
    .uses_dynamic_stack: false
    .vgpr_count:     25
    .vgpr_spill_count: 0
    .wavefront_size: 32
    .workgroup_processor_mode: 1
  - .args:
      - .offset:         0
        .size:           416
        .value_kind:     by_value
      - .offset:         416
        .size:           8
        .value_kind:     by_value
      - .offset:         424
        .size:           8
        .value_kind:     by_value
      - .offset:         432
        .size:           1
        .value_kind:     by_value
      - .offset:         440
        .size:           8
        .value_kind:     by_value
      - .offset:         448
        .size:           8
        .value_kind:     by_value
      - .offset:         456
        .size:           416
        .value_kind:     by_value
      - .offset:         872
        .size:           8
        .value_kind:     by_value
      - .offset:         880
        .size:           416
        .value_kind:     by_value
      - .offset:         1296
        .size:           8
        .value_kind:     by_value
      - .address_space:  global
        .offset:         1304
        .size:           8
        .value_kind:     global_buffer
      - .offset:         1312
        .size:           4
        .value_kind:     hidden_block_count_x
      - .offset:         1316
        .size:           4
        .value_kind:     hidden_block_count_y
      - .offset:         1320
        .size:           4
        .value_kind:     hidden_block_count_z
      - .offset:         1324
        .size:           2
        .value_kind:     hidden_group_size_x
      - .offset:         1326
        .size:           2
        .value_kind:     hidden_group_size_y
      - .offset:         1328
        .size:           2
        .value_kind:     hidden_group_size_z
      - .offset:         1330
        .size:           2
        .value_kind:     hidden_remainder_x
      - .offset:         1332
        .size:           2
        .value_kind:     hidden_remainder_y
      - .offset:         1334
        .size:           2
        .value_kind:     hidden_remainder_z
      - .offset:         1352
        .size:           8
        .value_kind:     hidden_global_offset_x
      - .offset:         1360
        .size:           8
        .value_kind:     hidden_global_offset_y
      - .offset:         1368
        .size:           8
        .value_kind:     hidden_global_offset_z
      - .offset:         1376
        .size:           2
        .value_kind:     hidden_grid_dims
    .group_segment_fixed_size: 5152
    .kernarg_segment_align: 8
    .kernarg_segment_size: 1568
    .language:       OpenCL C
    .language_version:
      - 2
      - 0
    .max_flat_workgroup_size: 1024
    .name:           _ZN2at6native6sbtopk10gatherTopKIhmLi2ELb0EEEvNS_4cuda6detail10TensorInfoIKT_T0_EES8_S8_bS8_S8_NS5_IS6_S8_EES8_NS5_IlS8_EES8_PS6_
    .private_segment_fixed_size: 0
    .sgpr_count:     107
    .sgpr_spill_count: 5
    .symbol:         _ZN2at6native6sbtopk10gatherTopKIhmLi2ELb0EEEvNS_4cuda6detail10TensorInfoIKT_T0_EES8_S8_bS8_S8_NS5_IS6_S8_EES8_NS5_IlS8_EES8_PS6_.kd
    .uniform_work_group_size: 1
    .uses_dynamic_stack: false
    .vgpr_count:     50
    .vgpr_spill_count: 0
    .wavefront_size: 32
    .workgroup_processor_mode: 1
  - .args:
      - .offset:         0
        .size:           416
        .value_kind:     by_value
      - .offset:         416
        .size:           4
        .value_kind:     by_value
      - .address_space:  global
        .offset:         424
        .size:           8
        .value_kind:     global_buffer
      - .offset:         432
        .size:           4
        .value_kind:     by_value
      - .offset:         440
        .size:           8
        .value_kind:     by_value
      - .offset:         448
        .size:           4
        .value_kind:     by_value
      - .offset:         452
        .size:           4
        .value_kind:     by_value
      - .offset:         456
        .size:           4
        .value_kind:     by_value
      - .offset:         460
        .size:           4
        .value_kind:     by_value
      - .address_space:  global
        .offset:         464
        .size:           8
        .value_kind:     global_buffer
      - .address_space:  global
        .offset:         472
        .size:           8
        .value_kind:     global_buffer
      - .offset:         480
        .size:           4
        .value_kind:     hidden_block_count_x
      - .offset:         484
        .size:           4
        .value_kind:     hidden_block_count_y
      - .offset:         488
        .size:           4
        .value_kind:     hidden_block_count_z
      - .offset:         492
        .size:           2
        .value_kind:     hidden_group_size_x
      - .offset:         494
        .size:           2
        .value_kind:     hidden_group_size_y
      - .offset:         496
        .size:           2
        .value_kind:     hidden_group_size_z
      - .offset:         498
        .size:           2
        .value_kind:     hidden_remainder_x
      - .offset:         500
        .size:           2
        .value_kind:     hidden_remainder_y
      - .offset:         502
        .size:           2
        .value_kind:     hidden_remainder_z
      - .offset:         520
        .size:           8
        .value_kind:     hidden_global_offset_x
      - .offset:         528
        .size:           8
        .value_kind:     hidden_global_offset_y
      - .offset:         536
        .size:           8
        .value_kind:     hidden_global_offset_z
      - .offset:         544
        .size:           2
        .value_kind:     hidden_grid_dims
    .group_segment_fixed_size: 1024
    .kernarg_segment_align: 8
    .kernarg_segment_size: 736
    .language:       OpenCL C
    .language_version:
      - 2
      - 0
    .max_flat_workgroup_size: 256
    .name:           _ZN2at6native6mbtopk23computeBlockDigitCountsIhmjLi3EEEvNS_4cuda6detail10TensorInfoIKT_T0_EEjPjjS8_iijT1_PSB_Ps
    .private_segment_fixed_size: 0
    .sgpr_count:     34
    .sgpr_spill_count: 0
    .symbol:         _ZN2at6native6mbtopk23computeBlockDigitCountsIhmjLi3EEEvNS_4cuda6detail10TensorInfoIKT_T0_EEjPjjS8_iijT1_PSB_Ps.kd
    .uniform_work_group_size: 1
    .uses_dynamic_stack: false
    .vgpr_count:     8
    .vgpr_spill_count: 0
    .wavefront_size: 32
    .workgroup_processor_mode: 1
  - .args:
      - .offset:         0
        .size:           416
        .value_kind:     by_value
      - .offset:         416
        .size:           8
        .value_kind:     by_value
      - .offset:         424
        .size:           8
        .value_kind:     by_value
      - .offset:         432
        .size:           1
        .value_kind:     by_value
      - .offset:         436
        .size:           4
        .value_kind:     by_value
      - .offset:         440
        .size:           8
        .value_kind:     by_value
      - .offset:         448
        .size:           416
        .value_kind:     by_value
      - .offset:         864
        .size:           8
        .value_kind:     by_value
      - .offset:         872
        .size:           416
        .value_kind:     by_value
      - .offset:         1288
        .size:           8
        .value_kind:     by_value
      - .offset:         1296
        .size:           4
        .value_kind:     by_value
      - .offset:         1300
        .size:           4
        .value_kind:     by_value
      - .address_space:  global
        .offset:         1304
        .size:           8
        .value_kind:     global_buffer
      - .address_space:  global
        .offset:         1312
        .size:           8
        .value_kind:     global_buffer
      - .address_space:  global
        .offset:         1320
        .size:           8
        .value_kind:     global_buffer
      - .offset:         1328
        .size:           4
        .value_kind:     by_value
      - .offset:         1336
        .size:           4
        .value_kind:     hidden_block_count_x
      - .offset:         1340
        .size:           4
        .value_kind:     hidden_block_count_y
      - .offset:         1344
        .size:           4
        .value_kind:     hidden_block_count_z
      - .offset:         1348
        .size:           2
        .value_kind:     hidden_group_size_x
      - .offset:         1350
        .size:           2
        .value_kind:     hidden_group_size_y
      - .offset:         1352
        .size:           2
        .value_kind:     hidden_group_size_z
      - .offset:         1354
        .size:           2
        .value_kind:     hidden_remainder_x
      - .offset:         1356
        .size:           2
        .value_kind:     hidden_remainder_y
      - .offset:         1358
        .size:           2
        .value_kind:     hidden_remainder_z
      - .offset:         1376
        .size:           8
        .value_kind:     hidden_global_offset_x
      - .offset:         1384
        .size:           8
        .value_kind:     hidden_global_offset_y
      - .offset:         1392
        .size:           8
        .value_kind:     hidden_global_offset_z
      - .offset:         1400
        .size:           2
        .value_kind:     hidden_grid_dims
    .group_segment_fixed_size: 1068
    .kernarg_segment_align: 8
    .kernarg_segment_size: 1592
    .language:       OpenCL C
    .language_version:
      - 2
      - 0
    .max_flat_workgroup_size: 256
    .name:           _ZN2at6native6mbtopk10gatherTopKIhmLi3EEEvNS_4cuda6detail10TensorInfoIKT_T0_EES8_S8_bjS8_NS5_IS6_S8_EES8_NS5_IlS8_EES8_jjPS6_PjSD_j
    .private_segment_fixed_size: 0
    .sgpr_count:     76
    .sgpr_spill_count: 0
    .symbol:         _ZN2at6native6mbtopk10gatherTopKIhmLi3EEEvNS_4cuda6detail10TensorInfoIKT_T0_EES8_S8_bjS8_NS5_IS6_S8_EES8_NS5_IlS8_EES8_jjPS6_PjSD_j.kd
    .uniform_work_group_size: 1
    .uses_dynamic_stack: false
    .vgpr_count:     25
    .vgpr_spill_count: 0
    .wavefront_size: 32
    .workgroup_processor_mode: 1
  - .args:
      - .offset:         0
        .size:           416
        .value_kind:     by_value
      - .offset:         416
        .size:           8
        .value_kind:     by_value
      - .offset:         424
        .size:           8
        .value_kind:     by_value
      - .offset:         432
        .size:           1
        .value_kind:     by_value
      - .offset:         440
        .size:           8
        .value_kind:     by_value
      - .offset:         448
        .size:           8
        .value_kind:     by_value
      - .offset:         456
        .size:           416
        .value_kind:     by_value
      - .offset:         872
        .size:           8
        .value_kind:     by_value
      - .offset:         880
        .size:           416
        .value_kind:     by_value
      - .offset:         1296
        .size:           8
        .value_kind:     by_value
      - .address_space:  global
        .offset:         1304
        .size:           8
        .value_kind:     global_buffer
      - .offset:         1312
        .size:           4
        .value_kind:     hidden_block_count_x
      - .offset:         1316
        .size:           4
        .value_kind:     hidden_block_count_y
      - .offset:         1320
        .size:           4
        .value_kind:     hidden_block_count_z
      - .offset:         1324
        .size:           2
        .value_kind:     hidden_group_size_x
      - .offset:         1326
        .size:           2
        .value_kind:     hidden_group_size_y
      - .offset:         1328
        .size:           2
        .value_kind:     hidden_group_size_z
      - .offset:         1330
        .size:           2
        .value_kind:     hidden_remainder_x
      - .offset:         1332
        .size:           2
        .value_kind:     hidden_remainder_y
      - .offset:         1334
        .size:           2
        .value_kind:     hidden_remainder_z
      - .offset:         1352
        .size:           8
        .value_kind:     hidden_global_offset_x
      - .offset:         1360
        .size:           8
        .value_kind:     hidden_global_offset_y
      - .offset:         1368
        .size:           8
        .value_kind:     hidden_global_offset_z
      - .offset:         1376
        .size:           2
        .value_kind:     hidden_grid_dims
    .group_segment_fixed_size: 5152
    .kernarg_segment_align: 8
    .kernarg_segment_size: 1568
    .language:       OpenCL C
    .language_version:
      - 2
      - 0
    .max_flat_workgroup_size: 1024
    .name:           _ZN2at6native6sbtopk10gatherTopKIhmLi3ELb0EEEvNS_4cuda6detail10TensorInfoIKT_T0_EES8_S8_bS8_S8_NS5_IS6_S8_EES8_NS5_IlS8_EES8_PS6_
    .private_segment_fixed_size: 0
    .sgpr_count:     107
    .sgpr_spill_count: 9
    .symbol:         _ZN2at6native6sbtopk10gatherTopKIhmLi3ELb0EEEvNS_4cuda6detail10TensorInfoIKT_T0_EES8_S8_bS8_S8_NS5_IS6_S8_EES8_NS5_IlS8_EES8_PS6_.kd
    .uniform_work_group_size: 1
    .uses_dynamic_stack: false
    .vgpr_count:     50
    .vgpr_spill_count: 0
    .wavefront_size: 32
    .workgroup_processor_mode: 1
  - .args:
      - .offset:         0
        .size:           416
        .value_kind:     by_value
      - .offset:         416
        .size:           4
        .value_kind:     by_value
      - .address_space:  global
        .offset:         424
        .size:           8
        .value_kind:     global_buffer
      - .offset:         432
        .size:           4
        .value_kind:     by_value
      - .offset:         440
        .size:           8
        .value_kind:     by_value
      - .offset:         448
        .size:           4
        .value_kind:     by_value
      - .offset:         452
        .size:           4
        .value_kind:     by_value
      - .offset:         456
        .size:           4
        .value_kind:     by_value
      - .offset:         460
        .size:           4
        .value_kind:     by_value
      - .address_space:  global
        .offset:         464
        .size:           8
        .value_kind:     global_buffer
      - .address_space:  global
        .offset:         472
        .size:           8
        .value_kind:     global_buffer
      - .offset:         480
        .size:           4
        .value_kind:     hidden_block_count_x
      - .offset:         484
        .size:           4
        .value_kind:     hidden_block_count_y
      - .offset:         488
        .size:           4
        .value_kind:     hidden_block_count_z
      - .offset:         492
        .size:           2
        .value_kind:     hidden_group_size_x
      - .offset:         494
        .size:           2
        .value_kind:     hidden_group_size_y
      - .offset:         496
        .size:           2
        .value_kind:     hidden_group_size_z
      - .offset:         498
        .size:           2
        .value_kind:     hidden_remainder_x
      - .offset:         500
        .size:           2
        .value_kind:     hidden_remainder_y
      - .offset:         502
        .size:           2
        .value_kind:     hidden_remainder_z
      - .offset:         520
        .size:           8
        .value_kind:     hidden_global_offset_x
      - .offset:         528
        .size:           8
        .value_kind:     hidden_global_offset_y
      - .offset:         536
        .size:           8
        .value_kind:     hidden_global_offset_z
      - .offset:         544
        .size:           2
        .value_kind:     hidden_grid_dims
    .group_segment_fixed_size: 1024
    .kernarg_segment_align: 8
    .kernarg_segment_size: 736
    .language:       OpenCL C
    .language_version:
      - 2
      - 0
    .max_flat_workgroup_size: 256
    .name:           _ZN2at6native6mbtopk23computeBlockDigitCountsIhmjLin1EEEvNS_4cuda6detail10TensorInfoIKT_T0_EEjPjjS8_iijT1_PSB_Ps
    .private_segment_fixed_size: 0
    .sgpr_count:     30
    .sgpr_spill_count: 0
    .symbol:         _ZN2at6native6mbtopk23computeBlockDigitCountsIhmjLin1EEEvNS_4cuda6detail10TensorInfoIKT_T0_EEjPjjS8_iijT1_PSB_Ps.kd
    .uniform_work_group_size: 1
    .uses_dynamic_stack: false
    .vgpr_count:     8
    .vgpr_spill_count: 0
    .wavefront_size: 32
    .workgroup_processor_mode: 1
  - .args:
      - .offset:         0
        .size:           416
        .value_kind:     by_value
      - .offset:         416
        .size:           8
        .value_kind:     by_value
      - .offset:         424
        .size:           8
        .value_kind:     by_value
      - .offset:         432
        .size:           1
        .value_kind:     by_value
      - .offset:         436
        .size:           4
        .value_kind:     by_value
      - .offset:         440
        .size:           8
        .value_kind:     by_value
      - .offset:         448
        .size:           416
        .value_kind:     by_value
      - .offset:         864
        .size:           8
        .value_kind:     by_value
      - .offset:         872
        .size:           416
        .value_kind:     by_value
      - .offset:         1288
        .size:           8
        .value_kind:     by_value
      - .offset:         1296
        .size:           4
        .value_kind:     by_value
      - .offset:         1300
        .size:           4
        .value_kind:     by_value
      - .address_space:  global
        .offset:         1304
        .size:           8
        .value_kind:     global_buffer
      - .address_space:  global
        .offset:         1312
        .size:           8
        .value_kind:     global_buffer
      - .address_space:  global
        .offset:         1320
        .size:           8
        .value_kind:     global_buffer
      - .offset:         1328
        .size:           4
        .value_kind:     by_value
      - .offset:         1336
        .size:           4
        .value_kind:     hidden_block_count_x
      - .offset:         1340
        .size:           4
        .value_kind:     hidden_block_count_y
      - .offset:         1344
        .size:           4
        .value_kind:     hidden_block_count_z
      - .offset:         1348
        .size:           2
        .value_kind:     hidden_group_size_x
      - .offset:         1350
        .size:           2
        .value_kind:     hidden_group_size_y
      - .offset:         1352
        .size:           2
        .value_kind:     hidden_group_size_z
      - .offset:         1354
        .size:           2
        .value_kind:     hidden_remainder_x
      - .offset:         1356
        .size:           2
        .value_kind:     hidden_remainder_y
      - .offset:         1358
        .size:           2
        .value_kind:     hidden_remainder_z
      - .offset:         1376
        .size:           8
        .value_kind:     hidden_global_offset_x
      - .offset:         1384
        .size:           8
        .value_kind:     hidden_global_offset_y
      - .offset:         1392
        .size:           8
        .value_kind:     hidden_global_offset_z
      - .offset:         1400
        .size:           2
        .value_kind:     hidden_grid_dims
    .group_segment_fixed_size: 1068
    .kernarg_segment_align: 8
    .kernarg_segment_size: 1592
    .language:       OpenCL C
    .language_version:
      - 2
      - 0
    .max_flat_workgroup_size: 256
    .name:           _ZN2at6native6mbtopk10gatherTopKIhmLin1EEEvNS_4cuda6detail10TensorInfoIKT_T0_EES8_S8_bjS8_NS5_IS6_S8_EES8_NS5_IlS8_EES8_jjPS6_PjSD_j
    .private_segment_fixed_size: 0
    .sgpr_count:     55
    .sgpr_spill_count: 0
    .symbol:         _ZN2at6native6mbtopk10gatherTopKIhmLin1EEEvNS_4cuda6detail10TensorInfoIKT_T0_EES8_S8_bjS8_NS5_IS6_S8_EES8_NS5_IlS8_EES8_jjPS6_PjSD_j.kd
    .uniform_work_group_size: 1
    .uses_dynamic_stack: false
    .vgpr_count:     25
    .vgpr_spill_count: 0
    .wavefront_size: 32
    .workgroup_processor_mode: 1
  - .args:
      - .offset:         0
        .size:           416
        .value_kind:     by_value
      - .offset:         416
        .size:           8
        .value_kind:     by_value
      - .offset:         424
        .size:           8
        .value_kind:     by_value
      - .offset:         432
        .size:           1
        .value_kind:     by_value
      - .offset:         440
        .size:           8
        .value_kind:     by_value
      - .offset:         448
        .size:           8
        .value_kind:     by_value
      - .offset:         456
        .size:           416
        .value_kind:     by_value
      - .offset:         872
        .size:           8
        .value_kind:     by_value
      - .offset:         880
        .size:           416
        .value_kind:     by_value
      - .offset:         1296
        .size:           8
        .value_kind:     by_value
      - .address_space:  global
        .offset:         1304
        .size:           8
        .value_kind:     global_buffer
      - .offset:         1312
        .size:           4
        .value_kind:     hidden_block_count_x
      - .offset:         1316
        .size:           4
        .value_kind:     hidden_block_count_y
      - .offset:         1320
        .size:           4
        .value_kind:     hidden_block_count_z
      - .offset:         1324
        .size:           2
        .value_kind:     hidden_group_size_x
      - .offset:         1326
        .size:           2
        .value_kind:     hidden_group_size_y
      - .offset:         1328
        .size:           2
        .value_kind:     hidden_group_size_z
      - .offset:         1330
        .size:           2
        .value_kind:     hidden_remainder_x
      - .offset:         1332
        .size:           2
        .value_kind:     hidden_remainder_y
      - .offset:         1334
        .size:           2
        .value_kind:     hidden_remainder_z
      - .offset:         1352
        .size:           8
        .value_kind:     hidden_global_offset_x
      - .offset:         1360
        .size:           8
        .value_kind:     hidden_global_offset_y
      - .offset:         1368
        .size:           8
        .value_kind:     hidden_global_offset_z
      - .offset:         1376
        .size:           2
        .value_kind:     hidden_grid_dims
    .group_segment_fixed_size: 5152
    .kernarg_segment_align: 8
    .kernarg_segment_size: 1568
    .language:       OpenCL C
    .language_version:
      - 2
      - 0
    .max_flat_workgroup_size: 1024
    .name:           _ZN2at6native6sbtopk10gatherTopKIhmLin1ELb0EEEvNS_4cuda6detail10TensorInfoIKT_T0_EES8_S8_bS8_S8_NS5_IS6_S8_EES8_NS5_IlS8_EES8_PS6_
    .private_segment_fixed_size: 0
    .sgpr_count:     107
    .sgpr_spill_count: 16
    .symbol:         _ZN2at6native6sbtopk10gatherTopKIhmLin1ELb0EEEvNS_4cuda6detail10TensorInfoIKT_T0_EES8_S8_bS8_S8_NS5_IS6_S8_EES8_NS5_IlS8_EES8_PS6_.kd
    .uniform_work_group_size: 1
    .uses_dynamic_stack: false
    .vgpr_count:     60
    .vgpr_spill_count: 0
    .wavefront_size: 32
    .workgroup_processor_mode: 1
  - .args:
      - .offset:         0
        .size:           416
        .value_kind:     by_value
      - .offset:         416
        .size:           4
        .value_kind:     by_value
      - .address_space:  global
        .offset:         424
        .size:           8
        .value_kind:     global_buffer
      - .offset:         432
        .size:           4
        .value_kind:     by_value
      - .offset:         440
        .size:           8
        .value_kind:     by_value
      - .offset:         448
        .size:           4
        .value_kind:     by_value
      - .offset:         452
        .size:           4
        .value_kind:     by_value
      - .offset:         456
        .size:           4
        .value_kind:     by_value
      - .offset:         460
        .size:           4
        .value_kind:     by_value
      - .address_space:  global
        .offset:         464
        .size:           8
        .value_kind:     global_buffer
      - .address_space:  global
        .offset:         472
        .size:           8
        .value_kind:     global_buffer
      - .offset:         480
        .size:           4
        .value_kind:     hidden_block_count_x
      - .offset:         484
        .size:           4
        .value_kind:     hidden_block_count_y
      - .offset:         488
        .size:           4
        .value_kind:     hidden_block_count_z
      - .offset:         492
        .size:           2
        .value_kind:     hidden_group_size_x
      - .offset:         494
        .size:           2
        .value_kind:     hidden_group_size_y
      - .offset:         496
        .size:           2
        .value_kind:     hidden_group_size_z
      - .offset:         498
        .size:           2
        .value_kind:     hidden_remainder_x
      - .offset:         500
        .size:           2
        .value_kind:     hidden_remainder_y
      - .offset:         502
        .size:           2
        .value_kind:     hidden_remainder_z
      - .offset:         520
        .size:           8
        .value_kind:     hidden_global_offset_x
      - .offset:         528
        .size:           8
        .value_kind:     hidden_global_offset_y
      - .offset:         536
        .size:           8
        .value_kind:     hidden_global_offset_z
      - .offset:         544
        .size:           2
        .value_kind:     hidden_grid_dims
    .group_segment_fixed_size: 1024
    .kernarg_segment_align: 8
    .kernarg_segment_size: 736
    .language:       OpenCL C
    .language_version:
      - 2
      - 0
    .max_flat_workgroup_size: 256
    .name:           _ZN2at6native6mbtopk23computeBlockDigitCountsIamjLi1EEEvNS_4cuda6detail10TensorInfoIKT_T0_EEjPjjS8_iijT1_PSB_Ps
    .private_segment_fixed_size: 0
    .sgpr_count:     22
    .sgpr_spill_count: 0
    .symbol:         _ZN2at6native6mbtopk23computeBlockDigitCountsIamjLi1EEEvNS_4cuda6detail10TensorInfoIKT_T0_EEjPjjS8_iijT1_PSB_Ps.kd
    .uniform_work_group_size: 1
    .uses_dynamic_stack: false
    .vgpr_count:     9
    .vgpr_spill_count: 0
    .wavefront_size: 32
    .workgroup_processor_mode: 1
  - .args:
      - .offset:         0
        .size:           416
        .value_kind:     by_value
      - .offset:         416
        .size:           8
        .value_kind:     by_value
      - .offset:         424
        .size:           8
        .value_kind:     by_value
      - .offset:         432
        .size:           1
        .value_kind:     by_value
      - .offset:         436
        .size:           4
        .value_kind:     by_value
      - .offset:         440
        .size:           8
        .value_kind:     by_value
      - .offset:         448
        .size:           416
        .value_kind:     by_value
      - .offset:         864
        .size:           8
        .value_kind:     by_value
      - .offset:         872
        .size:           416
        .value_kind:     by_value
      - .offset:         1288
        .size:           8
        .value_kind:     by_value
      - .offset:         1296
        .size:           4
        .value_kind:     by_value
      - .offset:         1300
        .size:           4
        .value_kind:     by_value
      - .address_space:  global
        .offset:         1304
        .size:           8
        .value_kind:     global_buffer
      - .address_space:  global
        .offset:         1312
        .size:           8
        .value_kind:     global_buffer
      - .address_space:  global
        .offset:         1320
        .size:           8
        .value_kind:     global_buffer
      - .offset:         1328
        .size:           4
        .value_kind:     by_value
      - .offset:         1336
        .size:           4
        .value_kind:     hidden_block_count_x
      - .offset:         1340
        .size:           4
        .value_kind:     hidden_block_count_y
      - .offset:         1344
        .size:           4
        .value_kind:     hidden_block_count_z
      - .offset:         1348
        .size:           2
        .value_kind:     hidden_group_size_x
      - .offset:         1350
        .size:           2
        .value_kind:     hidden_group_size_y
      - .offset:         1352
        .size:           2
        .value_kind:     hidden_group_size_z
      - .offset:         1354
        .size:           2
        .value_kind:     hidden_remainder_x
      - .offset:         1356
        .size:           2
        .value_kind:     hidden_remainder_y
      - .offset:         1358
        .size:           2
        .value_kind:     hidden_remainder_z
      - .offset:         1376
        .size:           8
        .value_kind:     hidden_global_offset_x
      - .offset:         1384
        .size:           8
        .value_kind:     hidden_global_offset_y
      - .offset:         1392
        .size:           8
        .value_kind:     hidden_global_offset_z
      - .offset:         1400
        .size:           2
        .value_kind:     hidden_grid_dims
    .group_segment_fixed_size: 1068
    .kernarg_segment_align: 8
    .kernarg_segment_size: 1592
    .language:       OpenCL C
    .language_version:
      - 2
      - 0
    .max_flat_workgroup_size: 256
    .name:           _ZN2at6native6mbtopk10gatherTopKIamLi1EEEvNS_4cuda6detail10TensorInfoIKT_T0_EES8_S8_bjS8_NS5_IS6_S8_EES8_NS5_IlS8_EES8_jjPS6_PjSD_j
    .private_segment_fixed_size: 0
    .sgpr_count:     43
    .sgpr_spill_count: 0
    .symbol:         _ZN2at6native6mbtopk10gatherTopKIamLi1EEEvNS_4cuda6detail10TensorInfoIKT_T0_EES8_S8_bjS8_NS5_IS6_S8_EES8_NS5_IlS8_EES8_jjPS6_PjSD_j.kd
    .uniform_work_group_size: 1
    .uses_dynamic_stack: false
    .vgpr_count:     27
    .vgpr_spill_count: 0
    .wavefront_size: 32
    .workgroup_processor_mode: 1
  - .args:
      - .offset:         0
        .size:           416
        .value_kind:     by_value
      - .offset:         416
        .size:           8
        .value_kind:     by_value
      - .offset:         424
        .size:           8
        .value_kind:     by_value
      - .offset:         432
        .size:           1
        .value_kind:     by_value
      - .offset:         440
        .size:           8
        .value_kind:     by_value
      - .offset:         448
        .size:           8
        .value_kind:     by_value
      - .offset:         456
        .size:           416
        .value_kind:     by_value
      - .offset:         872
        .size:           8
        .value_kind:     by_value
      - .offset:         880
        .size:           416
        .value_kind:     by_value
      - .offset:         1296
        .size:           8
        .value_kind:     by_value
      - .address_space:  global
        .offset:         1304
        .size:           8
        .value_kind:     global_buffer
      - .offset:         1312
        .size:           4
        .value_kind:     hidden_block_count_x
      - .offset:         1316
        .size:           4
        .value_kind:     hidden_block_count_y
      - .offset:         1320
        .size:           4
        .value_kind:     hidden_block_count_z
      - .offset:         1324
        .size:           2
        .value_kind:     hidden_group_size_x
      - .offset:         1326
        .size:           2
        .value_kind:     hidden_group_size_y
      - .offset:         1328
        .size:           2
        .value_kind:     hidden_group_size_z
      - .offset:         1330
        .size:           2
        .value_kind:     hidden_remainder_x
      - .offset:         1332
        .size:           2
        .value_kind:     hidden_remainder_y
      - .offset:         1334
        .size:           2
        .value_kind:     hidden_remainder_z
      - .offset:         1352
        .size:           8
        .value_kind:     hidden_global_offset_x
      - .offset:         1360
        .size:           8
        .value_kind:     hidden_global_offset_y
      - .offset:         1368
        .size:           8
        .value_kind:     hidden_global_offset_z
      - .offset:         1376
        .size:           2
        .value_kind:     hidden_grid_dims
    .group_segment_fixed_size: 5152
    .kernarg_segment_align: 8
    .kernarg_segment_size: 1568
    .language:       OpenCL C
    .language_version:
      - 2
      - 0
    .max_flat_workgroup_size: 1024
    .name:           _ZN2at6native6sbtopk10gatherTopKIamLi1ELb0EEEvNS_4cuda6detail10TensorInfoIKT_T0_EES8_S8_bS8_S8_NS5_IS6_S8_EES8_NS5_IlS8_EES8_PS6_
    .private_segment_fixed_size: 0
    .sgpr_count:     107
    .sgpr_spill_count: 8
    .symbol:         _ZN2at6native6sbtopk10gatherTopKIamLi1ELb0EEEvNS_4cuda6detail10TensorInfoIKT_T0_EES8_S8_bS8_S8_NS5_IS6_S8_EES8_NS5_IlS8_EES8_PS6_.kd
    .uniform_work_group_size: 1
    .uses_dynamic_stack: false
    .vgpr_count:     59
    .vgpr_spill_count: 0
    .wavefront_size: 32
    .workgroup_processor_mode: 1
  - .args:
      - .offset:         0
        .size:           416
        .value_kind:     by_value
      - .offset:         416
        .size:           4
        .value_kind:     by_value
      - .address_space:  global
        .offset:         424
        .size:           8
        .value_kind:     global_buffer
      - .offset:         432
        .size:           4
        .value_kind:     by_value
      - .offset:         440
        .size:           8
        .value_kind:     by_value
      - .offset:         448
        .size:           4
        .value_kind:     by_value
      - .offset:         452
        .size:           4
        .value_kind:     by_value
      - .offset:         456
        .size:           4
        .value_kind:     by_value
      - .offset:         460
        .size:           4
        .value_kind:     by_value
      - .address_space:  global
        .offset:         464
        .size:           8
        .value_kind:     global_buffer
      - .address_space:  global
        .offset:         472
        .size:           8
        .value_kind:     global_buffer
      - .offset:         480
        .size:           4
        .value_kind:     hidden_block_count_x
      - .offset:         484
        .size:           4
        .value_kind:     hidden_block_count_y
      - .offset:         488
        .size:           4
        .value_kind:     hidden_block_count_z
      - .offset:         492
        .size:           2
        .value_kind:     hidden_group_size_x
      - .offset:         494
        .size:           2
        .value_kind:     hidden_group_size_y
      - .offset:         496
        .size:           2
        .value_kind:     hidden_group_size_z
      - .offset:         498
        .size:           2
        .value_kind:     hidden_remainder_x
      - .offset:         500
        .size:           2
        .value_kind:     hidden_remainder_y
      - .offset:         502
        .size:           2
        .value_kind:     hidden_remainder_z
      - .offset:         520
        .size:           8
        .value_kind:     hidden_global_offset_x
      - .offset:         528
        .size:           8
        .value_kind:     hidden_global_offset_y
      - .offset:         536
        .size:           8
        .value_kind:     hidden_global_offset_z
      - .offset:         544
        .size:           2
        .value_kind:     hidden_grid_dims
    .group_segment_fixed_size: 1024
    .kernarg_segment_align: 8
    .kernarg_segment_size: 736
    .language:       OpenCL C
    .language_version:
      - 2
      - 0
    .max_flat_workgroup_size: 256
    .name:           _ZN2at6native6mbtopk23computeBlockDigitCountsIamjLi2EEEvNS_4cuda6detail10TensorInfoIKT_T0_EEjPjjS8_iijT1_PSB_Ps
    .private_segment_fixed_size: 0
    .sgpr_count:     26
    .sgpr_spill_count: 0
    .symbol:         _ZN2at6native6mbtopk23computeBlockDigitCountsIamjLi2EEEvNS_4cuda6detail10TensorInfoIKT_T0_EEjPjjS8_iijT1_PSB_Ps.kd
    .uniform_work_group_size: 1
    .uses_dynamic_stack: false
    .vgpr_count:     9
    .vgpr_spill_count: 0
    .wavefront_size: 32
    .workgroup_processor_mode: 1
  - .args:
      - .offset:         0
        .size:           416
        .value_kind:     by_value
      - .offset:         416
        .size:           8
        .value_kind:     by_value
      - .offset:         424
        .size:           8
        .value_kind:     by_value
      - .offset:         432
        .size:           1
        .value_kind:     by_value
      - .offset:         436
        .size:           4
        .value_kind:     by_value
      - .offset:         440
        .size:           8
        .value_kind:     by_value
      - .offset:         448
        .size:           416
        .value_kind:     by_value
      - .offset:         864
        .size:           8
        .value_kind:     by_value
      - .offset:         872
        .size:           416
        .value_kind:     by_value
      - .offset:         1288
        .size:           8
        .value_kind:     by_value
      - .offset:         1296
        .size:           4
        .value_kind:     by_value
      - .offset:         1300
        .size:           4
        .value_kind:     by_value
      - .address_space:  global
        .offset:         1304
        .size:           8
        .value_kind:     global_buffer
      - .address_space:  global
        .offset:         1312
        .size:           8
        .value_kind:     global_buffer
      - .address_space:  global
        .offset:         1320
        .size:           8
        .value_kind:     global_buffer
      - .offset:         1328
        .size:           4
        .value_kind:     by_value
      - .offset:         1336
        .size:           4
        .value_kind:     hidden_block_count_x
      - .offset:         1340
        .size:           4
        .value_kind:     hidden_block_count_y
      - .offset:         1344
        .size:           4
        .value_kind:     hidden_block_count_z
      - .offset:         1348
        .size:           2
        .value_kind:     hidden_group_size_x
      - .offset:         1350
        .size:           2
        .value_kind:     hidden_group_size_y
      - .offset:         1352
        .size:           2
        .value_kind:     hidden_group_size_z
      - .offset:         1354
        .size:           2
        .value_kind:     hidden_remainder_x
      - .offset:         1356
        .size:           2
        .value_kind:     hidden_remainder_y
      - .offset:         1358
        .size:           2
        .value_kind:     hidden_remainder_z
      - .offset:         1376
        .size:           8
        .value_kind:     hidden_global_offset_x
      - .offset:         1384
        .size:           8
        .value_kind:     hidden_global_offset_y
      - .offset:         1392
        .size:           8
        .value_kind:     hidden_global_offset_z
      - .offset:         1400
        .size:           2
        .value_kind:     hidden_grid_dims
    .group_segment_fixed_size: 1068
    .kernarg_segment_align: 8
    .kernarg_segment_size: 1592
    .language:       OpenCL C
    .language_version:
      - 2
      - 0
    .max_flat_workgroup_size: 256
    .name:           _ZN2at6native6mbtopk10gatherTopKIamLi2EEEvNS_4cuda6detail10TensorInfoIKT_T0_EES8_S8_bjS8_NS5_IS6_S8_EES8_NS5_IlS8_EES8_jjPS6_PjSD_j
    .private_segment_fixed_size: 0
    .sgpr_count:     53
    .sgpr_spill_count: 0
    .symbol:         _ZN2at6native6mbtopk10gatherTopKIamLi2EEEvNS_4cuda6detail10TensorInfoIKT_T0_EES8_S8_bjS8_NS5_IS6_S8_EES8_NS5_IlS8_EES8_jjPS6_PjSD_j.kd
    .uniform_work_group_size: 1
    .uses_dynamic_stack: false
    .vgpr_count:     27
    .vgpr_spill_count: 0
    .wavefront_size: 32
    .workgroup_processor_mode: 1
  - .args:
      - .offset:         0
        .size:           416
        .value_kind:     by_value
      - .offset:         416
        .size:           8
        .value_kind:     by_value
      - .offset:         424
        .size:           8
        .value_kind:     by_value
      - .offset:         432
        .size:           1
        .value_kind:     by_value
      - .offset:         440
        .size:           8
        .value_kind:     by_value
      - .offset:         448
        .size:           8
        .value_kind:     by_value
      - .offset:         456
        .size:           416
        .value_kind:     by_value
      - .offset:         872
        .size:           8
        .value_kind:     by_value
      - .offset:         880
        .size:           416
        .value_kind:     by_value
      - .offset:         1296
        .size:           8
        .value_kind:     by_value
      - .address_space:  global
        .offset:         1304
        .size:           8
        .value_kind:     global_buffer
      - .offset:         1312
        .size:           4
        .value_kind:     hidden_block_count_x
      - .offset:         1316
        .size:           4
        .value_kind:     hidden_block_count_y
      - .offset:         1320
        .size:           4
        .value_kind:     hidden_block_count_z
      - .offset:         1324
        .size:           2
        .value_kind:     hidden_group_size_x
      - .offset:         1326
        .size:           2
        .value_kind:     hidden_group_size_y
      - .offset:         1328
        .size:           2
        .value_kind:     hidden_group_size_z
      - .offset:         1330
        .size:           2
        .value_kind:     hidden_remainder_x
      - .offset:         1332
        .size:           2
        .value_kind:     hidden_remainder_y
      - .offset:         1334
        .size:           2
        .value_kind:     hidden_remainder_z
      - .offset:         1352
        .size:           8
        .value_kind:     hidden_global_offset_x
      - .offset:         1360
        .size:           8
        .value_kind:     hidden_global_offset_y
      - .offset:         1368
        .size:           8
        .value_kind:     hidden_global_offset_z
      - .offset:         1376
        .size:           2
        .value_kind:     hidden_grid_dims
    .group_segment_fixed_size: 5152
    .kernarg_segment_align: 8
    .kernarg_segment_size: 1568
    .language:       OpenCL C
    .language_version:
      - 2
      - 0
    .max_flat_workgroup_size: 1024
    .name:           _ZN2at6native6sbtopk10gatherTopKIamLi2ELb0EEEvNS_4cuda6detail10TensorInfoIKT_T0_EES8_S8_bS8_S8_NS5_IS6_S8_EES8_NS5_IlS8_EES8_PS6_
    .private_segment_fixed_size: 0
    .sgpr_count:     107
    .sgpr_spill_count: 5
    .symbol:         _ZN2at6native6sbtopk10gatherTopKIamLi2ELb0EEEvNS_4cuda6detail10TensorInfoIKT_T0_EES8_S8_bS8_S8_NS5_IS6_S8_EES8_NS5_IlS8_EES8_PS6_.kd
    .uniform_work_group_size: 1
    .uses_dynamic_stack: false
    .vgpr_count:     51
    .vgpr_spill_count: 0
    .wavefront_size: 32
    .workgroup_processor_mode: 1
  - .args:
      - .offset:         0
        .size:           416
        .value_kind:     by_value
      - .offset:         416
        .size:           4
        .value_kind:     by_value
      - .address_space:  global
        .offset:         424
        .size:           8
        .value_kind:     global_buffer
      - .offset:         432
        .size:           4
        .value_kind:     by_value
      - .offset:         440
        .size:           8
        .value_kind:     by_value
      - .offset:         448
        .size:           4
        .value_kind:     by_value
      - .offset:         452
        .size:           4
        .value_kind:     by_value
      - .offset:         456
        .size:           4
        .value_kind:     by_value
      - .offset:         460
        .size:           4
        .value_kind:     by_value
      - .address_space:  global
        .offset:         464
        .size:           8
        .value_kind:     global_buffer
      - .address_space:  global
        .offset:         472
        .size:           8
        .value_kind:     global_buffer
      - .offset:         480
        .size:           4
        .value_kind:     hidden_block_count_x
      - .offset:         484
        .size:           4
        .value_kind:     hidden_block_count_y
      - .offset:         488
        .size:           4
        .value_kind:     hidden_block_count_z
      - .offset:         492
        .size:           2
        .value_kind:     hidden_group_size_x
      - .offset:         494
        .size:           2
        .value_kind:     hidden_group_size_y
      - .offset:         496
        .size:           2
        .value_kind:     hidden_group_size_z
      - .offset:         498
        .size:           2
        .value_kind:     hidden_remainder_x
      - .offset:         500
        .size:           2
        .value_kind:     hidden_remainder_y
      - .offset:         502
        .size:           2
        .value_kind:     hidden_remainder_z
      - .offset:         520
        .size:           8
        .value_kind:     hidden_global_offset_x
      - .offset:         528
        .size:           8
        .value_kind:     hidden_global_offset_y
      - .offset:         536
        .size:           8
        .value_kind:     hidden_global_offset_z
      - .offset:         544
        .size:           2
        .value_kind:     hidden_grid_dims
    .group_segment_fixed_size: 1024
    .kernarg_segment_align: 8
    .kernarg_segment_size: 736
    .language:       OpenCL C
    .language_version:
      - 2
      - 0
    .max_flat_workgroup_size: 256
    .name:           _ZN2at6native6mbtopk23computeBlockDigitCountsIamjLi3EEEvNS_4cuda6detail10TensorInfoIKT_T0_EEjPjjS8_iijT1_PSB_Ps
    .private_segment_fixed_size: 0
    .sgpr_count:     34
    .sgpr_spill_count: 0
    .symbol:         _ZN2at6native6mbtopk23computeBlockDigitCountsIamjLi3EEEvNS_4cuda6detail10TensorInfoIKT_T0_EEjPjjS8_iijT1_PSB_Ps.kd
    .uniform_work_group_size: 1
    .uses_dynamic_stack: false
    .vgpr_count:     9
    .vgpr_spill_count: 0
    .wavefront_size: 32
    .workgroup_processor_mode: 1
  - .args:
      - .offset:         0
        .size:           416
        .value_kind:     by_value
      - .offset:         416
        .size:           8
        .value_kind:     by_value
      - .offset:         424
        .size:           8
        .value_kind:     by_value
      - .offset:         432
        .size:           1
        .value_kind:     by_value
      - .offset:         436
        .size:           4
        .value_kind:     by_value
      - .offset:         440
        .size:           8
        .value_kind:     by_value
      - .offset:         448
        .size:           416
        .value_kind:     by_value
      - .offset:         864
        .size:           8
        .value_kind:     by_value
      - .offset:         872
        .size:           416
        .value_kind:     by_value
      - .offset:         1288
        .size:           8
        .value_kind:     by_value
      - .offset:         1296
        .size:           4
        .value_kind:     by_value
      - .offset:         1300
        .size:           4
        .value_kind:     by_value
      - .address_space:  global
        .offset:         1304
        .size:           8
        .value_kind:     global_buffer
      - .address_space:  global
        .offset:         1312
        .size:           8
        .value_kind:     global_buffer
      - .address_space:  global
        .offset:         1320
        .size:           8
        .value_kind:     global_buffer
      - .offset:         1328
        .size:           4
        .value_kind:     by_value
      - .offset:         1336
        .size:           4
        .value_kind:     hidden_block_count_x
      - .offset:         1340
        .size:           4
        .value_kind:     hidden_block_count_y
      - .offset:         1344
        .size:           4
        .value_kind:     hidden_block_count_z
      - .offset:         1348
        .size:           2
        .value_kind:     hidden_group_size_x
      - .offset:         1350
        .size:           2
        .value_kind:     hidden_group_size_y
      - .offset:         1352
        .size:           2
        .value_kind:     hidden_group_size_z
      - .offset:         1354
        .size:           2
        .value_kind:     hidden_remainder_x
      - .offset:         1356
        .size:           2
        .value_kind:     hidden_remainder_y
      - .offset:         1358
        .size:           2
        .value_kind:     hidden_remainder_z
      - .offset:         1376
        .size:           8
        .value_kind:     hidden_global_offset_x
      - .offset:         1384
        .size:           8
        .value_kind:     hidden_global_offset_y
      - .offset:         1392
        .size:           8
        .value_kind:     hidden_global_offset_z
      - .offset:         1400
        .size:           2
        .value_kind:     hidden_grid_dims
    .group_segment_fixed_size: 1068
    .kernarg_segment_align: 8
    .kernarg_segment_size: 1592
    .language:       OpenCL C
    .language_version:
      - 2
      - 0
    .max_flat_workgroup_size: 256
    .name:           _ZN2at6native6mbtopk10gatherTopKIamLi3EEEvNS_4cuda6detail10TensorInfoIKT_T0_EES8_S8_bjS8_NS5_IS6_S8_EES8_NS5_IlS8_EES8_jjPS6_PjSD_j
    .private_segment_fixed_size: 0
    .sgpr_count:     76
    .sgpr_spill_count: 0
    .symbol:         _ZN2at6native6mbtopk10gatherTopKIamLi3EEEvNS_4cuda6detail10TensorInfoIKT_T0_EES8_S8_bjS8_NS5_IS6_S8_EES8_NS5_IlS8_EES8_jjPS6_PjSD_j.kd
    .uniform_work_group_size: 1
    .uses_dynamic_stack: false
    .vgpr_count:     27
    .vgpr_spill_count: 0
    .wavefront_size: 32
    .workgroup_processor_mode: 1
  - .args:
      - .offset:         0
        .size:           416
        .value_kind:     by_value
      - .offset:         416
        .size:           8
        .value_kind:     by_value
      - .offset:         424
        .size:           8
        .value_kind:     by_value
      - .offset:         432
        .size:           1
        .value_kind:     by_value
      - .offset:         440
        .size:           8
        .value_kind:     by_value
      - .offset:         448
        .size:           8
        .value_kind:     by_value
      - .offset:         456
        .size:           416
        .value_kind:     by_value
      - .offset:         872
        .size:           8
        .value_kind:     by_value
      - .offset:         880
        .size:           416
        .value_kind:     by_value
      - .offset:         1296
        .size:           8
        .value_kind:     by_value
      - .address_space:  global
        .offset:         1304
        .size:           8
        .value_kind:     global_buffer
      - .offset:         1312
        .size:           4
        .value_kind:     hidden_block_count_x
      - .offset:         1316
        .size:           4
        .value_kind:     hidden_block_count_y
      - .offset:         1320
        .size:           4
        .value_kind:     hidden_block_count_z
      - .offset:         1324
        .size:           2
        .value_kind:     hidden_group_size_x
      - .offset:         1326
        .size:           2
        .value_kind:     hidden_group_size_y
      - .offset:         1328
        .size:           2
        .value_kind:     hidden_group_size_z
      - .offset:         1330
        .size:           2
        .value_kind:     hidden_remainder_x
      - .offset:         1332
        .size:           2
        .value_kind:     hidden_remainder_y
      - .offset:         1334
        .size:           2
        .value_kind:     hidden_remainder_z
      - .offset:         1352
        .size:           8
        .value_kind:     hidden_global_offset_x
      - .offset:         1360
        .size:           8
        .value_kind:     hidden_global_offset_y
      - .offset:         1368
        .size:           8
        .value_kind:     hidden_global_offset_z
      - .offset:         1376
        .size:           2
        .value_kind:     hidden_grid_dims
    .group_segment_fixed_size: 5152
    .kernarg_segment_align: 8
    .kernarg_segment_size: 1568
    .language:       OpenCL C
    .language_version:
      - 2
      - 0
    .max_flat_workgroup_size: 1024
    .name:           _ZN2at6native6sbtopk10gatherTopKIamLi3ELb0EEEvNS_4cuda6detail10TensorInfoIKT_T0_EES8_S8_bS8_S8_NS5_IS6_S8_EES8_NS5_IlS8_EES8_PS6_
    .private_segment_fixed_size: 0
    .sgpr_count:     107
    .sgpr_spill_count: 9
    .symbol:         _ZN2at6native6sbtopk10gatherTopKIamLi3ELb0EEEvNS_4cuda6detail10TensorInfoIKT_T0_EES8_S8_bS8_S8_NS5_IS6_S8_EES8_NS5_IlS8_EES8_PS6_.kd
    .uniform_work_group_size: 1
    .uses_dynamic_stack: false
    .vgpr_count:     51
    .vgpr_spill_count: 0
    .wavefront_size: 32
    .workgroup_processor_mode: 1
  - .args:
      - .offset:         0
        .size:           416
        .value_kind:     by_value
      - .offset:         416
        .size:           4
        .value_kind:     by_value
      - .address_space:  global
        .offset:         424
        .size:           8
        .value_kind:     global_buffer
      - .offset:         432
        .size:           4
        .value_kind:     by_value
      - .offset:         440
        .size:           8
        .value_kind:     by_value
      - .offset:         448
        .size:           4
        .value_kind:     by_value
      - .offset:         452
        .size:           4
        .value_kind:     by_value
      - .offset:         456
        .size:           4
        .value_kind:     by_value
      - .offset:         460
        .size:           4
        .value_kind:     by_value
      - .address_space:  global
        .offset:         464
        .size:           8
        .value_kind:     global_buffer
      - .address_space:  global
        .offset:         472
        .size:           8
        .value_kind:     global_buffer
      - .offset:         480
        .size:           4
        .value_kind:     hidden_block_count_x
      - .offset:         484
        .size:           4
        .value_kind:     hidden_block_count_y
      - .offset:         488
        .size:           4
        .value_kind:     hidden_block_count_z
      - .offset:         492
        .size:           2
        .value_kind:     hidden_group_size_x
      - .offset:         494
        .size:           2
        .value_kind:     hidden_group_size_y
      - .offset:         496
        .size:           2
        .value_kind:     hidden_group_size_z
      - .offset:         498
        .size:           2
        .value_kind:     hidden_remainder_x
      - .offset:         500
        .size:           2
        .value_kind:     hidden_remainder_y
      - .offset:         502
        .size:           2
        .value_kind:     hidden_remainder_z
      - .offset:         520
        .size:           8
        .value_kind:     hidden_global_offset_x
      - .offset:         528
        .size:           8
        .value_kind:     hidden_global_offset_y
      - .offset:         536
        .size:           8
        .value_kind:     hidden_global_offset_z
      - .offset:         544
        .size:           2
        .value_kind:     hidden_grid_dims
    .group_segment_fixed_size: 1024
    .kernarg_segment_align: 8
    .kernarg_segment_size: 736
    .language:       OpenCL C
    .language_version:
      - 2
      - 0
    .max_flat_workgroup_size: 256
    .name:           _ZN2at6native6mbtopk23computeBlockDigitCountsIamjLin1EEEvNS_4cuda6detail10TensorInfoIKT_T0_EEjPjjS8_iijT1_PSB_Ps
    .private_segment_fixed_size: 0
    .sgpr_count:     30
    .sgpr_spill_count: 0
    .symbol:         _ZN2at6native6mbtopk23computeBlockDigitCountsIamjLin1EEEvNS_4cuda6detail10TensorInfoIKT_T0_EEjPjjS8_iijT1_PSB_Ps.kd
    .uniform_work_group_size: 1
    .uses_dynamic_stack: false
    .vgpr_count:     9
    .vgpr_spill_count: 0
    .wavefront_size: 32
    .workgroup_processor_mode: 1
  - .args:
      - .offset:         0
        .size:           416
        .value_kind:     by_value
      - .offset:         416
        .size:           8
        .value_kind:     by_value
      - .offset:         424
        .size:           8
        .value_kind:     by_value
      - .offset:         432
        .size:           1
        .value_kind:     by_value
      - .offset:         436
        .size:           4
        .value_kind:     by_value
      - .offset:         440
        .size:           8
        .value_kind:     by_value
      - .offset:         448
        .size:           416
        .value_kind:     by_value
      - .offset:         864
        .size:           8
        .value_kind:     by_value
      - .offset:         872
        .size:           416
        .value_kind:     by_value
      - .offset:         1288
        .size:           8
        .value_kind:     by_value
      - .offset:         1296
        .size:           4
        .value_kind:     by_value
      - .offset:         1300
        .size:           4
        .value_kind:     by_value
      - .address_space:  global
        .offset:         1304
        .size:           8
        .value_kind:     global_buffer
      - .address_space:  global
        .offset:         1312
        .size:           8
        .value_kind:     global_buffer
      - .address_space:  global
        .offset:         1320
        .size:           8
        .value_kind:     global_buffer
      - .offset:         1328
        .size:           4
        .value_kind:     by_value
      - .offset:         1336
        .size:           4
        .value_kind:     hidden_block_count_x
      - .offset:         1340
        .size:           4
        .value_kind:     hidden_block_count_y
      - .offset:         1344
        .size:           4
        .value_kind:     hidden_block_count_z
      - .offset:         1348
        .size:           2
        .value_kind:     hidden_group_size_x
      - .offset:         1350
        .size:           2
        .value_kind:     hidden_group_size_y
      - .offset:         1352
        .size:           2
        .value_kind:     hidden_group_size_z
      - .offset:         1354
        .size:           2
        .value_kind:     hidden_remainder_x
      - .offset:         1356
        .size:           2
        .value_kind:     hidden_remainder_y
      - .offset:         1358
        .size:           2
        .value_kind:     hidden_remainder_z
      - .offset:         1376
        .size:           8
        .value_kind:     hidden_global_offset_x
      - .offset:         1384
        .size:           8
        .value_kind:     hidden_global_offset_y
      - .offset:         1392
        .size:           8
        .value_kind:     hidden_global_offset_z
      - .offset:         1400
        .size:           2
        .value_kind:     hidden_grid_dims
    .group_segment_fixed_size: 1068
    .kernarg_segment_align: 8
    .kernarg_segment_size: 1592
    .language:       OpenCL C
    .language_version:
      - 2
      - 0
    .max_flat_workgroup_size: 256
    .name:           _ZN2at6native6mbtopk10gatherTopKIamLin1EEEvNS_4cuda6detail10TensorInfoIKT_T0_EES8_S8_bjS8_NS5_IS6_S8_EES8_NS5_IlS8_EES8_jjPS6_PjSD_j
    .private_segment_fixed_size: 0
    .sgpr_count:     55
    .sgpr_spill_count: 0
    .symbol:         _ZN2at6native6mbtopk10gatherTopKIamLin1EEEvNS_4cuda6detail10TensorInfoIKT_T0_EES8_S8_bjS8_NS5_IS6_S8_EES8_NS5_IlS8_EES8_jjPS6_PjSD_j.kd
    .uniform_work_group_size: 1
    .uses_dynamic_stack: false
    .vgpr_count:     27
    .vgpr_spill_count: 0
    .wavefront_size: 32
    .workgroup_processor_mode: 1
  - .args:
      - .offset:         0
        .size:           416
        .value_kind:     by_value
      - .offset:         416
        .size:           8
        .value_kind:     by_value
      - .offset:         424
        .size:           8
        .value_kind:     by_value
      - .offset:         432
        .size:           1
        .value_kind:     by_value
      - .offset:         440
        .size:           8
        .value_kind:     by_value
      - .offset:         448
        .size:           8
        .value_kind:     by_value
      - .offset:         456
        .size:           416
        .value_kind:     by_value
      - .offset:         872
        .size:           8
        .value_kind:     by_value
      - .offset:         880
        .size:           416
        .value_kind:     by_value
      - .offset:         1296
        .size:           8
        .value_kind:     by_value
      - .address_space:  global
        .offset:         1304
        .size:           8
        .value_kind:     global_buffer
      - .offset:         1312
        .size:           4
        .value_kind:     hidden_block_count_x
      - .offset:         1316
        .size:           4
        .value_kind:     hidden_block_count_y
      - .offset:         1320
        .size:           4
        .value_kind:     hidden_block_count_z
      - .offset:         1324
        .size:           2
        .value_kind:     hidden_group_size_x
      - .offset:         1326
        .size:           2
        .value_kind:     hidden_group_size_y
      - .offset:         1328
        .size:           2
        .value_kind:     hidden_group_size_z
      - .offset:         1330
        .size:           2
        .value_kind:     hidden_remainder_x
      - .offset:         1332
        .size:           2
        .value_kind:     hidden_remainder_y
      - .offset:         1334
        .size:           2
        .value_kind:     hidden_remainder_z
      - .offset:         1352
        .size:           8
        .value_kind:     hidden_global_offset_x
      - .offset:         1360
        .size:           8
        .value_kind:     hidden_global_offset_y
      - .offset:         1368
        .size:           8
        .value_kind:     hidden_global_offset_z
      - .offset:         1376
        .size:           2
        .value_kind:     hidden_grid_dims
    .group_segment_fixed_size: 5152
    .kernarg_segment_align: 8
    .kernarg_segment_size: 1568
    .language:       OpenCL C
    .language_version:
      - 2
      - 0
    .max_flat_workgroup_size: 1024
    .name:           _ZN2at6native6sbtopk10gatherTopKIamLin1ELb0EEEvNS_4cuda6detail10TensorInfoIKT_T0_EES8_S8_bS8_S8_NS5_IS6_S8_EES8_NS5_IlS8_EES8_PS6_
    .private_segment_fixed_size: 0
    .sgpr_count:     107
    .sgpr_spill_count: 16
    .symbol:         _ZN2at6native6sbtopk10gatherTopKIamLin1ELb0EEEvNS_4cuda6detail10TensorInfoIKT_T0_EES8_S8_bS8_S8_NS5_IS6_S8_EES8_NS5_IlS8_EES8_PS6_.kd
    .uniform_work_group_size: 1
    .uses_dynamic_stack: false
    .vgpr_count:     61
    .vgpr_spill_count: 0
    .wavefront_size: 32
    .workgroup_processor_mode: 1
  - .args:
      - .offset:         0
        .size:           416
        .value_kind:     by_value
      - .offset:         416
        .size:           4
        .value_kind:     by_value
      - .address_space:  global
        .offset:         424
        .size:           8
        .value_kind:     global_buffer
      - .offset:         432
        .size:           4
        .value_kind:     by_value
      - .offset:         440
        .size:           8
        .value_kind:     by_value
      - .offset:         448
        .size:           4
        .value_kind:     by_value
      - .offset:         452
        .size:           4
        .value_kind:     by_value
      - .offset:         456
        .size:           4
        .value_kind:     by_value
      - .offset:         460
        .size:           4
        .value_kind:     by_value
      - .address_space:  global
        .offset:         464
        .size:           8
        .value_kind:     global_buffer
      - .address_space:  global
        .offset:         472
        .size:           8
        .value_kind:     global_buffer
      - .offset:         480
        .size:           4
        .value_kind:     hidden_block_count_x
      - .offset:         484
        .size:           4
        .value_kind:     hidden_block_count_y
      - .offset:         488
        .size:           4
        .value_kind:     hidden_block_count_z
      - .offset:         492
        .size:           2
        .value_kind:     hidden_group_size_x
      - .offset:         494
        .size:           2
        .value_kind:     hidden_group_size_y
      - .offset:         496
        .size:           2
        .value_kind:     hidden_group_size_z
      - .offset:         498
        .size:           2
        .value_kind:     hidden_remainder_x
      - .offset:         500
        .size:           2
        .value_kind:     hidden_remainder_y
      - .offset:         502
        .size:           2
        .value_kind:     hidden_remainder_z
      - .offset:         520
        .size:           8
        .value_kind:     hidden_global_offset_x
      - .offset:         528
        .size:           8
        .value_kind:     hidden_global_offset_y
      - .offset:         536
        .size:           8
        .value_kind:     hidden_global_offset_z
      - .offset:         544
        .size:           2
        .value_kind:     hidden_grid_dims
    .group_segment_fixed_size: 1024
    .kernarg_segment_align: 8
    .kernarg_segment_size: 736
    .language:       OpenCL C
    .language_version:
      - 2
      - 0
    .max_flat_workgroup_size: 256
    .name:           _ZN2at6native6mbtopk23computeBlockDigitCountsIimjLi1EEEvNS_4cuda6detail10TensorInfoIKT_T0_EEjPjjS8_iijT1_PSB_Ps
    .private_segment_fixed_size: 0
    .sgpr_count:     24
    .sgpr_spill_count: 0
    .symbol:         _ZN2at6native6mbtopk23computeBlockDigitCountsIimjLi1EEEvNS_4cuda6detail10TensorInfoIKT_T0_EEjPjjS8_iijT1_PSB_Ps.kd
    .uniform_work_group_size: 1
    .uses_dynamic_stack: false
    .vgpr_count:     9
    .vgpr_spill_count: 0
    .wavefront_size: 32
    .workgroup_processor_mode: 1
  - .args:
      - .offset:         0
        .size:           416
        .value_kind:     by_value
      - .offset:         416
        .size:           8
        .value_kind:     by_value
      - .offset:         424
        .size:           8
        .value_kind:     by_value
      - .offset:         432
        .size:           1
        .value_kind:     by_value
      - .offset:         436
        .size:           4
        .value_kind:     by_value
      - .offset:         440
        .size:           8
        .value_kind:     by_value
      - .offset:         448
        .size:           416
        .value_kind:     by_value
      - .offset:         864
        .size:           8
        .value_kind:     by_value
      - .offset:         872
        .size:           416
        .value_kind:     by_value
      - .offset:         1288
        .size:           8
        .value_kind:     by_value
      - .offset:         1296
        .size:           4
        .value_kind:     by_value
      - .offset:         1300
        .size:           4
        .value_kind:     by_value
      - .address_space:  global
        .offset:         1304
        .size:           8
        .value_kind:     global_buffer
      - .address_space:  global
        .offset:         1312
        .size:           8
        .value_kind:     global_buffer
      - .address_space:  global
        .offset:         1320
        .size:           8
        .value_kind:     global_buffer
      - .offset:         1328
        .size:           4
        .value_kind:     by_value
      - .offset:         1336
        .size:           4
        .value_kind:     hidden_block_count_x
      - .offset:         1340
        .size:           4
        .value_kind:     hidden_block_count_y
      - .offset:         1344
        .size:           4
        .value_kind:     hidden_block_count_z
      - .offset:         1348
        .size:           2
        .value_kind:     hidden_group_size_x
      - .offset:         1350
        .size:           2
        .value_kind:     hidden_group_size_y
      - .offset:         1352
        .size:           2
        .value_kind:     hidden_group_size_z
      - .offset:         1354
        .size:           2
        .value_kind:     hidden_remainder_x
      - .offset:         1356
        .size:           2
        .value_kind:     hidden_remainder_y
      - .offset:         1358
        .size:           2
        .value_kind:     hidden_remainder_z
      - .offset:         1376
        .size:           8
        .value_kind:     hidden_global_offset_x
      - .offset:         1384
        .size:           8
        .value_kind:     hidden_global_offset_y
      - .offset:         1392
        .size:           8
        .value_kind:     hidden_global_offset_z
      - .offset:         1400
        .size:           2
        .value_kind:     hidden_grid_dims
    .group_segment_fixed_size: 1068
    .kernarg_segment_align: 8
    .kernarg_segment_size: 1592
    .language:       OpenCL C
    .language_version:
      - 2
      - 0
    .max_flat_workgroup_size: 256
    .name:           _ZN2at6native6mbtopk10gatherTopKIimLi1EEEvNS_4cuda6detail10TensorInfoIKT_T0_EES8_S8_bjS8_NS5_IS6_S8_EES8_NS5_IlS8_EES8_jjPS6_PjSD_j
    .private_segment_fixed_size: 0
    .sgpr_count:     44
    .sgpr_spill_count: 0
    .symbol:         _ZN2at6native6mbtopk10gatherTopKIimLi1EEEvNS_4cuda6detail10TensorInfoIKT_T0_EES8_S8_bjS8_NS5_IS6_S8_EES8_NS5_IlS8_EES8_jjPS6_PjSD_j.kd
    .uniform_work_group_size: 1
    .uses_dynamic_stack: false
    .vgpr_count:     24
    .vgpr_spill_count: 0
    .wavefront_size: 32
    .workgroup_processor_mode: 1
  - .args:
      - .offset:         0
        .size:           416
        .value_kind:     by_value
      - .offset:         416
        .size:           8
        .value_kind:     by_value
      - .offset:         424
        .size:           8
        .value_kind:     by_value
      - .offset:         432
        .size:           1
        .value_kind:     by_value
      - .offset:         440
        .size:           8
        .value_kind:     by_value
      - .offset:         448
        .size:           8
        .value_kind:     by_value
      - .offset:         456
        .size:           416
        .value_kind:     by_value
      - .offset:         872
        .size:           8
        .value_kind:     by_value
      - .offset:         880
        .size:           416
        .value_kind:     by_value
      - .offset:         1296
        .size:           8
        .value_kind:     by_value
      - .address_space:  global
        .offset:         1304
        .size:           8
        .value_kind:     global_buffer
      - .offset:         1312
        .size:           4
        .value_kind:     hidden_block_count_x
      - .offset:         1316
        .size:           4
        .value_kind:     hidden_block_count_y
      - .offset:         1320
        .size:           4
        .value_kind:     hidden_block_count_z
      - .offset:         1324
        .size:           2
        .value_kind:     hidden_group_size_x
      - .offset:         1326
        .size:           2
        .value_kind:     hidden_group_size_y
      - .offset:         1328
        .size:           2
        .value_kind:     hidden_group_size_z
      - .offset:         1330
        .size:           2
        .value_kind:     hidden_remainder_x
      - .offset:         1332
        .size:           2
        .value_kind:     hidden_remainder_y
      - .offset:         1334
        .size:           2
        .value_kind:     hidden_remainder_z
      - .offset:         1352
        .size:           8
        .value_kind:     hidden_global_offset_x
      - .offset:         1360
        .size:           8
        .value_kind:     hidden_global_offset_y
      - .offset:         1368
        .size:           8
        .value_kind:     hidden_global_offset_z
      - .offset:         1376
        .size:           2
        .value_kind:     hidden_grid_dims
    .group_segment_fixed_size: 5152
    .kernarg_segment_align: 8
    .kernarg_segment_size: 1568
    .language:       OpenCL C
    .language_version:
      - 2
      - 0
    .max_flat_workgroup_size: 1024
    .name:           _ZN2at6native6sbtopk10gatherTopKIimLi1ELb0EEEvNS_4cuda6detail10TensorInfoIKT_T0_EES8_S8_bS8_S8_NS5_IS6_S8_EES8_NS5_IlS8_EES8_PS6_
    .private_segment_fixed_size: 0
    .sgpr_count:     107
    .sgpr_spill_count: 6
    .symbol:         _ZN2at6native6sbtopk10gatherTopKIimLi1ELb0EEEvNS_4cuda6detail10TensorInfoIKT_T0_EES8_S8_bS8_S8_NS5_IS6_S8_EES8_NS5_IlS8_EES8_PS6_.kd
    .uniform_work_group_size: 1
    .uses_dynamic_stack: false
    .vgpr_count:     48
    .vgpr_spill_count: 0
    .wavefront_size: 32
    .workgroup_processor_mode: 1
  - .args:
      - .offset:         0
        .size:           416
        .value_kind:     by_value
      - .offset:         416
        .size:           4
        .value_kind:     by_value
      - .address_space:  global
        .offset:         424
        .size:           8
        .value_kind:     global_buffer
      - .offset:         432
        .size:           4
        .value_kind:     by_value
      - .offset:         440
        .size:           8
        .value_kind:     by_value
      - .offset:         448
        .size:           4
        .value_kind:     by_value
      - .offset:         452
        .size:           4
        .value_kind:     by_value
      - .offset:         456
        .size:           4
        .value_kind:     by_value
      - .offset:         460
        .size:           4
        .value_kind:     by_value
      - .address_space:  global
        .offset:         464
        .size:           8
        .value_kind:     global_buffer
      - .address_space:  global
        .offset:         472
        .size:           8
        .value_kind:     global_buffer
      - .offset:         480
        .size:           4
        .value_kind:     hidden_block_count_x
      - .offset:         484
        .size:           4
        .value_kind:     hidden_block_count_y
      - .offset:         488
        .size:           4
        .value_kind:     hidden_block_count_z
      - .offset:         492
        .size:           2
        .value_kind:     hidden_group_size_x
      - .offset:         494
        .size:           2
        .value_kind:     hidden_group_size_y
      - .offset:         496
        .size:           2
        .value_kind:     hidden_group_size_z
      - .offset:         498
        .size:           2
        .value_kind:     hidden_remainder_x
      - .offset:         500
        .size:           2
        .value_kind:     hidden_remainder_y
      - .offset:         502
        .size:           2
        .value_kind:     hidden_remainder_z
      - .offset:         520
        .size:           8
        .value_kind:     hidden_global_offset_x
      - .offset:         528
        .size:           8
        .value_kind:     hidden_global_offset_y
      - .offset:         536
        .size:           8
        .value_kind:     hidden_global_offset_z
      - .offset:         544
        .size:           2
        .value_kind:     hidden_grid_dims
    .group_segment_fixed_size: 1024
    .kernarg_segment_align: 8
    .kernarg_segment_size: 736
    .language:       OpenCL C
    .language_version:
      - 2
      - 0
    .max_flat_workgroup_size: 256
    .name:           _ZN2at6native6mbtopk23computeBlockDigitCountsIimjLi2EEEvNS_4cuda6detail10TensorInfoIKT_T0_EEjPjjS8_iijT1_PSB_Ps
    .private_segment_fixed_size: 0
    .sgpr_count:     27
    .sgpr_spill_count: 0
    .symbol:         _ZN2at6native6mbtopk23computeBlockDigitCountsIimjLi2EEEvNS_4cuda6detail10TensorInfoIKT_T0_EEjPjjS8_iijT1_PSB_Ps.kd
    .uniform_work_group_size: 1
    .uses_dynamic_stack: false
    .vgpr_count:     9
    .vgpr_spill_count: 0
    .wavefront_size: 32
    .workgroup_processor_mode: 1
  - .args:
      - .offset:         0
        .size:           416
        .value_kind:     by_value
      - .offset:         416
        .size:           8
        .value_kind:     by_value
      - .offset:         424
        .size:           8
        .value_kind:     by_value
      - .offset:         432
        .size:           1
        .value_kind:     by_value
      - .offset:         436
        .size:           4
        .value_kind:     by_value
      - .offset:         440
        .size:           8
        .value_kind:     by_value
      - .offset:         448
        .size:           416
        .value_kind:     by_value
      - .offset:         864
        .size:           8
        .value_kind:     by_value
      - .offset:         872
        .size:           416
        .value_kind:     by_value
      - .offset:         1288
        .size:           8
        .value_kind:     by_value
      - .offset:         1296
        .size:           4
        .value_kind:     by_value
      - .offset:         1300
        .size:           4
        .value_kind:     by_value
      - .address_space:  global
        .offset:         1304
        .size:           8
        .value_kind:     global_buffer
      - .address_space:  global
        .offset:         1312
        .size:           8
        .value_kind:     global_buffer
      - .address_space:  global
        .offset:         1320
        .size:           8
        .value_kind:     global_buffer
      - .offset:         1328
        .size:           4
        .value_kind:     by_value
      - .offset:         1336
        .size:           4
        .value_kind:     hidden_block_count_x
      - .offset:         1340
        .size:           4
        .value_kind:     hidden_block_count_y
      - .offset:         1344
        .size:           4
        .value_kind:     hidden_block_count_z
      - .offset:         1348
        .size:           2
        .value_kind:     hidden_group_size_x
      - .offset:         1350
        .size:           2
        .value_kind:     hidden_group_size_y
      - .offset:         1352
        .size:           2
        .value_kind:     hidden_group_size_z
      - .offset:         1354
        .size:           2
        .value_kind:     hidden_remainder_x
      - .offset:         1356
        .size:           2
        .value_kind:     hidden_remainder_y
      - .offset:         1358
        .size:           2
        .value_kind:     hidden_remainder_z
      - .offset:         1376
        .size:           8
        .value_kind:     hidden_global_offset_x
      - .offset:         1384
        .size:           8
        .value_kind:     hidden_global_offset_y
      - .offset:         1392
        .size:           8
        .value_kind:     hidden_global_offset_z
      - .offset:         1400
        .size:           2
        .value_kind:     hidden_grid_dims
    .group_segment_fixed_size: 1068
    .kernarg_segment_align: 8
    .kernarg_segment_size: 1592
    .language:       OpenCL C
    .language_version:
      - 2
      - 0
    .max_flat_workgroup_size: 256
    .name:           _ZN2at6native6mbtopk10gatherTopKIimLi2EEEvNS_4cuda6detail10TensorInfoIKT_T0_EES8_S8_bjS8_NS5_IS6_S8_EES8_NS5_IlS8_EES8_jjPS6_PjSD_j
    .private_segment_fixed_size: 0
    .sgpr_count:     54
    .sgpr_spill_count: 0
    .symbol:         _ZN2at6native6mbtopk10gatherTopKIimLi2EEEvNS_4cuda6detail10TensorInfoIKT_T0_EES8_S8_bjS8_NS5_IS6_S8_EES8_NS5_IlS8_EES8_jjPS6_PjSD_j.kd
    .uniform_work_group_size: 1
    .uses_dynamic_stack: false
    .vgpr_count:     24
    .vgpr_spill_count: 0
    .wavefront_size: 32
    .workgroup_processor_mode: 1
  - .args:
      - .offset:         0
        .size:           416
        .value_kind:     by_value
      - .offset:         416
        .size:           8
        .value_kind:     by_value
      - .offset:         424
        .size:           8
        .value_kind:     by_value
      - .offset:         432
        .size:           1
        .value_kind:     by_value
      - .offset:         440
        .size:           8
        .value_kind:     by_value
      - .offset:         448
        .size:           8
        .value_kind:     by_value
      - .offset:         456
        .size:           416
        .value_kind:     by_value
      - .offset:         872
        .size:           8
        .value_kind:     by_value
      - .offset:         880
        .size:           416
        .value_kind:     by_value
      - .offset:         1296
        .size:           8
        .value_kind:     by_value
      - .address_space:  global
        .offset:         1304
        .size:           8
        .value_kind:     global_buffer
      - .offset:         1312
        .size:           4
        .value_kind:     hidden_block_count_x
      - .offset:         1316
        .size:           4
        .value_kind:     hidden_block_count_y
      - .offset:         1320
        .size:           4
        .value_kind:     hidden_block_count_z
      - .offset:         1324
        .size:           2
        .value_kind:     hidden_group_size_x
      - .offset:         1326
        .size:           2
        .value_kind:     hidden_group_size_y
      - .offset:         1328
        .size:           2
        .value_kind:     hidden_group_size_z
      - .offset:         1330
        .size:           2
        .value_kind:     hidden_remainder_x
      - .offset:         1332
        .size:           2
        .value_kind:     hidden_remainder_y
      - .offset:         1334
        .size:           2
        .value_kind:     hidden_remainder_z
      - .offset:         1352
        .size:           8
        .value_kind:     hidden_global_offset_x
      - .offset:         1360
        .size:           8
        .value_kind:     hidden_global_offset_y
      - .offset:         1368
        .size:           8
        .value_kind:     hidden_global_offset_z
      - .offset:         1376
        .size:           2
        .value_kind:     hidden_grid_dims
    .group_segment_fixed_size: 5152
    .kernarg_segment_align: 8
    .kernarg_segment_size: 1568
    .language:       OpenCL C
    .language_version:
      - 2
      - 0
    .max_flat_workgroup_size: 1024
    .name:           _ZN2at6native6sbtopk10gatherTopKIimLi2ELb0EEEvNS_4cuda6detail10TensorInfoIKT_T0_EES8_S8_bS8_S8_NS5_IS6_S8_EES8_NS5_IlS8_EES8_PS6_
    .private_segment_fixed_size: 0
    .sgpr_count:     107
    .sgpr_spill_count: 2
    .symbol:         _ZN2at6native6sbtopk10gatherTopKIimLi2ELb0EEEvNS_4cuda6detail10TensorInfoIKT_T0_EES8_S8_bS8_S8_NS5_IS6_S8_EES8_NS5_IlS8_EES8_PS6_.kd
    .uniform_work_group_size: 1
    .uses_dynamic_stack: false
    .vgpr_count:     40
    .vgpr_spill_count: 0
    .wavefront_size: 32
    .workgroup_processor_mode: 1
  - .args:
      - .offset:         0
        .size:           416
        .value_kind:     by_value
      - .offset:         416
        .size:           4
        .value_kind:     by_value
      - .address_space:  global
        .offset:         424
        .size:           8
        .value_kind:     global_buffer
      - .offset:         432
        .size:           4
        .value_kind:     by_value
      - .offset:         440
        .size:           8
        .value_kind:     by_value
      - .offset:         448
        .size:           4
        .value_kind:     by_value
      - .offset:         452
        .size:           4
        .value_kind:     by_value
      - .offset:         456
        .size:           4
        .value_kind:     by_value
      - .offset:         460
        .size:           4
        .value_kind:     by_value
      - .address_space:  global
        .offset:         464
        .size:           8
        .value_kind:     global_buffer
      - .address_space:  global
        .offset:         472
        .size:           8
        .value_kind:     global_buffer
      - .offset:         480
        .size:           4
        .value_kind:     hidden_block_count_x
      - .offset:         484
        .size:           4
        .value_kind:     hidden_block_count_y
      - .offset:         488
        .size:           4
        .value_kind:     hidden_block_count_z
      - .offset:         492
        .size:           2
        .value_kind:     hidden_group_size_x
      - .offset:         494
        .size:           2
        .value_kind:     hidden_group_size_y
      - .offset:         496
        .size:           2
        .value_kind:     hidden_group_size_z
      - .offset:         498
        .size:           2
        .value_kind:     hidden_remainder_x
      - .offset:         500
        .size:           2
        .value_kind:     hidden_remainder_y
      - .offset:         502
        .size:           2
        .value_kind:     hidden_remainder_z
      - .offset:         520
        .size:           8
        .value_kind:     hidden_global_offset_x
      - .offset:         528
        .size:           8
        .value_kind:     hidden_global_offset_y
      - .offset:         536
        .size:           8
        .value_kind:     hidden_global_offset_z
      - .offset:         544
        .size:           2
        .value_kind:     hidden_grid_dims
    .group_segment_fixed_size: 1024
    .kernarg_segment_align: 8
    .kernarg_segment_size: 736
    .language:       OpenCL C
    .language_version:
      - 2
      - 0
    .max_flat_workgroup_size: 256
    .name:           _ZN2at6native6mbtopk23computeBlockDigitCountsIimjLi3EEEvNS_4cuda6detail10TensorInfoIKT_T0_EEjPjjS8_iijT1_PSB_Ps
    .private_segment_fixed_size: 0
    .sgpr_count:     34
    .sgpr_spill_count: 0
    .symbol:         _ZN2at6native6mbtopk23computeBlockDigitCountsIimjLi3EEEvNS_4cuda6detail10TensorInfoIKT_T0_EEjPjjS8_iijT1_PSB_Ps.kd
    .uniform_work_group_size: 1
    .uses_dynamic_stack: false
    .vgpr_count:     9
    .vgpr_spill_count: 0
    .wavefront_size: 32
    .workgroup_processor_mode: 1
  - .args:
      - .offset:         0
        .size:           416
        .value_kind:     by_value
      - .offset:         416
        .size:           8
        .value_kind:     by_value
      - .offset:         424
        .size:           8
        .value_kind:     by_value
      - .offset:         432
        .size:           1
        .value_kind:     by_value
      - .offset:         436
        .size:           4
        .value_kind:     by_value
      - .offset:         440
        .size:           8
        .value_kind:     by_value
      - .offset:         448
        .size:           416
        .value_kind:     by_value
      - .offset:         864
        .size:           8
        .value_kind:     by_value
      - .offset:         872
        .size:           416
        .value_kind:     by_value
      - .offset:         1288
        .size:           8
        .value_kind:     by_value
      - .offset:         1296
        .size:           4
        .value_kind:     by_value
      - .offset:         1300
        .size:           4
        .value_kind:     by_value
      - .address_space:  global
        .offset:         1304
        .size:           8
        .value_kind:     global_buffer
      - .address_space:  global
        .offset:         1312
        .size:           8
        .value_kind:     global_buffer
      - .address_space:  global
        .offset:         1320
        .size:           8
        .value_kind:     global_buffer
      - .offset:         1328
        .size:           4
        .value_kind:     by_value
      - .offset:         1336
        .size:           4
        .value_kind:     hidden_block_count_x
      - .offset:         1340
        .size:           4
        .value_kind:     hidden_block_count_y
      - .offset:         1344
        .size:           4
        .value_kind:     hidden_block_count_z
      - .offset:         1348
        .size:           2
        .value_kind:     hidden_group_size_x
      - .offset:         1350
        .size:           2
        .value_kind:     hidden_group_size_y
      - .offset:         1352
        .size:           2
        .value_kind:     hidden_group_size_z
      - .offset:         1354
        .size:           2
        .value_kind:     hidden_remainder_x
      - .offset:         1356
        .size:           2
        .value_kind:     hidden_remainder_y
      - .offset:         1358
        .size:           2
        .value_kind:     hidden_remainder_z
      - .offset:         1376
        .size:           8
        .value_kind:     hidden_global_offset_x
      - .offset:         1384
        .size:           8
        .value_kind:     hidden_global_offset_y
      - .offset:         1392
        .size:           8
        .value_kind:     hidden_global_offset_z
      - .offset:         1400
        .size:           2
        .value_kind:     hidden_grid_dims
    .group_segment_fixed_size: 1068
    .kernarg_segment_align: 8
    .kernarg_segment_size: 1592
    .language:       OpenCL C
    .language_version:
      - 2
      - 0
    .max_flat_workgroup_size: 256
    .name:           _ZN2at6native6mbtopk10gatherTopKIimLi3EEEvNS_4cuda6detail10TensorInfoIKT_T0_EES8_S8_bjS8_NS5_IS6_S8_EES8_NS5_IlS8_EES8_jjPS6_PjSD_j
    .private_segment_fixed_size: 0
    .sgpr_count:     77
    .sgpr_spill_count: 0
    .symbol:         _ZN2at6native6mbtopk10gatherTopKIimLi3EEEvNS_4cuda6detail10TensorInfoIKT_T0_EES8_S8_bjS8_NS5_IS6_S8_EES8_NS5_IlS8_EES8_jjPS6_PjSD_j.kd
    .uniform_work_group_size: 1
    .uses_dynamic_stack: false
    .vgpr_count:     24
    .vgpr_spill_count: 0
    .wavefront_size: 32
    .workgroup_processor_mode: 1
  - .args:
      - .offset:         0
        .size:           416
        .value_kind:     by_value
      - .offset:         416
        .size:           8
        .value_kind:     by_value
      - .offset:         424
        .size:           8
        .value_kind:     by_value
      - .offset:         432
        .size:           1
        .value_kind:     by_value
      - .offset:         440
        .size:           8
        .value_kind:     by_value
      - .offset:         448
        .size:           8
        .value_kind:     by_value
      - .offset:         456
        .size:           416
        .value_kind:     by_value
      - .offset:         872
        .size:           8
        .value_kind:     by_value
      - .offset:         880
        .size:           416
        .value_kind:     by_value
      - .offset:         1296
        .size:           8
        .value_kind:     by_value
      - .address_space:  global
        .offset:         1304
        .size:           8
        .value_kind:     global_buffer
      - .offset:         1312
        .size:           4
        .value_kind:     hidden_block_count_x
      - .offset:         1316
        .size:           4
        .value_kind:     hidden_block_count_y
      - .offset:         1320
        .size:           4
        .value_kind:     hidden_block_count_z
      - .offset:         1324
        .size:           2
        .value_kind:     hidden_group_size_x
      - .offset:         1326
        .size:           2
        .value_kind:     hidden_group_size_y
      - .offset:         1328
        .size:           2
        .value_kind:     hidden_group_size_z
      - .offset:         1330
        .size:           2
        .value_kind:     hidden_remainder_x
      - .offset:         1332
        .size:           2
        .value_kind:     hidden_remainder_y
      - .offset:         1334
        .size:           2
        .value_kind:     hidden_remainder_z
      - .offset:         1352
        .size:           8
        .value_kind:     hidden_global_offset_x
      - .offset:         1360
        .size:           8
        .value_kind:     hidden_global_offset_y
      - .offset:         1368
        .size:           8
        .value_kind:     hidden_global_offset_z
      - .offset:         1376
        .size:           2
        .value_kind:     hidden_grid_dims
    .group_segment_fixed_size: 5152
    .kernarg_segment_align: 8
    .kernarg_segment_size: 1568
    .language:       OpenCL C
    .language_version:
      - 2
      - 0
    .max_flat_workgroup_size: 1024
    .name:           _ZN2at6native6sbtopk10gatherTopKIimLi3ELb0EEEvNS_4cuda6detail10TensorInfoIKT_T0_EES8_S8_bS8_S8_NS5_IS6_S8_EES8_NS5_IlS8_EES8_PS6_
    .private_segment_fixed_size: 0
    .sgpr_count:     107
    .sgpr_spill_count: 6
    .symbol:         _ZN2at6native6sbtopk10gatherTopKIimLi3ELb0EEEvNS_4cuda6detail10TensorInfoIKT_T0_EES8_S8_bS8_S8_NS5_IS6_S8_EES8_NS5_IlS8_EES8_PS6_.kd
    .uniform_work_group_size: 1
    .uses_dynamic_stack: false
    .vgpr_count:     40
    .vgpr_spill_count: 0
    .wavefront_size: 32
    .workgroup_processor_mode: 1
  - .args:
      - .offset:         0
        .size:           416
        .value_kind:     by_value
      - .offset:         416
        .size:           4
        .value_kind:     by_value
      - .address_space:  global
        .offset:         424
        .size:           8
        .value_kind:     global_buffer
      - .offset:         432
        .size:           4
        .value_kind:     by_value
      - .offset:         440
        .size:           8
        .value_kind:     by_value
      - .offset:         448
        .size:           4
        .value_kind:     by_value
      - .offset:         452
        .size:           4
        .value_kind:     by_value
      - .offset:         456
        .size:           4
        .value_kind:     by_value
      - .offset:         460
        .size:           4
        .value_kind:     by_value
      - .address_space:  global
        .offset:         464
        .size:           8
        .value_kind:     global_buffer
      - .address_space:  global
        .offset:         472
        .size:           8
        .value_kind:     global_buffer
      - .offset:         480
        .size:           4
        .value_kind:     hidden_block_count_x
      - .offset:         484
        .size:           4
        .value_kind:     hidden_block_count_y
      - .offset:         488
        .size:           4
        .value_kind:     hidden_block_count_z
      - .offset:         492
        .size:           2
        .value_kind:     hidden_group_size_x
      - .offset:         494
        .size:           2
        .value_kind:     hidden_group_size_y
      - .offset:         496
        .size:           2
        .value_kind:     hidden_group_size_z
      - .offset:         498
        .size:           2
        .value_kind:     hidden_remainder_x
      - .offset:         500
        .size:           2
        .value_kind:     hidden_remainder_y
      - .offset:         502
        .size:           2
        .value_kind:     hidden_remainder_z
      - .offset:         520
        .size:           8
        .value_kind:     hidden_global_offset_x
      - .offset:         528
        .size:           8
        .value_kind:     hidden_global_offset_y
      - .offset:         536
        .size:           8
        .value_kind:     hidden_global_offset_z
      - .offset:         544
        .size:           2
        .value_kind:     hidden_grid_dims
    .group_segment_fixed_size: 1024
    .kernarg_segment_align: 8
    .kernarg_segment_size: 736
    .language:       OpenCL C
    .language_version:
      - 2
      - 0
    .max_flat_workgroup_size: 256
    .name:           _ZN2at6native6mbtopk23computeBlockDigitCountsIimjLin1EEEvNS_4cuda6detail10TensorInfoIKT_T0_EEjPjjS8_iijT1_PSB_Ps
    .private_segment_fixed_size: 0
    .sgpr_count:     30
    .sgpr_spill_count: 0
    .symbol:         _ZN2at6native6mbtopk23computeBlockDigitCountsIimjLin1EEEvNS_4cuda6detail10TensorInfoIKT_T0_EEjPjjS8_iijT1_PSB_Ps.kd
    .uniform_work_group_size: 1
    .uses_dynamic_stack: false
    .vgpr_count:     9
    .vgpr_spill_count: 0
    .wavefront_size: 32
    .workgroup_processor_mode: 1
  - .args:
      - .offset:         0
        .size:           416
        .value_kind:     by_value
      - .offset:         416
        .size:           8
        .value_kind:     by_value
      - .offset:         424
        .size:           8
        .value_kind:     by_value
      - .offset:         432
        .size:           1
        .value_kind:     by_value
      - .offset:         436
        .size:           4
        .value_kind:     by_value
      - .offset:         440
        .size:           8
        .value_kind:     by_value
      - .offset:         448
        .size:           416
        .value_kind:     by_value
      - .offset:         864
        .size:           8
        .value_kind:     by_value
      - .offset:         872
        .size:           416
        .value_kind:     by_value
      - .offset:         1288
        .size:           8
        .value_kind:     by_value
      - .offset:         1296
        .size:           4
        .value_kind:     by_value
      - .offset:         1300
        .size:           4
        .value_kind:     by_value
      - .address_space:  global
        .offset:         1304
        .size:           8
        .value_kind:     global_buffer
      - .address_space:  global
        .offset:         1312
        .size:           8
        .value_kind:     global_buffer
      - .address_space:  global
        .offset:         1320
        .size:           8
        .value_kind:     global_buffer
      - .offset:         1328
        .size:           4
        .value_kind:     by_value
      - .offset:         1336
        .size:           4
        .value_kind:     hidden_block_count_x
      - .offset:         1340
        .size:           4
        .value_kind:     hidden_block_count_y
      - .offset:         1344
        .size:           4
        .value_kind:     hidden_block_count_z
      - .offset:         1348
        .size:           2
        .value_kind:     hidden_group_size_x
      - .offset:         1350
        .size:           2
        .value_kind:     hidden_group_size_y
      - .offset:         1352
        .size:           2
        .value_kind:     hidden_group_size_z
      - .offset:         1354
        .size:           2
        .value_kind:     hidden_remainder_x
      - .offset:         1356
        .size:           2
        .value_kind:     hidden_remainder_y
      - .offset:         1358
        .size:           2
        .value_kind:     hidden_remainder_z
      - .offset:         1376
        .size:           8
        .value_kind:     hidden_global_offset_x
      - .offset:         1384
        .size:           8
        .value_kind:     hidden_global_offset_y
      - .offset:         1392
        .size:           8
        .value_kind:     hidden_global_offset_z
      - .offset:         1400
        .size:           2
        .value_kind:     hidden_grid_dims
    .group_segment_fixed_size: 1068
    .kernarg_segment_align: 8
    .kernarg_segment_size: 1592
    .language:       OpenCL C
    .language_version:
      - 2
      - 0
    .max_flat_workgroup_size: 256
    .name:           _ZN2at6native6mbtopk10gatherTopKIimLin1EEEvNS_4cuda6detail10TensorInfoIKT_T0_EES8_S8_bjS8_NS5_IS6_S8_EES8_NS5_IlS8_EES8_jjPS6_PjSD_j
    .private_segment_fixed_size: 0
    .sgpr_count:     56
    .sgpr_spill_count: 0
    .symbol:         _ZN2at6native6mbtopk10gatherTopKIimLin1EEEvNS_4cuda6detail10TensorInfoIKT_T0_EES8_S8_bjS8_NS5_IS6_S8_EES8_NS5_IlS8_EES8_jjPS6_PjSD_j.kd
    .uniform_work_group_size: 1
    .uses_dynamic_stack: false
    .vgpr_count:     24
    .vgpr_spill_count: 0
    .wavefront_size: 32
    .workgroup_processor_mode: 1
  - .args:
      - .offset:         0
        .size:           416
        .value_kind:     by_value
      - .offset:         416
        .size:           8
        .value_kind:     by_value
      - .offset:         424
        .size:           8
        .value_kind:     by_value
      - .offset:         432
        .size:           1
        .value_kind:     by_value
      - .offset:         440
        .size:           8
        .value_kind:     by_value
      - .offset:         448
        .size:           8
        .value_kind:     by_value
      - .offset:         456
        .size:           416
        .value_kind:     by_value
      - .offset:         872
        .size:           8
        .value_kind:     by_value
      - .offset:         880
        .size:           416
        .value_kind:     by_value
      - .offset:         1296
        .size:           8
        .value_kind:     by_value
      - .address_space:  global
        .offset:         1304
        .size:           8
        .value_kind:     global_buffer
      - .offset:         1312
        .size:           4
        .value_kind:     hidden_block_count_x
      - .offset:         1316
        .size:           4
        .value_kind:     hidden_block_count_y
      - .offset:         1320
        .size:           4
        .value_kind:     hidden_block_count_z
      - .offset:         1324
        .size:           2
        .value_kind:     hidden_group_size_x
      - .offset:         1326
        .size:           2
        .value_kind:     hidden_group_size_y
      - .offset:         1328
        .size:           2
        .value_kind:     hidden_group_size_z
      - .offset:         1330
        .size:           2
        .value_kind:     hidden_remainder_x
      - .offset:         1332
        .size:           2
        .value_kind:     hidden_remainder_y
      - .offset:         1334
        .size:           2
        .value_kind:     hidden_remainder_z
      - .offset:         1352
        .size:           8
        .value_kind:     hidden_global_offset_x
      - .offset:         1360
        .size:           8
        .value_kind:     hidden_global_offset_y
      - .offset:         1368
        .size:           8
        .value_kind:     hidden_global_offset_z
      - .offset:         1376
        .size:           2
        .value_kind:     hidden_grid_dims
    .group_segment_fixed_size: 5152
    .kernarg_segment_align: 8
    .kernarg_segment_size: 1568
    .language:       OpenCL C
    .language_version:
      - 2
      - 0
    .max_flat_workgroup_size: 1024
    .name:           _ZN2at6native6sbtopk10gatherTopKIimLin1ELb0EEEvNS_4cuda6detail10TensorInfoIKT_T0_EES8_S8_bS8_S8_NS5_IS6_S8_EES8_NS5_IlS8_EES8_PS6_
    .private_segment_fixed_size: 0
    .sgpr_count:     107
    .sgpr_spill_count: 13
    .symbol:         _ZN2at6native6sbtopk10gatherTopKIimLin1ELb0EEEvNS_4cuda6detail10TensorInfoIKT_T0_EES8_S8_bS8_S8_NS5_IS6_S8_EES8_NS5_IlS8_EES8_PS6_.kd
    .uniform_work_group_size: 1
    .uses_dynamic_stack: false
    .vgpr_count:     50
    .vgpr_spill_count: 0
    .wavefront_size: 32
    .workgroup_processor_mode: 1
  - .args:
      - .offset:         0
        .size:           416
        .value_kind:     by_value
      - .offset:         416
        .size:           4
        .value_kind:     by_value
      - .address_space:  global
        .offset:         424
        .size:           8
        .value_kind:     global_buffer
      - .offset:         432
        .size:           4
        .value_kind:     by_value
      - .offset:         440
        .size:           8
        .value_kind:     by_value
      - .offset:         448
        .size:           4
        .value_kind:     by_value
      - .offset:         452
        .size:           4
        .value_kind:     by_value
      - .offset:         456
        .size:           4
        .value_kind:     by_value
      - .offset:         464
        .size:           8
        .value_kind:     by_value
      - .address_space:  global
        .offset:         472
        .size:           8
        .value_kind:     global_buffer
      - .address_space:  global
        .offset:         480
        .size:           8
        .value_kind:     global_buffer
      - .offset:         488
        .size:           4
        .value_kind:     hidden_block_count_x
      - .offset:         492
        .size:           4
        .value_kind:     hidden_block_count_y
      - .offset:         496
        .size:           4
        .value_kind:     hidden_block_count_z
      - .offset:         500
        .size:           2
        .value_kind:     hidden_group_size_x
      - .offset:         502
        .size:           2
        .value_kind:     hidden_group_size_y
      - .offset:         504
        .size:           2
        .value_kind:     hidden_group_size_z
      - .offset:         506
        .size:           2
        .value_kind:     hidden_remainder_x
      - .offset:         508
        .size:           2
        .value_kind:     hidden_remainder_y
      - .offset:         510
        .size:           2
        .value_kind:     hidden_remainder_z
      - .offset:         528
        .size:           8
        .value_kind:     hidden_global_offset_x
      - .offset:         536
        .size:           8
        .value_kind:     hidden_global_offset_y
      - .offset:         544
        .size:           8
        .value_kind:     hidden_global_offset_z
      - .offset:         552
        .size:           2
        .value_kind:     hidden_grid_dims
    .group_segment_fixed_size: 1024
    .kernarg_segment_align: 8
    .kernarg_segment_size: 744
    .language:       OpenCL C
    .language_version:
      - 2
      - 0
    .max_flat_workgroup_size: 256
    .name:           _ZN2at6native6mbtopk23computeBlockDigitCountsIlmmLi1EEEvNS_4cuda6detail10TensorInfoIKT_T0_EEjPjjS8_iijT1_PSB_Ps
    .private_segment_fixed_size: 0
    .sgpr_count:     24
    .sgpr_spill_count: 0
    .symbol:         _ZN2at6native6mbtopk23computeBlockDigitCountsIlmmLi1EEEvNS_4cuda6detail10TensorInfoIKT_T0_EEjPjjS8_iijT1_PSB_Ps.kd
    .uniform_work_group_size: 1
    .uses_dynamic_stack: false
    .vgpr_count:     11
    .vgpr_spill_count: 0
    .wavefront_size: 32
    .workgroup_processor_mode: 1
  - .args:
      - .offset:         0
        .size:           416
        .value_kind:     by_value
      - .offset:         416
        .size:           8
        .value_kind:     by_value
      - .offset:         424
        .size:           8
        .value_kind:     by_value
      - .offset:         432
        .size:           1
        .value_kind:     by_value
      - .offset:         436
        .size:           4
        .value_kind:     by_value
      - .offset:         440
        .size:           8
        .value_kind:     by_value
      - .offset:         448
        .size:           416
        .value_kind:     by_value
      - .offset:         864
        .size:           8
        .value_kind:     by_value
      - .offset:         872
        .size:           416
        .value_kind:     by_value
      - .offset:         1288
        .size:           8
        .value_kind:     by_value
      - .offset:         1296
        .size:           4
        .value_kind:     by_value
      - .offset:         1300
        .size:           4
        .value_kind:     by_value
      - .address_space:  global
        .offset:         1304
        .size:           8
        .value_kind:     global_buffer
      - .address_space:  global
        .offset:         1312
        .size:           8
        .value_kind:     global_buffer
      - .address_space:  global
        .offset:         1320
        .size:           8
        .value_kind:     global_buffer
      - .offset:         1328
        .size:           4
        .value_kind:     by_value
      - .offset:         1336
        .size:           4
        .value_kind:     hidden_block_count_x
      - .offset:         1340
        .size:           4
        .value_kind:     hidden_block_count_y
      - .offset:         1344
        .size:           4
        .value_kind:     hidden_block_count_z
      - .offset:         1348
        .size:           2
        .value_kind:     hidden_group_size_x
      - .offset:         1350
        .size:           2
        .value_kind:     hidden_group_size_y
      - .offset:         1352
        .size:           2
        .value_kind:     hidden_group_size_z
      - .offset:         1354
        .size:           2
        .value_kind:     hidden_remainder_x
      - .offset:         1356
        .size:           2
        .value_kind:     hidden_remainder_y
      - .offset:         1358
        .size:           2
        .value_kind:     hidden_remainder_z
      - .offset:         1376
        .size:           8
        .value_kind:     hidden_global_offset_x
      - .offset:         1384
        .size:           8
        .value_kind:     hidden_global_offset_y
      - .offset:         1392
        .size:           8
        .value_kind:     hidden_global_offset_z
      - .offset:         1400
        .size:           2
        .value_kind:     hidden_grid_dims
    .group_segment_fixed_size: 1068
    .kernarg_segment_align: 8
    .kernarg_segment_size: 1592
    .language:       OpenCL C
    .language_version:
      - 2
      - 0
    .max_flat_workgroup_size: 256
    .name:           _ZN2at6native6mbtopk10gatherTopKIlmLi1EEEvNS_4cuda6detail10TensorInfoIKT_T0_EES8_S8_bjS8_NS5_IS6_S8_EES8_NS5_IlS8_EES8_jjPS6_PjSD_j
    .private_segment_fixed_size: 0
    .sgpr_count:     45
    .sgpr_spill_count: 0
    .symbol:         _ZN2at6native6mbtopk10gatherTopKIlmLi1EEEvNS_4cuda6detail10TensorInfoIKT_T0_EES8_S8_bjS8_NS5_IS6_S8_EES8_NS5_IlS8_EES8_jjPS6_PjSD_j.kd
    .uniform_work_group_size: 1
    .uses_dynamic_stack: false
    .vgpr_count:     25
    .vgpr_spill_count: 0
    .wavefront_size: 32
    .workgroup_processor_mode: 1
  - .args:
      - .offset:         0
        .size:           416
        .value_kind:     by_value
      - .offset:         416
        .size:           8
        .value_kind:     by_value
      - .offset:         424
        .size:           8
        .value_kind:     by_value
      - .offset:         432
        .size:           1
        .value_kind:     by_value
      - .offset:         440
        .size:           8
        .value_kind:     by_value
      - .offset:         448
        .size:           8
        .value_kind:     by_value
      - .offset:         456
        .size:           416
        .value_kind:     by_value
      - .offset:         872
        .size:           8
        .value_kind:     by_value
      - .offset:         880
        .size:           416
        .value_kind:     by_value
      - .offset:         1296
        .size:           8
        .value_kind:     by_value
      - .address_space:  global
        .offset:         1304
        .size:           8
        .value_kind:     global_buffer
      - .offset:         1312
        .size:           4
        .value_kind:     hidden_block_count_x
      - .offset:         1316
        .size:           4
        .value_kind:     hidden_block_count_y
      - .offset:         1320
        .size:           4
        .value_kind:     hidden_block_count_z
      - .offset:         1324
        .size:           2
        .value_kind:     hidden_group_size_x
      - .offset:         1326
        .size:           2
        .value_kind:     hidden_group_size_y
      - .offset:         1328
        .size:           2
        .value_kind:     hidden_group_size_z
      - .offset:         1330
        .size:           2
        .value_kind:     hidden_remainder_x
      - .offset:         1332
        .size:           2
        .value_kind:     hidden_remainder_y
      - .offset:         1334
        .size:           2
        .value_kind:     hidden_remainder_z
      - .offset:         1352
        .size:           8
        .value_kind:     hidden_global_offset_x
      - .offset:         1360
        .size:           8
        .value_kind:     hidden_global_offset_y
      - .offset:         1368
        .size:           8
        .value_kind:     hidden_global_offset_z
      - .offset:         1376
        .size:           2
        .value_kind:     hidden_grid_dims
    .group_segment_fixed_size: 5152
    .kernarg_segment_align: 8
    .kernarg_segment_size: 1568
    .language:       OpenCL C
    .language_version:
      - 2
      - 0
    .max_flat_workgroup_size: 1024
    .name:           _ZN2at6native6sbtopk10gatherTopKIlmLi1ELb0EEEvNS_4cuda6detail10TensorInfoIKT_T0_EES8_S8_bS8_S8_NS5_IS6_S8_EES8_NS5_IlS8_EES8_PS6_
    .private_segment_fixed_size: 0
    .sgpr_count:     107
    .sgpr_spill_count: 6
    .symbol:         _ZN2at6native6sbtopk10gatherTopKIlmLi1ELb0EEEvNS_4cuda6detail10TensorInfoIKT_T0_EES8_S8_bS8_S8_NS5_IS6_S8_EES8_NS5_IlS8_EES8_PS6_.kd
    .uniform_work_group_size: 1
    .uses_dynamic_stack: false
    .vgpr_count:     60
    .vgpr_spill_count: 0
    .wavefront_size: 32
    .workgroup_processor_mode: 1
  - .args:
      - .offset:         0
        .size:           416
        .value_kind:     by_value
      - .offset:         416
        .size:           4
        .value_kind:     by_value
      - .address_space:  global
        .offset:         424
        .size:           8
        .value_kind:     global_buffer
      - .offset:         432
        .size:           4
        .value_kind:     by_value
      - .offset:         440
        .size:           8
        .value_kind:     by_value
      - .offset:         448
        .size:           4
        .value_kind:     by_value
      - .offset:         452
        .size:           4
        .value_kind:     by_value
      - .offset:         456
        .size:           4
        .value_kind:     by_value
      - .offset:         464
        .size:           8
        .value_kind:     by_value
      - .address_space:  global
        .offset:         472
        .size:           8
        .value_kind:     global_buffer
      - .address_space:  global
        .offset:         480
        .size:           8
        .value_kind:     global_buffer
      - .offset:         488
        .size:           4
        .value_kind:     hidden_block_count_x
      - .offset:         492
        .size:           4
        .value_kind:     hidden_block_count_y
      - .offset:         496
        .size:           4
        .value_kind:     hidden_block_count_z
      - .offset:         500
        .size:           2
        .value_kind:     hidden_group_size_x
      - .offset:         502
        .size:           2
        .value_kind:     hidden_group_size_y
      - .offset:         504
        .size:           2
        .value_kind:     hidden_group_size_z
      - .offset:         506
        .size:           2
        .value_kind:     hidden_remainder_x
      - .offset:         508
        .size:           2
        .value_kind:     hidden_remainder_y
      - .offset:         510
        .size:           2
        .value_kind:     hidden_remainder_z
      - .offset:         528
        .size:           8
        .value_kind:     hidden_global_offset_x
      - .offset:         536
        .size:           8
        .value_kind:     hidden_global_offset_y
      - .offset:         544
        .size:           8
        .value_kind:     hidden_global_offset_z
      - .offset:         552
        .size:           2
        .value_kind:     hidden_grid_dims
    .group_segment_fixed_size: 1024
    .kernarg_segment_align: 8
    .kernarg_segment_size: 744
    .language:       OpenCL C
    .language_version:
      - 2
      - 0
    .max_flat_workgroup_size: 256
    .name:           _ZN2at6native6mbtopk23computeBlockDigitCountsIlmmLi2EEEvNS_4cuda6detail10TensorInfoIKT_T0_EEjPjjS8_iijT1_PSB_Ps
    .private_segment_fixed_size: 0
    .sgpr_count:     29
    .sgpr_spill_count: 0
    .symbol:         _ZN2at6native6mbtopk23computeBlockDigitCountsIlmmLi2EEEvNS_4cuda6detail10TensorInfoIKT_T0_EEjPjjS8_iijT1_PSB_Ps.kd
    .uniform_work_group_size: 1
    .uses_dynamic_stack: false
    .vgpr_count:     11
    .vgpr_spill_count: 0
    .wavefront_size: 32
    .workgroup_processor_mode: 1
  - .args:
      - .offset:         0
        .size:           416
        .value_kind:     by_value
      - .offset:         416
        .size:           8
        .value_kind:     by_value
      - .offset:         424
        .size:           8
        .value_kind:     by_value
      - .offset:         432
        .size:           1
        .value_kind:     by_value
      - .offset:         436
        .size:           4
        .value_kind:     by_value
      - .offset:         440
        .size:           8
        .value_kind:     by_value
      - .offset:         448
        .size:           416
        .value_kind:     by_value
      - .offset:         864
        .size:           8
        .value_kind:     by_value
      - .offset:         872
        .size:           416
        .value_kind:     by_value
      - .offset:         1288
        .size:           8
        .value_kind:     by_value
      - .offset:         1296
        .size:           4
        .value_kind:     by_value
      - .offset:         1300
        .size:           4
        .value_kind:     by_value
      - .address_space:  global
        .offset:         1304
        .size:           8
        .value_kind:     global_buffer
      - .address_space:  global
        .offset:         1312
        .size:           8
        .value_kind:     global_buffer
      - .address_space:  global
        .offset:         1320
        .size:           8
        .value_kind:     global_buffer
      - .offset:         1328
        .size:           4
        .value_kind:     by_value
      - .offset:         1336
        .size:           4
        .value_kind:     hidden_block_count_x
      - .offset:         1340
        .size:           4
        .value_kind:     hidden_block_count_y
      - .offset:         1344
        .size:           4
        .value_kind:     hidden_block_count_z
      - .offset:         1348
        .size:           2
        .value_kind:     hidden_group_size_x
      - .offset:         1350
        .size:           2
        .value_kind:     hidden_group_size_y
      - .offset:         1352
        .size:           2
        .value_kind:     hidden_group_size_z
      - .offset:         1354
        .size:           2
        .value_kind:     hidden_remainder_x
      - .offset:         1356
        .size:           2
        .value_kind:     hidden_remainder_y
      - .offset:         1358
        .size:           2
        .value_kind:     hidden_remainder_z
      - .offset:         1376
        .size:           8
        .value_kind:     hidden_global_offset_x
      - .offset:         1384
        .size:           8
        .value_kind:     hidden_global_offset_y
      - .offset:         1392
        .size:           8
        .value_kind:     hidden_global_offset_z
      - .offset:         1400
        .size:           2
        .value_kind:     hidden_grid_dims
    .group_segment_fixed_size: 1068
    .kernarg_segment_align: 8
    .kernarg_segment_size: 1592
    .language:       OpenCL C
    .language_version:
      - 2
      - 0
    .max_flat_workgroup_size: 256
    .name:           _ZN2at6native6mbtopk10gatherTopKIlmLi2EEEvNS_4cuda6detail10TensorInfoIKT_T0_EES8_S8_bjS8_NS5_IS6_S8_EES8_NS5_IlS8_EES8_jjPS6_PjSD_j
    .private_segment_fixed_size: 0
    .sgpr_count:     55
    .sgpr_spill_count: 0
    .symbol:         _ZN2at6native6mbtopk10gatherTopKIlmLi2EEEvNS_4cuda6detail10TensorInfoIKT_T0_EES8_S8_bjS8_NS5_IS6_S8_EES8_NS5_IlS8_EES8_jjPS6_PjSD_j.kd
    .uniform_work_group_size: 1
    .uses_dynamic_stack: false
    .vgpr_count:     25
    .vgpr_spill_count: 0
    .wavefront_size: 32
    .workgroup_processor_mode: 1
  - .args:
      - .offset:         0
        .size:           416
        .value_kind:     by_value
      - .offset:         416
        .size:           8
        .value_kind:     by_value
      - .offset:         424
        .size:           8
        .value_kind:     by_value
      - .offset:         432
        .size:           1
        .value_kind:     by_value
      - .offset:         440
        .size:           8
        .value_kind:     by_value
      - .offset:         448
        .size:           8
        .value_kind:     by_value
      - .offset:         456
        .size:           416
        .value_kind:     by_value
      - .offset:         872
        .size:           8
        .value_kind:     by_value
      - .offset:         880
        .size:           416
        .value_kind:     by_value
      - .offset:         1296
        .size:           8
        .value_kind:     by_value
      - .address_space:  global
        .offset:         1304
        .size:           8
        .value_kind:     global_buffer
      - .offset:         1312
        .size:           4
        .value_kind:     hidden_block_count_x
      - .offset:         1316
        .size:           4
        .value_kind:     hidden_block_count_y
      - .offset:         1320
        .size:           4
        .value_kind:     hidden_block_count_z
      - .offset:         1324
        .size:           2
        .value_kind:     hidden_group_size_x
      - .offset:         1326
        .size:           2
        .value_kind:     hidden_group_size_y
      - .offset:         1328
        .size:           2
        .value_kind:     hidden_group_size_z
      - .offset:         1330
        .size:           2
        .value_kind:     hidden_remainder_x
      - .offset:         1332
        .size:           2
        .value_kind:     hidden_remainder_y
      - .offset:         1334
        .size:           2
        .value_kind:     hidden_remainder_z
      - .offset:         1352
        .size:           8
        .value_kind:     hidden_global_offset_x
      - .offset:         1360
        .size:           8
        .value_kind:     hidden_global_offset_y
      - .offset:         1368
        .size:           8
        .value_kind:     hidden_global_offset_z
      - .offset:         1376
        .size:           2
        .value_kind:     hidden_grid_dims
    .group_segment_fixed_size: 5152
    .kernarg_segment_align: 8
    .kernarg_segment_size: 1568
    .language:       OpenCL C
    .language_version:
      - 2
      - 0
    .max_flat_workgroup_size: 1024
    .name:           _ZN2at6native6sbtopk10gatherTopKIlmLi2ELb0EEEvNS_4cuda6detail10TensorInfoIKT_T0_EES8_S8_bS8_S8_NS5_IS6_S8_EES8_NS5_IlS8_EES8_PS6_
    .private_segment_fixed_size: 0
    .sgpr_count:     107
    .sgpr_spill_count: 4
    .symbol:         _ZN2at6native6sbtopk10gatherTopKIlmLi2ELb0EEEvNS_4cuda6detail10TensorInfoIKT_T0_EES8_S8_bS8_S8_NS5_IS6_S8_EES8_NS5_IlS8_EES8_PS6_.kd
    .uniform_work_group_size: 1
    .uses_dynamic_stack: false
    .vgpr_count:     52
    .vgpr_spill_count: 0
    .wavefront_size: 32
    .workgroup_processor_mode: 1
  - .args:
      - .offset:         0
        .size:           416
        .value_kind:     by_value
      - .offset:         416
        .size:           4
        .value_kind:     by_value
      - .address_space:  global
        .offset:         424
        .size:           8
        .value_kind:     global_buffer
      - .offset:         432
        .size:           4
        .value_kind:     by_value
      - .offset:         440
        .size:           8
        .value_kind:     by_value
      - .offset:         448
        .size:           4
        .value_kind:     by_value
      - .offset:         452
        .size:           4
        .value_kind:     by_value
      - .offset:         456
        .size:           4
        .value_kind:     by_value
      - .offset:         464
        .size:           8
        .value_kind:     by_value
      - .address_space:  global
        .offset:         472
        .size:           8
        .value_kind:     global_buffer
      - .address_space:  global
        .offset:         480
        .size:           8
        .value_kind:     global_buffer
      - .offset:         488
        .size:           4
        .value_kind:     hidden_block_count_x
      - .offset:         492
        .size:           4
        .value_kind:     hidden_block_count_y
      - .offset:         496
        .size:           4
        .value_kind:     hidden_block_count_z
      - .offset:         500
        .size:           2
        .value_kind:     hidden_group_size_x
      - .offset:         502
        .size:           2
        .value_kind:     hidden_group_size_y
      - .offset:         504
        .size:           2
        .value_kind:     hidden_group_size_z
      - .offset:         506
        .size:           2
        .value_kind:     hidden_remainder_x
      - .offset:         508
        .size:           2
        .value_kind:     hidden_remainder_y
      - .offset:         510
        .size:           2
        .value_kind:     hidden_remainder_z
      - .offset:         528
        .size:           8
        .value_kind:     hidden_global_offset_x
      - .offset:         536
        .size:           8
        .value_kind:     hidden_global_offset_y
      - .offset:         544
        .size:           8
        .value_kind:     hidden_global_offset_z
      - .offset:         552
        .size:           2
        .value_kind:     hidden_grid_dims
    .group_segment_fixed_size: 1024
    .kernarg_segment_align: 8
    .kernarg_segment_size: 744
    .language:       OpenCL C
    .language_version:
      - 2
      - 0
    .max_flat_workgroup_size: 256
    .name:           _ZN2at6native6mbtopk23computeBlockDigitCountsIlmmLi3EEEvNS_4cuda6detail10TensorInfoIKT_T0_EEjPjjS8_iijT1_PSB_Ps
    .private_segment_fixed_size: 0
    .sgpr_count:     36
    .sgpr_spill_count: 0
    .symbol:         _ZN2at6native6mbtopk23computeBlockDigitCountsIlmmLi3EEEvNS_4cuda6detail10TensorInfoIKT_T0_EEjPjjS8_iijT1_PSB_Ps.kd
    .uniform_work_group_size: 1
    .uses_dynamic_stack: false
    .vgpr_count:     11
    .vgpr_spill_count: 0
    .wavefront_size: 32
    .workgroup_processor_mode: 1
  - .args:
      - .offset:         0
        .size:           416
        .value_kind:     by_value
      - .offset:         416
        .size:           8
        .value_kind:     by_value
      - .offset:         424
        .size:           8
        .value_kind:     by_value
      - .offset:         432
        .size:           1
        .value_kind:     by_value
      - .offset:         436
        .size:           4
        .value_kind:     by_value
      - .offset:         440
        .size:           8
        .value_kind:     by_value
      - .offset:         448
        .size:           416
        .value_kind:     by_value
      - .offset:         864
        .size:           8
        .value_kind:     by_value
      - .offset:         872
        .size:           416
        .value_kind:     by_value
      - .offset:         1288
        .size:           8
        .value_kind:     by_value
      - .offset:         1296
        .size:           4
        .value_kind:     by_value
      - .offset:         1300
        .size:           4
        .value_kind:     by_value
      - .address_space:  global
        .offset:         1304
        .size:           8
        .value_kind:     global_buffer
      - .address_space:  global
        .offset:         1312
        .size:           8
        .value_kind:     global_buffer
      - .address_space:  global
        .offset:         1320
        .size:           8
        .value_kind:     global_buffer
      - .offset:         1328
        .size:           4
        .value_kind:     by_value
      - .offset:         1336
        .size:           4
        .value_kind:     hidden_block_count_x
      - .offset:         1340
        .size:           4
        .value_kind:     hidden_block_count_y
      - .offset:         1344
        .size:           4
        .value_kind:     hidden_block_count_z
      - .offset:         1348
        .size:           2
        .value_kind:     hidden_group_size_x
      - .offset:         1350
        .size:           2
        .value_kind:     hidden_group_size_y
      - .offset:         1352
        .size:           2
        .value_kind:     hidden_group_size_z
      - .offset:         1354
        .size:           2
        .value_kind:     hidden_remainder_x
      - .offset:         1356
        .size:           2
        .value_kind:     hidden_remainder_y
      - .offset:         1358
        .size:           2
        .value_kind:     hidden_remainder_z
      - .offset:         1376
        .size:           8
        .value_kind:     hidden_global_offset_x
      - .offset:         1384
        .size:           8
        .value_kind:     hidden_global_offset_y
      - .offset:         1392
        .size:           8
        .value_kind:     hidden_global_offset_z
      - .offset:         1400
        .size:           2
        .value_kind:     hidden_grid_dims
    .group_segment_fixed_size: 1068
    .kernarg_segment_align: 8
    .kernarg_segment_size: 1592
    .language:       OpenCL C
    .language_version:
      - 2
      - 0
    .max_flat_workgroup_size: 256
    .name:           _ZN2at6native6mbtopk10gatherTopKIlmLi3EEEvNS_4cuda6detail10TensorInfoIKT_T0_EES8_S8_bjS8_NS5_IS6_S8_EES8_NS5_IlS8_EES8_jjPS6_PjSD_j
    .private_segment_fixed_size: 0
    .sgpr_count:     78
    .sgpr_spill_count: 0
    .symbol:         _ZN2at6native6mbtopk10gatherTopKIlmLi3EEEvNS_4cuda6detail10TensorInfoIKT_T0_EES8_S8_bjS8_NS5_IS6_S8_EES8_NS5_IlS8_EES8_jjPS6_PjSD_j.kd
    .uniform_work_group_size: 1
    .uses_dynamic_stack: false
    .vgpr_count:     25
    .vgpr_spill_count: 0
    .wavefront_size: 32
    .workgroup_processor_mode: 1
  - .args:
      - .offset:         0
        .size:           416
        .value_kind:     by_value
      - .offset:         416
        .size:           8
        .value_kind:     by_value
      - .offset:         424
        .size:           8
        .value_kind:     by_value
      - .offset:         432
        .size:           1
        .value_kind:     by_value
      - .offset:         440
        .size:           8
        .value_kind:     by_value
      - .offset:         448
        .size:           8
        .value_kind:     by_value
      - .offset:         456
        .size:           416
        .value_kind:     by_value
      - .offset:         872
        .size:           8
        .value_kind:     by_value
      - .offset:         880
        .size:           416
        .value_kind:     by_value
      - .offset:         1296
        .size:           8
        .value_kind:     by_value
      - .address_space:  global
        .offset:         1304
        .size:           8
        .value_kind:     global_buffer
      - .offset:         1312
        .size:           4
        .value_kind:     hidden_block_count_x
      - .offset:         1316
        .size:           4
        .value_kind:     hidden_block_count_y
      - .offset:         1320
        .size:           4
        .value_kind:     hidden_block_count_z
      - .offset:         1324
        .size:           2
        .value_kind:     hidden_group_size_x
      - .offset:         1326
        .size:           2
        .value_kind:     hidden_group_size_y
      - .offset:         1328
        .size:           2
        .value_kind:     hidden_group_size_z
      - .offset:         1330
        .size:           2
        .value_kind:     hidden_remainder_x
      - .offset:         1332
        .size:           2
        .value_kind:     hidden_remainder_y
      - .offset:         1334
        .size:           2
        .value_kind:     hidden_remainder_z
      - .offset:         1352
        .size:           8
        .value_kind:     hidden_global_offset_x
      - .offset:         1360
        .size:           8
        .value_kind:     hidden_global_offset_y
      - .offset:         1368
        .size:           8
        .value_kind:     hidden_global_offset_z
      - .offset:         1376
        .size:           2
        .value_kind:     hidden_grid_dims
    .group_segment_fixed_size: 5152
    .kernarg_segment_align: 8
    .kernarg_segment_size: 1568
    .language:       OpenCL C
    .language_version:
      - 2
      - 0
    .max_flat_workgroup_size: 1024
    .name:           _ZN2at6native6sbtopk10gatherTopKIlmLi3ELb0EEEvNS_4cuda6detail10TensorInfoIKT_T0_EES8_S8_bS8_S8_NS5_IS6_S8_EES8_NS5_IlS8_EES8_PS6_
    .private_segment_fixed_size: 0
    .sgpr_count:     107
    .sgpr_spill_count: 7
    .symbol:         _ZN2at6native6sbtopk10gatherTopKIlmLi3ELb0EEEvNS_4cuda6detail10TensorInfoIKT_T0_EES8_S8_bS8_S8_NS5_IS6_S8_EES8_NS5_IlS8_EES8_PS6_.kd
    .uniform_work_group_size: 1
    .uses_dynamic_stack: false
    .vgpr_count:     44
    .vgpr_spill_count: 0
    .wavefront_size: 32
    .workgroup_processor_mode: 1
  - .args:
      - .offset:         0
        .size:           416
        .value_kind:     by_value
      - .offset:         416
        .size:           4
        .value_kind:     by_value
      - .address_space:  global
        .offset:         424
        .size:           8
        .value_kind:     global_buffer
      - .offset:         432
        .size:           4
        .value_kind:     by_value
      - .offset:         440
        .size:           8
        .value_kind:     by_value
      - .offset:         448
        .size:           4
        .value_kind:     by_value
      - .offset:         452
        .size:           4
        .value_kind:     by_value
      - .offset:         456
        .size:           4
        .value_kind:     by_value
      - .offset:         464
        .size:           8
        .value_kind:     by_value
      - .address_space:  global
        .offset:         472
        .size:           8
        .value_kind:     global_buffer
      - .address_space:  global
        .offset:         480
        .size:           8
        .value_kind:     global_buffer
      - .offset:         488
        .size:           4
        .value_kind:     hidden_block_count_x
      - .offset:         492
        .size:           4
        .value_kind:     hidden_block_count_y
      - .offset:         496
        .size:           4
        .value_kind:     hidden_block_count_z
      - .offset:         500
        .size:           2
        .value_kind:     hidden_group_size_x
      - .offset:         502
        .size:           2
        .value_kind:     hidden_group_size_y
      - .offset:         504
        .size:           2
        .value_kind:     hidden_group_size_z
      - .offset:         506
        .size:           2
        .value_kind:     hidden_remainder_x
      - .offset:         508
        .size:           2
        .value_kind:     hidden_remainder_y
      - .offset:         510
        .size:           2
        .value_kind:     hidden_remainder_z
      - .offset:         528
        .size:           8
        .value_kind:     hidden_global_offset_x
      - .offset:         536
        .size:           8
        .value_kind:     hidden_global_offset_y
      - .offset:         544
        .size:           8
        .value_kind:     hidden_global_offset_z
      - .offset:         552
        .size:           2
        .value_kind:     hidden_grid_dims
    .group_segment_fixed_size: 1024
    .kernarg_segment_align: 8
    .kernarg_segment_size: 744
    .language:       OpenCL C
    .language_version:
      - 2
      - 0
    .max_flat_workgroup_size: 256
    .name:           _ZN2at6native6mbtopk23computeBlockDigitCountsIlmmLin1EEEvNS_4cuda6detail10TensorInfoIKT_T0_EEjPjjS8_iijT1_PSB_Ps
    .private_segment_fixed_size: 0
    .sgpr_count:     32
    .sgpr_spill_count: 0
    .symbol:         _ZN2at6native6mbtopk23computeBlockDigitCountsIlmmLin1EEEvNS_4cuda6detail10TensorInfoIKT_T0_EEjPjjS8_iijT1_PSB_Ps.kd
    .uniform_work_group_size: 1
    .uses_dynamic_stack: false
    .vgpr_count:     11
    .vgpr_spill_count: 0
    .wavefront_size: 32
    .workgroup_processor_mode: 1
  - .args:
      - .offset:         0
        .size:           416
        .value_kind:     by_value
      - .offset:         416
        .size:           8
        .value_kind:     by_value
      - .offset:         424
        .size:           8
        .value_kind:     by_value
      - .offset:         432
        .size:           1
        .value_kind:     by_value
      - .offset:         436
        .size:           4
        .value_kind:     by_value
      - .offset:         440
        .size:           8
        .value_kind:     by_value
      - .offset:         448
        .size:           416
        .value_kind:     by_value
      - .offset:         864
        .size:           8
        .value_kind:     by_value
      - .offset:         872
        .size:           416
        .value_kind:     by_value
      - .offset:         1288
        .size:           8
        .value_kind:     by_value
      - .offset:         1296
        .size:           4
        .value_kind:     by_value
      - .offset:         1300
        .size:           4
        .value_kind:     by_value
      - .address_space:  global
        .offset:         1304
        .size:           8
        .value_kind:     global_buffer
      - .address_space:  global
        .offset:         1312
        .size:           8
        .value_kind:     global_buffer
      - .address_space:  global
        .offset:         1320
        .size:           8
        .value_kind:     global_buffer
      - .offset:         1328
        .size:           4
        .value_kind:     by_value
      - .offset:         1336
        .size:           4
        .value_kind:     hidden_block_count_x
      - .offset:         1340
        .size:           4
        .value_kind:     hidden_block_count_y
      - .offset:         1344
        .size:           4
        .value_kind:     hidden_block_count_z
      - .offset:         1348
        .size:           2
        .value_kind:     hidden_group_size_x
      - .offset:         1350
        .size:           2
        .value_kind:     hidden_group_size_y
      - .offset:         1352
        .size:           2
        .value_kind:     hidden_group_size_z
      - .offset:         1354
        .size:           2
        .value_kind:     hidden_remainder_x
      - .offset:         1356
        .size:           2
        .value_kind:     hidden_remainder_y
      - .offset:         1358
        .size:           2
        .value_kind:     hidden_remainder_z
      - .offset:         1376
        .size:           8
        .value_kind:     hidden_global_offset_x
      - .offset:         1384
        .size:           8
        .value_kind:     hidden_global_offset_y
      - .offset:         1392
        .size:           8
        .value_kind:     hidden_global_offset_z
      - .offset:         1400
        .size:           2
        .value_kind:     hidden_grid_dims
    .group_segment_fixed_size: 1068
    .kernarg_segment_align: 8
    .kernarg_segment_size: 1592
    .language:       OpenCL C
    .language_version:
      - 2
      - 0
    .max_flat_workgroup_size: 256
    .name:           _ZN2at6native6mbtopk10gatherTopKIlmLin1EEEvNS_4cuda6detail10TensorInfoIKT_T0_EES8_S8_bjS8_NS5_IS6_S8_EES8_NS5_IlS8_EES8_jjPS6_PjSD_j
    .private_segment_fixed_size: 0
    .sgpr_count:     57
    .sgpr_spill_count: 0
    .symbol:         _ZN2at6native6mbtopk10gatherTopKIlmLin1EEEvNS_4cuda6detail10TensorInfoIKT_T0_EES8_S8_bjS8_NS5_IS6_S8_EES8_NS5_IlS8_EES8_jjPS6_PjSD_j.kd
    .uniform_work_group_size: 1
    .uses_dynamic_stack: false
    .vgpr_count:     25
    .vgpr_spill_count: 0
    .wavefront_size: 32
    .workgroup_processor_mode: 1
  - .args:
      - .offset:         0
        .size:           416
        .value_kind:     by_value
      - .offset:         416
        .size:           8
        .value_kind:     by_value
      - .offset:         424
        .size:           8
        .value_kind:     by_value
      - .offset:         432
        .size:           1
        .value_kind:     by_value
      - .offset:         440
        .size:           8
        .value_kind:     by_value
      - .offset:         448
        .size:           8
        .value_kind:     by_value
      - .offset:         456
        .size:           416
        .value_kind:     by_value
      - .offset:         872
        .size:           8
        .value_kind:     by_value
      - .offset:         880
        .size:           416
        .value_kind:     by_value
      - .offset:         1296
        .size:           8
        .value_kind:     by_value
      - .address_space:  global
        .offset:         1304
        .size:           8
        .value_kind:     global_buffer
      - .offset:         1312
        .size:           4
        .value_kind:     hidden_block_count_x
      - .offset:         1316
        .size:           4
        .value_kind:     hidden_block_count_y
      - .offset:         1320
        .size:           4
        .value_kind:     hidden_block_count_z
      - .offset:         1324
        .size:           2
        .value_kind:     hidden_group_size_x
      - .offset:         1326
        .size:           2
        .value_kind:     hidden_group_size_y
      - .offset:         1328
        .size:           2
        .value_kind:     hidden_group_size_z
      - .offset:         1330
        .size:           2
        .value_kind:     hidden_remainder_x
      - .offset:         1332
        .size:           2
        .value_kind:     hidden_remainder_y
      - .offset:         1334
        .size:           2
        .value_kind:     hidden_remainder_z
      - .offset:         1352
        .size:           8
        .value_kind:     hidden_global_offset_x
      - .offset:         1360
        .size:           8
        .value_kind:     hidden_global_offset_y
      - .offset:         1368
        .size:           8
        .value_kind:     hidden_global_offset_z
      - .offset:         1376
        .size:           2
        .value_kind:     hidden_grid_dims
    .group_segment_fixed_size: 5152
    .kernarg_segment_align: 8
    .kernarg_segment_size: 1568
    .language:       OpenCL C
    .language_version:
      - 2
      - 0
    .max_flat_workgroup_size: 1024
    .name:           _ZN2at6native6sbtopk10gatherTopKIlmLin1ELb0EEEvNS_4cuda6detail10TensorInfoIKT_T0_EES8_S8_bS8_S8_NS5_IS6_S8_EES8_NS5_IlS8_EES8_PS6_
    .private_segment_fixed_size: 0
    .sgpr_count:     107
    .sgpr_spill_count: 15
    .symbol:         _ZN2at6native6sbtopk10gatherTopKIlmLin1ELb0EEEvNS_4cuda6detail10TensorInfoIKT_T0_EES8_S8_bS8_S8_NS5_IS6_S8_EES8_NS5_IlS8_EES8_PS6_.kd
    .uniform_work_group_size: 1
    .uses_dynamic_stack: false
    .vgpr_count:     56
    .vgpr_spill_count: 0
    .wavefront_size: 32
    .workgroup_processor_mode: 1
  - .args:
      - .offset:         0
        .size:           416
        .value_kind:     by_value
      - .offset:         416
        .size:           4
        .value_kind:     by_value
      - .address_space:  global
        .offset:         424
        .size:           8
        .value_kind:     global_buffer
      - .offset:         432
        .size:           4
        .value_kind:     by_value
      - .offset:         440
        .size:           8
        .value_kind:     by_value
      - .offset:         448
        .size:           4
        .value_kind:     by_value
      - .offset:         452
        .size:           4
        .value_kind:     by_value
      - .offset:         456
        .size:           4
        .value_kind:     by_value
      - .offset:         460
        .size:           4
        .value_kind:     by_value
      - .address_space:  global
        .offset:         464
        .size:           8
        .value_kind:     global_buffer
      - .address_space:  global
        .offset:         472
        .size:           8
        .value_kind:     global_buffer
      - .offset:         480
        .size:           4
        .value_kind:     hidden_block_count_x
      - .offset:         484
        .size:           4
        .value_kind:     hidden_block_count_y
      - .offset:         488
        .size:           4
        .value_kind:     hidden_block_count_z
      - .offset:         492
        .size:           2
        .value_kind:     hidden_group_size_x
      - .offset:         494
        .size:           2
        .value_kind:     hidden_group_size_y
      - .offset:         496
        .size:           2
        .value_kind:     hidden_group_size_z
      - .offset:         498
        .size:           2
        .value_kind:     hidden_remainder_x
      - .offset:         500
        .size:           2
        .value_kind:     hidden_remainder_y
      - .offset:         502
        .size:           2
        .value_kind:     hidden_remainder_z
      - .offset:         520
        .size:           8
        .value_kind:     hidden_global_offset_x
      - .offset:         528
        .size:           8
        .value_kind:     hidden_global_offset_y
      - .offset:         536
        .size:           8
        .value_kind:     hidden_global_offset_z
      - .offset:         544
        .size:           2
        .value_kind:     hidden_grid_dims
    .group_segment_fixed_size: 1024
    .kernarg_segment_align: 8
    .kernarg_segment_size: 736
    .language:       OpenCL C
    .language_version:
      - 2
      - 0
    .max_flat_workgroup_size: 256
    .name:           _ZN2at6native6mbtopk23computeBlockDigitCountsIsmjLi1EEEvNS_4cuda6detail10TensorInfoIKT_T0_EEjPjjS8_iijT1_PSB_Ps
    .private_segment_fixed_size: 0
    .sgpr_count:     24
    .sgpr_spill_count: 0
    .symbol:         _ZN2at6native6mbtopk23computeBlockDigitCountsIsmjLi1EEEvNS_4cuda6detail10TensorInfoIKT_T0_EEjPjjS8_iijT1_PSB_Ps.kd
    .uniform_work_group_size: 1
    .uses_dynamic_stack: false
    .vgpr_count:     9
    .vgpr_spill_count: 0
    .wavefront_size: 32
    .workgroup_processor_mode: 1
  - .args:
      - .offset:         0
        .size:           416
        .value_kind:     by_value
      - .offset:         416
        .size:           8
        .value_kind:     by_value
      - .offset:         424
        .size:           8
        .value_kind:     by_value
      - .offset:         432
        .size:           1
        .value_kind:     by_value
      - .offset:         436
        .size:           4
        .value_kind:     by_value
      - .offset:         440
        .size:           8
        .value_kind:     by_value
      - .offset:         448
        .size:           416
        .value_kind:     by_value
      - .offset:         864
        .size:           8
        .value_kind:     by_value
      - .offset:         872
        .size:           416
        .value_kind:     by_value
      - .offset:         1288
        .size:           8
        .value_kind:     by_value
      - .offset:         1296
        .size:           4
        .value_kind:     by_value
      - .offset:         1300
        .size:           4
        .value_kind:     by_value
      - .address_space:  global
        .offset:         1304
        .size:           8
        .value_kind:     global_buffer
      - .address_space:  global
        .offset:         1312
        .size:           8
        .value_kind:     global_buffer
      - .address_space:  global
        .offset:         1320
        .size:           8
        .value_kind:     global_buffer
      - .offset:         1328
        .size:           4
        .value_kind:     by_value
      - .offset:         1336
        .size:           4
        .value_kind:     hidden_block_count_x
      - .offset:         1340
        .size:           4
        .value_kind:     hidden_block_count_y
      - .offset:         1344
        .size:           4
        .value_kind:     hidden_block_count_z
      - .offset:         1348
        .size:           2
        .value_kind:     hidden_group_size_x
      - .offset:         1350
        .size:           2
        .value_kind:     hidden_group_size_y
      - .offset:         1352
        .size:           2
        .value_kind:     hidden_group_size_z
      - .offset:         1354
        .size:           2
        .value_kind:     hidden_remainder_x
      - .offset:         1356
        .size:           2
        .value_kind:     hidden_remainder_y
      - .offset:         1358
        .size:           2
        .value_kind:     hidden_remainder_z
      - .offset:         1376
        .size:           8
        .value_kind:     hidden_global_offset_x
      - .offset:         1384
        .size:           8
        .value_kind:     hidden_global_offset_y
      - .offset:         1392
        .size:           8
        .value_kind:     hidden_global_offset_z
      - .offset:         1400
        .size:           2
        .value_kind:     hidden_grid_dims
    .group_segment_fixed_size: 1068
    .kernarg_segment_align: 8
    .kernarg_segment_size: 1592
    .language:       OpenCL C
    .language_version:
      - 2
      - 0
    .max_flat_workgroup_size: 256
    .name:           _ZN2at6native6mbtopk10gatherTopKIsmLi1EEEvNS_4cuda6detail10TensorInfoIKT_T0_EES8_S8_bjS8_NS5_IS6_S8_EES8_NS5_IlS8_EES8_jjPS6_PjSD_j
    .private_segment_fixed_size: 0
    .sgpr_count:     43
    .sgpr_spill_count: 0
    .symbol:         _ZN2at6native6mbtopk10gatherTopKIsmLi1EEEvNS_4cuda6detail10TensorInfoIKT_T0_EES8_S8_bjS8_NS5_IS6_S8_EES8_NS5_IlS8_EES8_jjPS6_PjSD_j.kd
    .uniform_work_group_size: 1
    .uses_dynamic_stack: false
    .vgpr_count:     27
    .vgpr_spill_count: 0
    .wavefront_size: 32
    .workgroup_processor_mode: 1
  - .args:
      - .offset:         0
        .size:           416
        .value_kind:     by_value
      - .offset:         416
        .size:           8
        .value_kind:     by_value
      - .offset:         424
        .size:           8
        .value_kind:     by_value
      - .offset:         432
        .size:           1
        .value_kind:     by_value
      - .offset:         440
        .size:           8
        .value_kind:     by_value
      - .offset:         448
        .size:           8
        .value_kind:     by_value
      - .offset:         456
        .size:           416
        .value_kind:     by_value
      - .offset:         872
        .size:           8
        .value_kind:     by_value
      - .offset:         880
        .size:           416
        .value_kind:     by_value
      - .offset:         1296
        .size:           8
        .value_kind:     by_value
      - .address_space:  global
        .offset:         1304
        .size:           8
        .value_kind:     global_buffer
      - .offset:         1312
        .size:           4
        .value_kind:     hidden_block_count_x
      - .offset:         1316
        .size:           4
        .value_kind:     hidden_block_count_y
      - .offset:         1320
        .size:           4
        .value_kind:     hidden_block_count_z
      - .offset:         1324
        .size:           2
        .value_kind:     hidden_group_size_x
      - .offset:         1326
        .size:           2
        .value_kind:     hidden_group_size_y
      - .offset:         1328
        .size:           2
        .value_kind:     hidden_group_size_z
      - .offset:         1330
        .size:           2
        .value_kind:     hidden_remainder_x
      - .offset:         1332
        .size:           2
        .value_kind:     hidden_remainder_y
      - .offset:         1334
        .size:           2
        .value_kind:     hidden_remainder_z
      - .offset:         1352
        .size:           8
        .value_kind:     hidden_global_offset_x
      - .offset:         1360
        .size:           8
        .value_kind:     hidden_global_offset_y
      - .offset:         1368
        .size:           8
        .value_kind:     hidden_global_offset_z
      - .offset:         1376
        .size:           2
        .value_kind:     hidden_grid_dims
    .group_segment_fixed_size: 5152
    .kernarg_segment_align: 8
    .kernarg_segment_size: 1568
    .language:       OpenCL C
    .language_version:
      - 2
      - 0
    .max_flat_workgroup_size: 1024
    .name:           _ZN2at6native6sbtopk10gatherTopKIsmLi1ELb0EEEvNS_4cuda6detail10TensorInfoIKT_T0_EES8_S8_bS8_S8_NS5_IS6_S8_EES8_NS5_IlS8_EES8_PS6_
    .private_segment_fixed_size: 0
    .sgpr_count:     107
    .sgpr_spill_count: 8
    .symbol:         _ZN2at6native6sbtopk10gatherTopKIsmLi1ELb0EEEvNS_4cuda6detail10TensorInfoIKT_T0_EES8_S8_bS8_S8_NS5_IS6_S8_EES8_NS5_IlS8_EES8_PS6_.kd
    .uniform_work_group_size: 1
    .uses_dynamic_stack: false
    .vgpr_count:     51
    .vgpr_spill_count: 0
    .wavefront_size: 32
    .workgroup_processor_mode: 1
  - .args:
      - .offset:         0
        .size:           416
        .value_kind:     by_value
      - .offset:         416
        .size:           4
        .value_kind:     by_value
      - .address_space:  global
        .offset:         424
        .size:           8
        .value_kind:     global_buffer
      - .offset:         432
        .size:           4
        .value_kind:     by_value
      - .offset:         440
        .size:           8
        .value_kind:     by_value
      - .offset:         448
        .size:           4
        .value_kind:     by_value
      - .offset:         452
        .size:           4
        .value_kind:     by_value
      - .offset:         456
        .size:           4
        .value_kind:     by_value
      - .offset:         460
        .size:           4
        .value_kind:     by_value
      - .address_space:  global
        .offset:         464
        .size:           8
        .value_kind:     global_buffer
      - .address_space:  global
        .offset:         472
        .size:           8
        .value_kind:     global_buffer
      - .offset:         480
        .size:           4
        .value_kind:     hidden_block_count_x
      - .offset:         484
        .size:           4
        .value_kind:     hidden_block_count_y
      - .offset:         488
        .size:           4
        .value_kind:     hidden_block_count_z
      - .offset:         492
        .size:           2
        .value_kind:     hidden_group_size_x
      - .offset:         494
        .size:           2
        .value_kind:     hidden_group_size_y
      - .offset:         496
        .size:           2
        .value_kind:     hidden_group_size_z
      - .offset:         498
        .size:           2
        .value_kind:     hidden_remainder_x
      - .offset:         500
        .size:           2
        .value_kind:     hidden_remainder_y
      - .offset:         502
        .size:           2
        .value_kind:     hidden_remainder_z
      - .offset:         520
        .size:           8
        .value_kind:     hidden_global_offset_x
      - .offset:         528
        .size:           8
        .value_kind:     hidden_global_offset_y
      - .offset:         536
        .size:           8
        .value_kind:     hidden_global_offset_z
      - .offset:         544
        .size:           2
        .value_kind:     hidden_grid_dims
    .group_segment_fixed_size: 1024
    .kernarg_segment_align: 8
    .kernarg_segment_size: 736
    .language:       OpenCL C
    .language_version:
      - 2
      - 0
    .max_flat_workgroup_size: 256
    .name:           _ZN2at6native6mbtopk23computeBlockDigitCountsIsmjLi2EEEvNS_4cuda6detail10TensorInfoIKT_T0_EEjPjjS8_iijT1_PSB_Ps
    .private_segment_fixed_size: 0
    .sgpr_count:     27
    .sgpr_spill_count: 0
    .symbol:         _ZN2at6native6mbtopk23computeBlockDigitCountsIsmjLi2EEEvNS_4cuda6detail10TensorInfoIKT_T0_EEjPjjS8_iijT1_PSB_Ps.kd
    .uniform_work_group_size: 1
    .uses_dynamic_stack: false
    .vgpr_count:     9
    .vgpr_spill_count: 0
    .wavefront_size: 32
    .workgroup_processor_mode: 1
  - .args:
      - .offset:         0
        .size:           416
        .value_kind:     by_value
      - .offset:         416
        .size:           8
        .value_kind:     by_value
      - .offset:         424
        .size:           8
        .value_kind:     by_value
      - .offset:         432
        .size:           1
        .value_kind:     by_value
      - .offset:         436
        .size:           4
        .value_kind:     by_value
      - .offset:         440
        .size:           8
        .value_kind:     by_value
      - .offset:         448
        .size:           416
        .value_kind:     by_value
      - .offset:         864
        .size:           8
        .value_kind:     by_value
      - .offset:         872
        .size:           416
        .value_kind:     by_value
      - .offset:         1288
        .size:           8
        .value_kind:     by_value
      - .offset:         1296
        .size:           4
        .value_kind:     by_value
      - .offset:         1300
        .size:           4
        .value_kind:     by_value
      - .address_space:  global
        .offset:         1304
        .size:           8
        .value_kind:     global_buffer
      - .address_space:  global
        .offset:         1312
        .size:           8
        .value_kind:     global_buffer
      - .address_space:  global
        .offset:         1320
        .size:           8
        .value_kind:     global_buffer
      - .offset:         1328
        .size:           4
        .value_kind:     by_value
      - .offset:         1336
        .size:           4
        .value_kind:     hidden_block_count_x
      - .offset:         1340
        .size:           4
        .value_kind:     hidden_block_count_y
      - .offset:         1344
        .size:           4
        .value_kind:     hidden_block_count_z
      - .offset:         1348
        .size:           2
        .value_kind:     hidden_group_size_x
      - .offset:         1350
        .size:           2
        .value_kind:     hidden_group_size_y
      - .offset:         1352
        .size:           2
        .value_kind:     hidden_group_size_z
      - .offset:         1354
        .size:           2
        .value_kind:     hidden_remainder_x
      - .offset:         1356
        .size:           2
        .value_kind:     hidden_remainder_y
      - .offset:         1358
        .size:           2
        .value_kind:     hidden_remainder_z
      - .offset:         1376
        .size:           8
        .value_kind:     hidden_global_offset_x
      - .offset:         1384
        .size:           8
        .value_kind:     hidden_global_offset_y
      - .offset:         1392
        .size:           8
        .value_kind:     hidden_global_offset_z
      - .offset:         1400
        .size:           2
        .value_kind:     hidden_grid_dims
    .group_segment_fixed_size: 1068
    .kernarg_segment_align: 8
    .kernarg_segment_size: 1592
    .language:       OpenCL C
    .language_version:
      - 2
      - 0
    .max_flat_workgroup_size: 256
    .name:           _ZN2at6native6mbtopk10gatherTopKIsmLi2EEEvNS_4cuda6detail10TensorInfoIKT_T0_EES8_S8_bjS8_NS5_IS6_S8_EES8_NS5_IlS8_EES8_jjPS6_PjSD_j
    .private_segment_fixed_size: 0
    .sgpr_count:     53
    .sgpr_spill_count: 0
    .symbol:         _ZN2at6native6mbtopk10gatherTopKIsmLi2EEEvNS_4cuda6detail10TensorInfoIKT_T0_EES8_S8_bjS8_NS5_IS6_S8_EES8_NS5_IlS8_EES8_jjPS6_PjSD_j.kd
    .uniform_work_group_size: 1
    .uses_dynamic_stack: false
    .vgpr_count:     27
    .vgpr_spill_count: 0
    .wavefront_size: 32
    .workgroup_processor_mode: 1
  - .args:
      - .offset:         0
        .size:           416
        .value_kind:     by_value
      - .offset:         416
        .size:           8
        .value_kind:     by_value
      - .offset:         424
        .size:           8
        .value_kind:     by_value
      - .offset:         432
        .size:           1
        .value_kind:     by_value
      - .offset:         440
        .size:           8
        .value_kind:     by_value
      - .offset:         448
        .size:           8
        .value_kind:     by_value
      - .offset:         456
        .size:           416
        .value_kind:     by_value
      - .offset:         872
        .size:           8
        .value_kind:     by_value
      - .offset:         880
        .size:           416
        .value_kind:     by_value
      - .offset:         1296
        .size:           8
        .value_kind:     by_value
      - .address_space:  global
        .offset:         1304
        .size:           8
        .value_kind:     global_buffer
      - .offset:         1312
        .size:           4
        .value_kind:     hidden_block_count_x
      - .offset:         1316
        .size:           4
        .value_kind:     hidden_block_count_y
      - .offset:         1320
        .size:           4
        .value_kind:     hidden_block_count_z
      - .offset:         1324
        .size:           2
        .value_kind:     hidden_group_size_x
      - .offset:         1326
        .size:           2
        .value_kind:     hidden_group_size_y
      - .offset:         1328
        .size:           2
        .value_kind:     hidden_group_size_z
      - .offset:         1330
        .size:           2
        .value_kind:     hidden_remainder_x
      - .offset:         1332
        .size:           2
        .value_kind:     hidden_remainder_y
      - .offset:         1334
        .size:           2
        .value_kind:     hidden_remainder_z
      - .offset:         1352
        .size:           8
        .value_kind:     hidden_global_offset_x
      - .offset:         1360
        .size:           8
        .value_kind:     hidden_global_offset_y
      - .offset:         1368
        .size:           8
        .value_kind:     hidden_global_offset_z
      - .offset:         1376
        .size:           2
        .value_kind:     hidden_grid_dims
    .group_segment_fixed_size: 5152
    .kernarg_segment_align: 8
    .kernarg_segment_size: 1568
    .language:       OpenCL C
    .language_version:
      - 2
      - 0
    .max_flat_workgroup_size: 1024
    .name:           _ZN2at6native6sbtopk10gatherTopKIsmLi2ELb0EEEvNS_4cuda6detail10TensorInfoIKT_T0_EES8_S8_bS8_S8_NS5_IS6_S8_EES8_NS5_IlS8_EES8_PS6_
    .private_segment_fixed_size: 0
    .sgpr_count:     107
    .sgpr_spill_count: 4
    .symbol:         _ZN2at6native6sbtopk10gatherTopKIsmLi2ELb0EEEvNS_4cuda6detail10TensorInfoIKT_T0_EES8_S8_bS8_S8_NS5_IS6_S8_EES8_NS5_IlS8_EES8_PS6_.kd
    .uniform_work_group_size: 1
    .uses_dynamic_stack: false
    .vgpr_count:     43
    .vgpr_spill_count: 0
    .wavefront_size: 32
    .workgroup_processor_mode: 1
  - .args:
      - .offset:         0
        .size:           416
        .value_kind:     by_value
      - .offset:         416
        .size:           4
        .value_kind:     by_value
      - .address_space:  global
        .offset:         424
        .size:           8
        .value_kind:     global_buffer
      - .offset:         432
        .size:           4
        .value_kind:     by_value
      - .offset:         440
        .size:           8
        .value_kind:     by_value
      - .offset:         448
        .size:           4
        .value_kind:     by_value
      - .offset:         452
        .size:           4
        .value_kind:     by_value
      - .offset:         456
        .size:           4
        .value_kind:     by_value
      - .offset:         460
        .size:           4
        .value_kind:     by_value
      - .address_space:  global
        .offset:         464
        .size:           8
        .value_kind:     global_buffer
      - .address_space:  global
        .offset:         472
        .size:           8
        .value_kind:     global_buffer
      - .offset:         480
        .size:           4
        .value_kind:     hidden_block_count_x
      - .offset:         484
        .size:           4
        .value_kind:     hidden_block_count_y
      - .offset:         488
        .size:           4
        .value_kind:     hidden_block_count_z
      - .offset:         492
        .size:           2
        .value_kind:     hidden_group_size_x
      - .offset:         494
        .size:           2
        .value_kind:     hidden_group_size_y
      - .offset:         496
        .size:           2
        .value_kind:     hidden_group_size_z
      - .offset:         498
        .size:           2
        .value_kind:     hidden_remainder_x
      - .offset:         500
        .size:           2
        .value_kind:     hidden_remainder_y
      - .offset:         502
        .size:           2
        .value_kind:     hidden_remainder_z
      - .offset:         520
        .size:           8
        .value_kind:     hidden_global_offset_x
      - .offset:         528
        .size:           8
        .value_kind:     hidden_global_offset_y
      - .offset:         536
        .size:           8
        .value_kind:     hidden_global_offset_z
      - .offset:         544
        .size:           2
        .value_kind:     hidden_grid_dims
    .group_segment_fixed_size: 1024
    .kernarg_segment_align: 8
    .kernarg_segment_size: 736
    .language:       OpenCL C
    .language_version:
      - 2
      - 0
    .max_flat_workgroup_size: 256
    .name:           _ZN2at6native6mbtopk23computeBlockDigitCountsIsmjLi3EEEvNS_4cuda6detail10TensorInfoIKT_T0_EEjPjjS8_iijT1_PSB_Ps
    .private_segment_fixed_size: 0
    .sgpr_count:     34
    .sgpr_spill_count: 0
    .symbol:         _ZN2at6native6mbtopk23computeBlockDigitCountsIsmjLi3EEEvNS_4cuda6detail10TensorInfoIKT_T0_EEjPjjS8_iijT1_PSB_Ps.kd
    .uniform_work_group_size: 1
    .uses_dynamic_stack: false
    .vgpr_count:     9
    .vgpr_spill_count: 0
    .wavefront_size: 32
    .workgroup_processor_mode: 1
  - .args:
      - .offset:         0
        .size:           416
        .value_kind:     by_value
      - .offset:         416
        .size:           8
        .value_kind:     by_value
      - .offset:         424
        .size:           8
        .value_kind:     by_value
      - .offset:         432
        .size:           1
        .value_kind:     by_value
      - .offset:         436
        .size:           4
        .value_kind:     by_value
      - .offset:         440
        .size:           8
        .value_kind:     by_value
      - .offset:         448
        .size:           416
        .value_kind:     by_value
      - .offset:         864
        .size:           8
        .value_kind:     by_value
      - .offset:         872
        .size:           416
        .value_kind:     by_value
      - .offset:         1288
        .size:           8
        .value_kind:     by_value
      - .offset:         1296
        .size:           4
        .value_kind:     by_value
      - .offset:         1300
        .size:           4
        .value_kind:     by_value
      - .address_space:  global
        .offset:         1304
        .size:           8
        .value_kind:     global_buffer
      - .address_space:  global
        .offset:         1312
        .size:           8
        .value_kind:     global_buffer
      - .address_space:  global
        .offset:         1320
        .size:           8
        .value_kind:     global_buffer
      - .offset:         1328
        .size:           4
        .value_kind:     by_value
      - .offset:         1336
        .size:           4
        .value_kind:     hidden_block_count_x
      - .offset:         1340
        .size:           4
        .value_kind:     hidden_block_count_y
      - .offset:         1344
        .size:           4
        .value_kind:     hidden_block_count_z
      - .offset:         1348
        .size:           2
        .value_kind:     hidden_group_size_x
      - .offset:         1350
        .size:           2
        .value_kind:     hidden_group_size_y
      - .offset:         1352
        .size:           2
        .value_kind:     hidden_group_size_z
      - .offset:         1354
        .size:           2
        .value_kind:     hidden_remainder_x
      - .offset:         1356
        .size:           2
        .value_kind:     hidden_remainder_y
      - .offset:         1358
        .size:           2
        .value_kind:     hidden_remainder_z
      - .offset:         1376
        .size:           8
        .value_kind:     hidden_global_offset_x
      - .offset:         1384
        .size:           8
        .value_kind:     hidden_global_offset_y
      - .offset:         1392
        .size:           8
        .value_kind:     hidden_global_offset_z
      - .offset:         1400
        .size:           2
        .value_kind:     hidden_grid_dims
    .group_segment_fixed_size: 1068
    .kernarg_segment_align: 8
    .kernarg_segment_size: 1592
    .language:       OpenCL C
    .language_version:
      - 2
      - 0
    .max_flat_workgroup_size: 256
    .name:           _ZN2at6native6mbtopk10gatherTopKIsmLi3EEEvNS_4cuda6detail10TensorInfoIKT_T0_EES8_S8_bjS8_NS5_IS6_S8_EES8_NS5_IlS8_EES8_jjPS6_PjSD_j
    .private_segment_fixed_size: 0
    .sgpr_count:     76
    .sgpr_spill_count: 0
    .symbol:         _ZN2at6native6mbtopk10gatherTopKIsmLi3EEEvNS_4cuda6detail10TensorInfoIKT_T0_EES8_S8_bjS8_NS5_IS6_S8_EES8_NS5_IlS8_EES8_jjPS6_PjSD_j.kd
    .uniform_work_group_size: 1
    .uses_dynamic_stack: false
    .vgpr_count:     27
    .vgpr_spill_count: 0
    .wavefront_size: 32
    .workgroup_processor_mode: 1
  - .args:
      - .offset:         0
        .size:           416
        .value_kind:     by_value
      - .offset:         416
        .size:           8
        .value_kind:     by_value
      - .offset:         424
        .size:           8
        .value_kind:     by_value
      - .offset:         432
        .size:           1
        .value_kind:     by_value
      - .offset:         440
        .size:           8
        .value_kind:     by_value
      - .offset:         448
        .size:           8
        .value_kind:     by_value
      - .offset:         456
        .size:           416
        .value_kind:     by_value
      - .offset:         872
        .size:           8
        .value_kind:     by_value
      - .offset:         880
        .size:           416
        .value_kind:     by_value
      - .offset:         1296
        .size:           8
        .value_kind:     by_value
      - .address_space:  global
        .offset:         1304
        .size:           8
        .value_kind:     global_buffer
      - .offset:         1312
        .size:           4
        .value_kind:     hidden_block_count_x
      - .offset:         1316
        .size:           4
        .value_kind:     hidden_block_count_y
      - .offset:         1320
        .size:           4
        .value_kind:     hidden_block_count_z
      - .offset:         1324
        .size:           2
        .value_kind:     hidden_group_size_x
      - .offset:         1326
        .size:           2
        .value_kind:     hidden_group_size_y
      - .offset:         1328
        .size:           2
        .value_kind:     hidden_group_size_z
      - .offset:         1330
        .size:           2
        .value_kind:     hidden_remainder_x
      - .offset:         1332
        .size:           2
        .value_kind:     hidden_remainder_y
      - .offset:         1334
        .size:           2
        .value_kind:     hidden_remainder_z
      - .offset:         1352
        .size:           8
        .value_kind:     hidden_global_offset_x
      - .offset:         1360
        .size:           8
        .value_kind:     hidden_global_offset_y
      - .offset:         1368
        .size:           8
        .value_kind:     hidden_global_offset_z
      - .offset:         1376
        .size:           2
        .value_kind:     hidden_grid_dims
    .group_segment_fixed_size: 5152
    .kernarg_segment_align: 8
    .kernarg_segment_size: 1568
    .language:       OpenCL C
    .language_version:
      - 2
      - 0
    .max_flat_workgroup_size: 1024
    .name:           _ZN2at6native6sbtopk10gatherTopKIsmLi3ELb0EEEvNS_4cuda6detail10TensorInfoIKT_T0_EES8_S8_bS8_S8_NS5_IS6_S8_EES8_NS5_IlS8_EES8_PS6_
    .private_segment_fixed_size: 0
    .sgpr_count:     107
    .sgpr_spill_count: 8
    .symbol:         _ZN2at6native6sbtopk10gatherTopKIsmLi3ELb0EEEvNS_4cuda6detail10TensorInfoIKT_T0_EES8_S8_bS8_S8_NS5_IS6_S8_EES8_NS5_IlS8_EES8_PS6_.kd
    .uniform_work_group_size: 1
    .uses_dynamic_stack: false
    .vgpr_count:     43
    .vgpr_spill_count: 0
    .wavefront_size: 32
    .workgroup_processor_mode: 1
  - .args:
      - .offset:         0
        .size:           416
        .value_kind:     by_value
      - .offset:         416
        .size:           4
        .value_kind:     by_value
      - .address_space:  global
        .offset:         424
        .size:           8
        .value_kind:     global_buffer
      - .offset:         432
        .size:           4
        .value_kind:     by_value
      - .offset:         440
        .size:           8
        .value_kind:     by_value
      - .offset:         448
        .size:           4
        .value_kind:     by_value
      - .offset:         452
        .size:           4
        .value_kind:     by_value
      - .offset:         456
        .size:           4
        .value_kind:     by_value
      - .offset:         460
        .size:           4
        .value_kind:     by_value
      - .address_space:  global
        .offset:         464
        .size:           8
        .value_kind:     global_buffer
      - .address_space:  global
        .offset:         472
        .size:           8
        .value_kind:     global_buffer
      - .offset:         480
        .size:           4
        .value_kind:     hidden_block_count_x
      - .offset:         484
        .size:           4
        .value_kind:     hidden_block_count_y
      - .offset:         488
        .size:           4
        .value_kind:     hidden_block_count_z
      - .offset:         492
        .size:           2
        .value_kind:     hidden_group_size_x
      - .offset:         494
        .size:           2
        .value_kind:     hidden_group_size_y
      - .offset:         496
        .size:           2
        .value_kind:     hidden_group_size_z
      - .offset:         498
        .size:           2
        .value_kind:     hidden_remainder_x
      - .offset:         500
        .size:           2
        .value_kind:     hidden_remainder_y
      - .offset:         502
        .size:           2
        .value_kind:     hidden_remainder_z
      - .offset:         520
        .size:           8
        .value_kind:     hidden_global_offset_x
      - .offset:         528
        .size:           8
        .value_kind:     hidden_global_offset_y
      - .offset:         536
        .size:           8
        .value_kind:     hidden_global_offset_z
      - .offset:         544
        .size:           2
        .value_kind:     hidden_grid_dims
    .group_segment_fixed_size: 1024
    .kernarg_segment_align: 8
    .kernarg_segment_size: 736
    .language:       OpenCL C
    .language_version:
      - 2
      - 0
    .max_flat_workgroup_size: 256
    .name:           _ZN2at6native6mbtopk23computeBlockDigitCountsIsmjLin1EEEvNS_4cuda6detail10TensorInfoIKT_T0_EEjPjjS8_iijT1_PSB_Ps
    .private_segment_fixed_size: 0
    .sgpr_count:     30
    .sgpr_spill_count: 0
    .symbol:         _ZN2at6native6mbtopk23computeBlockDigitCountsIsmjLin1EEEvNS_4cuda6detail10TensorInfoIKT_T0_EEjPjjS8_iijT1_PSB_Ps.kd
    .uniform_work_group_size: 1
    .uses_dynamic_stack: false
    .vgpr_count:     9
    .vgpr_spill_count: 0
    .wavefront_size: 32
    .workgroup_processor_mode: 1
  - .args:
      - .offset:         0
        .size:           416
        .value_kind:     by_value
      - .offset:         416
        .size:           8
        .value_kind:     by_value
      - .offset:         424
        .size:           8
        .value_kind:     by_value
      - .offset:         432
        .size:           1
        .value_kind:     by_value
      - .offset:         436
        .size:           4
        .value_kind:     by_value
      - .offset:         440
        .size:           8
        .value_kind:     by_value
      - .offset:         448
        .size:           416
        .value_kind:     by_value
      - .offset:         864
        .size:           8
        .value_kind:     by_value
      - .offset:         872
        .size:           416
        .value_kind:     by_value
      - .offset:         1288
        .size:           8
        .value_kind:     by_value
      - .offset:         1296
        .size:           4
        .value_kind:     by_value
      - .offset:         1300
        .size:           4
        .value_kind:     by_value
      - .address_space:  global
        .offset:         1304
        .size:           8
        .value_kind:     global_buffer
      - .address_space:  global
        .offset:         1312
        .size:           8
        .value_kind:     global_buffer
      - .address_space:  global
        .offset:         1320
        .size:           8
        .value_kind:     global_buffer
      - .offset:         1328
        .size:           4
        .value_kind:     by_value
      - .offset:         1336
        .size:           4
        .value_kind:     hidden_block_count_x
      - .offset:         1340
        .size:           4
        .value_kind:     hidden_block_count_y
      - .offset:         1344
        .size:           4
        .value_kind:     hidden_block_count_z
      - .offset:         1348
        .size:           2
        .value_kind:     hidden_group_size_x
      - .offset:         1350
        .size:           2
        .value_kind:     hidden_group_size_y
      - .offset:         1352
        .size:           2
        .value_kind:     hidden_group_size_z
      - .offset:         1354
        .size:           2
        .value_kind:     hidden_remainder_x
      - .offset:         1356
        .size:           2
        .value_kind:     hidden_remainder_y
      - .offset:         1358
        .size:           2
        .value_kind:     hidden_remainder_z
      - .offset:         1376
        .size:           8
        .value_kind:     hidden_global_offset_x
      - .offset:         1384
        .size:           8
        .value_kind:     hidden_global_offset_y
      - .offset:         1392
        .size:           8
        .value_kind:     hidden_global_offset_z
      - .offset:         1400
        .size:           2
        .value_kind:     hidden_grid_dims
    .group_segment_fixed_size: 1068
    .kernarg_segment_align: 8
    .kernarg_segment_size: 1592
    .language:       OpenCL C
    .language_version:
      - 2
      - 0
    .max_flat_workgroup_size: 256
    .name:           _ZN2at6native6mbtopk10gatherTopKIsmLin1EEEvNS_4cuda6detail10TensorInfoIKT_T0_EES8_S8_bjS8_NS5_IS6_S8_EES8_NS5_IlS8_EES8_jjPS6_PjSD_j
    .private_segment_fixed_size: 0
    .sgpr_count:     55
    .sgpr_spill_count: 0
    .symbol:         _ZN2at6native6mbtopk10gatherTopKIsmLin1EEEvNS_4cuda6detail10TensorInfoIKT_T0_EES8_S8_bjS8_NS5_IS6_S8_EES8_NS5_IlS8_EES8_jjPS6_PjSD_j.kd
    .uniform_work_group_size: 1
    .uses_dynamic_stack: false
    .vgpr_count:     27
    .vgpr_spill_count: 0
    .wavefront_size: 32
    .workgroup_processor_mode: 1
  - .args:
      - .offset:         0
        .size:           416
        .value_kind:     by_value
      - .offset:         416
        .size:           8
        .value_kind:     by_value
      - .offset:         424
        .size:           8
        .value_kind:     by_value
      - .offset:         432
        .size:           1
        .value_kind:     by_value
      - .offset:         440
        .size:           8
        .value_kind:     by_value
      - .offset:         448
        .size:           8
        .value_kind:     by_value
      - .offset:         456
        .size:           416
        .value_kind:     by_value
      - .offset:         872
        .size:           8
        .value_kind:     by_value
      - .offset:         880
        .size:           416
        .value_kind:     by_value
      - .offset:         1296
        .size:           8
        .value_kind:     by_value
      - .address_space:  global
        .offset:         1304
        .size:           8
        .value_kind:     global_buffer
      - .offset:         1312
        .size:           4
        .value_kind:     hidden_block_count_x
      - .offset:         1316
        .size:           4
        .value_kind:     hidden_block_count_y
      - .offset:         1320
        .size:           4
        .value_kind:     hidden_block_count_z
      - .offset:         1324
        .size:           2
        .value_kind:     hidden_group_size_x
      - .offset:         1326
        .size:           2
        .value_kind:     hidden_group_size_y
      - .offset:         1328
        .size:           2
        .value_kind:     hidden_group_size_z
      - .offset:         1330
        .size:           2
        .value_kind:     hidden_remainder_x
      - .offset:         1332
        .size:           2
        .value_kind:     hidden_remainder_y
      - .offset:         1334
        .size:           2
        .value_kind:     hidden_remainder_z
      - .offset:         1352
        .size:           8
        .value_kind:     hidden_global_offset_x
      - .offset:         1360
        .size:           8
        .value_kind:     hidden_global_offset_y
      - .offset:         1368
        .size:           8
        .value_kind:     hidden_global_offset_z
      - .offset:         1376
        .size:           2
        .value_kind:     hidden_grid_dims
    .group_segment_fixed_size: 5152
    .kernarg_segment_align: 8
    .kernarg_segment_size: 1568
    .language:       OpenCL C
    .language_version:
      - 2
      - 0
    .max_flat_workgroup_size: 1024
    .name:           _ZN2at6native6sbtopk10gatherTopKIsmLin1ELb0EEEvNS_4cuda6detail10TensorInfoIKT_T0_EES8_S8_bS8_S8_NS5_IS6_S8_EES8_NS5_IlS8_EES8_PS6_
    .private_segment_fixed_size: 0
    .sgpr_count:     107
    .sgpr_spill_count: 17
    .symbol:         _ZN2at6native6sbtopk10gatherTopKIsmLin1ELb0EEEvNS_4cuda6detail10TensorInfoIKT_T0_EES8_S8_bS8_S8_NS5_IS6_S8_EES8_NS5_IlS8_EES8_PS6_.kd
    .uniform_work_group_size: 1
    .uses_dynamic_stack: false
    .vgpr_count:     53
    .vgpr_spill_count: 0
    .wavefront_size: 32
    .workgroup_processor_mode: 1
  - .args:
      - .offset:         0
        .size:           416
        .value_kind:     by_value
      - .offset:         416
        .size:           4
        .value_kind:     by_value
      - .address_space:  global
        .offset:         424
        .size:           8
        .value_kind:     global_buffer
      - .offset:         432
        .size:           4
        .value_kind:     by_value
      - .offset:         440
        .size:           8
        .value_kind:     by_value
      - .offset:         448
        .size:           4
        .value_kind:     by_value
      - .offset:         452
        .size:           4
        .value_kind:     by_value
      - .offset:         456
        .size:           4
        .value_kind:     by_value
      - .offset:         464
        .size:           8
        .value_kind:     by_value
      - .address_space:  global
        .offset:         472
        .size:           8
        .value_kind:     global_buffer
      - .address_space:  global
        .offset:         480
        .size:           8
        .value_kind:     global_buffer
      - .offset:         488
        .size:           4
        .value_kind:     hidden_block_count_x
      - .offset:         492
        .size:           4
        .value_kind:     hidden_block_count_y
      - .offset:         496
        .size:           4
        .value_kind:     hidden_block_count_z
      - .offset:         500
        .size:           2
        .value_kind:     hidden_group_size_x
      - .offset:         502
        .size:           2
        .value_kind:     hidden_group_size_y
      - .offset:         504
        .size:           2
        .value_kind:     hidden_group_size_z
      - .offset:         506
        .size:           2
        .value_kind:     hidden_remainder_x
      - .offset:         508
        .size:           2
        .value_kind:     hidden_remainder_y
      - .offset:         510
        .size:           2
        .value_kind:     hidden_remainder_z
      - .offset:         528
        .size:           8
        .value_kind:     hidden_global_offset_x
      - .offset:         536
        .size:           8
        .value_kind:     hidden_global_offset_y
      - .offset:         544
        .size:           8
        .value_kind:     hidden_global_offset_z
      - .offset:         552
        .size:           2
        .value_kind:     hidden_grid_dims
    .group_segment_fixed_size: 1024
    .kernarg_segment_align: 8
    .kernarg_segment_size: 744
    .language:       OpenCL C
    .language_version:
      - 2
      - 0
    .max_flat_workgroup_size: 256
    .name:           _ZN2at6native6mbtopk23computeBlockDigitCountsIdmmLi1EEEvNS_4cuda6detail10TensorInfoIKT_T0_EEjPjjS8_iijT1_PSB_Ps
    .private_segment_fixed_size: 0
    .sgpr_count:     24
    .sgpr_spill_count: 0
    .symbol:         _ZN2at6native6mbtopk23computeBlockDigitCountsIdmmLi1EEEvNS_4cuda6detail10TensorInfoIKT_T0_EEjPjjS8_iijT1_PSB_Ps.kd
    .uniform_work_group_size: 1
    .uses_dynamic_stack: false
    .vgpr_count:     11
    .vgpr_spill_count: 0
    .wavefront_size: 32
    .workgroup_processor_mode: 1
  - .args:
      - .offset:         0
        .size:           416
        .value_kind:     by_value
      - .offset:         416
        .size:           8
        .value_kind:     by_value
      - .offset:         424
        .size:           8
        .value_kind:     by_value
      - .offset:         432
        .size:           1
        .value_kind:     by_value
      - .offset:         436
        .size:           4
        .value_kind:     by_value
      - .offset:         440
        .size:           8
        .value_kind:     by_value
      - .offset:         448
        .size:           416
        .value_kind:     by_value
      - .offset:         864
        .size:           8
        .value_kind:     by_value
      - .offset:         872
        .size:           416
        .value_kind:     by_value
      - .offset:         1288
        .size:           8
        .value_kind:     by_value
      - .offset:         1296
        .size:           4
        .value_kind:     by_value
      - .offset:         1300
        .size:           4
        .value_kind:     by_value
      - .address_space:  global
        .offset:         1304
        .size:           8
        .value_kind:     global_buffer
      - .address_space:  global
        .offset:         1312
        .size:           8
        .value_kind:     global_buffer
      - .address_space:  global
        .offset:         1320
        .size:           8
        .value_kind:     global_buffer
      - .offset:         1328
        .size:           4
        .value_kind:     by_value
      - .offset:         1336
        .size:           4
        .value_kind:     hidden_block_count_x
      - .offset:         1340
        .size:           4
        .value_kind:     hidden_block_count_y
      - .offset:         1344
        .size:           4
        .value_kind:     hidden_block_count_z
      - .offset:         1348
        .size:           2
        .value_kind:     hidden_group_size_x
      - .offset:         1350
        .size:           2
        .value_kind:     hidden_group_size_y
      - .offset:         1352
        .size:           2
        .value_kind:     hidden_group_size_z
      - .offset:         1354
        .size:           2
        .value_kind:     hidden_remainder_x
      - .offset:         1356
        .size:           2
        .value_kind:     hidden_remainder_y
      - .offset:         1358
        .size:           2
        .value_kind:     hidden_remainder_z
      - .offset:         1376
        .size:           8
        .value_kind:     hidden_global_offset_x
      - .offset:         1384
        .size:           8
        .value_kind:     hidden_global_offset_y
      - .offset:         1392
        .size:           8
        .value_kind:     hidden_global_offset_z
      - .offset:         1400
        .size:           2
        .value_kind:     hidden_grid_dims
    .group_segment_fixed_size: 1068
    .kernarg_segment_align: 8
    .kernarg_segment_size: 1592
    .language:       OpenCL C
    .language_version:
      - 2
      - 0
    .max_flat_workgroup_size: 256
    .name:           _ZN2at6native6mbtopk10gatherTopKIdmLi1EEEvNS_4cuda6detail10TensorInfoIKT_T0_EES8_S8_bjS8_NS5_IS6_S8_EES8_NS5_IlS8_EES8_jjPS6_PjSD_j
    .private_segment_fixed_size: 0
    .sgpr_count:     45
    .sgpr_spill_count: 0
    .symbol:         _ZN2at6native6mbtopk10gatherTopKIdmLi1EEEvNS_4cuda6detail10TensorInfoIKT_T0_EES8_S8_bjS8_NS5_IS6_S8_EES8_NS5_IlS8_EES8_jjPS6_PjSD_j.kd
    .uniform_work_group_size: 1
    .uses_dynamic_stack: false
    .vgpr_count:     25
    .vgpr_spill_count: 0
    .wavefront_size: 32
    .workgroup_processor_mode: 1
  - .args:
      - .offset:         0
        .size:           416
        .value_kind:     by_value
      - .offset:         416
        .size:           8
        .value_kind:     by_value
      - .offset:         424
        .size:           8
        .value_kind:     by_value
      - .offset:         432
        .size:           1
        .value_kind:     by_value
      - .offset:         440
        .size:           8
        .value_kind:     by_value
      - .offset:         448
        .size:           8
        .value_kind:     by_value
      - .offset:         456
        .size:           416
        .value_kind:     by_value
      - .offset:         872
        .size:           8
        .value_kind:     by_value
      - .offset:         880
        .size:           416
        .value_kind:     by_value
      - .offset:         1296
        .size:           8
        .value_kind:     by_value
      - .address_space:  global
        .offset:         1304
        .size:           8
        .value_kind:     global_buffer
      - .offset:         1312
        .size:           4
        .value_kind:     hidden_block_count_x
      - .offset:         1316
        .size:           4
        .value_kind:     hidden_block_count_y
      - .offset:         1320
        .size:           4
        .value_kind:     hidden_block_count_z
      - .offset:         1324
        .size:           2
        .value_kind:     hidden_group_size_x
      - .offset:         1326
        .size:           2
        .value_kind:     hidden_group_size_y
      - .offset:         1328
        .size:           2
        .value_kind:     hidden_group_size_z
      - .offset:         1330
        .size:           2
        .value_kind:     hidden_remainder_x
      - .offset:         1332
        .size:           2
        .value_kind:     hidden_remainder_y
      - .offset:         1334
        .size:           2
        .value_kind:     hidden_remainder_z
      - .offset:         1352
        .size:           8
        .value_kind:     hidden_global_offset_x
      - .offset:         1360
        .size:           8
        .value_kind:     hidden_global_offset_y
      - .offset:         1368
        .size:           8
        .value_kind:     hidden_global_offset_z
      - .offset:         1376
        .size:           2
        .value_kind:     hidden_grid_dims
    .group_segment_fixed_size: 5152
    .kernarg_segment_align: 8
    .kernarg_segment_size: 1568
    .language:       OpenCL C
    .language_version:
      - 2
      - 0
    .max_flat_workgroup_size: 1024
    .name:           _ZN2at6native6sbtopk10gatherTopKIdmLi1ELb0EEEvNS_4cuda6detail10TensorInfoIKT_T0_EES8_S8_bS8_S8_NS5_IS6_S8_EES8_NS5_IlS8_EES8_PS6_
    .private_segment_fixed_size: 0
    .sgpr_count:     107
    .sgpr_spill_count: 4
    .symbol:         _ZN2at6native6sbtopk10gatherTopKIdmLi1ELb0EEEvNS_4cuda6detail10TensorInfoIKT_T0_EES8_S8_bS8_S8_NS5_IS6_S8_EES8_NS5_IlS8_EES8_PS6_.kd
    .uniform_work_group_size: 1
    .uses_dynamic_stack: false
    .vgpr_count:     60
    .vgpr_spill_count: 0
    .wavefront_size: 32
    .workgroup_processor_mode: 1
  - .args:
      - .offset:         0
        .size:           416
        .value_kind:     by_value
      - .offset:         416
        .size:           4
        .value_kind:     by_value
      - .address_space:  global
        .offset:         424
        .size:           8
        .value_kind:     global_buffer
      - .offset:         432
        .size:           4
        .value_kind:     by_value
      - .offset:         440
        .size:           8
        .value_kind:     by_value
      - .offset:         448
        .size:           4
        .value_kind:     by_value
      - .offset:         452
        .size:           4
        .value_kind:     by_value
      - .offset:         456
        .size:           4
        .value_kind:     by_value
      - .offset:         464
        .size:           8
        .value_kind:     by_value
      - .address_space:  global
        .offset:         472
        .size:           8
        .value_kind:     global_buffer
      - .address_space:  global
        .offset:         480
        .size:           8
        .value_kind:     global_buffer
      - .offset:         488
        .size:           4
        .value_kind:     hidden_block_count_x
      - .offset:         492
        .size:           4
        .value_kind:     hidden_block_count_y
      - .offset:         496
        .size:           4
        .value_kind:     hidden_block_count_z
      - .offset:         500
        .size:           2
        .value_kind:     hidden_group_size_x
      - .offset:         502
        .size:           2
        .value_kind:     hidden_group_size_y
      - .offset:         504
        .size:           2
        .value_kind:     hidden_group_size_z
      - .offset:         506
        .size:           2
        .value_kind:     hidden_remainder_x
      - .offset:         508
        .size:           2
        .value_kind:     hidden_remainder_y
      - .offset:         510
        .size:           2
        .value_kind:     hidden_remainder_z
      - .offset:         528
        .size:           8
        .value_kind:     hidden_global_offset_x
      - .offset:         536
        .size:           8
        .value_kind:     hidden_global_offset_y
      - .offset:         544
        .size:           8
        .value_kind:     hidden_global_offset_z
      - .offset:         552
        .size:           2
        .value_kind:     hidden_grid_dims
    .group_segment_fixed_size: 1024
    .kernarg_segment_align: 8
    .kernarg_segment_size: 744
    .language:       OpenCL C
    .language_version:
      - 2
      - 0
    .max_flat_workgroup_size: 256
    .name:           _ZN2at6native6mbtopk23computeBlockDigitCountsIdmmLi2EEEvNS_4cuda6detail10TensorInfoIKT_T0_EEjPjjS8_iijT1_PSB_Ps
    .private_segment_fixed_size: 0
    .sgpr_count:     29
    .sgpr_spill_count: 0
    .symbol:         _ZN2at6native6mbtopk23computeBlockDigitCountsIdmmLi2EEEvNS_4cuda6detail10TensorInfoIKT_T0_EEjPjjS8_iijT1_PSB_Ps.kd
    .uniform_work_group_size: 1
    .uses_dynamic_stack: false
    .vgpr_count:     11
    .vgpr_spill_count: 0
    .wavefront_size: 32
    .workgroup_processor_mode: 1
  - .args:
      - .offset:         0
        .size:           416
        .value_kind:     by_value
      - .offset:         416
        .size:           8
        .value_kind:     by_value
      - .offset:         424
        .size:           8
        .value_kind:     by_value
      - .offset:         432
        .size:           1
        .value_kind:     by_value
      - .offset:         436
        .size:           4
        .value_kind:     by_value
      - .offset:         440
        .size:           8
        .value_kind:     by_value
      - .offset:         448
        .size:           416
        .value_kind:     by_value
      - .offset:         864
        .size:           8
        .value_kind:     by_value
      - .offset:         872
        .size:           416
        .value_kind:     by_value
      - .offset:         1288
        .size:           8
        .value_kind:     by_value
      - .offset:         1296
        .size:           4
        .value_kind:     by_value
      - .offset:         1300
        .size:           4
        .value_kind:     by_value
      - .address_space:  global
        .offset:         1304
        .size:           8
        .value_kind:     global_buffer
      - .address_space:  global
        .offset:         1312
        .size:           8
        .value_kind:     global_buffer
      - .address_space:  global
        .offset:         1320
        .size:           8
        .value_kind:     global_buffer
      - .offset:         1328
        .size:           4
        .value_kind:     by_value
      - .offset:         1336
        .size:           4
        .value_kind:     hidden_block_count_x
      - .offset:         1340
        .size:           4
        .value_kind:     hidden_block_count_y
      - .offset:         1344
        .size:           4
        .value_kind:     hidden_block_count_z
      - .offset:         1348
        .size:           2
        .value_kind:     hidden_group_size_x
      - .offset:         1350
        .size:           2
        .value_kind:     hidden_group_size_y
      - .offset:         1352
        .size:           2
        .value_kind:     hidden_group_size_z
      - .offset:         1354
        .size:           2
        .value_kind:     hidden_remainder_x
      - .offset:         1356
        .size:           2
        .value_kind:     hidden_remainder_y
      - .offset:         1358
        .size:           2
        .value_kind:     hidden_remainder_z
      - .offset:         1376
        .size:           8
        .value_kind:     hidden_global_offset_x
      - .offset:         1384
        .size:           8
        .value_kind:     hidden_global_offset_y
      - .offset:         1392
        .size:           8
        .value_kind:     hidden_global_offset_z
      - .offset:         1400
        .size:           2
        .value_kind:     hidden_grid_dims
    .group_segment_fixed_size: 1068
    .kernarg_segment_align: 8
    .kernarg_segment_size: 1592
    .language:       OpenCL C
    .language_version:
      - 2
      - 0
    .max_flat_workgroup_size: 256
    .name:           _ZN2at6native6mbtopk10gatherTopKIdmLi2EEEvNS_4cuda6detail10TensorInfoIKT_T0_EES8_S8_bjS8_NS5_IS6_S8_EES8_NS5_IlS8_EES8_jjPS6_PjSD_j
    .private_segment_fixed_size: 0
    .sgpr_count:     55
    .sgpr_spill_count: 0
    .symbol:         _ZN2at6native6mbtopk10gatherTopKIdmLi2EEEvNS_4cuda6detail10TensorInfoIKT_T0_EES8_S8_bjS8_NS5_IS6_S8_EES8_NS5_IlS8_EES8_jjPS6_PjSD_j.kd
    .uniform_work_group_size: 1
    .uses_dynamic_stack: false
    .vgpr_count:     25
    .vgpr_spill_count: 0
    .wavefront_size: 32
    .workgroup_processor_mode: 1
  - .args:
      - .offset:         0
        .size:           416
        .value_kind:     by_value
      - .offset:         416
        .size:           8
        .value_kind:     by_value
      - .offset:         424
        .size:           8
        .value_kind:     by_value
      - .offset:         432
        .size:           1
        .value_kind:     by_value
      - .offset:         440
        .size:           8
        .value_kind:     by_value
      - .offset:         448
        .size:           8
        .value_kind:     by_value
      - .offset:         456
        .size:           416
        .value_kind:     by_value
      - .offset:         872
        .size:           8
        .value_kind:     by_value
      - .offset:         880
        .size:           416
        .value_kind:     by_value
      - .offset:         1296
        .size:           8
        .value_kind:     by_value
      - .address_space:  global
        .offset:         1304
        .size:           8
        .value_kind:     global_buffer
      - .offset:         1312
        .size:           4
        .value_kind:     hidden_block_count_x
      - .offset:         1316
        .size:           4
        .value_kind:     hidden_block_count_y
      - .offset:         1320
        .size:           4
        .value_kind:     hidden_block_count_z
      - .offset:         1324
        .size:           2
        .value_kind:     hidden_group_size_x
      - .offset:         1326
        .size:           2
        .value_kind:     hidden_group_size_y
      - .offset:         1328
        .size:           2
        .value_kind:     hidden_group_size_z
      - .offset:         1330
        .size:           2
        .value_kind:     hidden_remainder_x
      - .offset:         1332
        .size:           2
        .value_kind:     hidden_remainder_y
      - .offset:         1334
        .size:           2
        .value_kind:     hidden_remainder_z
      - .offset:         1352
        .size:           8
        .value_kind:     hidden_global_offset_x
      - .offset:         1360
        .size:           8
        .value_kind:     hidden_global_offset_y
      - .offset:         1368
        .size:           8
        .value_kind:     hidden_global_offset_z
      - .offset:         1376
        .size:           2
        .value_kind:     hidden_grid_dims
    .group_segment_fixed_size: 5152
    .kernarg_segment_align: 8
    .kernarg_segment_size: 1568
    .language:       OpenCL C
    .language_version:
      - 2
      - 0
    .max_flat_workgroup_size: 1024
    .name:           _ZN2at6native6sbtopk10gatherTopKIdmLi2ELb0EEEvNS_4cuda6detail10TensorInfoIKT_T0_EES8_S8_bS8_S8_NS5_IS6_S8_EES8_NS5_IlS8_EES8_PS6_
    .private_segment_fixed_size: 0
    .sgpr_count:     107
    .sgpr_spill_count: 4
    .symbol:         _ZN2at6native6sbtopk10gatherTopKIdmLi2ELb0EEEvNS_4cuda6detail10TensorInfoIKT_T0_EES8_S8_bS8_S8_NS5_IS6_S8_EES8_NS5_IlS8_EES8_PS6_.kd
    .uniform_work_group_size: 1
    .uses_dynamic_stack: false
    .vgpr_count:     52
    .vgpr_spill_count: 0
    .wavefront_size: 32
    .workgroup_processor_mode: 1
  - .args:
      - .offset:         0
        .size:           416
        .value_kind:     by_value
      - .offset:         416
        .size:           4
        .value_kind:     by_value
      - .address_space:  global
        .offset:         424
        .size:           8
        .value_kind:     global_buffer
      - .offset:         432
        .size:           4
        .value_kind:     by_value
      - .offset:         440
        .size:           8
        .value_kind:     by_value
      - .offset:         448
        .size:           4
        .value_kind:     by_value
      - .offset:         452
        .size:           4
        .value_kind:     by_value
      - .offset:         456
        .size:           4
        .value_kind:     by_value
      - .offset:         464
        .size:           8
        .value_kind:     by_value
      - .address_space:  global
        .offset:         472
        .size:           8
        .value_kind:     global_buffer
      - .address_space:  global
        .offset:         480
        .size:           8
        .value_kind:     global_buffer
      - .offset:         488
        .size:           4
        .value_kind:     hidden_block_count_x
      - .offset:         492
        .size:           4
        .value_kind:     hidden_block_count_y
      - .offset:         496
        .size:           4
        .value_kind:     hidden_block_count_z
      - .offset:         500
        .size:           2
        .value_kind:     hidden_group_size_x
      - .offset:         502
        .size:           2
        .value_kind:     hidden_group_size_y
      - .offset:         504
        .size:           2
        .value_kind:     hidden_group_size_z
      - .offset:         506
        .size:           2
        .value_kind:     hidden_remainder_x
      - .offset:         508
        .size:           2
        .value_kind:     hidden_remainder_y
      - .offset:         510
        .size:           2
        .value_kind:     hidden_remainder_z
      - .offset:         528
        .size:           8
        .value_kind:     hidden_global_offset_x
      - .offset:         536
        .size:           8
        .value_kind:     hidden_global_offset_y
      - .offset:         544
        .size:           8
        .value_kind:     hidden_global_offset_z
      - .offset:         552
        .size:           2
        .value_kind:     hidden_grid_dims
    .group_segment_fixed_size: 1024
    .kernarg_segment_align: 8
    .kernarg_segment_size: 744
    .language:       OpenCL C
    .language_version:
      - 2
      - 0
    .max_flat_workgroup_size: 256
    .name:           _ZN2at6native6mbtopk23computeBlockDigitCountsIdmmLi3EEEvNS_4cuda6detail10TensorInfoIKT_T0_EEjPjjS8_iijT1_PSB_Ps
    .private_segment_fixed_size: 0
    .sgpr_count:     36
    .sgpr_spill_count: 0
    .symbol:         _ZN2at6native6mbtopk23computeBlockDigitCountsIdmmLi3EEEvNS_4cuda6detail10TensorInfoIKT_T0_EEjPjjS8_iijT1_PSB_Ps.kd
    .uniform_work_group_size: 1
    .uses_dynamic_stack: false
    .vgpr_count:     11
    .vgpr_spill_count: 0
    .wavefront_size: 32
    .workgroup_processor_mode: 1
  - .args:
      - .offset:         0
        .size:           416
        .value_kind:     by_value
      - .offset:         416
        .size:           8
        .value_kind:     by_value
      - .offset:         424
        .size:           8
        .value_kind:     by_value
      - .offset:         432
        .size:           1
        .value_kind:     by_value
      - .offset:         436
        .size:           4
        .value_kind:     by_value
      - .offset:         440
        .size:           8
        .value_kind:     by_value
      - .offset:         448
        .size:           416
        .value_kind:     by_value
      - .offset:         864
        .size:           8
        .value_kind:     by_value
      - .offset:         872
        .size:           416
        .value_kind:     by_value
      - .offset:         1288
        .size:           8
        .value_kind:     by_value
      - .offset:         1296
        .size:           4
        .value_kind:     by_value
      - .offset:         1300
        .size:           4
        .value_kind:     by_value
      - .address_space:  global
        .offset:         1304
        .size:           8
        .value_kind:     global_buffer
      - .address_space:  global
        .offset:         1312
        .size:           8
        .value_kind:     global_buffer
      - .address_space:  global
        .offset:         1320
        .size:           8
        .value_kind:     global_buffer
      - .offset:         1328
        .size:           4
        .value_kind:     by_value
      - .offset:         1336
        .size:           4
        .value_kind:     hidden_block_count_x
      - .offset:         1340
        .size:           4
        .value_kind:     hidden_block_count_y
      - .offset:         1344
        .size:           4
        .value_kind:     hidden_block_count_z
      - .offset:         1348
        .size:           2
        .value_kind:     hidden_group_size_x
      - .offset:         1350
        .size:           2
        .value_kind:     hidden_group_size_y
      - .offset:         1352
        .size:           2
        .value_kind:     hidden_group_size_z
      - .offset:         1354
        .size:           2
        .value_kind:     hidden_remainder_x
      - .offset:         1356
        .size:           2
        .value_kind:     hidden_remainder_y
      - .offset:         1358
        .size:           2
        .value_kind:     hidden_remainder_z
      - .offset:         1376
        .size:           8
        .value_kind:     hidden_global_offset_x
      - .offset:         1384
        .size:           8
        .value_kind:     hidden_global_offset_y
      - .offset:         1392
        .size:           8
        .value_kind:     hidden_global_offset_z
      - .offset:         1400
        .size:           2
        .value_kind:     hidden_grid_dims
    .group_segment_fixed_size: 1068
    .kernarg_segment_align: 8
    .kernarg_segment_size: 1592
    .language:       OpenCL C
    .language_version:
      - 2
      - 0
    .max_flat_workgroup_size: 256
    .name:           _ZN2at6native6mbtopk10gatherTopKIdmLi3EEEvNS_4cuda6detail10TensorInfoIKT_T0_EES8_S8_bjS8_NS5_IS6_S8_EES8_NS5_IlS8_EES8_jjPS6_PjSD_j
    .private_segment_fixed_size: 0
    .sgpr_count:     78
    .sgpr_spill_count: 0
    .symbol:         _ZN2at6native6mbtopk10gatherTopKIdmLi3EEEvNS_4cuda6detail10TensorInfoIKT_T0_EES8_S8_bjS8_NS5_IS6_S8_EES8_NS5_IlS8_EES8_jjPS6_PjSD_j.kd
    .uniform_work_group_size: 1
    .uses_dynamic_stack: false
    .vgpr_count:     25
    .vgpr_spill_count: 0
    .wavefront_size: 32
    .workgroup_processor_mode: 1
  - .args:
      - .offset:         0
        .size:           416
        .value_kind:     by_value
      - .offset:         416
        .size:           8
        .value_kind:     by_value
      - .offset:         424
        .size:           8
        .value_kind:     by_value
      - .offset:         432
        .size:           1
        .value_kind:     by_value
      - .offset:         440
        .size:           8
        .value_kind:     by_value
      - .offset:         448
        .size:           8
        .value_kind:     by_value
      - .offset:         456
        .size:           416
        .value_kind:     by_value
      - .offset:         872
        .size:           8
        .value_kind:     by_value
      - .offset:         880
        .size:           416
        .value_kind:     by_value
      - .offset:         1296
        .size:           8
        .value_kind:     by_value
      - .address_space:  global
        .offset:         1304
        .size:           8
        .value_kind:     global_buffer
      - .offset:         1312
        .size:           4
        .value_kind:     hidden_block_count_x
      - .offset:         1316
        .size:           4
        .value_kind:     hidden_block_count_y
      - .offset:         1320
        .size:           4
        .value_kind:     hidden_block_count_z
      - .offset:         1324
        .size:           2
        .value_kind:     hidden_group_size_x
      - .offset:         1326
        .size:           2
        .value_kind:     hidden_group_size_y
      - .offset:         1328
        .size:           2
        .value_kind:     hidden_group_size_z
      - .offset:         1330
        .size:           2
        .value_kind:     hidden_remainder_x
      - .offset:         1332
        .size:           2
        .value_kind:     hidden_remainder_y
      - .offset:         1334
        .size:           2
        .value_kind:     hidden_remainder_z
      - .offset:         1352
        .size:           8
        .value_kind:     hidden_global_offset_x
      - .offset:         1360
        .size:           8
        .value_kind:     hidden_global_offset_y
      - .offset:         1368
        .size:           8
        .value_kind:     hidden_global_offset_z
      - .offset:         1376
        .size:           2
        .value_kind:     hidden_grid_dims
    .group_segment_fixed_size: 5152
    .kernarg_segment_align: 8
    .kernarg_segment_size: 1568
    .language:       OpenCL C
    .language_version:
      - 2
      - 0
    .max_flat_workgroup_size: 1024
    .name:           _ZN2at6native6sbtopk10gatherTopKIdmLi3ELb0EEEvNS_4cuda6detail10TensorInfoIKT_T0_EES8_S8_bS8_S8_NS5_IS6_S8_EES8_NS5_IlS8_EES8_PS6_
    .private_segment_fixed_size: 0
    .sgpr_count:     107
    .sgpr_spill_count: 7
    .symbol:         _ZN2at6native6sbtopk10gatherTopKIdmLi3ELb0EEEvNS_4cuda6detail10TensorInfoIKT_T0_EES8_S8_bS8_S8_NS5_IS6_S8_EES8_NS5_IlS8_EES8_PS6_.kd
    .uniform_work_group_size: 1
    .uses_dynamic_stack: false
    .vgpr_count:     42
    .vgpr_spill_count: 0
    .wavefront_size: 32
    .workgroup_processor_mode: 1
  - .args:
      - .offset:         0
        .size:           416
        .value_kind:     by_value
      - .offset:         416
        .size:           4
        .value_kind:     by_value
      - .address_space:  global
        .offset:         424
        .size:           8
        .value_kind:     global_buffer
      - .offset:         432
        .size:           4
        .value_kind:     by_value
      - .offset:         440
        .size:           8
        .value_kind:     by_value
      - .offset:         448
        .size:           4
        .value_kind:     by_value
      - .offset:         452
        .size:           4
        .value_kind:     by_value
      - .offset:         456
        .size:           4
        .value_kind:     by_value
      - .offset:         464
        .size:           8
        .value_kind:     by_value
      - .address_space:  global
        .offset:         472
        .size:           8
        .value_kind:     global_buffer
      - .address_space:  global
        .offset:         480
        .size:           8
        .value_kind:     global_buffer
      - .offset:         488
        .size:           4
        .value_kind:     hidden_block_count_x
      - .offset:         492
        .size:           4
        .value_kind:     hidden_block_count_y
      - .offset:         496
        .size:           4
        .value_kind:     hidden_block_count_z
      - .offset:         500
        .size:           2
        .value_kind:     hidden_group_size_x
      - .offset:         502
        .size:           2
        .value_kind:     hidden_group_size_y
      - .offset:         504
        .size:           2
        .value_kind:     hidden_group_size_z
      - .offset:         506
        .size:           2
        .value_kind:     hidden_remainder_x
      - .offset:         508
        .size:           2
        .value_kind:     hidden_remainder_y
      - .offset:         510
        .size:           2
        .value_kind:     hidden_remainder_z
      - .offset:         528
        .size:           8
        .value_kind:     hidden_global_offset_x
      - .offset:         536
        .size:           8
        .value_kind:     hidden_global_offset_y
      - .offset:         544
        .size:           8
        .value_kind:     hidden_global_offset_z
      - .offset:         552
        .size:           2
        .value_kind:     hidden_grid_dims
    .group_segment_fixed_size: 1024
    .kernarg_segment_align: 8
    .kernarg_segment_size: 744
    .language:       OpenCL C
    .language_version:
      - 2
      - 0
    .max_flat_workgroup_size: 256
    .name:           _ZN2at6native6mbtopk23computeBlockDigitCountsIdmmLin1EEEvNS_4cuda6detail10TensorInfoIKT_T0_EEjPjjS8_iijT1_PSB_Ps
    .private_segment_fixed_size: 0
    .sgpr_count:     32
    .sgpr_spill_count: 0
    .symbol:         _ZN2at6native6mbtopk23computeBlockDigitCountsIdmmLin1EEEvNS_4cuda6detail10TensorInfoIKT_T0_EEjPjjS8_iijT1_PSB_Ps.kd
    .uniform_work_group_size: 1
    .uses_dynamic_stack: false
    .vgpr_count:     11
    .vgpr_spill_count: 0
    .wavefront_size: 32
    .workgroup_processor_mode: 1
  - .args:
      - .offset:         0
        .size:           416
        .value_kind:     by_value
      - .offset:         416
        .size:           8
        .value_kind:     by_value
      - .offset:         424
        .size:           8
        .value_kind:     by_value
      - .offset:         432
        .size:           1
        .value_kind:     by_value
      - .offset:         436
        .size:           4
        .value_kind:     by_value
      - .offset:         440
        .size:           8
        .value_kind:     by_value
      - .offset:         448
        .size:           416
        .value_kind:     by_value
      - .offset:         864
        .size:           8
        .value_kind:     by_value
      - .offset:         872
        .size:           416
        .value_kind:     by_value
      - .offset:         1288
        .size:           8
        .value_kind:     by_value
      - .offset:         1296
        .size:           4
        .value_kind:     by_value
      - .offset:         1300
        .size:           4
        .value_kind:     by_value
      - .address_space:  global
        .offset:         1304
        .size:           8
        .value_kind:     global_buffer
      - .address_space:  global
        .offset:         1312
        .size:           8
        .value_kind:     global_buffer
      - .address_space:  global
        .offset:         1320
        .size:           8
        .value_kind:     global_buffer
      - .offset:         1328
        .size:           4
        .value_kind:     by_value
      - .offset:         1336
        .size:           4
        .value_kind:     hidden_block_count_x
      - .offset:         1340
        .size:           4
        .value_kind:     hidden_block_count_y
      - .offset:         1344
        .size:           4
        .value_kind:     hidden_block_count_z
      - .offset:         1348
        .size:           2
        .value_kind:     hidden_group_size_x
      - .offset:         1350
        .size:           2
        .value_kind:     hidden_group_size_y
      - .offset:         1352
        .size:           2
        .value_kind:     hidden_group_size_z
      - .offset:         1354
        .size:           2
        .value_kind:     hidden_remainder_x
      - .offset:         1356
        .size:           2
        .value_kind:     hidden_remainder_y
      - .offset:         1358
        .size:           2
        .value_kind:     hidden_remainder_z
      - .offset:         1376
        .size:           8
        .value_kind:     hidden_global_offset_x
      - .offset:         1384
        .size:           8
        .value_kind:     hidden_global_offset_y
      - .offset:         1392
        .size:           8
        .value_kind:     hidden_global_offset_z
      - .offset:         1400
        .size:           2
        .value_kind:     hidden_grid_dims
    .group_segment_fixed_size: 1068
    .kernarg_segment_align: 8
    .kernarg_segment_size: 1592
    .language:       OpenCL C
    .language_version:
      - 2
      - 0
    .max_flat_workgroup_size: 256
    .name:           _ZN2at6native6mbtopk10gatherTopKIdmLin1EEEvNS_4cuda6detail10TensorInfoIKT_T0_EES8_S8_bjS8_NS5_IS6_S8_EES8_NS5_IlS8_EES8_jjPS6_PjSD_j
    .private_segment_fixed_size: 0
    .sgpr_count:     57
    .sgpr_spill_count: 0
    .symbol:         _ZN2at6native6mbtopk10gatherTopKIdmLin1EEEvNS_4cuda6detail10TensorInfoIKT_T0_EES8_S8_bjS8_NS5_IS6_S8_EES8_NS5_IlS8_EES8_jjPS6_PjSD_j.kd
    .uniform_work_group_size: 1
    .uses_dynamic_stack: false
    .vgpr_count:     25
    .vgpr_spill_count: 0
    .wavefront_size: 32
    .workgroup_processor_mode: 1
  - .args:
      - .offset:         0
        .size:           416
        .value_kind:     by_value
      - .offset:         416
        .size:           8
        .value_kind:     by_value
      - .offset:         424
        .size:           8
        .value_kind:     by_value
      - .offset:         432
        .size:           1
        .value_kind:     by_value
      - .offset:         440
        .size:           8
        .value_kind:     by_value
      - .offset:         448
        .size:           8
        .value_kind:     by_value
      - .offset:         456
        .size:           416
        .value_kind:     by_value
      - .offset:         872
        .size:           8
        .value_kind:     by_value
      - .offset:         880
        .size:           416
        .value_kind:     by_value
      - .offset:         1296
        .size:           8
        .value_kind:     by_value
      - .address_space:  global
        .offset:         1304
        .size:           8
        .value_kind:     global_buffer
      - .offset:         1312
        .size:           4
        .value_kind:     hidden_block_count_x
      - .offset:         1316
        .size:           4
        .value_kind:     hidden_block_count_y
      - .offset:         1320
        .size:           4
        .value_kind:     hidden_block_count_z
      - .offset:         1324
        .size:           2
        .value_kind:     hidden_group_size_x
      - .offset:         1326
        .size:           2
        .value_kind:     hidden_group_size_y
      - .offset:         1328
        .size:           2
        .value_kind:     hidden_group_size_z
      - .offset:         1330
        .size:           2
        .value_kind:     hidden_remainder_x
      - .offset:         1332
        .size:           2
        .value_kind:     hidden_remainder_y
      - .offset:         1334
        .size:           2
        .value_kind:     hidden_remainder_z
      - .offset:         1352
        .size:           8
        .value_kind:     hidden_global_offset_x
      - .offset:         1360
        .size:           8
        .value_kind:     hidden_global_offset_y
      - .offset:         1368
        .size:           8
        .value_kind:     hidden_global_offset_z
      - .offset:         1376
        .size:           2
        .value_kind:     hidden_grid_dims
    .group_segment_fixed_size: 5152
    .kernarg_segment_align: 8
    .kernarg_segment_size: 1568
    .language:       OpenCL C
    .language_version:
      - 2
      - 0
    .max_flat_workgroup_size: 1024
    .name:           _ZN2at6native6sbtopk10gatherTopKIdmLin1ELb0EEEvNS_4cuda6detail10TensorInfoIKT_T0_EES8_S8_bS8_S8_NS5_IS6_S8_EES8_NS5_IlS8_EES8_PS6_
    .private_segment_fixed_size: 0
    .sgpr_count:     107
    .sgpr_spill_count: 15
    .symbol:         _ZN2at6native6sbtopk10gatherTopKIdmLin1ELb0EEEvNS_4cuda6detail10TensorInfoIKT_T0_EES8_S8_bS8_S8_NS5_IS6_S8_EES8_NS5_IlS8_EES8_PS6_.kd
    .uniform_work_group_size: 1
    .uses_dynamic_stack: false
    .vgpr_count:     56
    .vgpr_spill_count: 0
    .wavefront_size: 32
    .workgroup_processor_mode: 1
  - .args:
      - .offset:         0
        .size:           416
        .value_kind:     by_value
      - .offset:         416
        .size:           4
        .value_kind:     by_value
      - .address_space:  global
        .offset:         424
        .size:           8
        .value_kind:     global_buffer
      - .offset:         432
        .size:           4
        .value_kind:     by_value
      - .offset:         440
        .size:           8
        .value_kind:     by_value
      - .offset:         448
        .size:           4
        .value_kind:     by_value
      - .offset:         452
        .size:           4
        .value_kind:     by_value
      - .offset:         456
        .size:           4
        .value_kind:     by_value
      - .offset:         460
        .size:           4
        .value_kind:     by_value
      - .address_space:  global
        .offset:         464
        .size:           8
        .value_kind:     global_buffer
      - .address_space:  global
        .offset:         472
        .size:           8
        .value_kind:     global_buffer
      - .offset:         480
        .size:           4
        .value_kind:     hidden_block_count_x
      - .offset:         484
        .size:           4
        .value_kind:     hidden_block_count_y
      - .offset:         488
        .size:           4
        .value_kind:     hidden_block_count_z
      - .offset:         492
        .size:           2
        .value_kind:     hidden_group_size_x
      - .offset:         494
        .size:           2
        .value_kind:     hidden_group_size_y
      - .offset:         496
        .size:           2
        .value_kind:     hidden_group_size_z
      - .offset:         498
        .size:           2
        .value_kind:     hidden_remainder_x
      - .offset:         500
        .size:           2
        .value_kind:     hidden_remainder_y
      - .offset:         502
        .size:           2
        .value_kind:     hidden_remainder_z
      - .offset:         520
        .size:           8
        .value_kind:     hidden_global_offset_x
      - .offset:         528
        .size:           8
        .value_kind:     hidden_global_offset_y
      - .offset:         536
        .size:           8
        .value_kind:     hidden_global_offset_z
      - .offset:         544
        .size:           2
        .value_kind:     hidden_grid_dims
    .group_segment_fixed_size: 1024
    .kernarg_segment_align: 8
    .kernarg_segment_size: 736
    .language:       OpenCL C
    .language_version:
      - 2
      - 0
    .max_flat_workgroup_size: 256
    .name:           _ZN2at6native6mbtopk23computeBlockDigitCountsIfmjLi1EEEvNS_4cuda6detail10TensorInfoIKT_T0_EEjPjjS8_iijT1_PSB_Ps
    .private_segment_fixed_size: 0
    .sgpr_count:     24
    .sgpr_spill_count: 0
    .symbol:         _ZN2at6native6mbtopk23computeBlockDigitCountsIfmjLi1EEEvNS_4cuda6detail10TensorInfoIKT_T0_EEjPjjS8_iijT1_PSB_Ps.kd
    .uniform_work_group_size: 1
    .uses_dynamic_stack: false
    .vgpr_count:     9
    .vgpr_spill_count: 0
    .wavefront_size: 32
    .workgroup_processor_mode: 1
  - .args:
      - .offset:         0
        .size:           416
        .value_kind:     by_value
      - .offset:         416
        .size:           8
        .value_kind:     by_value
      - .offset:         424
        .size:           8
        .value_kind:     by_value
      - .offset:         432
        .size:           1
        .value_kind:     by_value
      - .offset:         436
        .size:           4
        .value_kind:     by_value
      - .offset:         440
        .size:           8
        .value_kind:     by_value
      - .offset:         448
        .size:           416
        .value_kind:     by_value
      - .offset:         864
        .size:           8
        .value_kind:     by_value
      - .offset:         872
        .size:           416
        .value_kind:     by_value
      - .offset:         1288
        .size:           8
        .value_kind:     by_value
      - .offset:         1296
        .size:           4
        .value_kind:     by_value
      - .offset:         1300
        .size:           4
        .value_kind:     by_value
      - .address_space:  global
        .offset:         1304
        .size:           8
        .value_kind:     global_buffer
      - .address_space:  global
        .offset:         1312
        .size:           8
        .value_kind:     global_buffer
      - .address_space:  global
        .offset:         1320
        .size:           8
        .value_kind:     global_buffer
      - .offset:         1328
        .size:           4
        .value_kind:     by_value
      - .offset:         1336
        .size:           4
        .value_kind:     hidden_block_count_x
      - .offset:         1340
        .size:           4
        .value_kind:     hidden_block_count_y
      - .offset:         1344
        .size:           4
        .value_kind:     hidden_block_count_z
      - .offset:         1348
        .size:           2
        .value_kind:     hidden_group_size_x
      - .offset:         1350
        .size:           2
        .value_kind:     hidden_group_size_y
      - .offset:         1352
        .size:           2
        .value_kind:     hidden_group_size_z
      - .offset:         1354
        .size:           2
        .value_kind:     hidden_remainder_x
      - .offset:         1356
        .size:           2
        .value_kind:     hidden_remainder_y
      - .offset:         1358
        .size:           2
        .value_kind:     hidden_remainder_z
      - .offset:         1376
        .size:           8
        .value_kind:     hidden_global_offset_x
      - .offset:         1384
        .size:           8
        .value_kind:     hidden_global_offset_y
      - .offset:         1392
        .size:           8
        .value_kind:     hidden_global_offset_z
      - .offset:         1400
        .size:           2
        .value_kind:     hidden_grid_dims
    .group_segment_fixed_size: 1068
    .kernarg_segment_align: 8
    .kernarg_segment_size: 1592
    .language:       OpenCL C
    .language_version:
      - 2
      - 0
    .max_flat_workgroup_size: 256
    .name:           _ZN2at6native6mbtopk10gatherTopKIfmLi1EEEvNS_4cuda6detail10TensorInfoIKT_T0_EES8_S8_bjS8_NS5_IS6_S8_EES8_NS5_IlS8_EES8_jjPS6_PjSD_j
    .private_segment_fixed_size: 0
    .sgpr_count:     44
    .sgpr_spill_count: 0
    .symbol:         _ZN2at6native6mbtopk10gatherTopKIfmLi1EEEvNS_4cuda6detail10TensorInfoIKT_T0_EES8_S8_bjS8_NS5_IS6_S8_EES8_NS5_IlS8_EES8_jjPS6_PjSD_j.kd
    .uniform_work_group_size: 1
    .uses_dynamic_stack: false
    .vgpr_count:     24
    .vgpr_spill_count: 0
    .wavefront_size: 32
    .workgroup_processor_mode: 1
  - .args:
      - .offset:         0
        .size:           416
        .value_kind:     by_value
      - .offset:         416
        .size:           8
        .value_kind:     by_value
      - .offset:         424
        .size:           8
        .value_kind:     by_value
      - .offset:         432
        .size:           1
        .value_kind:     by_value
      - .offset:         440
        .size:           8
        .value_kind:     by_value
      - .offset:         448
        .size:           8
        .value_kind:     by_value
      - .offset:         456
        .size:           416
        .value_kind:     by_value
      - .offset:         872
        .size:           8
        .value_kind:     by_value
      - .offset:         880
        .size:           416
        .value_kind:     by_value
      - .offset:         1296
        .size:           8
        .value_kind:     by_value
      - .address_space:  global
        .offset:         1304
        .size:           8
        .value_kind:     global_buffer
      - .offset:         1312
        .size:           4
        .value_kind:     hidden_block_count_x
      - .offset:         1316
        .size:           4
        .value_kind:     hidden_block_count_y
      - .offset:         1320
        .size:           4
        .value_kind:     hidden_block_count_z
      - .offset:         1324
        .size:           2
        .value_kind:     hidden_group_size_x
      - .offset:         1326
        .size:           2
        .value_kind:     hidden_group_size_y
      - .offset:         1328
        .size:           2
        .value_kind:     hidden_group_size_z
      - .offset:         1330
        .size:           2
        .value_kind:     hidden_remainder_x
      - .offset:         1332
        .size:           2
        .value_kind:     hidden_remainder_y
      - .offset:         1334
        .size:           2
        .value_kind:     hidden_remainder_z
      - .offset:         1352
        .size:           8
        .value_kind:     hidden_global_offset_x
      - .offset:         1360
        .size:           8
        .value_kind:     hidden_global_offset_y
      - .offset:         1368
        .size:           8
        .value_kind:     hidden_global_offset_z
      - .offset:         1376
        .size:           2
        .value_kind:     hidden_grid_dims
    .group_segment_fixed_size: 5152
    .kernarg_segment_align: 8
    .kernarg_segment_size: 1568
    .language:       OpenCL C
    .language_version:
      - 2
      - 0
    .max_flat_workgroup_size: 1024
    .name:           _ZN2at6native6sbtopk10gatherTopKIfmLi1ELb0EEEvNS_4cuda6detail10TensorInfoIKT_T0_EES8_S8_bS8_S8_NS5_IS6_S8_EES8_NS5_IlS8_EES8_PS6_
    .private_segment_fixed_size: 0
    .sgpr_count:     107
    .sgpr_spill_count: 6
    .symbol:         _ZN2at6native6sbtopk10gatherTopKIfmLi1ELb0EEEvNS_4cuda6detail10TensorInfoIKT_T0_EES8_S8_bS8_S8_NS5_IS6_S8_EES8_NS5_IlS8_EES8_PS6_.kd
    .uniform_work_group_size: 1
    .uses_dynamic_stack: false
    .vgpr_count:     48
    .vgpr_spill_count: 0
    .wavefront_size: 32
    .workgroup_processor_mode: 1
  - .args:
      - .offset:         0
        .size:           416
        .value_kind:     by_value
      - .offset:         416
        .size:           4
        .value_kind:     by_value
      - .address_space:  global
        .offset:         424
        .size:           8
        .value_kind:     global_buffer
      - .offset:         432
        .size:           4
        .value_kind:     by_value
      - .offset:         440
        .size:           8
        .value_kind:     by_value
      - .offset:         448
        .size:           4
        .value_kind:     by_value
      - .offset:         452
        .size:           4
        .value_kind:     by_value
      - .offset:         456
        .size:           4
        .value_kind:     by_value
      - .offset:         460
        .size:           4
        .value_kind:     by_value
      - .address_space:  global
        .offset:         464
        .size:           8
        .value_kind:     global_buffer
      - .address_space:  global
        .offset:         472
        .size:           8
        .value_kind:     global_buffer
      - .offset:         480
        .size:           4
        .value_kind:     hidden_block_count_x
      - .offset:         484
        .size:           4
        .value_kind:     hidden_block_count_y
      - .offset:         488
        .size:           4
        .value_kind:     hidden_block_count_z
      - .offset:         492
        .size:           2
        .value_kind:     hidden_group_size_x
      - .offset:         494
        .size:           2
        .value_kind:     hidden_group_size_y
      - .offset:         496
        .size:           2
        .value_kind:     hidden_group_size_z
      - .offset:         498
        .size:           2
        .value_kind:     hidden_remainder_x
      - .offset:         500
        .size:           2
        .value_kind:     hidden_remainder_y
      - .offset:         502
        .size:           2
        .value_kind:     hidden_remainder_z
      - .offset:         520
        .size:           8
        .value_kind:     hidden_global_offset_x
      - .offset:         528
        .size:           8
        .value_kind:     hidden_global_offset_y
      - .offset:         536
        .size:           8
        .value_kind:     hidden_global_offset_z
      - .offset:         544
        .size:           2
        .value_kind:     hidden_grid_dims
    .group_segment_fixed_size: 1024
    .kernarg_segment_align: 8
    .kernarg_segment_size: 736
    .language:       OpenCL C
    .language_version:
      - 2
      - 0
    .max_flat_workgroup_size: 256
    .name:           _ZN2at6native6mbtopk23computeBlockDigitCountsIfmjLi2EEEvNS_4cuda6detail10TensorInfoIKT_T0_EEjPjjS8_iijT1_PSB_Ps
    .private_segment_fixed_size: 0
    .sgpr_count:     27
    .sgpr_spill_count: 0
    .symbol:         _ZN2at6native6mbtopk23computeBlockDigitCountsIfmjLi2EEEvNS_4cuda6detail10TensorInfoIKT_T0_EEjPjjS8_iijT1_PSB_Ps.kd
    .uniform_work_group_size: 1
    .uses_dynamic_stack: false
    .vgpr_count:     9
    .vgpr_spill_count: 0
    .wavefront_size: 32
    .workgroup_processor_mode: 1
  - .args:
      - .offset:         0
        .size:           416
        .value_kind:     by_value
      - .offset:         416
        .size:           8
        .value_kind:     by_value
      - .offset:         424
        .size:           8
        .value_kind:     by_value
      - .offset:         432
        .size:           1
        .value_kind:     by_value
      - .offset:         436
        .size:           4
        .value_kind:     by_value
      - .offset:         440
        .size:           8
        .value_kind:     by_value
      - .offset:         448
        .size:           416
        .value_kind:     by_value
      - .offset:         864
        .size:           8
        .value_kind:     by_value
      - .offset:         872
        .size:           416
        .value_kind:     by_value
      - .offset:         1288
        .size:           8
        .value_kind:     by_value
      - .offset:         1296
        .size:           4
        .value_kind:     by_value
      - .offset:         1300
        .size:           4
        .value_kind:     by_value
      - .address_space:  global
        .offset:         1304
        .size:           8
        .value_kind:     global_buffer
      - .address_space:  global
        .offset:         1312
        .size:           8
        .value_kind:     global_buffer
      - .address_space:  global
        .offset:         1320
        .size:           8
        .value_kind:     global_buffer
      - .offset:         1328
        .size:           4
        .value_kind:     by_value
      - .offset:         1336
        .size:           4
        .value_kind:     hidden_block_count_x
      - .offset:         1340
        .size:           4
        .value_kind:     hidden_block_count_y
      - .offset:         1344
        .size:           4
        .value_kind:     hidden_block_count_z
      - .offset:         1348
        .size:           2
        .value_kind:     hidden_group_size_x
      - .offset:         1350
        .size:           2
        .value_kind:     hidden_group_size_y
      - .offset:         1352
        .size:           2
        .value_kind:     hidden_group_size_z
      - .offset:         1354
        .size:           2
        .value_kind:     hidden_remainder_x
      - .offset:         1356
        .size:           2
        .value_kind:     hidden_remainder_y
      - .offset:         1358
        .size:           2
        .value_kind:     hidden_remainder_z
      - .offset:         1376
        .size:           8
        .value_kind:     hidden_global_offset_x
      - .offset:         1384
        .size:           8
        .value_kind:     hidden_global_offset_y
      - .offset:         1392
        .size:           8
        .value_kind:     hidden_global_offset_z
      - .offset:         1400
        .size:           2
        .value_kind:     hidden_grid_dims
    .group_segment_fixed_size: 1068
    .kernarg_segment_align: 8
    .kernarg_segment_size: 1592
    .language:       OpenCL C
    .language_version:
      - 2
      - 0
    .max_flat_workgroup_size: 256
    .name:           _ZN2at6native6mbtopk10gatherTopKIfmLi2EEEvNS_4cuda6detail10TensorInfoIKT_T0_EES8_S8_bjS8_NS5_IS6_S8_EES8_NS5_IlS8_EES8_jjPS6_PjSD_j
    .private_segment_fixed_size: 0
    .sgpr_count:     53
    .sgpr_spill_count: 0
    .symbol:         _ZN2at6native6mbtopk10gatherTopKIfmLi2EEEvNS_4cuda6detail10TensorInfoIKT_T0_EES8_S8_bjS8_NS5_IS6_S8_EES8_NS5_IlS8_EES8_jjPS6_PjSD_j.kd
    .uniform_work_group_size: 1
    .uses_dynamic_stack: false
    .vgpr_count:     24
    .vgpr_spill_count: 0
    .wavefront_size: 32
    .workgroup_processor_mode: 1
  - .args:
      - .offset:         0
        .size:           416
        .value_kind:     by_value
      - .offset:         416
        .size:           8
        .value_kind:     by_value
      - .offset:         424
        .size:           8
        .value_kind:     by_value
      - .offset:         432
        .size:           1
        .value_kind:     by_value
      - .offset:         440
        .size:           8
        .value_kind:     by_value
      - .offset:         448
        .size:           8
        .value_kind:     by_value
      - .offset:         456
        .size:           416
        .value_kind:     by_value
      - .offset:         872
        .size:           8
        .value_kind:     by_value
      - .offset:         880
        .size:           416
        .value_kind:     by_value
      - .offset:         1296
        .size:           8
        .value_kind:     by_value
      - .address_space:  global
        .offset:         1304
        .size:           8
        .value_kind:     global_buffer
      - .offset:         1312
        .size:           4
        .value_kind:     hidden_block_count_x
      - .offset:         1316
        .size:           4
        .value_kind:     hidden_block_count_y
      - .offset:         1320
        .size:           4
        .value_kind:     hidden_block_count_z
      - .offset:         1324
        .size:           2
        .value_kind:     hidden_group_size_x
      - .offset:         1326
        .size:           2
        .value_kind:     hidden_group_size_y
      - .offset:         1328
        .size:           2
        .value_kind:     hidden_group_size_z
      - .offset:         1330
        .size:           2
        .value_kind:     hidden_remainder_x
      - .offset:         1332
        .size:           2
        .value_kind:     hidden_remainder_y
      - .offset:         1334
        .size:           2
        .value_kind:     hidden_remainder_z
      - .offset:         1352
        .size:           8
        .value_kind:     hidden_global_offset_x
      - .offset:         1360
        .size:           8
        .value_kind:     hidden_global_offset_y
      - .offset:         1368
        .size:           8
        .value_kind:     hidden_global_offset_z
      - .offset:         1376
        .size:           2
        .value_kind:     hidden_grid_dims
    .group_segment_fixed_size: 5152
    .kernarg_segment_align: 8
    .kernarg_segment_size: 1568
    .language:       OpenCL C
    .language_version:
      - 2
      - 0
    .max_flat_workgroup_size: 1024
    .name:           _ZN2at6native6sbtopk10gatherTopKIfmLi2ELb0EEEvNS_4cuda6detail10TensorInfoIKT_T0_EES8_S8_bS8_S8_NS5_IS6_S8_EES8_NS5_IlS8_EES8_PS6_
    .private_segment_fixed_size: 0
    .sgpr_count:     107
    .sgpr_spill_count: 2
    .symbol:         _ZN2at6native6sbtopk10gatherTopKIfmLi2ELb0EEEvNS_4cuda6detail10TensorInfoIKT_T0_EES8_S8_bS8_S8_NS5_IS6_S8_EES8_NS5_IlS8_EES8_PS6_.kd
    .uniform_work_group_size: 1
    .uses_dynamic_stack: false
    .vgpr_count:     40
    .vgpr_spill_count: 0
    .wavefront_size: 32
    .workgroup_processor_mode: 1
  - .args:
      - .offset:         0
        .size:           416
        .value_kind:     by_value
      - .offset:         416
        .size:           4
        .value_kind:     by_value
      - .address_space:  global
        .offset:         424
        .size:           8
        .value_kind:     global_buffer
      - .offset:         432
        .size:           4
        .value_kind:     by_value
      - .offset:         440
        .size:           8
        .value_kind:     by_value
      - .offset:         448
        .size:           4
        .value_kind:     by_value
      - .offset:         452
        .size:           4
        .value_kind:     by_value
      - .offset:         456
        .size:           4
        .value_kind:     by_value
      - .offset:         460
        .size:           4
        .value_kind:     by_value
      - .address_space:  global
        .offset:         464
        .size:           8
        .value_kind:     global_buffer
      - .address_space:  global
        .offset:         472
        .size:           8
        .value_kind:     global_buffer
      - .offset:         480
        .size:           4
        .value_kind:     hidden_block_count_x
      - .offset:         484
        .size:           4
        .value_kind:     hidden_block_count_y
      - .offset:         488
        .size:           4
        .value_kind:     hidden_block_count_z
      - .offset:         492
        .size:           2
        .value_kind:     hidden_group_size_x
      - .offset:         494
        .size:           2
        .value_kind:     hidden_group_size_y
      - .offset:         496
        .size:           2
        .value_kind:     hidden_group_size_z
      - .offset:         498
        .size:           2
        .value_kind:     hidden_remainder_x
      - .offset:         500
        .size:           2
        .value_kind:     hidden_remainder_y
      - .offset:         502
        .size:           2
        .value_kind:     hidden_remainder_z
      - .offset:         520
        .size:           8
        .value_kind:     hidden_global_offset_x
      - .offset:         528
        .size:           8
        .value_kind:     hidden_global_offset_y
      - .offset:         536
        .size:           8
        .value_kind:     hidden_global_offset_z
      - .offset:         544
        .size:           2
        .value_kind:     hidden_grid_dims
    .group_segment_fixed_size: 1024
    .kernarg_segment_align: 8
    .kernarg_segment_size: 736
    .language:       OpenCL C
    .language_version:
      - 2
      - 0
    .max_flat_workgroup_size: 256
    .name:           _ZN2at6native6mbtopk23computeBlockDigitCountsIfmjLi3EEEvNS_4cuda6detail10TensorInfoIKT_T0_EEjPjjS8_iijT1_PSB_Ps
    .private_segment_fixed_size: 0
    .sgpr_count:     34
    .sgpr_spill_count: 0
    .symbol:         _ZN2at6native6mbtopk23computeBlockDigitCountsIfmjLi3EEEvNS_4cuda6detail10TensorInfoIKT_T0_EEjPjjS8_iijT1_PSB_Ps.kd
    .uniform_work_group_size: 1
    .uses_dynamic_stack: false
    .vgpr_count:     9
    .vgpr_spill_count: 0
    .wavefront_size: 32
    .workgroup_processor_mode: 1
  - .args:
      - .offset:         0
        .size:           416
        .value_kind:     by_value
      - .offset:         416
        .size:           8
        .value_kind:     by_value
      - .offset:         424
        .size:           8
        .value_kind:     by_value
      - .offset:         432
        .size:           1
        .value_kind:     by_value
      - .offset:         436
        .size:           4
        .value_kind:     by_value
      - .offset:         440
        .size:           8
        .value_kind:     by_value
      - .offset:         448
        .size:           416
        .value_kind:     by_value
      - .offset:         864
        .size:           8
        .value_kind:     by_value
      - .offset:         872
        .size:           416
        .value_kind:     by_value
      - .offset:         1288
        .size:           8
        .value_kind:     by_value
      - .offset:         1296
        .size:           4
        .value_kind:     by_value
      - .offset:         1300
        .size:           4
        .value_kind:     by_value
      - .address_space:  global
        .offset:         1304
        .size:           8
        .value_kind:     global_buffer
      - .address_space:  global
        .offset:         1312
        .size:           8
        .value_kind:     global_buffer
      - .address_space:  global
        .offset:         1320
        .size:           8
        .value_kind:     global_buffer
      - .offset:         1328
        .size:           4
        .value_kind:     by_value
      - .offset:         1336
        .size:           4
        .value_kind:     hidden_block_count_x
      - .offset:         1340
        .size:           4
        .value_kind:     hidden_block_count_y
      - .offset:         1344
        .size:           4
        .value_kind:     hidden_block_count_z
      - .offset:         1348
        .size:           2
        .value_kind:     hidden_group_size_x
      - .offset:         1350
        .size:           2
        .value_kind:     hidden_group_size_y
      - .offset:         1352
        .size:           2
        .value_kind:     hidden_group_size_z
      - .offset:         1354
        .size:           2
        .value_kind:     hidden_remainder_x
      - .offset:         1356
        .size:           2
        .value_kind:     hidden_remainder_y
      - .offset:         1358
        .size:           2
        .value_kind:     hidden_remainder_z
      - .offset:         1376
        .size:           8
        .value_kind:     hidden_global_offset_x
      - .offset:         1384
        .size:           8
        .value_kind:     hidden_global_offset_y
      - .offset:         1392
        .size:           8
        .value_kind:     hidden_global_offset_z
      - .offset:         1400
        .size:           2
        .value_kind:     hidden_grid_dims
    .group_segment_fixed_size: 1068
    .kernarg_segment_align: 8
    .kernarg_segment_size: 1592
    .language:       OpenCL C
    .language_version:
      - 2
      - 0
    .max_flat_workgroup_size: 256
    .name:           _ZN2at6native6mbtopk10gatherTopKIfmLi3EEEvNS_4cuda6detail10TensorInfoIKT_T0_EES8_S8_bjS8_NS5_IS6_S8_EES8_NS5_IlS8_EES8_jjPS6_PjSD_j
    .private_segment_fixed_size: 0
    .sgpr_count:     77
    .sgpr_spill_count: 0
    .symbol:         _ZN2at6native6mbtopk10gatherTopKIfmLi3EEEvNS_4cuda6detail10TensorInfoIKT_T0_EES8_S8_bjS8_NS5_IS6_S8_EES8_NS5_IlS8_EES8_jjPS6_PjSD_j.kd
    .uniform_work_group_size: 1
    .uses_dynamic_stack: false
    .vgpr_count:     24
    .vgpr_spill_count: 0
    .wavefront_size: 32
    .workgroup_processor_mode: 1
  - .args:
      - .offset:         0
        .size:           416
        .value_kind:     by_value
      - .offset:         416
        .size:           8
        .value_kind:     by_value
      - .offset:         424
        .size:           8
        .value_kind:     by_value
      - .offset:         432
        .size:           1
        .value_kind:     by_value
      - .offset:         440
        .size:           8
        .value_kind:     by_value
      - .offset:         448
        .size:           8
        .value_kind:     by_value
      - .offset:         456
        .size:           416
        .value_kind:     by_value
      - .offset:         872
        .size:           8
        .value_kind:     by_value
      - .offset:         880
        .size:           416
        .value_kind:     by_value
      - .offset:         1296
        .size:           8
        .value_kind:     by_value
      - .address_space:  global
        .offset:         1304
        .size:           8
        .value_kind:     global_buffer
      - .offset:         1312
        .size:           4
        .value_kind:     hidden_block_count_x
      - .offset:         1316
        .size:           4
        .value_kind:     hidden_block_count_y
      - .offset:         1320
        .size:           4
        .value_kind:     hidden_block_count_z
      - .offset:         1324
        .size:           2
        .value_kind:     hidden_group_size_x
      - .offset:         1326
        .size:           2
        .value_kind:     hidden_group_size_y
      - .offset:         1328
        .size:           2
        .value_kind:     hidden_group_size_z
      - .offset:         1330
        .size:           2
        .value_kind:     hidden_remainder_x
      - .offset:         1332
        .size:           2
        .value_kind:     hidden_remainder_y
      - .offset:         1334
        .size:           2
        .value_kind:     hidden_remainder_z
      - .offset:         1352
        .size:           8
        .value_kind:     hidden_global_offset_x
      - .offset:         1360
        .size:           8
        .value_kind:     hidden_global_offset_y
      - .offset:         1368
        .size:           8
        .value_kind:     hidden_global_offset_z
      - .offset:         1376
        .size:           2
        .value_kind:     hidden_grid_dims
    .group_segment_fixed_size: 5152
    .kernarg_segment_align: 8
    .kernarg_segment_size: 1568
    .language:       OpenCL C
    .language_version:
      - 2
      - 0
    .max_flat_workgroup_size: 1024
    .name:           _ZN2at6native6sbtopk10gatherTopKIfmLi3ELb0EEEvNS_4cuda6detail10TensorInfoIKT_T0_EES8_S8_bS8_S8_NS5_IS6_S8_EES8_NS5_IlS8_EES8_PS6_
    .private_segment_fixed_size: 0
    .sgpr_count:     107
    .sgpr_spill_count: 6
    .symbol:         _ZN2at6native6sbtopk10gatherTopKIfmLi3ELb0EEEvNS_4cuda6detail10TensorInfoIKT_T0_EES8_S8_bS8_S8_NS5_IS6_S8_EES8_NS5_IlS8_EES8_PS6_.kd
    .uniform_work_group_size: 1
    .uses_dynamic_stack: false
    .vgpr_count:     40
    .vgpr_spill_count: 0
    .wavefront_size: 32
    .workgroup_processor_mode: 1
  - .args:
      - .offset:         0
        .size:           416
        .value_kind:     by_value
      - .offset:         416
        .size:           4
        .value_kind:     by_value
      - .address_space:  global
        .offset:         424
        .size:           8
        .value_kind:     global_buffer
      - .offset:         432
        .size:           4
        .value_kind:     by_value
      - .offset:         440
        .size:           8
        .value_kind:     by_value
      - .offset:         448
        .size:           4
        .value_kind:     by_value
      - .offset:         452
        .size:           4
        .value_kind:     by_value
      - .offset:         456
        .size:           4
        .value_kind:     by_value
      - .offset:         460
        .size:           4
        .value_kind:     by_value
      - .address_space:  global
        .offset:         464
        .size:           8
        .value_kind:     global_buffer
      - .address_space:  global
        .offset:         472
        .size:           8
        .value_kind:     global_buffer
      - .offset:         480
        .size:           4
        .value_kind:     hidden_block_count_x
      - .offset:         484
        .size:           4
        .value_kind:     hidden_block_count_y
      - .offset:         488
        .size:           4
        .value_kind:     hidden_block_count_z
      - .offset:         492
        .size:           2
        .value_kind:     hidden_group_size_x
      - .offset:         494
        .size:           2
        .value_kind:     hidden_group_size_y
      - .offset:         496
        .size:           2
        .value_kind:     hidden_group_size_z
      - .offset:         498
        .size:           2
        .value_kind:     hidden_remainder_x
      - .offset:         500
        .size:           2
        .value_kind:     hidden_remainder_y
      - .offset:         502
        .size:           2
        .value_kind:     hidden_remainder_z
      - .offset:         520
        .size:           8
        .value_kind:     hidden_global_offset_x
      - .offset:         528
        .size:           8
        .value_kind:     hidden_global_offset_y
      - .offset:         536
        .size:           8
        .value_kind:     hidden_global_offset_z
      - .offset:         544
        .size:           2
        .value_kind:     hidden_grid_dims
    .group_segment_fixed_size: 1024
    .kernarg_segment_align: 8
    .kernarg_segment_size: 736
    .language:       OpenCL C
    .language_version:
      - 2
      - 0
    .max_flat_workgroup_size: 256
    .name:           _ZN2at6native6mbtopk23computeBlockDigitCountsIfmjLin1EEEvNS_4cuda6detail10TensorInfoIKT_T0_EEjPjjS8_iijT1_PSB_Ps
    .private_segment_fixed_size: 0
    .sgpr_count:     30
    .sgpr_spill_count: 0
    .symbol:         _ZN2at6native6mbtopk23computeBlockDigitCountsIfmjLin1EEEvNS_4cuda6detail10TensorInfoIKT_T0_EEjPjjS8_iijT1_PSB_Ps.kd
    .uniform_work_group_size: 1
    .uses_dynamic_stack: false
    .vgpr_count:     9
    .vgpr_spill_count: 0
    .wavefront_size: 32
    .workgroup_processor_mode: 1
  - .args:
      - .offset:         0
        .size:           416
        .value_kind:     by_value
      - .offset:         416
        .size:           8
        .value_kind:     by_value
      - .offset:         424
        .size:           8
        .value_kind:     by_value
      - .offset:         432
        .size:           1
        .value_kind:     by_value
      - .offset:         436
        .size:           4
        .value_kind:     by_value
      - .offset:         440
        .size:           8
        .value_kind:     by_value
      - .offset:         448
        .size:           416
        .value_kind:     by_value
      - .offset:         864
        .size:           8
        .value_kind:     by_value
      - .offset:         872
        .size:           416
        .value_kind:     by_value
      - .offset:         1288
        .size:           8
        .value_kind:     by_value
      - .offset:         1296
        .size:           4
        .value_kind:     by_value
      - .offset:         1300
        .size:           4
        .value_kind:     by_value
      - .address_space:  global
        .offset:         1304
        .size:           8
        .value_kind:     global_buffer
      - .address_space:  global
        .offset:         1312
        .size:           8
        .value_kind:     global_buffer
      - .address_space:  global
        .offset:         1320
        .size:           8
        .value_kind:     global_buffer
      - .offset:         1328
        .size:           4
        .value_kind:     by_value
      - .offset:         1336
        .size:           4
        .value_kind:     hidden_block_count_x
      - .offset:         1340
        .size:           4
        .value_kind:     hidden_block_count_y
      - .offset:         1344
        .size:           4
        .value_kind:     hidden_block_count_z
      - .offset:         1348
        .size:           2
        .value_kind:     hidden_group_size_x
      - .offset:         1350
        .size:           2
        .value_kind:     hidden_group_size_y
      - .offset:         1352
        .size:           2
        .value_kind:     hidden_group_size_z
      - .offset:         1354
        .size:           2
        .value_kind:     hidden_remainder_x
      - .offset:         1356
        .size:           2
        .value_kind:     hidden_remainder_y
      - .offset:         1358
        .size:           2
        .value_kind:     hidden_remainder_z
      - .offset:         1376
        .size:           8
        .value_kind:     hidden_global_offset_x
      - .offset:         1384
        .size:           8
        .value_kind:     hidden_global_offset_y
      - .offset:         1392
        .size:           8
        .value_kind:     hidden_global_offset_z
      - .offset:         1400
        .size:           2
        .value_kind:     hidden_grid_dims
    .group_segment_fixed_size: 1068
    .kernarg_segment_align: 8
    .kernarg_segment_size: 1592
    .language:       OpenCL C
    .language_version:
      - 2
      - 0
    .max_flat_workgroup_size: 256
    .name:           _ZN2at6native6mbtopk10gatherTopKIfmLin1EEEvNS_4cuda6detail10TensorInfoIKT_T0_EES8_S8_bjS8_NS5_IS6_S8_EES8_NS5_IlS8_EES8_jjPS6_PjSD_j
    .private_segment_fixed_size: 0
    .sgpr_count:     56
    .sgpr_spill_count: 0
    .symbol:         _ZN2at6native6mbtopk10gatherTopKIfmLin1EEEvNS_4cuda6detail10TensorInfoIKT_T0_EES8_S8_bjS8_NS5_IS6_S8_EES8_NS5_IlS8_EES8_jjPS6_PjSD_j.kd
    .uniform_work_group_size: 1
    .uses_dynamic_stack: false
    .vgpr_count:     24
    .vgpr_spill_count: 0
    .wavefront_size: 32
    .workgroup_processor_mode: 1
  - .args:
      - .offset:         0
        .size:           416
        .value_kind:     by_value
      - .offset:         416
        .size:           8
        .value_kind:     by_value
      - .offset:         424
        .size:           8
        .value_kind:     by_value
      - .offset:         432
        .size:           1
        .value_kind:     by_value
      - .offset:         440
        .size:           8
        .value_kind:     by_value
      - .offset:         448
        .size:           8
        .value_kind:     by_value
      - .offset:         456
        .size:           416
        .value_kind:     by_value
      - .offset:         872
        .size:           8
        .value_kind:     by_value
      - .offset:         880
        .size:           416
        .value_kind:     by_value
      - .offset:         1296
        .size:           8
        .value_kind:     by_value
      - .address_space:  global
        .offset:         1304
        .size:           8
        .value_kind:     global_buffer
      - .offset:         1312
        .size:           4
        .value_kind:     hidden_block_count_x
      - .offset:         1316
        .size:           4
        .value_kind:     hidden_block_count_y
      - .offset:         1320
        .size:           4
        .value_kind:     hidden_block_count_z
      - .offset:         1324
        .size:           2
        .value_kind:     hidden_group_size_x
      - .offset:         1326
        .size:           2
        .value_kind:     hidden_group_size_y
      - .offset:         1328
        .size:           2
        .value_kind:     hidden_group_size_z
      - .offset:         1330
        .size:           2
        .value_kind:     hidden_remainder_x
      - .offset:         1332
        .size:           2
        .value_kind:     hidden_remainder_y
      - .offset:         1334
        .size:           2
        .value_kind:     hidden_remainder_z
      - .offset:         1352
        .size:           8
        .value_kind:     hidden_global_offset_x
      - .offset:         1360
        .size:           8
        .value_kind:     hidden_global_offset_y
      - .offset:         1368
        .size:           8
        .value_kind:     hidden_global_offset_z
      - .offset:         1376
        .size:           2
        .value_kind:     hidden_grid_dims
    .group_segment_fixed_size: 5152
    .kernarg_segment_align: 8
    .kernarg_segment_size: 1568
    .language:       OpenCL C
    .language_version:
      - 2
      - 0
    .max_flat_workgroup_size: 1024
    .name:           _ZN2at6native6sbtopk10gatherTopKIfmLin1ELb0EEEvNS_4cuda6detail10TensorInfoIKT_T0_EES8_S8_bS8_S8_NS5_IS6_S8_EES8_NS5_IlS8_EES8_PS6_
    .private_segment_fixed_size: 0
    .sgpr_count:     107
    .sgpr_spill_count: 13
    .symbol:         _ZN2at6native6sbtopk10gatherTopKIfmLin1ELb0EEEvNS_4cuda6detail10TensorInfoIKT_T0_EES8_S8_bS8_S8_NS5_IS6_S8_EES8_NS5_IlS8_EES8_PS6_.kd
    .uniform_work_group_size: 1
    .uses_dynamic_stack: false
    .vgpr_count:     50
    .vgpr_spill_count: 0
    .wavefront_size: 32
    .workgroup_processor_mode: 1
  - .args:
      - .offset:         0
        .size:           416
        .value_kind:     by_value
      - .offset:         416
        .size:           4
        .value_kind:     by_value
      - .address_space:  global
        .offset:         424
        .size:           8
        .value_kind:     global_buffer
      - .offset:         432
        .size:           4
        .value_kind:     by_value
      - .offset:         440
        .size:           8
        .value_kind:     by_value
      - .offset:         448
        .size:           4
        .value_kind:     by_value
      - .offset:         452
        .size:           4
        .value_kind:     by_value
      - .offset:         456
        .size:           4
        .value_kind:     by_value
      - .offset:         460
        .size:           4
        .value_kind:     by_value
      - .address_space:  global
        .offset:         464
        .size:           8
        .value_kind:     global_buffer
      - .address_space:  global
        .offset:         472
        .size:           8
        .value_kind:     global_buffer
      - .offset:         480
        .size:           4
        .value_kind:     hidden_block_count_x
      - .offset:         484
        .size:           4
        .value_kind:     hidden_block_count_y
      - .offset:         488
        .size:           4
        .value_kind:     hidden_block_count_z
      - .offset:         492
        .size:           2
        .value_kind:     hidden_group_size_x
      - .offset:         494
        .size:           2
        .value_kind:     hidden_group_size_y
      - .offset:         496
        .size:           2
        .value_kind:     hidden_group_size_z
      - .offset:         498
        .size:           2
        .value_kind:     hidden_remainder_x
      - .offset:         500
        .size:           2
        .value_kind:     hidden_remainder_y
      - .offset:         502
        .size:           2
        .value_kind:     hidden_remainder_z
      - .offset:         520
        .size:           8
        .value_kind:     hidden_global_offset_x
      - .offset:         528
        .size:           8
        .value_kind:     hidden_global_offset_y
      - .offset:         536
        .size:           8
        .value_kind:     hidden_global_offset_z
      - .offset:         544
        .size:           2
        .value_kind:     hidden_grid_dims
    .group_segment_fixed_size: 1024
    .kernarg_segment_align: 8
    .kernarg_segment_size: 736
    .language:       OpenCL C
    .language_version:
      - 2
      - 0
    .max_flat_workgroup_size: 256
    .name:           _ZN2at6native6mbtopk23computeBlockDigitCountsIN3c104HalfEmjLi1EEEvNS_4cuda6detail10TensorInfoIKT_T0_EEjPjjSA_iijT1_PSD_Ps
    .private_segment_fixed_size: 0
    .sgpr_count:     24
    .sgpr_spill_count: 0
    .symbol:         _ZN2at6native6mbtopk23computeBlockDigitCountsIN3c104HalfEmjLi1EEEvNS_4cuda6detail10TensorInfoIKT_T0_EEjPjjSA_iijT1_PSD_Ps.kd
    .uniform_work_group_size: 1
    .uses_dynamic_stack: false
    .vgpr_count:     10
    .vgpr_spill_count: 0
    .wavefront_size: 32
    .workgroup_processor_mode: 1
  - .args:
      - .offset:         0
        .size:           416
        .value_kind:     by_value
      - .offset:         416
        .size:           8
        .value_kind:     by_value
      - .offset:         424
        .size:           8
        .value_kind:     by_value
      - .offset:         432
        .size:           1
        .value_kind:     by_value
      - .offset:         436
        .size:           4
        .value_kind:     by_value
      - .offset:         440
        .size:           8
        .value_kind:     by_value
      - .offset:         448
        .size:           416
        .value_kind:     by_value
      - .offset:         864
        .size:           8
        .value_kind:     by_value
      - .offset:         872
        .size:           416
        .value_kind:     by_value
      - .offset:         1288
        .size:           8
        .value_kind:     by_value
      - .offset:         1296
        .size:           4
        .value_kind:     by_value
      - .offset:         1300
        .size:           4
        .value_kind:     by_value
      - .address_space:  global
        .offset:         1304
        .size:           8
        .value_kind:     global_buffer
      - .address_space:  global
        .offset:         1312
        .size:           8
        .value_kind:     global_buffer
      - .address_space:  global
        .offset:         1320
        .size:           8
        .value_kind:     global_buffer
      - .offset:         1328
        .size:           4
        .value_kind:     by_value
      - .offset:         1336
        .size:           4
        .value_kind:     hidden_block_count_x
      - .offset:         1340
        .size:           4
        .value_kind:     hidden_block_count_y
      - .offset:         1344
        .size:           4
        .value_kind:     hidden_block_count_z
      - .offset:         1348
        .size:           2
        .value_kind:     hidden_group_size_x
      - .offset:         1350
        .size:           2
        .value_kind:     hidden_group_size_y
      - .offset:         1352
        .size:           2
        .value_kind:     hidden_group_size_z
      - .offset:         1354
        .size:           2
        .value_kind:     hidden_remainder_x
      - .offset:         1356
        .size:           2
        .value_kind:     hidden_remainder_y
      - .offset:         1358
        .size:           2
        .value_kind:     hidden_remainder_z
      - .offset:         1376
        .size:           8
        .value_kind:     hidden_global_offset_x
      - .offset:         1384
        .size:           8
        .value_kind:     hidden_global_offset_y
      - .offset:         1392
        .size:           8
        .value_kind:     hidden_global_offset_z
      - .offset:         1400
        .size:           2
        .value_kind:     hidden_grid_dims
    .group_segment_fixed_size: 1068
    .kernarg_segment_align: 8
    .kernarg_segment_size: 1592
    .language:       OpenCL C
    .language_version:
      - 2
      - 0
    .max_flat_workgroup_size: 256
    .name:           _ZN2at6native6mbtopk10gatherTopKIN3c104HalfEmLi1EEEvNS_4cuda6detail10TensorInfoIKT_T0_EESA_SA_bjSA_NS7_IS8_SA_EESA_NS7_IlSA_EESA_jjPS8_PjSF_j
    .private_segment_fixed_size: 0
    .sgpr_count:     44
    .sgpr_spill_count: 0
    .symbol:         _ZN2at6native6mbtopk10gatherTopKIN3c104HalfEmLi1EEEvNS_4cuda6detail10TensorInfoIKT_T0_EESA_SA_bjSA_NS7_IS8_SA_EESA_NS7_IlSA_EESA_jjPS8_PjSF_j.kd
    .uniform_work_group_size: 1
    .uses_dynamic_stack: false
    .vgpr_count:     25
    .vgpr_spill_count: 0
    .wavefront_size: 32
    .workgroup_processor_mode: 1
  - .args:
      - .offset:         0
        .size:           416
        .value_kind:     by_value
      - .offset:         416
        .size:           8
        .value_kind:     by_value
      - .offset:         424
        .size:           8
        .value_kind:     by_value
      - .offset:         432
        .size:           1
        .value_kind:     by_value
      - .offset:         440
        .size:           8
        .value_kind:     by_value
      - .offset:         448
        .size:           8
        .value_kind:     by_value
      - .offset:         456
        .size:           416
        .value_kind:     by_value
      - .offset:         872
        .size:           8
        .value_kind:     by_value
      - .offset:         880
        .size:           416
        .value_kind:     by_value
      - .offset:         1296
        .size:           8
        .value_kind:     by_value
      - .address_space:  global
        .offset:         1304
        .size:           8
        .value_kind:     global_buffer
      - .offset:         1312
        .size:           4
        .value_kind:     hidden_block_count_x
      - .offset:         1316
        .size:           4
        .value_kind:     hidden_block_count_y
      - .offset:         1320
        .size:           4
        .value_kind:     hidden_block_count_z
      - .offset:         1324
        .size:           2
        .value_kind:     hidden_group_size_x
      - .offset:         1326
        .size:           2
        .value_kind:     hidden_group_size_y
      - .offset:         1328
        .size:           2
        .value_kind:     hidden_group_size_z
      - .offset:         1330
        .size:           2
        .value_kind:     hidden_remainder_x
      - .offset:         1332
        .size:           2
        .value_kind:     hidden_remainder_y
      - .offset:         1334
        .size:           2
        .value_kind:     hidden_remainder_z
      - .offset:         1352
        .size:           8
        .value_kind:     hidden_global_offset_x
      - .offset:         1360
        .size:           8
        .value_kind:     hidden_global_offset_y
      - .offset:         1368
        .size:           8
        .value_kind:     hidden_global_offset_z
      - .offset:         1376
        .size:           2
        .value_kind:     hidden_grid_dims
    .group_segment_fixed_size: 5152
    .kernarg_segment_align: 8
    .kernarg_segment_size: 1568
    .language:       OpenCL C
    .language_version:
      - 2
      - 0
    .max_flat_workgroup_size: 1024
    .name:           _ZN2at6native6sbtopk10gatherTopKIN3c104HalfEmLi1ELb0EEEvNS_4cuda6detail10TensorInfoIKT_T0_EESA_SA_bSA_SA_NS7_IS8_SA_EESA_NS7_IlSA_EESA_PS8_
    .private_segment_fixed_size: 0
    .sgpr_count:     107
    .sgpr_spill_count: 7
    .symbol:         _ZN2at6native6sbtopk10gatherTopKIN3c104HalfEmLi1ELb0EEEvNS_4cuda6detail10TensorInfoIKT_T0_EESA_SA_bSA_SA_NS7_IS8_SA_EESA_NS7_IlSA_EESA_PS8_.kd
    .uniform_work_group_size: 1
    .uses_dynamic_stack: false
    .vgpr_count:     52
    .vgpr_spill_count: 0
    .wavefront_size: 32
    .workgroup_processor_mode: 1
  - .args:
      - .offset:         0
        .size:           416
        .value_kind:     by_value
      - .offset:         416
        .size:           4
        .value_kind:     by_value
      - .address_space:  global
        .offset:         424
        .size:           8
        .value_kind:     global_buffer
      - .offset:         432
        .size:           4
        .value_kind:     by_value
      - .offset:         440
        .size:           8
        .value_kind:     by_value
      - .offset:         448
        .size:           4
        .value_kind:     by_value
      - .offset:         452
        .size:           4
        .value_kind:     by_value
      - .offset:         456
        .size:           4
        .value_kind:     by_value
      - .offset:         460
        .size:           4
        .value_kind:     by_value
      - .address_space:  global
        .offset:         464
        .size:           8
        .value_kind:     global_buffer
      - .address_space:  global
        .offset:         472
        .size:           8
        .value_kind:     global_buffer
      - .offset:         480
        .size:           4
        .value_kind:     hidden_block_count_x
      - .offset:         484
        .size:           4
        .value_kind:     hidden_block_count_y
      - .offset:         488
        .size:           4
        .value_kind:     hidden_block_count_z
      - .offset:         492
        .size:           2
        .value_kind:     hidden_group_size_x
      - .offset:         494
        .size:           2
        .value_kind:     hidden_group_size_y
      - .offset:         496
        .size:           2
        .value_kind:     hidden_group_size_z
      - .offset:         498
        .size:           2
        .value_kind:     hidden_remainder_x
      - .offset:         500
        .size:           2
        .value_kind:     hidden_remainder_y
      - .offset:         502
        .size:           2
        .value_kind:     hidden_remainder_z
      - .offset:         520
        .size:           8
        .value_kind:     hidden_global_offset_x
      - .offset:         528
        .size:           8
        .value_kind:     hidden_global_offset_y
      - .offset:         536
        .size:           8
        .value_kind:     hidden_global_offset_z
      - .offset:         544
        .size:           2
        .value_kind:     hidden_grid_dims
    .group_segment_fixed_size: 1024
    .kernarg_segment_align: 8
    .kernarg_segment_size: 736
    .language:       OpenCL C
    .language_version:
      - 2
      - 0
    .max_flat_workgroup_size: 256
    .name:           _ZN2at6native6mbtopk23computeBlockDigitCountsIN3c104HalfEmjLi2EEEvNS_4cuda6detail10TensorInfoIKT_T0_EEjPjjSA_iijT1_PSD_Ps
    .private_segment_fixed_size: 0
    .sgpr_count:     27
    .sgpr_spill_count: 0
    .symbol:         _ZN2at6native6mbtopk23computeBlockDigitCountsIN3c104HalfEmjLi2EEEvNS_4cuda6detail10TensorInfoIKT_T0_EEjPjjSA_iijT1_PSD_Ps.kd
    .uniform_work_group_size: 1
    .uses_dynamic_stack: false
    .vgpr_count:     10
    .vgpr_spill_count: 0
    .wavefront_size: 32
    .workgroup_processor_mode: 1
  - .args:
      - .offset:         0
        .size:           416
        .value_kind:     by_value
      - .offset:         416
        .size:           8
        .value_kind:     by_value
      - .offset:         424
        .size:           8
        .value_kind:     by_value
      - .offset:         432
        .size:           1
        .value_kind:     by_value
      - .offset:         436
        .size:           4
        .value_kind:     by_value
      - .offset:         440
        .size:           8
        .value_kind:     by_value
      - .offset:         448
        .size:           416
        .value_kind:     by_value
      - .offset:         864
        .size:           8
        .value_kind:     by_value
      - .offset:         872
        .size:           416
        .value_kind:     by_value
      - .offset:         1288
        .size:           8
        .value_kind:     by_value
      - .offset:         1296
        .size:           4
        .value_kind:     by_value
      - .offset:         1300
        .size:           4
        .value_kind:     by_value
      - .address_space:  global
        .offset:         1304
        .size:           8
        .value_kind:     global_buffer
      - .address_space:  global
        .offset:         1312
        .size:           8
        .value_kind:     global_buffer
      - .address_space:  global
        .offset:         1320
        .size:           8
        .value_kind:     global_buffer
      - .offset:         1328
        .size:           4
        .value_kind:     by_value
      - .offset:         1336
        .size:           4
        .value_kind:     hidden_block_count_x
      - .offset:         1340
        .size:           4
        .value_kind:     hidden_block_count_y
      - .offset:         1344
        .size:           4
        .value_kind:     hidden_block_count_z
      - .offset:         1348
        .size:           2
        .value_kind:     hidden_group_size_x
      - .offset:         1350
        .size:           2
        .value_kind:     hidden_group_size_y
      - .offset:         1352
        .size:           2
        .value_kind:     hidden_group_size_z
      - .offset:         1354
        .size:           2
        .value_kind:     hidden_remainder_x
      - .offset:         1356
        .size:           2
        .value_kind:     hidden_remainder_y
      - .offset:         1358
        .size:           2
        .value_kind:     hidden_remainder_z
      - .offset:         1376
        .size:           8
        .value_kind:     hidden_global_offset_x
      - .offset:         1384
        .size:           8
        .value_kind:     hidden_global_offset_y
      - .offset:         1392
        .size:           8
        .value_kind:     hidden_global_offset_z
      - .offset:         1400
        .size:           2
        .value_kind:     hidden_grid_dims
    .group_segment_fixed_size: 1068
    .kernarg_segment_align: 8
    .kernarg_segment_size: 1592
    .language:       OpenCL C
    .language_version:
      - 2
      - 0
    .max_flat_workgroup_size: 256
    .name:           _ZN2at6native6mbtopk10gatherTopKIN3c104HalfEmLi2EEEvNS_4cuda6detail10TensorInfoIKT_T0_EESA_SA_bjSA_NS7_IS8_SA_EESA_NS7_IlSA_EESA_jjPS8_PjSF_j
    .private_segment_fixed_size: 0
    .sgpr_count:     53
    .sgpr_spill_count: 0
    .symbol:         _ZN2at6native6mbtopk10gatherTopKIN3c104HalfEmLi2EEEvNS_4cuda6detail10TensorInfoIKT_T0_EESA_SA_bjSA_NS7_IS8_SA_EESA_NS7_IlSA_EESA_jjPS8_PjSF_j.kd
    .uniform_work_group_size: 1
    .uses_dynamic_stack: false
    .vgpr_count:     25
    .vgpr_spill_count: 0
    .wavefront_size: 32
    .workgroup_processor_mode: 1
  - .args:
      - .offset:         0
        .size:           416
        .value_kind:     by_value
      - .offset:         416
        .size:           8
        .value_kind:     by_value
      - .offset:         424
        .size:           8
        .value_kind:     by_value
      - .offset:         432
        .size:           1
        .value_kind:     by_value
      - .offset:         440
        .size:           8
        .value_kind:     by_value
      - .offset:         448
        .size:           8
        .value_kind:     by_value
      - .offset:         456
        .size:           416
        .value_kind:     by_value
      - .offset:         872
        .size:           8
        .value_kind:     by_value
      - .offset:         880
        .size:           416
        .value_kind:     by_value
      - .offset:         1296
        .size:           8
        .value_kind:     by_value
      - .address_space:  global
        .offset:         1304
        .size:           8
        .value_kind:     global_buffer
      - .offset:         1312
        .size:           4
        .value_kind:     hidden_block_count_x
      - .offset:         1316
        .size:           4
        .value_kind:     hidden_block_count_y
      - .offset:         1320
        .size:           4
        .value_kind:     hidden_block_count_z
      - .offset:         1324
        .size:           2
        .value_kind:     hidden_group_size_x
      - .offset:         1326
        .size:           2
        .value_kind:     hidden_group_size_y
      - .offset:         1328
        .size:           2
        .value_kind:     hidden_group_size_z
      - .offset:         1330
        .size:           2
        .value_kind:     hidden_remainder_x
      - .offset:         1332
        .size:           2
        .value_kind:     hidden_remainder_y
      - .offset:         1334
        .size:           2
        .value_kind:     hidden_remainder_z
      - .offset:         1352
        .size:           8
        .value_kind:     hidden_global_offset_x
      - .offset:         1360
        .size:           8
        .value_kind:     hidden_global_offset_y
      - .offset:         1368
        .size:           8
        .value_kind:     hidden_global_offset_z
      - .offset:         1376
        .size:           2
        .value_kind:     hidden_grid_dims
    .group_segment_fixed_size: 5152
    .kernarg_segment_align: 8
    .kernarg_segment_size: 1568
    .language:       OpenCL C
    .language_version:
      - 2
      - 0
    .max_flat_workgroup_size: 1024
    .name:           _ZN2at6native6sbtopk10gatherTopKIN3c104HalfEmLi2ELb0EEEvNS_4cuda6detail10TensorInfoIKT_T0_EESA_SA_bSA_SA_NS7_IS8_SA_EESA_NS7_IlSA_EESA_PS8_
    .private_segment_fixed_size: 0
    .sgpr_count:     107
    .sgpr_spill_count: 4
    .symbol:         _ZN2at6native6sbtopk10gatherTopKIN3c104HalfEmLi2ELb0EEEvNS_4cuda6detail10TensorInfoIKT_T0_EESA_SA_bSA_SA_NS7_IS8_SA_EESA_NS7_IlSA_EESA_PS8_.kd
    .uniform_work_group_size: 1
    .uses_dynamic_stack: false
    .vgpr_count:     44
    .vgpr_spill_count: 0
    .wavefront_size: 32
    .workgroup_processor_mode: 1
  - .args:
      - .offset:         0
        .size:           416
        .value_kind:     by_value
      - .offset:         416
        .size:           4
        .value_kind:     by_value
      - .address_space:  global
        .offset:         424
        .size:           8
        .value_kind:     global_buffer
      - .offset:         432
        .size:           4
        .value_kind:     by_value
      - .offset:         440
        .size:           8
        .value_kind:     by_value
      - .offset:         448
        .size:           4
        .value_kind:     by_value
      - .offset:         452
        .size:           4
        .value_kind:     by_value
      - .offset:         456
        .size:           4
        .value_kind:     by_value
      - .offset:         460
        .size:           4
        .value_kind:     by_value
      - .address_space:  global
        .offset:         464
        .size:           8
        .value_kind:     global_buffer
      - .address_space:  global
        .offset:         472
        .size:           8
        .value_kind:     global_buffer
      - .offset:         480
        .size:           4
        .value_kind:     hidden_block_count_x
      - .offset:         484
        .size:           4
        .value_kind:     hidden_block_count_y
      - .offset:         488
        .size:           4
        .value_kind:     hidden_block_count_z
      - .offset:         492
        .size:           2
        .value_kind:     hidden_group_size_x
      - .offset:         494
        .size:           2
        .value_kind:     hidden_group_size_y
      - .offset:         496
        .size:           2
        .value_kind:     hidden_group_size_z
      - .offset:         498
        .size:           2
        .value_kind:     hidden_remainder_x
      - .offset:         500
        .size:           2
        .value_kind:     hidden_remainder_y
      - .offset:         502
        .size:           2
        .value_kind:     hidden_remainder_z
      - .offset:         520
        .size:           8
        .value_kind:     hidden_global_offset_x
      - .offset:         528
        .size:           8
        .value_kind:     hidden_global_offset_y
      - .offset:         536
        .size:           8
        .value_kind:     hidden_global_offset_z
      - .offset:         544
        .size:           2
        .value_kind:     hidden_grid_dims
    .group_segment_fixed_size: 1024
    .kernarg_segment_align: 8
    .kernarg_segment_size: 736
    .language:       OpenCL C
    .language_version:
      - 2
      - 0
    .max_flat_workgroup_size: 256
    .name:           _ZN2at6native6mbtopk23computeBlockDigitCountsIN3c104HalfEmjLi3EEEvNS_4cuda6detail10TensorInfoIKT_T0_EEjPjjSA_iijT1_PSD_Ps
    .private_segment_fixed_size: 0
    .sgpr_count:     34
    .sgpr_spill_count: 0
    .symbol:         _ZN2at6native6mbtopk23computeBlockDigitCountsIN3c104HalfEmjLi3EEEvNS_4cuda6detail10TensorInfoIKT_T0_EEjPjjSA_iijT1_PSD_Ps.kd
    .uniform_work_group_size: 1
    .uses_dynamic_stack: false
    .vgpr_count:     10
    .vgpr_spill_count: 0
    .wavefront_size: 32
    .workgroup_processor_mode: 1
  - .args:
      - .offset:         0
        .size:           416
        .value_kind:     by_value
      - .offset:         416
        .size:           8
        .value_kind:     by_value
      - .offset:         424
        .size:           8
        .value_kind:     by_value
      - .offset:         432
        .size:           1
        .value_kind:     by_value
      - .offset:         436
        .size:           4
        .value_kind:     by_value
      - .offset:         440
        .size:           8
        .value_kind:     by_value
      - .offset:         448
        .size:           416
        .value_kind:     by_value
      - .offset:         864
        .size:           8
        .value_kind:     by_value
      - .offset:         872
        .size:           416
        .value_kind:     by_value
      - .offset:         1288
        .size:           8
        .value_kind:     by_value
      - .offset:         1296
        .size:           4
        .value_kind:     by_value
      - .offset:         1300
        .size:           4
        .value_kind:     by_value
      - .address_space:  global
        .offset:         1304
        .size:           8
        .value_kind:     global_buffer
      - .address_space:  global
        .offset:         1312
        .size:           8
        .value_kind:     global_buffer
      - .address_space:  global
        .offset:         1320
        .size:           8
        .value_kind:     global_buffer
      - .offset:         1328
        .size:           4
        .value_kind:     by_value
      - .offset:         1336
        .size:           4
        .value_kind:     hidden_block_count_x
      - .offset:         1340
        .size:           4
        .value_kind:     hidden_block_count_y
      - .offset:         1344
        .size:           4
        .value_kind:     hidden_block_count_z
      - .offset:         1348
        .size:           2
        .value_kind:     hidden_group_size_x
      - .offset:         1350
        .size:           2
        .value_kind:     hidden_group_size_y
      - .offset:         1352
        .size:           2
        .value_kind:     hidden_group_size_z
      - .offset:         1354
        .size:           2
        .value_kind:     hidden_remainder_x
      - .offset:         1356
        .size:           2
        .value_kind:     hidden_remainder_y
      - .offset:         1358
        .size:           2
        .value_kind:     hidden_remainder_z
      - .offset:         1376
        .size:           8
        .value_kind:     hidden_global_offset_x
      - .offset:         1384
        .size:           8
        .value_kind:     hidden_global_offset_y
      - .offset:         1392
        .size:           8
        .value_kind:     hidden_global_offset_z
      - .offset:         1400
        .size:           2
        .value_kind:     hidden_grid_dims
    .group_segment_fixed_size: 1068
    .kernarg_segment_align: 8
    .kernarg_segment_size: 1592
    .language:       OpenCL C
    .language_version:
      - 2
      - 0
    .max_flat_workgroup_size: 256
    .name:           _ZN2at6native6mbtopk10gatherTopKIN3c104HalfEmLi3EEEvNS_4cuda6detail10TensorInfoIKT_T0_EESA_SA_bjSA_NS7_IS8_SA_EESA_NS7_IlSA_EESA_jjPS8_PjSF_j
    .private_segment_fixed_size: 0
    .sgpr_count:     77
    .sgpr_spill_count: 0
    .symbol:         _ZN2at6native6mbtopk10gatherTopKIN3c104HalfEmLi3EEEvNS_4cuda6detail10TensorInfoIKT_T0_EESA_SA_bjSA_NS7_IS8_SA_EESA_NS7_IlSA_EESA_jjPS8_PjSF_j.kd
    .uniform_work_group_size: 1
    .uses_dynamic_stack: false
    .vgpr_count:     25
    .vgpr_spill_count: 0
    .wavefront_size: 32
    .workgroup_processor_mode: 1
  - .args:
      - .offset:         0
        .size:           416
        .value_kind:     by_value
      - .offset:         416
        .size:           8
        .value_kind:     by_value
      - .offset:         424
        .size:           8
        .value_kind:     by_value
      - .offset:         432
        .size:           1
        .value_kind:     by_value
      - .offset:         440
        .size:           8
        .value_kind:     by_value
      - .offset:         448
        .size:           8
        .value_kind:     by_value
      - .offset:         456
        .size:           416
        .value_kind:     by_value
      - .offset:         872
        .size:           8
        .value_kind:     by_value
      - .offset:         880
        .size:           416
        .value_kind:     by_value
      - .offset:         1296
        .size:           8
        .value_kind:     by_value
      - .address_space:  global
        .offset:         1304
        .size:           8
        .value_kind:     global_buffer
      - .offset:         1312
        .size:           4
        .value_kind:     hidden_block_count_x
      - .offset:         1316
        .size:           4
        .value_kind:     hidden_block_count_y
      - .offset:         1320
        .size:           4
        .value_kind:     hidden_block_count_z
      - .offset:         1324
        .size:           2
        .value_kind:     hidden_group_size_x
      - .offset:         1326
        .size:           2
        .value_kind:     hidden_group_size_y
      - .offset:         1328
        .size:           2
        .value_kind:     hidden_group_size_z
      - .offset:         1330
        .size:           2
        .value_kind:     hidden_remainder_x
      - .offset:         1332
        .size:           2
        .value_kind:     hidden_remainder_y
      - .offset:         1334
        .size:           2
        .value_kind:     hidden_remainder_z
      - .offset:         1352
        .size:           8
        .value_kind:     hidden_global_offset_x
      - .offset:         1360
        .size:           8
        .value_kind:     hidden_global_offset_y
      - .offset:         1368
        .size:           8
        .value_kind:     hidden_global_offset_z
      - .offset:         1376
        .size:           2
        .value_kind:     hidden_grid_dims
    .group_segment_fixed_size: 5152
    .kernarg_segment_align: 8
    .kernarg_segment_size: 1568
    .language:       OpenCL C
    .language_version:
      - 2
      - 0
    .max_flat_workgroup_size: 1024
    .name:           _ZN2at6native6sbtopk10gatherTopKIN3c104HalfEmLi3ELb0EEEvNS_4cuda6detail10TensorInfoIKT_T0_EESA_SA_bSA_SA_NS7_IS8_SA_EESA_NS7_IlSA_EESA_PS8_
    .private_segment_fixed_size: 0
    .sgpr_count:     107
    .sgpr_spill_count: 9
    .symbol:         _ZN2at6native6sbtopk10gatherTopKIN3c104HalfEmLi3ELb0EEEvNS_4cuda6detail10TensorInfoIKT_T0_EESA_SA_bSA_SA_NS7_IS8_SA_EESA_NS7_IlSA_EESA_PS8_.kd
    .uniform_work_group_size: 1
    .uses_dynamic_stack: false
    .vgpr_count:     44
    .vgpr_spill_count: 0
    .wavefront_size: 32
    .workgroup_processor_mode: 1
  - .args:
      - .offset:         0
        .size:           416
        .value_kind:     by_value
      - .offset:         416
        .size:           4
        .value_kind:     by_value
      - .address_space:  global
        .offset:         424
        .size:           8
        .value_kind:     global_buffer
      - .offset:         432
        .size:           4
        .value_kind:     by_value
      - .offset:         440
        .size:           8
        .value_kind:     by_value
      - .offset:         448
        .size:           4
        .value_kind:     by_value
      - .offset:         452
        .size:           4
        .value_kind:     by_value
      - .offset:         456
        .size:           4
        .value_kind:     by_value
      - .offset:         460
        .size:           4
        .value_kind:     by_value
      - .address_space:  global
        .offset:         464
        .size:           8
        .value_kind:     global_buffer
      - .address_space:  global
        .offset:         472
        .size:           8
        .value_kind:     global_buffer
      - .offset:         480
        .size:           4
        .value_kind:     hidden_block_count_x
      - .offset:         484
        .size:           4
        .value_kind:     hidden_block_count_y
      - .offset:         488
        .size:           4
        .value_kind:     hidden_block_count_z
      - .offset:         492
        .size:           2
        .value_kind:     hidden_group_size_x
      - .offset:         494
        .size:           2
        .value_kind:     hidden_group_size_y
      - .offset:         496
        .size:           2
        .value_kind:     hidden_group_size_z
      - .offset:         498
        .size:           2
        .value_kind:     hidden_remainder_x
      - .offset:         500
        .size:           2
        .value_kind:     hidden_remainder_y
      - .offset:         502
        .size:           2
        .value_kind:     hidden_remainder_z
      - .offset:         520
        .size:           8
        .value_kind:     hidden_global_offset_x
      - .offset:         528
        .size:           8
        .value_kind:     hidden_global_offset_y
      - .offset:         536
        .size:           8
        .value_kind:     hidden_global_offset_z
      - .offset:         544
        .size:           2
        .value_kind:     hidden_grid_dims
    .group_segment_fixed_size: 1024
    .kernarg_segment_align: 8
    .kernarg_segment_size: 736
    .language:       OpenCL C
    .language_version:
      - 2
      - 0
    .max_flat_workgroup_size: 256
    .name:           _ZN2at6native6mbtopk23computeBlockDigitCountsIN3c104HalfEmjLin1EEEvNS_4cuda6detail10TensorInfoIKT_T0_EEjPjjSA_iijT1_PSD_Ps
    .private_segment_fixed_size: 0
    .sgpr_count:     30
    .sgpr_spill_count: 0
    .symbol:         _ZN2at6native6mbtopk23computeBlockDigitCountsIN3c104HalfEmjLin1EEEvNS_4cuda6detail10TensorInfoIKT_T0_EEjPjjSA_iijT1_PSD_Ps.kd
    .uniform_work_group_size: 1
    .uses_dynamic_stack: false
    .vgpr_count:     10
    .vgpr_spill_count: 0
    .wavefront_size: 32
    .workgroup_processor_mode: 1
  - .args:
      - .offset:         0
        .size:           416
        .value_kind:     by_value
      - .offset:         416
        .size:           8
        .value_kind:     by_value
      - .offset:         424
        .size:           8
        .value_kind:     by_value
      - .offset:         432
        .size:           1
        .value_kind:     by_value
      - .offset:         436
        .size:           4
        .value_kind:     by_value
      - .offset:         440
        .size:           8
        .value_kind:     by_value
      - .offset:         448
        .size:           416
        .value_kind:     by_value
      - .offset:         864
        .size:           8
        .value_kind:     by_value
      - .offset:         872
        .size:           416
        .value_kind:     by_value
      - .offset:         1288
        .size:           8
        .value_kind:     by_value
      - .offset:         1296
        .size:           4
        .value_kind:     by_value
      - .offset:         1300
        .size:           4
        .value_kind:     by_value
      - .address_space:  global
        .offset:         1304
        .size:           8
        .value_kind:     global_buffer
      - .address_space:  global
        .offset:         1312
        .size:           8
        .value_kind:     global_buffer
      - .address_space:  global
        .offset:         1320
        .size:           8
        .value_kind:     global_buffer
      - .offset:         1328
        .size:           4
        .value_kind:     by_value
      - .offset:         1336
        .size:           4
        .value_kind:     hidden_block_count_x
      - .offset:         1340
        .size:           4
        .value_kind:     hidden_block_count_y
      - .offset:         1344
        .size:           4
        .value_kind:     hidden_block_count_z
      - .offset:         1348
        .size:           2
        .value_kind:     hidden_group_size_x
      - .offset:         1350
        .size:           2
        .value_kind:     hidden_group_size_y
      - .offset:         1352
        .size:           2
        .value_kind:     hidden_group_size_z
      - .offset:         1354
        .size:           2
        .value_kind:     hidden_remainder_x
      - .offset:         1356
        .size:           2
        .value_kind:     hidden_remainder_y
      - .offset:         1358
        .size:           2
        .value_kind:     hidden_remainder_z
      - .offset:         1376
        .size:           8
        .value_kind:     hidden_global_offset_x
      - .offset:         1384
        .size:           8
        .value_kind:     hidden_global_offset_y
      - .offset:         1392
        .size:           8
        .value_kind:     hidden_global_offset_z
      - .offset:         1400
        .size:           2
        .value_kind:     hidden_grid_dims
    .group_segment_fixed_size: 1068
    .kernarg_segment_align: 8
    .kernarg_segment_size: 1592
    .language:       OpenCL C
    .language_version:
      - 2
      - 0
    .max_flat_workgroup_size: 256
    .name:           _ZN2at6native6mbtopk10gatherTopKIN3c104HalfEmLin1EEEvNS_4cuda6detail10TensorInfoIKT_T0_EESA_SA_bjSA_NS7_IS8_SA_EESA_NS7_IlSA_EESA_jjPS8_PjSF_j
    .private_segment_fixed_size: 0
    .sgpr_count:     56
    .sgpr_spill_count: 0
    .symbol:         _ZN2at6native6mbtopk10gatherTopKIN3c104HalfEmLin1EEEvNS_4cuda6detail10TensorInfoIKT_T0_EESA_SA_bjSA_NS7_IS8_SA_EESA_NS7_IlSA_EESA_jjPS8_PjSF_j.kd
    .uniform_work_group_size: 1
    .uses_dynamic_stack: false
    .vgpr_count:     25
    .vgpr_spill_count: 0
    .wavefront_size: 32
    .workgroup_processor_mode: 1
  - .args:
      - .offset:         0
        .size:           416
        .value_kind:     by_value
      - .offset:         416
        .size:           8
        .value_kind:     by_value
      - .offset:         424
        .size:           8
        .value_kind:     by_value
      - .offset:         432
        .size:           1
        .value_kind:     by_value
      - .offset:         440
        .size:           8
        .value_kind:     by_value
      - .offset:         448
        .size:           8
        .value_kind:     by_value
      - .offset:         456
        .size:           416
        .value_kind:     by_value
      - .offset:         872
        .size:           8
        .value_kind:     by_value
      - .offset:         880
        .size:           416
        .value_kind:     by_value
      - .offset:         1296
        .size:           8
        .value_kind:     by_value
      - .address_space:  global
        .offset:         1304
        .size:           8
        .value_kind:     global_buffer
      - .offset:         1312
        .size:           4
        .value_kind:     hidden_block_count_x
      - .offset:         1316
        .size:           4
        .value_kind:     hidden_block_count_y
      - .offset:         1320
        .size:           4
        .value_kind:     hidden_block_count_z
      - .offset:         1324
        .size:           2
        .value_kind:     hidden_group_size_x
      - .offset:         1326
        .size:           2
        .value_kind:     hidden_group_size_y
      - .offset:         1328
        .size:           2
        .value_kind:     hidden_group_size_z
      - .offset:         1330
        .size:           2
        .value_kind:     hidden_remainder_x
      - .offset:         1332
        .size:           2
        .value_kind:     hidden_remainder_y
      - .offset:         1334
        .size:           2
        .value_kind:     hidden_remainder_z
      - .offset:         1352
        .size:           8
        .value_kind:     hidden_global_offset_x
      - .offset:         1360
        .size:           8
        .value_kind:     hidden_global_offset_y
      - .offset:         1368
        .size:           8
        .value_kind:     hidden_global_offset_z
      - .offset:         1376
        .size:           2
        .value_kind:     hidden_grid_dims
    .group_segment_fixed_size: 5152
    .kernarg_segment_align: 8
    .kernarg_segment_size: 1568
    .language:       OpenCL C
    .language_version:
      - 2
      - 0
    .max_flat_workgroup_size: 1024
    .name:           _ZN2at6native6sbtopk10gatherTopKIN3c104HalfEmLin1ELb0EEEvNS_4cuda6detail10TensorInfoIKT_T0_EESA_SA_bSA_SA_NS7_IS8_SA_EESA_NS7_IlSA_EESA_PS8_
    .private_segment_fixed_size: 0
    .sgpr_count:     107
    .sgpr_spill_count: 18
    .symbol:         _ZN2at6native6sbtopk10gatherTopKIN3c104HalfEmLin1ELb0EEEvNS_4cuda6detail10TensorInfoIKT_T0_EESA_SA_bSA_SA_NS7_IS8_SA_EESA_NS7_IlSA_EESA_PS8_.kd
    .uniform_work_group_size: 1
    .uses_dynamic_stack: false
    .vgpr_count:     54
    .vgpr_spill_count: 0
    .wavefront_size: 32
    .workgroup_processor_mode: 1
  - .args:
      - .offset:         0
        .size:           416
        .value_kind:     by_value
      - .offset:         416
        .size:           4
        .value_kind:     by_value
      - .address_space:  global
        .offset:         424
        .size:           8
        .value_kind:     global_buffer
      - .offset:         432
        .size:           4
        .value_kind:     by_value
      - .offset:         440
        .size:           8
        .value_kind:     by_value
      - .offset:         448
        .size:           4
        .value_kind:     by_value
      - .offset:         452
        .size:           4
        .value_kind:     by_value
      - .offset:         456
        .size:           4
        .value_kind:     by_value
      - .offset:         460
        .size:           4
        .value_kind:     by_value
      - .address_space:  global
        .offset:         464
        .size:           8
        .value_kind:     global_buffer
      - .address_space:  global
        .offset:         472
        .size:           8
        .value_kind:     global_buffer
      - .offset:         480
        .size:           4
        .value_kind:     hidden_block_count_x
      - .offset:         484
        .size:           4
        .value_kind:     hidden_block_count_y
      - .offset:         488
        .size:           4
        .value_kind:     hidden_block_count_z
      - .offset:         492
        .size:           2
        .value_kind:     hidden_group_size_x
      - .offset:         494
        .size:           2
        .value_kind:     hidden_group_size_y
      - .offset:         496
        .size:           2
        .value_kind:     hidden_group_size_z
      - .offset:         498
        .size:           2
        .value_kind:     hidden_remainder_x
      - .offset:         500
        .size:           2
        .value_kind:     hidden_remainder_y
      - .offset:         502
        .size:           2
        .value_kind:     hidden_remainder_z
      - .offset:         520
        .size:           8
        .value_kind:     hidden_global_offset_x
      - .offset:         528
        .size:           8
        .value_kind:     hidden_global_offset_y
      - .offset:         536
        .size:           8
        .value_kind:     hidden_global_offset_z
      - .offset:         544
        .size:           2
        .value_kind:     hidden_grid_dims
    .group_segment_fixed_size: 1024
    .kernarg_segment_align: 8
    .kernarg_segment_size: 736
    .language:       OpenCL C
    .language_version:
      - 2
      - 0
    .max_flat_workgroup_size: 256
    .name:           _ZN2at6native6mbtopk23computeBlockDigitCountsIN3c108BFloat16EmjLi1EEEvNS_4cuda6detail10TensorInfoIKT_T0_EEjPjjSA_iijT1_PSD_Ps
    .private_segment_fixed_size: 0
    .sgpr_count:     24
    .sgpr_spill_count: 0
    .symbol:         _ZN2at6native6mbtopk23computeBlockDigitCountsIN3c108BFloat16EmjLi1EEEvNS_4cuda6detail10TensorInfoIKT_T0_EEjPjjSA_iijT1_PSD_Ps.kd
    .uniform_work_group_size: 1
    .uses_dynamic_stack: false
    .vgpr_count:     10
    .vgpr_spill_count: 0
    .wavefront_size: 32
    .workgroup_processor_mode: 1
  - .args:
      - .offset:         0
        .size:           416
        .value_kind:     by_value
      - .offset:         416
        .size:           8
        .value_kind:     by_value
      - .offset:         424
        .size:           8
        .value_kind:     by_value
      - .offset:         432
        .size:           1
        .value_kind:     by_value
      - .offset:         436
        .size:           4
        .value_kind:     by_value
      - .offset:         440
        .size:           8
        .value_kind:     by_value
      - .offset:         448
        .size:           416
        .value_kind:     by_value
      - .offset:         864
        .size:           8
        .value_kind:     by_value
      - .offset:         872
        .size:           416
        .value_kind:     by_value
      - .offset:         1288
        .size:           8
        .value_kind:     by_value
      - .offset:         1296
        .size:           4
        .value_kind:     by_value
      - .offset:         1300
        .size:           4
        .value_kind:     by_value
      - .address_space:  global
        .offset:         1304
        .size:           8
        .value_kind:     global_buffer
      - .address_space:  global
        .offset:         1312
        .size:           8
        .value_kind:     global_buffer
      - .address_space:  global
        .offset:         1320
        .size:           8
        .value_kind:     global_buffer
      - .offset:         1328
        .size:           4
        .value_kind:     by_value
      - .offset:         1336
        .size:           4
        .value_kind:     hidden_block_count_x
      - .offset:         1340
        .size:           4
        .value_kind:     hidden_block_count_y
      - .offset:         1344
        .size:           4
        .value_kind:     hidden_block_count_z
      - .offset:         1348
        .size:           2
        .value_kind:     hidden_group_size_x
      - .offset:         1350
        .size:           2
        .value_kind:     hidden_group_size_y
      - .offset:         1352
        .size:           2
        .value_kind:     hidden_group_size_z
      - .offset:         1354
        .size:           2
        .value_kind:     hidden_remainder_x
      - .offset:         1356
        .size:           2
        .value_kind:     hidden_remainder_y
      - .offset:         1358
        .size:           2
        .value_kind:     hidden_remainder_z
      - .offset:         1376
        .size:           8
        .value_kind:     hidden_global_offset_x
      - .offset:         1384
        .size:           8
        .value_kind:     hidden_global_offset_y
      - .offset:         1392
        .size:           8
        .value_kind:     hidden_global_offset_z
      - .offset:         1400
        .size:           2
        .value_kind:     hidden_grid_dims
    .group_segment_fixed_size: 1068
    .kernarg_segment_align: 8
    .kernarg_segment_size: 1592
    .language:       OpenCL C
    .language_version:
      - 2
      - 0
    .max_flat_workgroup_size: 256
    .name:           _ZN2at6native6mbtopk10gatherTopKIN3c108BFloat16EmLi1EEEvNS_4cuda6detail10TensorInfoIKT_T0_EESA_SA_bjSA_NS7_IS8_SA_EESA_NS7_IlSA_EESA_jjPS8_PjSF_j
    .private_segment_fixed_size: 0
    .sgpr_count:     44
    .sgpr_spill_count: 0
    .symbol:         _ZN2at6native6mbtopk10gatherTopKIN3c108BFloat16EmLi1EEEvNS_4cuda6detail10TensorInfoIKT_T0_EESA_SA_bjSA_NS7_IS8_SA_EESA_NS7_IlSA_EESA_jjPS8_PjSF_j.kd
    .uniform_work_group_size: 1
    .uses_dynamic_stack: false
    .vgpr_count:     25
    .vgpr_spill_count: 0
    .wavefront_size: 32
    .workgroup_processor_mode: 1
  - .args:
      - .offset:         0
        .size:           416
        .value_kind:     by_value
      - .offset:         416
        .size:           8
        .value_kind:     by_value
      - .offset:         424
        .size:           8
        .value_kind:     by_value
      - .offset:         432
        .size:           1
        .value_kind:     by_value
      - .offset:         440
        .size:           8
        .value_kind:     by_value
      - .offset:         448
        .size:           8
        .value_kind:     by_value
      - .offset:         456
        .size:           416
        .value_kind:     by_value
      - .offset:         872
        .size:           8
        .value_kind:     by_value
      - .offset:         880
        .size:           416
        .value_kind:     by_value
      - .offset:         1296
        .size:           8
        .value_kind:     by_value
      - .address_space:  global
        .offset:         1304
        .size:           8
        .value_kind:     global_buffer
      - .offset:         1312
        .size:           4
        .value_kind:     hidden_block_count_x
      - .offset:         1316
        .size:           4
        .value_kind:     hidden_block_count_y
      - .offset:         1320
        .size:           4
        .value_kind:     hidden_block_count_z
      - .offset:         1324
        .size:           2
        .value_kind:     hidden_group_size_x
      - .offset:         1326
        .size:           2
        .value_kind:     hidden_group_size_y
      - .offset:         1328
        .size:           2
        .value_kind:     hidden_group_size_z
      - .offset:         1330
        .size:           2
        .value_kind:     hidden_remainder_x
      - .offset:         1332
        .size:           2
        .value_kind:     hidden_remainder_y
      - .offset:         1334
        .size:           2
        .value_kind:     hidden_remainder_z
      - .offset:         1352
        .size:           8
        .value_kind:     hidden_global_offset_x
      - .offset:         1360
        .size:           8
        .value_kind:     hidden_global_offset_y
      - .offset:         1368
        .size:           8
        .value_kind:     hidden_global_offset_z
      - .offset:         1376
        .size:           2
        .value_kind:     hidden_grid_dims
    .group_segment_fixed_size: 5152
    .kernarg_segment_align: 8
    .kernarg_segment_size: 1568
    .language:       OpenCL C
    .language_version:
      - 2
      - 0
    .max_flat_workgroup_size: 1024
    .name:           _ZN2at6native6sbtopk10gatherTopKIN3c108BFloat16EmLi1ELb0EEEvNS_4cuda6detail10TensorInfoIKT_T0_EESA_SA_bSA_SA_NS7_IS8_SA_EESA_NS7_IlSA_EESA_PS8_
    .private_segment_fixed_size: 0
    .sgpr_count:     107
    .sgpr_spill_count: 9
    .symbol:         _ZN2at6native6sbtopk10gatherTopKIN3c108BFloat16EmLi1ELb0EEEvNS_4cuda6detail10TensorInfoIKT_T0_EESA_SA_bSA_SA_NS7_IS8_SA_EESA_NS7_IlSA_EESA_PS8_.kd
    .uniform_work_group_size: 1
    .uses_dynamic_stack: false
    .vgpr_count:     52
    .vgpr_spill_count: 0
    .wavefront_size: 32
    .workgroup_processor_mode: 1
  - .args:
      - .offset:         0
        .size:           416
        .value_kind:     by_value
      - .offset:         416
        .size:           4
        .value_kind:     by_value
      - .address_space:  global
        .offset:         424
        .size:           8
        .value_kind:     global_buffer
      - .offset:         432
        .size:           4
        .value_kind:     by_value
      - .offset:         440
        .size:           8
        .value_kind:     by_value
      - .offset:         448
        .size:           4
        .value_kind:     by_value
      - .offset:         452
        .size:           4
        .value_kind:     by_value
      - .offset:         456
        .size:           4
        .value_kind:     by_value
      - .offset:         460
        .size:           4
        .value_kind:     by_value
      - .address_space:  global
        .offset:         464
        .size:           8
        .value_kind:     global_buffer
      - .address_space:  global
        .offset:         472
        .size:           8
        .value_kind:     global_buffer
      - .offset:         480
        .size:           4
        .value_kind:     hidden_block_count_x
      - .offset:         484
        .size:           4
        .value_kind:     hidden_block_count_y
      - .offset:         488
        .size:           4
        .value_kind:     hidden_block_count_z
      - .offset:         492
        .size:           2
        .value_kind:     hidden_group_size_x
      - .offset:         494
        .size:           2
        .value_kind:     hidden_group_size_y
      - .offset:         496
        .size:           2
        .value_kind:     hidden_group_size_z
      - .offset:         498
        .size:           2
        .value_kind:     hidden_remainder_x
      - .offset:         500
        .size:           2
        .value_kind:     hidden_remainder_y
      - .offset:         502
        .size:           2
        .value_kind:     hidden_remainder_z
      - .offset:         520
        .size:           8
        .value_kind:     hidden_global_offset_x
      - .offset:         528
        .size:           8
        .value_kind:     hidden_global_offset_y
      - .offset:         536
        .size:           8
        .value_kind:     hidden_global_offset_z
      - .offset:         544
        .size:           2
        .value_kind:     hidden_grid_dims
    .group_segment_fixed_size: 1024
    .kernarg_segment_align: 8
    .kernarg_segment_size: 736
    .language:       OpenCL C
    .language_version:
      - 2
      - 0
    .max_flat_workgroup_size: 256
    .name:           _ZN2at6native6mbtopk23computeBlockDigitCountsIN3c108BFloat16EmjLi2EEEvNS_4cuda6detail10TensorInfoIKT_T0_EEjPjjSA_iijT1_PSD_Ps
    .private_segment_fixed_size: 0
    .sgpr_count:     27
    .sgpr_spill_count: 0
    .symbol:         _ZN2at6native6mbtopk23computeBlockDigitCountsIN3c108BFloat16EmjLi2EEEvNS_4cuda6detail10TensorInfoIKT_T0_EEjPjjSA_iijT1_PSD_Ps.kd
    .uniform_work_group_size: 1
    .uses_dynamic_stack: false
    .vgpr_count:     10
    .vgpr_spill_count: 0
    .wavefront_size: 32
    .workgroup_processor_mode: 1
  - .args:
      - .offset:         0
        .size:           416
        .value_kind:     by_value
      - .offset:         416
        .size:           8
        .value_kind:     by_value
      - .offset:         424
        .size:           8
        .value_kind:     by_value
      - .offset:         432
        .size:           1
        .value_kind:     by_value
      - .offset:         436
        .size:           4
        .value_kind:     by_value
      - .offset:         440
        .size:           8
        .value_kind:     by_value
      - .offset:         448
        .size:           416
        .value_kind:     by_value
      - .offset:         864
        .size:           8
        .value_kind:     by_value
      - .offset:         872
        .size:           416
        .value_kind:     by_value
      - .offset:         1288
        .size:           8
        .value_kind:     by_value
      - .offset:         1296
        .size:           4
        .value_kind:     by_value
      - .offset:         1300
        .size:           4
        .value_kind:     by_value
      - .address_space:  global
        .offset:         1304
        .size:           8
        .value_kind:     global_buffer
      - .address_space:  global
        .offset:         1312
        .size:           8
        .value_kind:     global_buffer
      - .address_space:  global
        .offset:         1320
        .size:           8
        .value_kind:     global_buffer
      - .offset:         1328
        .size:           4
        .value_kind:     by_value
      - .offset:         1336
        .size:           4
        .value_kind:     hidden_block_count_x
      - .offset:         1340
        .size:           4
        .value_kind:     hidden_block_count_y
      - .offset:         1344
        .size:           4
        .value_kind:     hidden_block_count_z
      - .offset:         1348
        .size:           2
        .value_kind:     hidden_group_size_x
      - .offset:         1350
        .size:           2
        .value_kind:     hidden_group_size_y
      - .offset:         1352
        .size:           2
        .value_kind:     hidden_group_size_z
      - .offset:         1354
        .size:           2
        .value_kind:     hidden_remainder_x
      - .offset:         1356
        .size:           2
        .value_kind:     hidden_remainder_y
      - .offset:         1358
        .size:           2
        .value_kind:     hidden_remainder_z
      - .offset:         1376
        .size:           8
        .value_kind:     hidden_global_offset_x
      - .offset:         1384
        .size:           8
        .value_kind:     hidden_global_offset_y
      - .offset:         1392
        .size:           8
        .value_kind:     hidden_global_offset_z
      - .offset:         1400
        .size:           2
        .value_kind:     hidden_grid_dims
    .group_segment_fixed_size: 1068
    .kernarg_segment_align: 8
    .kernarg_segment_size: 1592
    .language:       OpenCL C
    .language_version:
      - 2
      - 0
    .max_flat_workgroup_size: 256
    .name:           _ZN2at6native6mbtopk10gatherTopKIN3c108BFloat16EmLi2EEEvNS_4cuda6detail10TensorInfoIKT_T0_EESA_SA_bjSA_NS7_IS8_SA_EESA_NS7_IlSA_EESA_jjPS8_PjSF_j
    .private_segment_fixed_size: 0
    .sgpr_count:     53
    .sgpr_spill_count: 0
    .symbol:         _ZN2at6native6mbtopk10gatherTopKIN3c108BFloat16EmLi2EEEvNS_4cuda6detail10TensorInfoIKT_T0_EESA_SA_bjSA_NS7_IS8_SA_EESA_NS7_IlSA_EESA_jjPS8_PjSF_j.kd
    .uniform_work_group_size: 1
    .uses_dynamic_stack: false
    .vgpr_count:     25
    .vgpr_spill_count: 0
    .wavefront_size: 32
    .workgroup_processor_mode: 1
  - .args:
      - .offset:         0
        .size:           416
        .value_kind:     by_value
      - .offset:         416
        .size:           8
        .value_kind:     by_value
      - .offset:         424
        .size:           8
        .value_kind:     by_value
      - .offset:         432
        .size:           1
        .value_kind:     by_value
      - .offset:         440
        .size:           8
        .value_kind:     by_value
      - .offset:         448
        .size:           8
        .value_kind:     by_value
      - .offset:         456
        .size:           416
        .value_kind:     by_value
      - .offset:         872
        .size:           8
        .value_kind:     by_value
      - .offset:         880
        .size:           416
        .value_kind:     by_value
      - .offset:         1296
        .size:           8
        .value_kind:     by_value
      - .address_space:  global
        .offset:         1304
        .size:           8
        .value_kind:     global_buffer
      - .offset:         1312
        .size:           4
        .value_kind:     hidden_block_count_x
      - .offset:         1316
        .size:           4
        .value_kind:     hidden_block_count_y
      - .offset:         1320
        .size:           4
        .value_kind:     hidden_block_count_z
      - .offset:         1324
        .size:           2
        .value_kind:     hidden_group_size_x
      - .offset:         1326
        .size:           2
        .value_kind:     hidden_group_size_y
      - .offset:         1328
        .size:           2
        .value_kind:     hidden_group_size_z
      - .offset:         1330
        .size:           2
        .value_kind:     hidden_remainder_x
      - .offset:         1332
        .size:           2
        .value_kind:     hidden_remainder_y
      - .offset:         1334
        .size:           2
        .value_kind:     hidden_remainder_z
      - .offset:         1352
        .size:           8
        .value_kind:     hidden_global_offset_x
      - .offset:         1360
        .size:           8
        .value_kind:     hidden_global_offset_y
      - .offset:         1368
        .size:           8
        .value_kind:     hidden_global_offset_z
      - .offset:         1376
        .size:           2
        .value_kind:     hidden_grid_dims
    .group_segment_fixed_size: 5152
    .kernarg_segment_align: 8
    .kernarg_segment_size: 1568
    .language:       OpenCL C
    .language_version:
      - 2
      - 0
    .max_flat_workgroup_size: 1024
    .name:           _ZN2at6native6sbtopk10gatherTopKIN3c108BFloat16EmLi2ELb0EEEvNS_4cuda6detail10TensorInfoIKT_T0_EESA_SA_bSA_SA_NS7_IS8_SA_EESA_NS7_IlSA_EESA_PS8_
    .private_segment_fixed_size: 0
    .sgpr_count:     107
    .sgpr_spill_count: 4
    .symbol:         _ZN2at6native6sbtopk10gatherTopKIN3c108BFloat16EmLi2ELb0EEEvNS_4cuda6detail10TensorInfoIKT_T0_EESA_SA_bSA_SA_NS7_IS8_SA_EESA_NS7_IlSA_EESA_PS8_.kd
    .uniform_work_group_size: 1
    .uses_dynamic_stack: false
    .vgpr_count:     44
    .vgpr_spill_count: 0
    .wavefront_size: 32
    .workgroup_processor_mode: 1
  - .args:
      - .offset:         0
        .size:           416
        .value_kind:     by_value
      - .offset:         416
        .size:           4
        .value_kind:     by_value
      - .address_space:  global
        .offset:         424
        .size:           8
        .value_kind:     global_buffer
      - .offset:         432
        .size:           4
        .value_kind:     by_value
      - .offset:         440
        .size:           8
        .value_kind:     by_value
      - .offset:         448
        .size:           4
        .value_kind:     by_value
      - .offset:         452
        .size:           4
        .value_kind:     by_value
      - .offset:         456
        .size:           4
        .value_kind:     by_value
      - .offset:         460
        .size:           4
        .value_kind:     by_value
      - .address_space:  global
        .offset:         464
        .size:           8
        .value_kind:     global_buffer
      - .address_space:  global
        .offset:         472
        .size:           8
        .value_kind:     global_buffer
      - .offset:         480
        .size:           4
        .value_kind:     hidden_block_count_x
      - .offset:         484
        .size:           4
        .value_kind:     hidden_block_count_y
      - .offset:         488
        .size:           4
        .value_kind:     hidden_block_count_z
      - .offset:         492
        .size:           2
        .value_kind:     hidden_group_size_x
      - .offset:         494
        .size:           2
        .value_kind:     hidden_group_size_y
      - .offset:         496
        .size:           2
        .value_kind:     hidden_group_size_z
      - .offset:         498
        .size:           2
        .value_kind:     hidden_remainder_x
      - .offset:         500
        .size:           2
        .value_kind:     hidden_remainder_y
      - .offset:         502
        .size:           2
        .value_kind:     hidden_remainder_z
      - .offset:         520
        .size:           8
        .value_kind:     hidden_global_offset_x
      - .offset:         528
        .size:           8
        .value_kind:     hidden_global_offset_y
      - .offset:         536
        .size:           8
        .value_kind:     hidden_global_offset_z
      - .offset:         544
        .size:           2
        .value_kind:     hidden_grid_dims
    .group_segment_fixed_size: 1024
    .kernarg_segment_align: 8
    .kernarg_segment_size: 736
    .language:       OpenCL C
    .language_version:
      - 2
      - 0
    .max_flat_workgroup_size: 256
    .name:           _ZN2at6native6mbtopk23computeBlockDigitCountsIN3c108BFloat16EmjLi3EEEvNS_4cuda6detail10TensorInfoIKT_T0_EEjPjjSA_iijT1_PSD_Ps
    .private_segment_fixed_size: 0
    .sgpr_count:     34
    .sgpr_spill_count: 0
    .symbol:         _ZN2at6native6mbtopk23computeBlockDigitCountsIN3c108BFloat16EmjLi3EEEvNS_4cuda6detail10TensorInfoIKT_T0_EEjPjjSA_iijT1_PSD_Ps.kd
    .uniform_work_group_size: 1
    .uses_dynamic_stack: false
    .vgpr_count:     10
    .vgpr_spill_count: 0
    .wavefront_size: 32
    .workgroup_processor_mode: 1
  - .args:
      - .offset:         0
        .size:           416
        .value_kind:     by_value
      - .offset:         416
        .size:           8
        .value_kind:     by_value
      - .offset:         424
        .size:           8
        .value_kind:     by_value
      - .offset:         432
        .size:           1
        .value_kind:     by_value
      - .offset:         436
        .size:           4
        .value_kind:     by_value
      - .offset:         440
        .size:           8
        .value_kind:     by_value
      - .offset:         448
        .size:           416
        .value_kind:     by_value
      - .offset:         864
        .size:           8
        .value_kind:     by_value
      - .offset:         872
        .size:           416
        .value_kind:     by_value
      - .offset:         1288
        .size:           8
        .value_kind:     by_value
      - .offset:         1296
        .size:           4
        .value_kind:     by_value
      - .offset:         1300
        .size:           4
        .value_kind:     by_value
      - .address_space:  global
        .offset:         1304
        .size:           8
        .value_kind:     global_buffer
      - .address_space:  global
        .offset:         1312
        .size:           8
        .value_kind:     global_buffer
      - .address_space:  global
        .offset:         1320
        .size:           8
        .value_kind:     global_buffer
      - .offset:         1328
        .size:           4
        .value_kind:     by_value
      - .offset:         1336
        .size:           4
        .value_kind:     hidden_block_count_x
      - .offset:         1340
        .size:           4
        .value_kind:     hidden_block_count_y
      - .offset:         1344
        .size:           4
        .value_kind:     hidden_block_count_z
      - .offset:         1348
        .size:           2
        .value_kind:     hidden_group_size_x
      - .offset:         1350
        .size:           2
        .value_kind:     hidden_group_size_y
      - .offset:         1352
        .size:           2
        .value_kind:     hidden_group_size_z
      - .offset:         1354
        .size:           2
        .value_kind:     hidden_remainder_x
      - .offset:         1356
        .size:           2
        .value_kind:     hidden_remainder_y
      - .offset:         1358
        .size:           2
        .value_kind:     hidden_remainder_z
      - .offset:         1376
        .size:           8
        .value_kind:     hidden_global_offset_x
      - .offset:         1384
        .size:           8
        .value_kind:     hidden_global_offset_y
      - .offset:         1392
        .size:           8
        .value_kind:     hidden_global_offset_z
      - .offset:         1400
        .size:           2
        .value_kind:     hidden_grid_dims
    .group_segment_fixed_size: 1068
    .kernarg_segment_align: 8
    .kernarg_segment_size: 1592
    .language:       OpenCL C
    .language_version:
      - 2
      - 0
    .max_flat_workgroup_size: 256
    .name:           _ZN2at6native6mbtopk10gatherTopKIN3c108BFloat16EmLi3EEEvNS_4cuda6detail10TensorInfoIKT_T0_EESA_SA_bjSA_NS7_IS8_SA_EESA_NS7_IlSA_EESA_jjPS8_PjSF_j
    .private_segment_fixed_size: 0
    .sgpr_count:     77
    .sgpr_spill_count: 0
    .symbol:         _ZN2at6native6mbtopk10gatherTopKIN3c108BFloat16EmLi3EEEvNS_4cuda6detail10TensorInfoIKT_T0_EESA_SA_bjSA_NS7_IS8_SA_EESA_NS7_IlSA_EESA_jjPS8_PjSF_j.kd
    .uniform_work_group_size: 1
    .uses_dynamic_stack: false
    .vgpr_count:     25
    .vgpr_spill_count: 0
    .wavefront_size: 32
    .workgroup_processor_mode: 1
  - .args:
      - .offset:         0
        .size:           416
        .value_kind:     by_value
      - .offset:         416
        .size:           8
        .value_kind:     by_value
      - .offset:         424
        .size:           8
        .value_kind:     by_value
      - .offset:         432
        .size:           1
        .value_kind:     by_value
      - .offset:         440
        .size:           8
        .value_kind:     by_value
      - .offset:         448
        .size:           8
        .value_kind:     by_value
      - .offset:         456
        .size:           416
        .value_kind:     by_value
      - .offset:         872
        .size:           8
        .value_kind:     by_value
      - .offset:         880
        .size:           416
        .value_kind:     by_value
      - .offset:         1296
        .size:           8
        .value_kind:     by_value
      - .address_space:  global
        .offset:         1304
        .size:           8
        .value_kind:     global_buffer
      - .offset:         1312
        .size:           4
        .value_kind:     hidden_block_count_x
      - .offset:         1316
        .size:           4
        .value_kind:     hidden_block_count_y
      - .offset:         1320
        .size:           4
        .value_kind:     hidden_block_count_z
      - .offset:         1324
        .size:           2
        .value_kind:     hidden_group_size_x
      - .offset:         1326
        .size:           2
        .value_kind:     hidden_group_size_y
      - .offset:         1328
        .size:           2
        .value_kind:     hidden_group_size_z
      - .offset:         1330
        .size:           2
        .value_kind:     hidden_remainder_x
      - .offset:         1332
        .size:           2
        .value_kind:     hidden_remainder_y
      - .offset:         1334
        .size:           2
        .value_kind:     hidden_remainder_z
      - .offset:         1352
        .size:           8
        .value_kind:     hidden_global_offset_x
      - .offset:         1360
        .size:           8
        .value_kind:     hidden_global_offset_y
      - .offset:         1368
        .size:           8
        .value_kind:     hidden_global_offset_z
      - .offset:         1376
        .size:           2
        .value_kind:     hidden_grid_dims
    .group_segment_fixed_size: 5152
    .kernarg_segment_align: 8
    .kernarg_segment_size: 1568
    .language:       OpenCL C
    .language_version:
      - 2
      - 0
    .max_flat_workgroup_size: 1024
    .name:           _ZN2at6native6sbtopk10gatherTopKIN3c108BFloat16EmLi3ELb0EEEvNS_4cuda6detail10TensorInfoIKT_T0_EESA_SA_bSA_SA_NS7_IS8_SA_EESA_NS7_IlSA_EESA_PS8_
    .private_segment_fixed_size: 0
    .sgpr_count:     107
    .sgpr_spill_count: 9
    .symbol:         _ZN2at6native6sbtopk10gatherTopKIN3c108BFloat16EmLi3ELb0EEEvNS_4cuda6detail10TensorInfoIKT_T0_EESA_SA_bSA_SA_NS7_IS8_SA_EESA_NS7_IlSA_EESA_PS8_.kd
    .uniform_work_group_size: 1
    .uses_dynamic_stack: false
    .vgpr_count:     44
    .vgpr_spill_count: 0
    .wavefront_size: 32
    .workgroup_processor_mode: 1
  - .args:
      - .offset:         0
        .size:           416
        .value_kind:     by_value
      - .offset:         416
        .size:           4
        .value_kind:     by_value
      - .address_space:  global
        .offset:         424
        .size:           8
        .value_kind:     global_buffer
      - .offset:         432
        .size:           4
        .value_kind:     by_value
      - .offset:         440
        .size:           8
        .value_kind:     by_value
      - .offset:         448
        .size:           4
        .value_kind:     by_value
      - .offset:         452
        .size:           4
        .value_kind:     by_value
      - .offset:         456
        .size:           4
        .value_kind:     by_value
      - .offset:         460
        .size:           4
        .value_kind:     by_value
      - .address_space:  global
        .offset:         464
        .size:           8
        .value_kind:     global_buffer
      - .address_space:  global
        .offset:         472
        .size:           8
        .value_kind:     global_buffer
      - .offset:         480
        .size:           4
        .value_kind:     hidden_block_count_x
      - .offset:         484
        .size:           4
        .value_kind:     hidden_block_count_y
      - .offset:         488
        .size:           4
        .value_kind:     hidden_block_count_z
      - .offset:         492
        .size:           2
        .value_kind:     hidden_group_size_x
      - .offset:         494
        .size:           2
        .value_kind:     hidden_group_size_y
      - .offset:         496
        .size:           2
        .value_kind:     hidden_group_size_z
      - .offset:         498
        .size:           2
        .value_kind:     hidden_remainder_x
      - .offset:         500
        .size:           2
        .value_kind:     hidden_remainder_y
      - .offset:         502
        .size:           2
        .value_kind:     hidden_remainder_z
      - .offset:         520
        .size:           8
        .value_kind:     hidden_global_offset_x
      - .offset:         528
        .size:           8
        .value_kind:     hidden_global_offset_y
      - .offset:         536
        .size:           8
        .value_kind:     hidden_global_offset_z
      - .offset:         544
        .size:           2
        .value_kind:     hidden_grid_dims
    .group_segment_fixed_size: 1024
    .kernarg_segment_align: 8
    .kernarg_segment_size: 736
    .language:       OpenCL C
    .language_version:
      - 2
      - 0
    .max_flat_workgroup_size: 256
    .name:           _ZN2at6native6mbtopk23computeBlockDigitCountsIN3c108BFloat16EmjLin1EEEvNS_4cuda6detail10TensorInfoIKT_T0_EEjPjjSA_iijT1_PSD_Ps
    .private_segment_fixed_size: 0
    .sgpr_count:     30
    .sgpr_spill_count: 0
    .symbol:         _ZN2at6native6mbtopk23computeBlockDigitCountsIN3c108BFloat16EmjLin1EEEvNS_4cuda6detail10TensorInfoIKT_T0_EEjPjjSA_iijT1_PSD_Ps.kd
    .uniform_work_group_size: 1
    .uses_dynamic_stack: false
    .vgpr_count:     10
    .vgpr_spill_count: 0
    .wavefront_size: 32
    .workgroup_processor_mode: 1
  - .args:
      - .offset:         0
        .size:           416
        .value_kind:     by_value
      - .offset:         416
        .size:           8
        .value_kind:     by_value
      - .offset:         424
        .size:           8
        .value_kind:     by_value
      - .offset:         432
        .size:           1
        .value_kind:     by_value
      - .offset:         436
        .size:           4
        .value_kind:     by_value
      - .offset:         440
        .size:           8
        .value_kind:     by_value
      - .offset:         448
        .size:           416
        .value_kind:     by_value
      - .offset:         864
        .size:           8
        .value_kind:     by_value
      - .offset:         872
        .size:           416
        .value_kind:     by_value
      - .offset:         1288
        .size:           8
        .value_kind:     by_value
      - .offset:         1296
        .size:           4
        .value_kind:     by_value
      - .offset:         1300
        .size:           4
        .value_kind:     by_value
      - .address_space:  global
        .offset:         1304
        .size:           8
        .value_kind:     global_buffer
      - .address_space:  global
        .offset:         1312
        .size:           8
        .value_kind:     global_buffer
      - .address_space:  global
        .offset:         1320
        .size:           8
        .value_kind:     global_buffer
      - .offset:         1328
        .size:           4
        .value_kind:     by_value
      - .offset:         1336
        .size:           4
        .value_kind:     hidden_block_count_x
      - .offset:         1340
        .size:           4
        .value_kind:     hidden_block_count_y
      - .offset:         1344
        .size:           4
        .value_kind:     hidden_block_count_z
      - .offset:         1348
        .size:           2
        .value_kind:     hidden_group_size_x
      - .offset:         1350
        .size:           2
        .value_kind:     hidden_group_size_y
      - .offset:         1352
        .size:           2
        .value_kind:     hidden_group_size_z
      - .offset:         1354
        .size:           2
        .value_kind:     hidden_remainder_x
      - .offset:         1356
        .size:           2
        .value_kind:     hidden_remainder_y
      - .offset:         1358
        .size:           2
        .value_kind:     hidden_remainder_z
      - .offset:         1376
        .size:           8
        .value_kind:     hidden_global_offset_x
      - .offset:         1384
        .size:           8
        .value_kind:     hidden_global_offset_y
      - .offset:         1392
        .size:           8
        .value_kind:     hidden_global_offset_z
      - .offset:         1400
        .size:           2
        .value_kind:     hidden_grid_dims
    .group_segment_fixed_size: 1068
    .kernarg_segment_align: 8
    .kernarg_segment_size: 1592
    .language:       OpenCL C
    .language_version:
      - 2
      - 0
    .max_flat_workgroup_size: 256
    .name:           _ZN2at6native6mbtopk10gatherTopKIN3c108BFloat16EmLin1EEEvNS_4cuda6detail10TensorInfoIKT_T0_EESA_SA_bjSA_NS7_IS8_SA_EESA_NS7_IlSA_EESA_jjPS8_PjSF_j
    .private_segment_fixed_size: 0
    .sgpr_count:     56
    .sgpr_spill_count: 0
    .symbol:         _ZN2at6native6mbtopk10gatherTopKIN3c108BFloat16EmLin1EEEvNS_4cuda6detail10TensorInfoIKT_T0_EESA_SA_bjSA_NS7_IS8_SA_EESA_NS7_IlSA_EESA_jjPS8_PjSF_j.kd
    .uniform_work_group_size: 1
    .uses_dynamic_stack: false
    .vgpr_count:     25
    .vgpr_spill_count: 0
    .wavefront_size: 32
    .workgroup_processor_mode: 1
  - .args:
      - .offset:         0
        .size:           416
        .value_kind:     by_value
      - .offset:         416
        .size:           8
        .value_kind:     by_value
      - .offset:         424
        .size:           8
        .value_kind:     by_value
      - .offset:         432
        .size:           1
        .value_kind:     by_value
      - .offset:         440
        .size:           8
        .value_kind:     by_value
      - .offset:         448
        .size:           8
        .value_kind:     by_value
      - .offset:         456
        .size:           416
        .value_kind:     by_value
      - .offset:         872
        .size:           8
        .value_kind:     by_value
      - .offset:         880
        .size:           416
        .value_kind:     by_value
      - .offset:         1296
        .size:           8
        .value_kind:     by_value
      - .address_space:  global
        .offset:         1304
        .size:           8
        .value_kind:     global_buffer
      - .offset:         1312
        .size:           4
        .value_kind:     hidden_block_count_x
      - .offset:         1316
        .size:           4
        .value_kind:     hidden_block_count_y
      - .offset:         1320
        .size:           4
        .value_kind:     hidden_block_count_z
      - .offset:         1324
        .size:           2
        .value_kind:     hidden_group_size_x
      - .offset:         1326
        .size:           2
        .value_kind:     hidden_group_size_y
      - .offset:         1328
        .size:           2
        .value_kind:     hidden_group_size_z
      - .offset:         1330
        .size:           2
        .value_kind:     hidden_remainder_x
      - .offset:         1332
        .size:           2
        .value_kind:     hidden_remainder_y
      - .offset:         1334
        .size:           2
        .value_kind:     hidden_remainder_z
      - .offset:         1352
        .size:           8
        .value_kind:     hidden_global_offset_x
      - .offset:         1360
        .size:           8
        .value_kind:     hidden_global_offset_y
      - .offset:         1368
        .size:           8
        .value_kind:     hidden_global_offset_z
      - .offset:         1376
        .size:           2
        .value_kind:     hidden_grid_dims
    .group_segment_fixed_size: 5152
    .kernarg_segment_align: 8
    .kernarg_segment_size: 1568
    .language:       OpenCL C
    .language_version:
      - 2
      - 0
    .max_flat_workgroup_size: 1024
    .name:           _ZN2at6native6sbtopk10gatherTopKIN3c108BFloat16EmLin1ELb0EEEvNS_4cuda6detail10TensorInfoIKT_T0_EESA_SA_bSA_SA_NS7_IS8_SA_EESA_NS7_IlSA_EESA_PS8_
    .private_segment_fixed_size: 0
    .sgpr_count:     107
    .sgpr_spill_count: 18
    .symbol:         _ZN2at6native6sbtopk10gatherTopKIN3c108BFloat16EmLin1ELb0EEEvNS_4cuda6detail10TensorInfoIKT_T0_EESA_SA_bSA_SA_NS7_IS8_SA_EESA_NS7_IlSA_EESA_PS8_.kd
    .uniform_work_group_size: 1
    .uses_dynamic_stack: false
    .vgpr_count:     54
    .vgpr_spill_count: 0
    .wavefront_size: 32
    .workgroup_processor_mode: 1
amdhsa.target:   amdgcn-amd-amdhsa--gfx1030
amdhsa.version:
  - 1
  - 2
...

	.end_amdgpu_metadata
